;; amdgpu-corpus repo=pytorch/pytorch kind=compiled arch=gfx1100 opt=O3
	.text
	.amdgcn_target "amdgcn-amd-amdhsa--gfx1100"
	.amdhsa_code_object_version 6
	.section	.text._ZN2at6native12_GLOBAL__N_116write_fill_valueEPlS2_ll,"axG",@progbits,_ZN2at6native12_GLOBAL__N_116write_fill_valueEPlS2_ll,comdat
	.globl	_ZN2at6native12_GLOBAL__N_116write_fill_valueEPlS2_ll ; -- Begin function _ZN2at6native12_GLOBAL__N_116write_fill_valueEPlS2_ll
	.p2align	8
	.type	_ZN2at6native12_GLOBAL__N_116write_fill_valueEPlS2_ll,@function
_ZN2at6native12_GLOBAL__N_116write_fill_valueEPlS2_ll: ; @_ZN2at6native12_GLOBAL__N_116write_fill_valueEPlS2_ll
; %bb.0:
	s_load_b256 s[4:11], s[0:1], 0x0
	s_waitcnt lgkmcnt(0)
	s_load_b64 s[2:3], s[6:7], 0x0
	s_load_b32 s6, s[0:1], 0x2c
	s_add_u32 s0, s0, 32
	s_addc_u32 s1, s1, 0
	s_waitcnt lgkmcnt(0)
	v_add_co_u32 v2, s2, s2, v0
	s_delay_alu instid0(VALU_DEP_1) | instskip(SKIP_2) | instid1(VALU_DEP_1)
	v_add_co_ci_u32_e64 v3, null, s3, 0, s2
	s_and_b32 s2, s6, 0xffff
	s_mov_b32 s3, exec_lo
	v_mad_u64_u32 v[0:1], null, s2, s15, v[2:3]
	s_delay_alu instid0(VALU_DEP_1)
	v_cmpx_gt_i64_e64 s[10:11], v[0:1]
	s_cbranch_execz .LBB0_3
; %bb.1:
	s_load_b32 s0, s[0:1], 0x0
	v_lshlrev_b64 v[4:5], 3, v[0:1]
	v_dual_mov_b32 v2, s8 :: v_dual_mov_b32 v3, s9
	s_mov_b32 s3, 0
	s_delay_alu instid0(VALU_DEP_2) | instskip(NEXT) | instid1(VALU_DEP_3)
	v_add_co_u32 v4, vcc_lo, s4, v4
	v_add_co_ci_u32_e32 v5, vcc_lo, s5, v5, vcc_lo
	s_waitcnt lgkmcnt(0)
	s_mul_i32 s2, s0, s2
	s_delay_alu instid0(SALU_CYCLE_1)
	s_lshl_b64 s[4:5], s[2:3], 3
.LBB0_2:                                ; =>This Inner Loop Header: Depth=1
	v_add_co_u32 v0, vcc_lo, v0, s2
	v_add_co_ci_u32_e32 v1, vcc_lo, 0, v1, vcc_lo
	global_store_b64 v[4:5], v[2:3], off
	v_add_co_u32 v4, s0, v4, s4
	v_cmp_le_i64_e32 vcc_lo, s[10:11], v[0:1]
	v_add_co_ci_u32_e64 v5, s0, s5, v5, s0
	s_or_b32 s3, vcc_lo, s3
	s_delay_alu instid0(SALU_CYCLE_1)
	s_and_not1_b32 exec_lo, exec_lo, s3
	s_cbranch_execnz .LBB0_2
.LBB0_3:
	s_nop 0
	s_sendmsg sendmsg(MSG_DEALLOC_VGPRS)
	s_endpgm
	.section	.rodata,"a",@progbits
	.p2align	6, 0x0
	.amdhsa_kernel _ZN2at6native12_GLOBAL__N_116write_fill_valueEPlS2_ll
		.amdhsa_group_segment_fixed_size 0
		.amdhsa_private_segment_fixed_size 0
		.amdhsa_kernarg_size 288
		.amdhsa_user_sgpr_count 15
		.amdhsa_user_sgpr_dispatch_ptr 0
		.amdhsa_user_sgpr_queue_ptr 0
		.amdhsa_user_sgpr_kernarg_segment_ptr 1
		.amdhsa_user_sgpr_dispatch_id 0
		.amdhsa_user_sgpr_private_segment_size 0
		.amdhsa_wavefront_size32 1
		.amdhsa_uses_dynamic_stack 0
		.amdhsa_enable_private_segment 0
		.amdhsa_system_sgpr_workgroup_id_x 1
		.amdhsa_system_sgpr_workgroup_id_y 0
		.amdhsa_system_sgpr_workgroup_id_z 0
		.amdhsa_system_sgpr_workgroup_info 0
		.amdhsa_system_vgpr_workitem_id 0
		.amdhsa_next_free_vgpr 6
		.amdhsa_next_free_sgpr 16
		.amdhsa_reserve_vcc 1
		.amdhsa_float_round_mode_32 0
		.amdhsa_float_round_mode_16_64 0
		.amdhsa_float_denorm_mode_32 3
		.amdhsa_float_denorm_mode_16_64 3
		.amdhsa_dx10_clamp 1
		.amdhsa_ieee_mode 1
		.amdhsa_fp16_overflow 0
		.amdhsa_workgroup_processor_mode 1
		.amdhsa_memory_ordered 1
		.amdhsa_forward_progress 0
		.amdhsa_shared_vgpr_count 0
		.amdhsa_exception_fp_ieee_invalid_op 0
		.amdhsa_exception_fp_denorm_src 0
		.amdhsa_exception_fp_ieee_div_zero 0
		.amdhsa_exception_fp_ieee_overflow 0
		.amdhsa_exception_fp_ieee_underflow 0
		.amdhsa_exception_fp_ieee_inexact 0
		.amdhsa_exception_int_div_zero 0
	.end_amdhsa_kernel
	.section	.text._ZN2at6native12_GLOBAL__N_116write_fill_valueEPlS2_ll,"axG",@progbits,_ZN2at6native12_GLOBAL__N_116write_fill_valueEPlS2_ll,comdat
.Lfunc_end0:
	.size	_ZN2at6native12_GLOBAL__N_116write_fill_valueEPlS2_ll, .Lfunc_end0-_ZN2at6native12_GLOBAL__N_116write_fill_valueEPlS2_ll
                                        ; -- End function
	.section	.AMDGPU.csdata,"",@progbits
; Kernel info:
; codeLenInByte = 224
; NumSgprs: 18
; NumVgprs: 6
; ScratchSize: 0
; MemoryBound: 0
; FloatMode: 240
; IeeeMode: 1
; LDSByteSize: 0 bytes/workgroup (compile time only)
; SGPRBlocks: 2
; VGPRBlocks: 0
; NumSGPRsForWavesPerEU: 18
; NumVGPRsForWavesPerEU: 6
; Occupancy: 16
; WaveLimiterHint : 0
; COMPUTE_PGM_RSRC2:SCRATCH_EN: 0
; COMPUTE_PGM_RSRC2:USER_SGPR: 15
; COMPUTE_PGM_RSRC2:TRAP_HANDLER: 0
; COMPUTE_PGM_RSRC2:TGID_X_EN: 1
; COMPUTE_PGM_RSRC2:TGID_Y_EN: 0
; COMPUTE_PGM_RSRC2:TGID_Z_EN: 0
; COMPUTE_PGM_RSRC2:TIDIG_COMP_CNT: 0
	.section	.text._ZN7rocprim17ROCPRIM_400000_NS6detail17trampoline_kernelINS0_14default_configENS1_22reduce_config_selectorIiEEZNS1_11reduce_implILb1ES3_PiS7_iN6hipcub16HIPCUB_304000_NS6detail34convert_binary_result_type_wrapperINS9_3SumENS9_22TransformInputIteratorIbN2at6native12_GLOBAL__N_19NonZeroOpIhEEPKhlEEiEEEE10hipError_tPvRmT1_T2_T3_mT4_P12ihipStream_tbEUlT_E0_NS1_11comp_targetILNS1_3genE0ELNS1_11target_archE4294967295ELNS1_3gpuE0ELNS1_3repE0EEENS1_30default_config_static_selectorELNS0_4arch9wavefront6targetE0EEEvSQ_,"axG",@progbits,_ZN7rocprim17ROCPRIM_400000_NS6detail17trampoline_kernelINS0_14default_configENS1_22reduce_config_selectorIiEEZNS1_11reduce_implILb1ES3_PiS7_iN6hipcub16HIPCUB_304000_NS6detail34convert_binary_result_type_wrapperINS9_3SumENS9_22TransformInputIteratorIbN2at6native12_GLOBAL__N_19NonZeroOpIhEEPKhlEEiEEEE10hipError_tPvRmT1_T2_T3_mT4_P12ihipStream_tbEUlT_E0_NS1_11comp_targetILNS1_3genE0ELNS1_11target_archE4294967295ELNS1_3gpuE0ELNS1_3repE0EEENS1_30default_config_static_selectorELNS0_4arch9wavefront6targetE0EEEvSQ_,comdat
	.globl	_ZN7rocprim17ROCPRIM_400000_NS6detail17trampoline_kernelINS0_14default_configENS1_22reduce_config_selectorIiEEZNS1_11reduce_implILb1ES3_PiS7_iN6hipcub16HIPCUB_304000_NS6detail34convert_binary_result_type_wrapperINS9_3SumENS9_22TransformInputIteratorIbN2at6native12_GLOBAL__N_19NonZeroOpIhEEPKhlEEiEEEE10hipError_tPvRmT1_T2_T3_mT4_P12ihipStream_tbEUlT_E0_NS1_11comp_targetILNS1_3genE0ELNS1_11target_archE4294967295ELNS1_3gpuE0ELNS1_3repE0EEENS1_30default_config_static_selectorELNS0_4arch9wavefront6targetE0EEEvSQ_ ; -- Begin function _ZN7rocprim17ROCPRIM_400000_NS6detail17trampoline_kernelINS0_14default_configENS1_22reduce_config_selectorIiEEZNS1_11reduce_implILb1ES3_PiS7_iN6hipcub16HIPCUB_304000_NS6detail34convert_binary_result_type_wrapperINS9_3SumENS9_22TransformInputIteratorIbN2at6native12_GLOBAL__N_19NonZeroOpIhEEPKhlEEiEEEE10hipError_tPvRmT1_T2_T3_mT4_P12ihipStream_tbEUlT_E0_NS1_11comp_targetILNS1_3genE0ELNS1_11target_archE4294967295ELNS1_3gpuE0ELNS1_3repE0EEENS1_30default_config_static_selectorELNS0_4arch9wavefront6targetE0EEEvSQ_
	.p2align	8
	.type	_ZN7rocprim17ROCPRIM_400000_NS6detail17trampoline_kernelINS0_14default_configENS1_22reduce_config_selectorIiEEZNS1_11reduce_implILb1ES3_PiS7_iN6hipcub16HIPCUB_304000_NS6detail34convert_binary_result_type_wrapperINS9_3SumENS9_22TransformInputIteratorIbN2at6native12_GLOBAL__N_19NonZeroOpIhEEPKhlEEiEEEE10hipError_tPvRmT1_T2_T3_mT4_P12ihipStream_tbEUlT_E0_NS1_11comp_targetILNS1_3genE0ELNS1_11target_archE4294967295ELNS1_3gpuE0ELNS1_3repE0EEENS1_30default_config_static_selectorELNS0_4arch9wavefront6targetE0EEEvSQ_,@function
_ZN7rocprim17ROCPRIM_400000_NS6detail17trampoline_kernelINS0_14default_configENS1_22reduce_config_selectorIiEEZNS1_11reduce_implILb1ES3_PiS7_iN6hipcub16HIPCUB_304000_NS6detail34convert_binary_result_type_wrapperINS9_3SumENS9_22TransformInputIteratorIbN2at6native12_GLOBAL__N_19NonZeroOpIhEEPKhlEEiEEEE10hipError_tPvRmT1_T2_T3_mT4_P12ihipStream_tbEUlT_E0_NS1_11comp_targetILNS1_3genE0ELNS1_11target_archE4294967295ELNS1_3gpuE0ELNS1_3repE0EEENS1_30default_config_static_selectorELNS0_4arch9wavefront6targetE0EEEvSQ_: ; @_ZN7rocprim17ROCPRIM_400000_NS6detail17trampoline_kernelINS0_14default_configENS1_22reduce_config_selectorIiEEZNS1_11reduce_implILb1ES3_PiS7_iN6hipcub16HIPCUB_304000_NS6detail34convert_binary_result_type_wrapperINS9_3SumENS9_22TransformInputIteratorIbN2at6native12_GLOBAL__N_19NonZeroOpIhEEPKhlEEiEEEE10hipError_tPvRmT1_T2_T3_mT4_P12ihipStream_tbEUlT_E0_NS1_11comp_targetILNS1_3genE0ELNS1_11target_archE4294967295ELNS1_3gpuE0ELNS1_3repE0EEENS1_30default_config_static_selectorELNS0_4arch9wavefront6targetE0EEEvSQ_
; %bb.0:
	.section	.rodata,"a",@progbits
	.p2align	6, 0x0
	.amdhsa_kernel _ZN7rocprim17ROCPRIM_400000_NS6detail17trampoline_kernelINS0_14default_configENS1_22reduce_config_selectorIiEEZNS1_11reduce_implILb1ES3_PiS7_iN6hipcub16HIPCUB_304000_NS6detail34convert_binary_result_type_wrapperINS9_3SumENS9_22TransformInputIteratorIbN2at6native12_GLOBAL__N_19NonZeroOpIhEEPKhlEEiEEEE10hipError_tPvRmT1_T2_T3_mT4_P12ihipStream_tbEUlT_E0_NS1_11comp_targetILNS1_3genE0ELNS1_11target_archE4294967295ELNS1_3gpuE0ELNS1_3repE0EEENS1_30default_config_static_selectorELNS0_4arch9wavefront6targetE0EEEvSQ_
		.amdhsa_group_segment_fixed_size 0
		.amdhsa_private_segment_fixed_size 0
		.amdhsa_kernarg_size 56
		.amdhsa_user_sgpr_count 15
		.amdhsa_user_sgpr_dispatch_ptr 0
		.amdhsa_user_sgpr_queue_ptr 0
		.amdhsa_user_sgpr_kernarg_segment_ptr 1
		.amdhsa_user_sgpr_dispatch_id 0
		.amdhsa_user_sgpr_private_segment_size 0
		.amdhsa_wavefront_size32 1
		.amdhsa_uses_dynamic_stack 0
		.amdhsa_enable_private_segment 0
		.amdhsa_system_sgpr_workgroup_id_x 1
		.amdhsa_system_sgpr_workgroup_id_y 0
		.amdhsa_system_sgpr_workgroup_id_z 0
		.amdhsa_system_sgpr_workgroup_info 0
		.amdhsa_system_vgpr_workitem_id 0
		.amdhsa_next_free_vgpr 1
		.amdhsa_next_free_sgpr 1
		.amdhsa_reserve_vcc 0
		.amdhsa_float_round_mode_32 0
		.amdhsa_float_round_mode_16_64 0
		.amdhsa_float_denorm_mode_32 3
		.amdhsa_float_denorm_mode_16_64 3
		.amdhsa_dx10_clamp 1
		.amdhsa_ieee_mode 1
		.amdhsa_fp16_overflow 0
		.amdhsa_workgroup_processor_mode 1
		.amdhsa_memory_ordered 1
		.amdhsa_forward_progress 0
		.amdhsa_shared_vgpr_count 0
		.amdhsa_exception_fp_ieee_invalid_op 0
		.amdhsa_exception_fp_denorm_src 0
		.amdhsa_exception_fp_ieee_div_zero 0
		.amdhsa_exception_fp_ieee_overflow 0
		.amdhsa_exception_fp_ieee_underflow 0
		.amdhsa_exception_fp_ieee_inexact 0
		.amdhsa_exception_int_div_zero 0
	.end_amdhsa_kernel
	.section	.text._ZN7rocprim17ROCPRIM_400000_NS6detail17trampoline_kernelINS0_14default_configENS1_22reduce_config_selectorIiEEZNS1_11reduce_implILb1ES3_PiS7_iN6hipcub16HIPCUB_304000_NS6detail34convert_binary_result_type_wrapperINS9_3SumENS9_22TransformInputIteratorIbN2at6native12_GLOBAL__N_19NonZeroOpIhEEPKhlEEiEEEE10hipError_tPvRmT1_T2_T3_mT4_P12ihipStream_tbEUlT_E0_NS1_11comp_targetILNS1_3genE0ELNS1_11target_archE4294967295ELNS1_3gpuE0ELNS1_3repE0EEENS1_30default_config_static_selectorELNS0_4arch9wavefront6targetE0EEEvSQ_,"axG",@progbits,_ZN7rocprim17ROCPRIM_400000_NS6detail17trampoline_kernelINS0_14default_configENS1_22reduce_config_selectorIiEEZNS1_11reduce_implILb1ES3_PiS7_iN6hipcub16HIPCUB_304000_NS6detail34convert_binary_result_type_wrapperINS9_3SumENS9_22TransformInputIteratorIbN2at6native12_GLOBAL__N_19NonZeroOpIhEEPKhlEEiEEEE10hipError_tPvRmT1_T2_T3_mT4_P12ihipStream_tbEUlT_E0_NS1_11comp_targetILNS1_3genE0ELNS1_11target_archE4294967295ELNS1_3gpuE0ELNS1_3repE0EEENS1_30default_config_static_selectorELNS0_4arch9wavefront6targetE0EEEvSQ_,comdat
.Lfunc_end1:
	.size	_ZN7rocprim17ROCPRIM_400000_NS6detail17trampoline_kernelINS0_14default_configENS1_22reduce_config_selectorIiEEZNS1_11reduce_implILb1ES3_PiS7_iN6hipcub16HIPCUB_304000_NS6detail34convert_binary_result_type_wrapperINS9_3SumENS9_22TransformInputIteratorIbN2at6native12_GLOBAL__N_19NonZeroOpIhEEPKhlEEiEEEE10hipError_tPvRmT1_T2_T3_mT4_P12ihipStream_tbEUlT_E0_NS1_11comp_targetILNS1_3genE0ELNS1_11target_archE4294967295ELNS1_3gpuE0ELNS1_3repE0EEENS1_30default_config_static_selectorELNS0_4arch9wavefront6targetE0EEEvSQ_, .Lfunc_end1-_ZN7rocprim17ROCPRIM_400000_NS6detail17trampoline_kernelINS0_14default_configENS1_22reduce_config_selectorIiEEZNS1_11reduce_implILb1ES3_PiS7_iN6hipcub16HIPCUB_304000_NS6detail34convert_binary_result_type_wrapperINS9_3SumENS9_22TransformInputIteratorIbN2at6native12_GLOBAL__N_19NonZeroOpIhEEPKhlEEiEEEE10hipError_tPvRmT1_T2_T3_mT4_P12ihipStream_tbEUlT_E0_NS1_11comp_targetILNS1_3genE0ELNS1_11target_archE4294967295ELNS1_3gpuE0ELNS1_3repE0EEENS1_30default_config_static_selectorELNS0_4arch9wavefront6targetE0EEEvSQ_
                                        ; -- End function
	.section	.AMDGPU.csdata,"",@progbits
; Kernel info:
; codeLenInByte = 0
; NumSgprs: 0
; NumVgprs: 0
; ScratchSize: 0
; MemoryBound: 0
; FloatMode: 240
; IeeeMode: 1
; LDSByteSize: 0 bytes/workgroup (compile time only)
; SGPRBlocks: 0
; VGPRBlocks: 0
; NumSGPRsForWavesPerEU: 1
; NumVGPRsForWavesPerEU: 1
; Occupancy: 16
; WaveLimiterHint : 0
; COMPUTE_PGM_RSRC2:SCRATCH_EN: 0
; COMPUTE_PGM_RSRC2:USER_SGPR: 15
; COMPUTE_PGM_RSRC2:TRAP_HANDLER: 0
; COMPUTE_PGM_RSRC2:TGID_X_EN: 1
; COMPUTE_PGM_RSRC2:TGID_Y_EN: 0
; COMPUTE_PGM_RSRC2:TGID_Z_EN: 0
; COMPUTE_PGM_RSRC2:TIDIG_COMP_CNT: 0
	.section	.text._ZN7rocprim17ROCPRIM_400000_NS6detail17trampoline_kernelINS0_14default_configENS1_22reduce_config_selectorIiEEZNS1_11reduce_implILb1ES3_PiS7_iN6hipcub16HIPCUB_304000_NS6detail34convert_binary_result_type_wrapperINS9_3SumENS9_22TransformInputIteratorIbN2at6native12_GLOBAL__N_19NonZeroOpIhEEPKhlEEiEEEE10hipError_tPvRmT1_T2_T3_mT4_P12ihipStream_tbEUlT_E0_NS1_11comp_targetILNS1_3genE5ELNS1_11target_archE942ELNS1_3gpuE9ELNS1_3repE0EEENS1_30default_config_static_selectorELNS0_4arch9wavefront6targetE0EEEvSQ_,"axG",@progbits,_ZN7rocprim17ROCPRIM_400000_NS6detail17trampoline_kernelINS0_14default_configENS1_22reduce_config_selectorIiEEZNS1_11reduce_implILb1ES3_PiS7_iN6hipcub16HIPCUB_304000_NS6detail34convert_binary_result_type_wrapperINS9_3SumENS9_22TransformInputIteratorIbN2at6native12_GLOBAL__N_19NonZeroOpIhEEPKhlEEiEEEE10hipError_tPvRmT1_T2_T3_mT4_P12ihipStream_tbEUlT_E0_NS1_11comp_targetILNS1_3genE5ELNS1_11target_archE942ELNS1_3gpuE9ELNS1_3repE0EEENS1_30default_config_static_selectorELNS0_4arch9wavefront6targetE0EEEvSQ_,comdat
	.globl	_ZN7rocprim17ROCPRIM_400000_NS6detail17trampoline_kernelINS0_14default_configENS1_22reduce_config_selectorIiEEZNS1_11reduce_implILb1ES3_PiS7_iN6hipcub16HIPCUB_304000_NS6detail34convert_binary_result_type_wrapperINS9_3SumENS9_22TransformInputIteratorIbN2at6native12_GLOBAL__N_19NonZeroOpIhEEPKhlEEiEEEE10hipError_tPvRmT1_T2_T3_mT4_P12ihipStream_tbEUlT_E0_NS1_11comp_targetILNS1_3genE5ELNS1_11target_archE942ELNS1_3gpuE9ELNS1_3repE0EEENS1_30default_config_static_selectorELNS0_4arch9wavefront6targetE0EEEvSQ_ ; -- Begin function _ZN7rocprim17ROCPRIM_400000_NS6detail17trampoline_kernelINS0_14default_configENS1_22reduce_config_selectorIiEEZNS1_11reduce_implILb1ES3_PiS7_iN6hipcub16HIPCUB_304000_NS6detail34convert_binary_result_type_wrapperINS9_3SumENS9_22TransformInputIteratorIbN2at6native12_GLOBAL__N_19NonZeroOpIhEEPKhlEEiEEEE10hipError_tPvRmT1_T2_T3_mT4_P12ihipStream_tbEUlT_E0_NS1_11comp_targetILNS1_3genE5ELNS1_11target_archE942ELNS1_3gpuE9ELNS1_3repE0EEENS1_30default_config_static_selectorELNS0_4arch9wavefront6targetE0EEEvSQ_
	.p2align	8
	.type	_ZN7rocprim17ROCPRIM_400000_NS6detail17trampoline_kernelINS0_14default_configENS1_22reduce_config_selectorIiEEZNS1_11reduce_implILb1ES3_PiS7_iN6hipcub16HIPCUB_304000_NS6detail34convert_binary_result_type_wrapperINS9_3SumENS9_22TransformInputIteratorIbN2at6native12_GLOBAL__N_19NonZeroOpIhEEPKhlEEiEEEE10hipError_tPvRmT1_T2_T3_mT4_P12ihipStream_tbEUlT_E0_NS1_11comp_targetILNS1_3genE5ELNS1_11target_archE942ELNS1_3gpuE9ELNS1_3repE0EEENS1_30default_config_static_selectorELNS0_4arch9wavefront6targetE0EEEvSQ_,@function
_ZN7rocprim17ROCPRIM_400000_NS6detail17trampoline_kernelINS0_14default_configENS1_22reduce_config_selectorIiEEZNS1_11reduce_implILb1ES3_PiS7_iN6hipcub16HIPCUB_304000_NS6detail34convert_binary_result_type_wrapperINS9_3SumENS9_22TransformInputIteratorIbN2at6native12_GLOBAL__N_19NonZeroOpIhEEPKhlEEiEEEE10hipError_tPvRmT1_T2_T3_mT4_P12ihipStream_tbEUlT_E0_NS1_11comp_targetILNS1_3genE5ELNS1_11target_archE942ELNS1_3gpuE9ELNS1_3repE0EEENS1_30default_config_static_selectorELNS0_4arch9wavefront6targetE0EEEvSQ_: ; @_ZN7rocprim17ROCPRIM_400000_NS6detail17trampoline_kernelINS0_14default_configENS1_22reduce_config_selectorIiEEZNS1_11reduce_implILb1ES3_PiS7_iN6hipcub16HIPCUB_304000_NS6detail34convert_binary_result_type_wrapperINS9_3SumENS9_22TransformInputIteratorIbN2at6native12_GLOBAL__N_19NonZeroOpIhEEPKhlEEiEEEE10hipError_tPvRmT1_T2_T3_mT4_P12ihipStream_tbEUlT_E0_NS1_11comp_targetILNS1_3genE5ELNS1_11target_archE942ELNS1_3gpuE9ELNS1_3repE0EEENS1_30default_config_static_selectorELNS0_4arch9wavefront6targetE0EEEvSQ_
; %bb.0:
	.section	.rodata,"a",@progbits
	.p2align	6, 0x0
	.amdhsa_kernel _ZN7rocprim17ROCPRIM_400000_NS6detail17trampoline_kernelINS0_14default_configENS1_22reduce_config_selectorIiEEZNS1_11reduce_implILb1ES3_PiS7_iN6hipcub16HIPCUB_304000_NS6detail34convert_binary_result_type_wrapperINS9_3SumENS9_22TransformInputIteratorIbN2at6native12_GLOBAL__N_19NonZeroOpIhEEPKhlEEiEEEE10hipError_tPvRmT1_T2_T3_mT4_P12ihipStream_tbEUlT_E0_NS1_11comp_targetILNS1_3genE5ELNS1_11target_archE942ELNS1_3gpuE9ELNS1_3repE0EEENS1_30default_config_static_selectorELNS0_4arch9wavefront6targetE0EEEvSQ_
		.amdhsa_group_segment_fixed_size 0
		.amdhsa_private_segment_fixed_size 0
		.amdhsa_kernarg_size 56
		.amdhsa_user_sgpr_count 15
		.amdhsa_user_sgpr_dispatch_ptr 0
		.amdhsa_user_sgpr_queue_ptr 0
		.amdhsa_user_sgpr_kernarg_segment_ptr 1
		.amdhsa_user_sgpr_dispatch_id 0
		.amdhsa_user_sgpr_private_segment_size 0
		.amdhsa_wavefront_size32 1
		.amdhsa_uses_dynamic_stack 0
		.amdhsa_enable_private_segment 0
		.amdhsa_system_sgpr_workgroup_id_x 1
		.amdhsa_system_sgpr_workgroup_id_y 0
		.amdhsa_system_sgpr_workgroup_id_z 0
		.amdhsa_system_sgpr_workgroup_info 0
		.amdhsa_system_vgpr_workitem_id 0
		.amdhsa_next_free_vgpr 1
		.amdhsa_next_free_sgpr 1
		.amdhsa_reserve_vcc 0
		.amdhsa_float_round_mode_32 0
		.amdhsa_float_round_mode_16_64 0
		.amdhsa_float_denorm_mode_32 3
		.amdhsa_float_denorm_mode_16_64 3
		.amdhsa_dx10_clamp 1
		.amdhsa_ieee_mode 1
		.amdhsa_fp16_overflow 0
		.amdhsa_workgroup_processor_mode 1
		.amdhsa_memory_ordered 1
		.amdhsa_forward_progress 0
		.amdhsa_shared_vgpr_count 0
		.amdhsa_exception_fp_ieee_invalid_op 0
		.amdhsa_exception_fp_denorm_src 0
		.amdhsa_exception_fp_ieee_div_zero 0
		.amdhsa_exception_fp_ieee_overflow 0
		.amdhsa_exception_fp_ieee_underflow 0
		.amdhsa_exception_fp_ieee_inexact 0
		.amdhsa_exception_int_div_zero 0
	.end_amdhsa_kernel
	.section	.text._ZN7rocprim17ROCPRIM_400000_NS6detail17trampoline_kernelINS0_14default_configENS1_22reduce_config_selectorIiEEZNS1_11reduce_implILb1ES3_PiS7_iN6hipcub16HIPCUB_304000_NS6detail34convert_binary_result_type_wrapperINS9_3SumENS9_22TransformInputIteratorIbN2at6native12_GLOBAL__N_19NonZeroOpIhEEPKhlEEiEEEE10hipError_tPvRmT1_T2_T3_mT4_P12ihipStream_tbEUlT_E0_NS1_11comp_targetILNS1_3genE5ELNS1_11target_archE942ELNS1_3gpuE9ELNS1_3repE0EEENS1_30default_config_static_selectorELNS0_4arch9wavefront6targetE0EEEvSQ_,"axG",@progbits,_ZN7rocprim17ROCPRIM_400000_NS6detail17trampoline_kernelINS0_14default_configENS1_22reduce_config_selectorIiEEZNS1_11reduce_implILb1ES3_PiS7_iN6hipcub16HIPCUB_304000_NS6detail34convert_binary_result_type_wrapperINS9_3SumENS9_22TransformInputIteratorIbN2at6native12_GLOBAL__N_19NonZeroOpIhEEPKhlEEiEEEE10hipError_tPvRmT1_T2_T3_mT4_P12ihipStream_tbEUlT_E0_NS1_11comp_targetILNS1_3genE5ELNS1_11target_archE942ELNS1_3gpuE9ELNS1_3repE0EEENS1_30default_config_static_selectorELNS0_4arch9wavefront6targetE0EEEvSQ_,comdat
.Lfunc_end2:
	.size	_ZN7rocprim17ROCPRIM_400000_NS6detail17trampoline_kernelINS0_14default_configENS1_22reduce_config_selectorIiEEZNS1_11reduce_implILb1ES3_PiS7_iN6hipcub16HIPCUB_304000_NS6detail34convert_binary_result_type_wrapperINS9_3SumENS9_22TransformInputIteratorIbN2at6native12_GLOBAL__N_19NonZeroOpIhEEPKhlEEiEEEE10hipError_tPvRmT1_T2_T3_mT4_P12ihipStream_tbEUlT_E0_NS1_11comp_targetILNS1_3genE5ELNS1_11target_archE942ELNS1_3gpuE9ELNS1_3repE0EEENS1_30default_config_static_selectorELNS0_4arch9wavefront6targetE0EEEvSQ_, .Lfunc_end2-_ZN7rocprim17ROCPRIM_400000_NS6detail17trampoline_kernelINS0_14default_configENS1_22reduce_config_selectorIiEEZNS1_11reduce_implILb1ES3_PiS7_iN6hipcub16HIPCUB_304000_NS6detail34convert_binary_result_type_wrapperINS9_3SumENS9_22TransformInputIteratorIbN2at6native12_GLOBAL__N_19NonZeroOpIhEEPKhlEEiEEEE10hipError_tPvRmT1_T2_T3_mT4_P12ihipStream_tbEUlT_E0_NS1_11comp_targetILNS1_3genE5ELNS1_11target_archE942ELNS1_3gpuE9ELNS1_3repE0EEENS1_30default_config_static_selectorELNS0_4arch9wavefront6targetE0EEEvSQ_
                                        ; -- End function
	.section	.AMDGPU.csdata,"",@progbits
; Kernel info:
; codeLenInByte = 0
; NumSgprs: 0
; NumVgprs: 0
; ScratchSize: 0
; MemoryBound: 0
; FloatMode: 240
; IeeeMode: 1
; LDSByteSize: 0 bytes/workgroup (compile time only)
; SGPRBlocks: 0
; VGPRBlocks: 0
; NumSGPRsForWavesPerEU: 1
; NumVGPRsForWavesPerEU: 1
; Occupancy: 16
; WaveLimiterHint : 0
; COMPUTE_PGM_RSRC2:SCRATCH_EN: 0
; COMPUTE_PGM_RSRC2:USER_SGPR: 15
; COMPUTE_PGM_RSRC2:TRAP_HANDLER: 0
; COMPUTE_PGM_RSRC2:TGID_X_EN: 1
; COMPUTE_PGM_RSRC2:TGID_Y_EN: 0
; COMPUTE_PGM_RSRC2:TGID_Z_EN: 0
; COMPUTE_PGM_RSRC2:TIDIG_COMP_CNT: 0
	.section	.text._ZN7rocprim17ROCPRIM_400000_NS6detail17trampoline_kernelINS0_14default_configENS1_22reduce_config_selectorIiEEZNS1_11reduce_implILb1ES3_PiS7_iN6hipcub16HIPCUB_304000_NS6detail34convert_binary_result_type_wrapperINS9_3SumENS9_22TransformInputIteratorIbN2at6native12_GLOBAL__N_19NonZeroOpIhEEPKhlEEiEEEE10hipError_tPvRmT1_T2_T3_mT4_P12ihipStream_tbEUlT_E0_NS1_11comp_targetILNS1_3genE4ELNS1_11target_archE910ELNS1_3gpuE8ELNS1_3repE0EEENS1_30default_config_static_selectorELNS0_4arch9wavefront6targetE0EEEvSQ_,"axG",@progbits,_ZN7rocprim17ROCPRIM_400000_NS6detail17trampoline_kernelINS0_14default_configENS1_22reduce_config_selectorIiEEZNS1_11reduce_implILb1ES3_PiS7_iN6hipcub16HIPCUB_304000_NS6detail34convert_binary_result_type_wrapperINS9_3SumENS9_22TransformInputIteratorIbN2at6native12_GLOBAL__N_19NonZeroOpIhEEPKhlEEiEEEE10hipError_tPvRmT1_T2_T3_mT4_P12ihipStream_tbEUlT_E0_NS1_11comp_targetILNS1_3genE4ELNS1_11target_archE910ELNS1_3gpuE8ELNS1_3repE0EEENS1_30default_config_static_selectorELNS0_4arch9wavefront6targetE0EEEvSQ_,comdat
	.globl	_ZN7rocprim17ROCPRIM_400000_NS6detail17trampoline_kernelINS0_14default_configENS1_22reduce_config_selectorIiEEZNS1_11reduce_implILb1ES3_PiS7_iN6hipcub16HIPCUB_304000_NS6detail34convert_binary_result_type_wrapperINS9_3SumENS9_22TransformInputIteratorIbN2at6native12_GLOBAL__N_19NonZeroOpIhEEPKhlEEiEEEE10hipError_tPvRmT1_T2_T3_mT4_P12ihipStream_tbEUlT_E0_NS1_11comp_targetILNS1_3genE4ELNS1_11target_archE910ELNS1_3gpuE8ELNS1_3repE0EEENS1_30default_config_static_selectorELNS0_4arch9wavefront6targetE0EEEvSQ_ ; -- Begin function _ZN7rocprim17ROCPRIM_400000_NS6detail17trampoline_kernelINS0_14default_configENS1_22reduce_config_selectorIiEEZNS1_11reduce_implILb1ES3_PiS7_iN6hipcub16HIPCUB_304000_NS6detail34convert_binary_result_type_wrapperINS9_3SumENS9_22TransformInputIteratorIbN2at6native12_GLOBAL__N_19NonZeroOpIhEEPKhlEEiEEEE10hipError_tPvRmT1_T2_T3_mT4_P12ihipStream_tbEUlT_E0_NS1_11comp_targetILNS1_3genE4ELNS1_11target_archE910ELNS1_3gpuE8ELNS1_3repE0EEENS1_30default_config_static_selectorELNS0_4arch9wavefront6targetE0EEEvSQ_
	.p2align	8
	.type	_ZN7rocprim17ROCPRIM_400000_NS6detail17trampoline_kernelINS0_14default_configENS1_22reduce_config_selectorIiEEZNS1_11reduce_implILb1ES3_PiS7_iN6hipcub16HIPCUB_304000_NS6detail34convert_binary_result_type_wrapperINS9_3SumENS9_22TransformInputIteratorIbN2at6native12_GLOBAL__N_19NonZeroOpIhEEPKhlEEiEEEE10hipError_tPvRmT1_T2_T3_mT4_P12ihipStream_tbEUlT_E0_NS1_11comp_targetILNS1_3genE4ELNS1_11target_archE910ELNS1_3gpuE8ELNS1_3repE0EEENS1_30default_config_static_selectorELNS0_4arch9wavefront6targetE0EEEvSQ_,@function
_ZN7rocprim17ROCPRIM_400000_NS6detail17trampoline_kernelINS0_14default_configENS1_22reduce_config_selectorIiEEZNS1_11reduce_implILb1ES3_PiS7_iN6hipcub16HIPCUB_304000_NS6detail34convert_binary_result_type_wrapperINS9_3SumENS9_22TransformInputIteratorIbN2at6native12_GLOBAL__N_19NonZeroOpIhEEPKhlEEiEEEE10hipError_tPvRmT1_T2_T3_mT4_P12ihipStream_tbEUlT_E0_NS1_11comp_targetILNS1_3genE4ELNS1_11target_archE910ELNS1_3gpuE8ELNS1_3repE0EEENS1_30default_config_static_selectorELNS0_4arch9wavefront6targetE0EEEvSQ_: ; @_ZN7rocprim17ROCPRIM_400000_NS6detail17trampoline_kernelINS0_14default_configENS1_22reduce_config_selectorIiEEZNS1_11reduce_implILb1ES3_PiS7_iN6hipcub16HIPCUB_304000_NS6detail34convert_binary_result_type_wrapperINS9_3SumENS9_22TransformInputIteratorIbN2at6native12_GLOBAL__N_19NonZeroOpIhEEPKhlEEiEEEE10hipError_tPvRmT1_T2_T3_mT4_P12ihipStream_tbEUlT_E0_NS1_11comp_targetILNS1_3genE4ELNS1_11target_archE910ELNS1_3gpuE8ELNS1_3repE0EEENS1_30default_config_static_selectorELNS0_4arch9wavefront6targetE0EEEvSQ_
; %bb.0:
	.section	.rodata,"a",@progbits
	.p2align	6, 0x0
	.amdhsa_kernel _ZN7rocprim17ROCPRIM_400000_NS6detail17trampoline_kernelINS0_14default_configENS1_22reduce_config_selectorIiEEZNS1_11reduce_implILb1ES3_PiS7_iN6hipcub16HIPCUB_304000_NS6detail34convert_binary_result_type_wrapperINS9_3SumENS9_22TransformInputIteratorIbN2at6native12_GLOBAL__N_19NonZeroOpIhEEPKhlEEiEEEE10hipError_tPvRmT1_T2_T3_mT4_P12ihipStream_tbEUlT_E0_NS1_11comp_targetILNS1_3genE4ELNS1_11target_archE910ELNS1_3gpuE8ELNS1_3repE0EEENS1_30default_config_static_selectorELNS0_4arch9wavefront6targetE0EEEvSQ_
		.amdhsa_group_segment_fixed_size 0
		.amdhsa_private_segment_fixed_size 0
		.amdhsa_kernarg_size 56
		.amdhsa_user_sgpr_count 15
		.amdhsa_user_sgpr_dispatch_ptr 0
		.amdhsa_user_sgpr_queue_ptr 0
		.amdhsa_user_sgpr_kernarg_segment_ptr 1
		.amdhsa_user_sgpr_dispatch_id 0
		.amdhsa_user_sgpr_private_segment_size 0
		.amdhsa_wavefront_size32 1
		.amdhsa_uses_dynamic_stack 0
		.amdhsa_enable_private_segment 0
		.amdhsa_system_sgpr_workgroup_id_x 1
		.amdhsa_system_sgpr_workgroup_id_y 0
		.amdhsa_system_sgpr_workgroup_id_z 0
		.amdhsa_system_sgpr_workgroup_info 0
		.amdhsa_system_vgpr_workitem_id 0
		.amdhsa_next_free_vgpr 1
		.amdhsa_next_free_sgpr 1
		.amdhsa_reserve_vcc 0
		.amdhsa_float_round_mode_32 0
		.amdhsa_float_round_mode_16_64 0
		.amdhsa_float_denorm_mode_32 3
		.amdhsa_float_denorm_mode_16_64 3
		.amdhsa_dx10_clamp 1
		.amdhsa_ieee_mode 1
		.amdhsa_fp16_overflow 0
		.amdhsa_workgroup_processor_mode 1
		.amdhsa_memory_ordered 1
		.amdhsa_forward_progress 0
		.amdhsa_shared_vgpr_count 0
		.amdhsa_exception_fp_ieee_invalid_op 0
		.amdhsa_exception_fp_denorm_src 0
		.amdhsa_exception_fp_ieee_div_zero 0
		.amdhsa_exception_fp_ieee_overflow 0
		.amdhsa_exception_fp_ieee_underflow 0
		.amdhsa_exception_fp_ieee_inexact 0
		.amdhsa_exception_int_div_zero 0
	.end_amdhsa_kernel
	.section	.text._ZN7rocprim17ROCPRIM_400000_NS6detail17trampoline_kernelINS0_14default_configENS1_22reduce_config_selectorIiEEZNS1_11reduce_implILb1ES3_PiS7_iN6hipcub16HIPCUB_304000_NS6detail34convert_binary_result_type_wrapperINS9_3SumENS9_22TransformInputIteratorIbN2at6native12_GLOBAL__N_19NonZeroOpIhEEPKhlEEiEEEE10hipError_tPvRmT1_T2_T3_mT4_P12ihipStream_tbEUlT_E0_NS1_11comp_targetILNS1_3genE4ELNS1_11target_archE910ELNS1_3gpuE8ELNS1_3repE0EEENS1_30default_config_static_selectorELNS0_4arch9wavefront6targetE0EEEvSQ_,"axG",@progbits,_ZN7rocprim17ROCPRIM_400000_NS6detail17trampoline_kernelINS0_14default_configENS1_22reduce_config_selectorIiEEZNS1_11reduce_implILb1ES3_PiS7_iN6hipcub16HIPCUB_304000_NS6detail34convert_binary_result_type_wrapperINS9_3SumENS9_22TransformInputIteratorIbN2at6native12_GLOBAL__N_19NonZeroOpIhEEPKhlEEiEEEE10hipError_tPvRmT1_T2_T3_mT4_P12ihipStream_tbEUlT_E0_NS1_11comp_targetILNS1_3genE4ELNS1_11target_archE910ELNS1_3gpuE8ELNS1_3repE0EEENS1_30default_config_static_selectorELNS0_4arch9wavefront6targetE0EEEvSQ_,comdat
.Lfunc_end3:
	.size	_ZN7rocprim17ROCPRIM_400000_NS6detail17trampoline_kernelINS0_14default_configENS1_22reduce_config_selectorIiEEZNS1_11reduce_implILb1ES3_PiS7_iN6hipcub16HIPCUB_304000_NS6detail34convert_binary_result_type_wrapperINS9_3SumENS9_22TransformInputIteratorIbN2at6native12_GLOBAL__N_19NonZeroOpIhEEPKhlEEiEEEE10hipError_tPvRmT1_T2_T3_mT4_P12ihipStream_tbEUlT_E0_NS1_11comp_targetILNS1_3genE4ELNS1_11target_archE910ELNS1_3gpuE8ELNS1_3repE0EEENS1_30default_config_static_selectorELNS0_4arch9wavefront6targetE0EEEvSQ_, .Lfunc_end3-_ZN7rocprim17ROCPRIM_400000_NS6detail17trampoline_kernelINS0_14default_configENS1_22reduce_config_selectorIiEEZNS1_11reduce_implILb1ES3_PiS7_iN6hipcub16HIPCUB_304000_NS6detail34convert_binary_result_type_wrapperINS9_3SumENS9_22TransformInputIteratorIbN2at6native12_GLOBAL__N_19NonZeroOpIhEEPKhlEEiEEEE10hipError_tPvRmT1_T2_T3_mT4_P12ihipStream_tbEUlT_E0_NS1_11comp_targetILNS1_3genE4ELNS1_11target_archE910ELNS1_3gpuE8ELNS1_3repE0EEENS1_30default_config_static_selectorELNS0_4arch9wavefront6targetE0EEEvSQ_
                                        ; -- End function
	.section	.AMDGPU.csdata,"",@progbits
; Kernel info:
; codeLenInByte = 0
; NumSgprs: 0
; NumVgprs: 0
; ScratchSize: 0
; MemoryBound: 0
; FloatMode: 240
; IeeeMode: 1
; LDSByteSize: 0 bytes/workgroup (compile time only)
; SGPRBlocks: 0
; VGPRBlocks: 0
; NumSGPRsForWavesPerEU: 1
; NumVGPRsForWavesPerEU: 1
; Occupancy: 16
; WaveLimiterHint : 0
; COMPUTE_PGM_RSRC2:SCRATCH_EN: 0
; COMPUTE_PGM_RSRC2:USER_SGPR: 15
; COMPUTE_PGM_RSRC2:TRAP_HANDLER: 0
; COMPUTE_PGM_RSRC2:TGID_X_EN: 1
; COMPUTE_PGM_RSRC2:TGID_Y_EN: 0
; COMPUTE_PGM_RSRC2:TGID_Z_EN: 0
; COMPUTE_PGM_RSRC2:TIDIG_COMP_CNT: 0
	.section	.text._ZN7rocprim17ROCPRIM_400000_NS6detail17trampoline_kernelINS0_14default_configENS1_22reduce_config_selectorIiEEZNS1_11reduce_implILb1ES3_PiS7_iN6hipcub16HIPCUB_304000_NS6detail34convert_binary_result_type_wrapperINS9_3SumENS9_22TransformInputIteratorIbN2at6native12_GLOBAL__N_19NonZeroOpIhEEPKhlEEiEEEE10hipError_tPvRmT1_T2_T3_mT4_P12ihipStream_tbEUlT_E0_NS1_11comp_targetILNS1_3genE3ELNS1_11target_archE908ELNS1_3gpuE7ELNS1_3repE0EEENS1_30default_config_static_selectorELNS0_4arch9wavefront6targetE0EEEvSQ_,"axG",@progbits,_ZN7rocprim17ROCPRIM_400000_NS6detail17trampoline_kernelINS0_14default_configENS1_22reduce_config_selectorIiEEZNS1_11reduce_implILb1ES3_PiS7_iN6hipcub16HIPCUB_304000_NS6detail34convert_binary_result_type_wrapperINS9_3SumENS9_22TransformInputIteratorIbN2at6native12_GLOBAL__N_19NonZeroOpIhEEPKhlEEiEEEE10hipError_tPvRmT1_T2_T3_mT4_P12ihipStream_tbEUlT_E0_NS1_11comp_targetILNS1_3genE3ELNS1_11target_archE908ELNS1_3gpuE7ELNS1_3repE0EEENS1_30default_config_static_selectorELNS0_4arch9wavefront6targetE0EEEvSQ_,comdat
	.globl	_ZN7rocprim17ROCPRIM_400000_NS6detail17trampoline_kernelINS0_14default_configENS1_22reduce_config_selectorIiEEZNS1_11reduce_implILb1ES3_PiS7_iN6hipcub16HIPCUB_304000_NS6detail34convert_binary_result_type_wrapperINS9_3SumENS9_22TransformInputIteratorIbN2at6native12_GLOBAL__N_19NonZeroOpIhEEPKhlEEiEEEE10hipError_tPvRmT1_T2_T3_mT4_P12ihipStream_tbEUlT_E0_NS1_11comp_targetILNS1_3genE3ELNS1_11target_archE908ELNS1_3gpuE7ELNS1_3repE0EEENS1_30default_config_static_selectorELNS0_4arch9wavefront6targetE0EEEvSQ_ ; -- Begin function _ZN7rocprim17ROCPRIM_400000_NS6detail17trampoline_kernelINS0_14default_configENS1_22reduce_config_selectorIiEEZNS1_11reduce_implILb1ES3_PiS7_iN6hipcub16HIPCUB_304000_NS6detail34convert_binary_result_type_wrapperINS9_3SumENS9_22TransformInputIteratorIbN2at6native12_GLOBAL__N_19NonZeroOpIhEEPKhlEEiEEEE10hipError_tPvRmT1_T2_T3_mT4_P12ihipStream_tbEUlT_E0_NS1_11comp_targetILNS1_3genE3ELNS1_11target_archE908ELNS1_3gpuE7ELNS1_3repE0EEENS1_30default_config_static_selectorELNS0_4arch9wavefront6targetE0EEEvSQ_
	.p2align	8
	.type	_ZN7rocprim17ROCPRIM_400000_NS6detail17trampoline_kernelINS0_14default_configENS1_22reduce_config_selectorIiEEZNS1_11reduce_implILb1ES3_PiS7_iN6hipcub16HIPCUB_304000_NS6detail34convert_binary_result_type_wrapperINS9_3SumENS9_22TransformInputIteratorIbN2at6native12_GLOBAL__N_19NonZeroOpIhEEPKhlEEiEEEE10hipError_tPvRmT1_T2_T3_mT4_P12ihipStream_tbEUlT_E0_NS1_11comp_targetILNS1_3genE3ELNS1_11target_archE908ELNS1_3gpuE7ELNS1_3repE0EEENS1_30default_config_static_selectorELNS0_4arch9wavefront6targetE0EEEvSQ_,@function
_ZN7rocprim17ROCPRIM_400000_NS6detail17trampoline_kernelINS0_14default_configENS1_22reduce_config_selectorIiEEZNS1_11reduce_implILb1ES3_PiS7_iN6hipcub16HIPCUB_304000_NS6detail34convert_binary_result_type_wrapperINS9_3SumENS9_22TransformInputIteratorIbN2at6native12_GLOBAL__N_19NonZeroOpIhEEPKhlEEiEEEE10hipError_tPvRmT1_T2_T3_mT4_P12ihipStream_tbEUlT_E0_NS1_11comp_targetILNS1_3genE3ELNS1_11target_archE908ELNS1_3gpuE7ELNS1_3repE0EEENS1_30default_config_static_selectorELNS0_4arch9wavefront6targetE0EEEvSQ_: ; @_ZN7rocprim17ROCPRIM_400000_NS6detail17trampoline_kernelINS0_14default_configENS1_22reduce_config_selectorIiEEZNS1_11reduce_implILb1ES3_PiS7_iN6hipcub16HIPCUB_304000_NS6detail34convert_binary_result_type_wrapperINS9_3SumENS9_22TransformInputIteratorIbN2at6native12_GLOBAL__N_19NonZeroOpIhEEPKhlEEiEEEE10hipError_tPvRmT1_T2_T3_mT4_P12ihipStream_tbEUlT_E0_NS1_11comp_targetILNS1_3genE3ELNS1_11target_archE908ELNS1_3gpuE7ELNS1_3repE0EEENS1_30default_config_static_selectorELNS0_4arch9wavefront6targetE0EEEvSQ_
; %bb.0:
	.section	.rodata,"a",@progbits
	.p2align	6, 0x0
	.amdhsa_kernel _ZN7rocprim17ROCPRIM_400000_NS6detail17trampoline_kernelINS0_14default_configENS1_22reduce_config_selectorIiEEZNS1_11reduce_implILb1ES3_PiS7_iN6hipcub16HIPCUB_304000_NS6detail34convert_binary_result_type_wrapperINS9_3SumENS9_22TransformInputIteratorIbN2at6native12_GLOBAL__N_19NonZeroOpIhEEPKhlEEiEEEE10hipError_tPvRmT1_T2_T3_mT4_P12ihipStream_tbEUlT_E0_NS1_11comp_targetILNS1_3genE3ELNS1_11target_archE908ELNS1_3gpuE7ELNS1_3repE0EEENS1_30default_config_static_selectorELNS0_4arch9wavefront6targetE0EEEvSQ_
		.amdhsa_group_segment_fixed_size 0
		.amdhsa_private_segment_fixed_size 0
		.amdhsa_kernarg_size 56
		.amdhsa_user_sgpr_count 15
		.amdhsa_user_sgpr_dispatch_ptr 0
		.amdhsa_user_sgpr_queue_ptr 0
		.amdhsa_user_sgpr_kernarg_segment_ptr 1
		.amdhsa_user_sgpr_dispatch_id 0
		.amdhsa_user_sgpr_private_segment_size 0
		.amdhsa_wavefront_size32 1
		.amdhsa_uses_dynamic_stack 0
		.amdhsa_enable_private_segment 0
		.amdhsa_system_sgpr_workgroup_id_x 1
		.amdhsa_system_sgpr_workgroup_id_y 0
		.amdhsa_system_sgpr_workgroup_id_z 0
		.amdhsa_system_sgpr_workgroup_info 0
		.amdhsa_system_vgpr_workitem_id 0
		.amdhsa_next_free_vgpr 1
		.amdhsa_next_free_sgpr 1
		.amdhsa_reserve_vcc 0
		.amdhsa_float_round_mode_32 0
		.amdhsa_float_round_mode_16_64 0
		.amdhsa_float_denorm_mode_32 3
		.amdhsa_float_denorm_mode_16_64 3
		.amdhsa_dx10_clamp 1
		.amdhsa_ieee_mode 1
		.amdhsa_fp16_overflow 0
		.amdhsa_workgroup_processor_mode 1
		.amdhsa_memory_ordered 1
		.amdhsa_forward_progress 0
		.amdhsa_shared_vgpr_count 0
		.amdhsa_exception_fp_ieee_invalid_op 0
		.amdhsa_exception_fp_denorm_src 0
		.amdhsa_exception_fp_ieee_div_zero 0
		.amdhsa_exception_fp_ieee_overflow 0
		.amdhsa_exception_fp_ieee_underflow 0
		.amdhsa_exception_fp_ieee_inexact 0
		.amdhsa_exception_int_div_zero 0
	.end_amdhsa_kernel
	.section	.text._ZN7rocprim17ROCPRIM_400000_NS6detail17trampoline_kernelINS0_14default_configENS1_22reduce_config_selectorIiEEZNS1_11reduce_implILb1ES3_PiS7_iN6hipcub16HIPCUB_304000_NS6detail34convert_binary_result_type_wrapperINS9_3SumENS9_22TransformInputIteratorIbN2at6native12_GLOBAL__N_19NonZeroOpIhEEPKhlEEiEEEE10hipError_tPvRmT1_T2_T3_mT4_P12ihipStream_tbEUlT_E0_NS1_11comp_targetILNS1_3genE3ELNS1_11target_archE908ELNS1_3gpuE7ELNS1_3repE0EEENS1_30default_config_static_selectorELNS0_4arch9wavefront6targetE0EEEvSQ_,"axG",@progbits,_ZN7rocprim17ROCPRIM_400000_NS6detail17trampoline_kernelINS0_14default_configENS1_22reduce_config_selectorIiEEZNS1_11reduce_implILb1ES3_PiS7_iN6hipcub16HIPCUB_304000_NS6detail34convert_binary_result_type_wrapperINS9_3SumENS9_22TransformInputIteratorIbN2at6native12_GLOBAL__N_19NonZeroOpIhEEPKhlEEiEEEE10hipError_tPvRmT1_T2_T3_mT4_P12ihipStream_tbEUlT_E0_NS1_11comp_targetILNS1_3genE3ELNS1_11target_archE908ELNS1_3gpuE7ELNS1_3repE0EEENS1_30default_config_static_selectorELNS0_4arch9wavefront6targetE0EEEvSQ_,comdat
.Lfunc_end4:
	.size	_ZN7rocprim17ROCPRIM_400000_NS6detail17trampoline_kernelINS0_14default_configENS1_22reduce_config_selectorIiEEZNS1_11reduce_implILb1ES3_PiS7_iN6hipcub16HIPCUB_304000_NS6detail34convert_binary_result_type_wrapperINS9_3SumENS9_22TransformInputIteratorIbN2at6native12_GLOBAL__N_19NonZeroOpIhEEPKhlEEiEEEE10hipError_tPvRmT1_T2_T3_mT4_P12ihipStream_tbEUlT_E0_NS1_11comp_targetILNS1_3genE3ELNS1_11target_archE908ELNS1_3gpuE7ELNS1_3repE0EEENS1_30default_config_static_selectorELNS0_4arch9wavefront6targetE0EEEvSQ_, .Lfunc_end4-_ZN7rocprim17ROCPRIM_400000_NS6detail17trampoline_kernelINS0_14default_configENS1_22reduce_config_selectorIiEEZNS1_11reduce_implILb1ES3_PiS7_iN6hipcub16HIPCUB_304000_NS6detail34convert_binary_result_type_wrapperINS9_3SumENS9_22TransformInputIteratorIbN2at6native12_GLOBAL__N_19NonZeroOpIhEEPKhlEEiEEEE10hipError_tPvRmT1_T2_T3_mT4_P12ihipStream_tbEUlT_E0_NS1_11comp_targetILNS1_3genE3ELNS1_11target_archE908ELNS1_3gpuE7ELNS1_3repE0EEENS1_30default_config_static_selectorELNS0_4arch9wavefront6targetE0EEEvSQ_
                                        ; -- End function
	.section	.AMDGPU.csdata,"",@progbits
; Kernel info:
; codeLenInByte = 0
; NumSgprs: 0
; NumVgprs: 0
; ScratchSize: 0
; MemoryBound: 0
; FloatMode: 240
; IeeeMode: 1
; LDSByteSize: 0 bytes/workgroup (compile time only)
; SGPRBlocks: 0
; VGPRBlocks: 0
; NumSGPRsForWavesPerEU: 1
; NumVGPRsForWavesPerEU: 1
; Occupancy: 16
; WaveLimiterHint : 0
; COMPUTE_PGM_RSRC2:SCRATCH_EN: 0
; COMPUTE_PGM_RSRC2:USER_SGPR: 15
; COMPUTE_PGM_RSRC2:TRAP_HANDLER: 0
; COMPUTE_PGM_RSRC2:TGID_X_EN: 1
; COMPUTE_PGM_RSRC2:TGID_Y_EN: 0
; COMPUTE_PGM_RSRC2:TGID_Z_EN: 0
; COMPUTE_PGM_RSRC2:TIDIG_COMP_CNT: 0
	.section	.text._ZN7rocprim17ROCPRIM_400000_NS6detail17trampoline_kernelINS0_14default_configENS1_22reduce_config_selectorIiEEZNS1_11reduce_implILb1ES3_PiS7_iN6hipcub16HIPCUB_304000_NS6detail34convert_binary_result_type_wrapperINS9_3SumENS9_22TransformInputIteratorIbN2at6native12_GLOBAL__N_19NonZeroOpIhEEPKhlEEiEEEE10hipError_tPvRmT1_T2_T3_mT4_P12ihipStream_tbEUlT_E0_NS1_11comp_targetILNS1_3genE2ELNS1_11target_archE906ELNS1_3gpuE6ELNS1_3repE0EEENS1_30default_config_static_selectorELNS0_4arch9wavefront6targetE0EEEvSQ_,"axG",@progbits,_ZN7rocprim17ROCPRIM_400000_NS6detail17trampoline_kernelINS0_14default_configENS1_22reduce_config_selectorIiEEZNS1_11reduce_implILb1ES3_PiS7_iN6hipcub16HIPCUB_304000_NS6detail34convert_binary_result_type_wrapperINS9_3SumENS9_22TransformInputIteratorIbN2at6native12_GLOBAL__N_19NonZeroOpIhEEPKhlEEiEEEE10hipError_tPvRmT1_T2_T3_mT4_P12ihipStream_tbEUlT_E0_NS1_11comp_targetILNS1_3genE2ELNS1_11target_archE906ELNS1_3gpuE6ELNS1_3repE0EEENS1_30default_config_static_selectorELNS0_4arch9wavefront6targetE0EEEvSQ_,comdat
	.globl	_ZN7rocprim17ROCPRIM_400000_NS6detail17trampoline_kernelINS0_14default_configENS1_22reduce_config_selectorIiEEZNS1_11reduce_implILb1ES3_PiS7_iN6hipcub16HIPCUB_304000_NS6detail34convert_binary_result_type_wrapperINS9_3SumENS9_22TransformInputIteratorIbN2at6native12_GLOBAL__N_19NonZeroOpIhEEPKhlEEiEEEE10hipError_tPvRmT1_T2_T3_mT4_P12ihipStream_tbEUlT_E0_NS1_11comp_targetILNS1_3genE2ELNS1_11target_archE906ELNS1_3gpuE6ELNS1_3repE0EEENS1_30default_config_static_selectorELNS0_4arch9wavefront6targetE0EEEvSQ_ ; -- Begin function _ZN7rocprim17ROCPRIM_400000_NS6detail17trampoline_kernelINS0_14default_configENS1_22reduce_config_selectorIiEEZNS1_11reduce_implILb1ES3_PiS7_iN6hipcub16HIPCUB_304000_NS6detail34convert_binary_result_type_wrapperINS9_3SumENS9_22TransformInputIteratorIbN2at6native12_GLOBAL__N_19NonZeroOpIhEEPKhlEEiEEEE10hipError_tPvRmT1_T2_T3_mT4_P12ihipStream_tbEUlT_E0_NS1_11comp_targetILNS1_3genE2ELNS1_11target_archE906ELNS1_3gpuE6ELNS1_3repE0EEENS1_30default_config_static_selectorELNS0_4arch9wavefront6targetE0EEEvSQ_
	.p2align	8
	.type	_ZN7rocprim17ROCPRIM_400000_NS6detail17trampoline_kernelINS0_14default_configENS1_22reduce_config_selectorIiEEZNS1_11reduce_implILb1ES3_PiS7_iN6hipcub16HIPCUB_304000_NS6detail34convert_binary_result_type_wrapperINS9_3SumENS9_22TransformInputIteratorIbN2at6native12_GLOBAL__N_19NonZeroOpIhEEPKhlEEiEEEE10hipError_tPvRmT1_T2_T3_mT4_P12ihipStream_tbEUlT_E0_NS1_11comp_targetILNS1_3genE2ELNS1_11target_archE906ELNS1_3gpuE6ELNS1_3repE0EEENS1_30default_config_static_selectorELNS0_4arch9wavefront6targetE0EEEvSQ_,@function
_ZN7rocprim17ROCPRIM_400000_NS6detail17trampoline_kernelINS0_14default_configENS1_22reduce_config_selectorIiEEZNS1_11reduce_implILb1ES3_PiS7_iN6hipcub16HIPCUB_304000_NS6detail34convert_binary_result_type_wrapperINS9_3SumENS9_22TransformInputIteratorIbN2at6native12_GLOBAL__N_19NonZeroOpIhEEPKhlEEiEEEE10hipError_tPvRmT1_T2_T3_mT4_P12ihipStream_tbEUlT_E0_NS1_11comp_targetILNS1_3genE2ELNS1_11target_archE906ELNS1_3gpuE6ELNS1_3repE0EEENS1_30default_config_static_selectorELNS0_4arch9wavefront6targetE0EEEvSQ_: ; @_ZN7rocprim17ROCPRIM_400000_NS6detail17trampoline_kernelINS0_14default_configENS1_22reduce_config_selectorIiEEZNS1_11reduce_implILb1ES3_PiS7_iN6hipcub16HIPCUB_304000_NS6detail34convert_binary_result_type_wrapperINS9_3SumENS9_22TransformInputIteratorIbN2at6native12_GLOBAL__N_19NonZeroOpIhEEPKhlEEiEEEE10hipError_tPvRmT1_T2_T3_mT4_P12ihipStream_tbEUlT_E0_NS1_11comp_targetILNS1_3genE2ELNS1_11target_archE906ELNS1_3gpuE6ELNS1_3repE0EEENS1_30default_config_static_selectorELNS0_4arch9wavefront6targetE0EEEvSQ_
; %bb.0:
	.section	.rodata,"a",@progbits
	.p2align	6, 0x0
	.amdhsa_kernel _ZN7rocprim17ROCPRIM_400000_NS6detail17trampoline_kernelINS0_14default_configENS1_22reduce_config_selectorIiEEZNS1_11reduce_implILb1ES3_PiS7_iN6hipcub16HIPCUB_304000_NS6detail34convert_binary_result_type_wrapperINS9_3SumENS9_22TransformInputIteratorIbN2at6native12_GLOBAL__N_19NonZeroOpIhEEPKhlEEiEEEE10hipError_tPvRmT1_T2_T3_mT4_P12ihipStream_tbEUlT_E0_NS1_11comp_targetILNS1_3genE2ELNS1_11target_archE906ELNS1_3gpuE6ELNS1_3repE0EEENS1_30default_config_static_selectorELNS0_4arch9wavefront6targetE0EEEvSQ_
		.amdhsa_group_segment_fixed_size 0
		.amdhsa_private_segment_fixed_size 0
		.amdhsa_kernarg_size 56
		.amdhsa_user_sgpr_count 15
		.amdhsa_user_sgpr_dispatch_ptr 0
		.amdhsa_user_sgpr_queue_ptr 0
		.amdhsa_user_sgpr_kernarg_segment_ptr 1
		.amdhsa_user_sgpr_dispatch_id 0
		.amdhsa_user_sgpr_private_segment_size 0
		.amdhsa_wavefront_size32 1
		.amdhsa_uses_dynamic_stack 0
		.amdhsa_enable_private_segment 0
		.amdhsa_system_sgpr_workgroup_id_x 1
		.amdhsa_system_sgpr_workgroup_id_y 0
		.amdhsa_system_sgpr_workgroup_id_z 0
		.amdhsa_system_sgpr_workgroup_info 0
		.amdhsa_system_vgpr_workitem_id 0
		.amdhsa_next_free_vgpr 1
		.amdhsa_next_free_sgpr 1
		.amdhsa_reserve_vcc 0
		.amdhsa_float_round_mode_32 0
		.amdhsa_float_round_mode_16_64 0
		.amdhsa_float_denorm_mode_32 3
		.amdhsa_float_denorm_mode_16_64 3
		.amdhsa_dx10_clamp 1
		.amdhsa_ieee_mode 1
		.amdhsa_fp16_overflow 0
		.amdhsa_workgroup_processor_mode 1
		.amdhsa_memory_ordered 1
		.amdhsa_forward_progress 0
		.amdhsa_shared_vgpr_count 0
		.amdhsa_exception_fp_ieee_invalid_op 0
		.amdhsa_exception_fp_denorm_src 0
		.amdhsa_exception_fp_ieee_div_zero 0
		.amdhsa_exception_fp_ieee_overflow 0
		.amdhsa_exception_fp_ieee_underflow 0
		.amdhsa_exception_fp_ieee_inexact 0
		.amdhsa_exception_int_div_zero 0
	.end_amdhsa_kernel
	.section	.text._ZN7rocprim17ROCPRIM_400000_NS6detail17trampoline_kernelINS0_14default_configENS1_22reduce_config_selectorIiEEZNS1_11reduce_implILb1ES3_PiS7_iN6hipcub16HIPCUB_304000_NS6detail34convert_binary_result_type_wrapperINS9_3SumENS9_22TransformInputIteratorIbN2at6native12_GLOBAL__N_19NonZeroOpIhEEPKhlEEiEEEE10hipError_tPvRmT1_T2_T3_mT4_P12ihipStream_tbEUlT_E0_NS1_11comp_targetILNS1_3genE2ELNS1_11target_archE906ELNS1_3gpuE6ELNS1_3repE0EEENS1_30default_config_static_selectorELNS0_4arch9wavefront6targetE0EEEvSQ_,"axG",@progbits,_ZN7rocprim17ROCPRIM_400000_NS6detail17trampoline_kernelINS0_14default_configENS1_22reduce_config_selectorIiEEZNS1_11reduce_implILb1ES3_PiS7_iN6hipcub16HIPCUB_304000_NS6detail34convert_binary_result_type_wrapperINS9_3SumENS9_22TransformInputIteratorIbN2at6native12_GLOBAL__N_19NonZeroOpIhEEPKhlEEiEEEE10hipError_tPvRmT1_T2_T3_mT4_P12ihipStream_tbEUlT_E0_NS1_11comp_targetILNS1_3genE2ELNS1_11target_archE906ELNS1_3gpuE6ELNS1_3repE0EEENS1_30default_config_static_selectorELNS0_4arch9wavefront6targetE0EEEvSQ_,comdat
.Lfunc_end5:
	.size	_ZN7rocprim17ROCPRIM_400000_NS6detail17trampoline_kernelINS0_14default_configENS1_22reduce_config_selectorIiEEZNS1_11reduce_implILb1ES3_PiS7_iN6hipcub16HIPCUB_304000_NS6detail34convert_binary_result_type_wrapperINS9_3SumENS9_22TransformInputIteratorIbN2at6native12_GLOBAL__N_19NonZeroOpIhEEPKhlEEiEEEE10hipError_tPvRmT1_T2_T3_mT4_P12ihipStream_tbEUlT_E0_NS1_11comp_targetILNS1_3genE2ELNS1_11target_archE906ELNS1_3gpuE6ELNS1_3repE0EEENS1_30default_config_static_selectorELNS0_4arch9wavefront6targetE0EEEvSQ_, .Lfunc_end5-_ZN7rocprim17ROCPRIM_400000_NS6detail17trampoline_kernelINS0_14default_configENS1_22reduce_config_selectorIiEEZNS1_11reduce_implILb1ES3_PiS7_iN6hipcub16HIPCUB_304000_NS6detail34convert_binary_result_type_wrapperINS9_3SumENS9_22TransformInputIteratorIbN2at6native12_GLOBAL__N_19NonZeroOpIhEEPKhlEEiEEEE10hipError_tPvRmT1_T2_T3_mT4_P12ihipStream_tbEUlT_E0_NS1_11comp_targetILNS1_3genE2ELNS1_11target_archE906ELNS1_3gpuE6ELNS1_3repE0EEENS1_30default_config_static_selectorELNS0_4arch9wavefront6targetE0EEEvSQ_
                                        ; -- End function
	.section	.AMDGPU.csdata,"",@progbits
; Kernel info:
; codeLenInByte = 0
; NumSgprs: 0
; NumVgprs: 0
; ScratchSize: 0
; MemoryBound: 0
; FloatMode: 240
; IeeeMode: 1
; LDSByteSize: 0 bytes/workgroup (compile time only)
; SGPRBlocks: 0
; VGPRBlocks: 0
; NumSGPRsForWavesPerEU: 1
; NumVGPRsForWavesPerEU: 1
; Occupancy: 16
; WaveLimiterHint : 0
; COMPUTE_PGM_RSRC2:SCRATCH_EN: 0
; COMPUTE_PGM_RSRC2:USER_SGPR: 15
; COMPUTE_PGM_RSRC2:TRAP_HANDLER: 0
; COMPUTE_PGM_RSRC2:TGID_X_EN: 1
; COMPUTE_PGM_RSRC2:TGID_Y_EN: 0
; COMPUTE_PGM_RSRC2:TGID_Z_EN: 0
; COMPUTE_PGM_RSRC2:TIDIG_COMP_CNT: 0
	.section	.text._ZN7rocprim17ROCPRIM_400000_NS6detail17trampoline_kernelINS0_14default_configENS1_22reduce_config_selectorIiEEZNS1_11reduce_implILb1ES3_PiS7_iN6hipcub16HIPCUB_304000_NS6detail34convert_binary_result_type_wrapperINS9_3SumENS9_22TransformInputIteratorIbN2at6native12_GLOBAL__N_19NonZeroOpIhEEPKhlEEiEEEE10hipError_tPvRmT1_T2_T3_mT4_P12ihipStream_tbEUlT_E0_NS1_11comp_targetILNS1_3genE10ELNS1_11target_archE1201ELNS1_3gpuE5ELNS1_3repE0EEENS1_30default_config_static_selectorELNS0_4arch9wavefront6targetE0EEEvSQ_,"axG",@progbits,_ZN7rocprim17ROCPRIM_400000_NS6detail17trampoline_kernelINS0_14default_configENS1_22reduce_config_selectorIiEEZNS1_11reduce_implILb1ES3_PiS7_iN6hipcub16HIPCUB_304000_NS6detail34convert_binary_result_type_wrapperINS9_3SumENS9_22TransformInputIteratorIbN2at6native12_GLOBAL__N_19NonZeroOpIhEEPKhlEEiEEEE10hipError_tPvRmT1_T2_T3_mT4_P12ihipStream_tbEUlT_E0_NS1_11comp_targetILNS1_3genE10ELNS1_11target_archE1201ELNS1_3gpuE5ELNS1_3repE0EEENS1_30default_config_static_selectorELNS0_4arch9wavefront6targetE0EEEvSQ_,comdat
	.globl	_ZN7rocprim17ROCPRIM_400000_NS6detail17trampoline_kernelINS0_14default_configENS1_22reduce_config_selectorIiEEZNS1_11reduce_implILb1ES3_PiS7_iN6hipcub16HIPCUB_304000_NS6detail34convert_binary_result_type_wrapperINS9_3SumENS9_22TransformInputIteratorIbN2at6native12_GLOBAL__N_19NonZeroOpIhEEPKhlEEiEEEE10hipError_tPvRmT1_T2_T3_mT4_P12ihipStream_tbEUlT_E0_NS1_11comp_targetILNS1_3genE10ELNS1_11target_archE1201ELNS1_3gpuE5ELNS1_3repE0EEENS1_30default_config_static_selectorELNS0_4arch9wavefront6targetE0EEEvSQ_ ; -- Begin function _ZN7rocprim17ROCPRIM_400000_NS6detail17trampoline_kernelINS0_14default_configENS1_22reduce_config_selectorIiEEZNS1_11reduce_implILb1ES3_PiS7_iN6hipcub16HIPCUB_304000_NS6detail34convert_binary_result_type_wrapperINS9_3SumENS9_22TransformInputIteratorIbN2at6native12_GLOBAL__N_19NonZeroOpIhEEPKhlEEiEEEE10hipError_tPvRmT1_T2_T3_mT4_P12ihipStream_tbEUlT_E0_NS1_11comp_targetILNS1_3genE10ELNS1_11target_archE1201ELNS1_3gpuE5ELNS1_3repE0EEENS1_30default_config_static_selectorELNS0_4arch9wavefront6targetE0EEEvSQ_
	.p2align	8
	.type	_ZN7rocprim17ROCPRIM_400000_NS6detail17trampoline_kernelINS0_14default_configENS1_22reduce_config_selectorIiEEZNS1_11reduce_implILb1ES3_PiS7_iN6hipcub16HIPCUB_304000_NS6detail34convert_binary_result_type_wrapperINS9_3SumENS9_22TransformInputIteratorIbN2at6native12_GLOBAL__N_19NonZeroOpIhEEPKhlEEiEEEE10hipError_tPvRmT1_T2_T3_mT4_P12ihipStream_tbEUlT_E0_NS1_11comp_targetILNS1_3genE10ELNS1_11target_archE1201ELNS1_3gpuE5ELNS1_3repE0EEENS1_30default_config_static_selectorELNS0_4arch9wavefront6targetE0EEEvSQ_,@function
_ZN7rocprim17ROCPRIM_400000_NS6detail17trampoline_kernelINS0_14default_configENS1_22reduce_config_selectorIiEEZNS1_11reduce_implILb1ES3_PiS7_iN6hipcub16HIPCUB_304000_NS6detail34convert_binary_result_type_wrapperINS9_3SumENS9_22TransformInputIteratorIbN2at6native12_GLOBAL__N_19NonZeroOpIhEEPKhlEEiEEEE10hipError_tPvRmT1_T2_T3_mT4_P12ihipStream_tbEUlT_E0_NS1_11comp_targetILNS1_3genE10ELNS1_11target_archE1201ELNS1_3gpuE5ELNS1_3repE0EEENS1_30default_config_static_selectorELNS0_4arch9wavefront6targetE0EEEvSQ_: ; @_ZN7rocprim17ROCPRIM_400000_NS6detail17trampoline_kernelINS0_14default_configENS1_22reduce_config_selectorIiEEZNS1_11reduce_implILb1ES3_PiS7_iN6hipcub16HIPCUB_304000_NS6detail34convert_binary_result_type_wrapperINS9_3SumENS9_22TransformInputIteratorIbN2at6native12_GLOBAL__N_19NonZeroOpIhEEPKhlEEiEEEE10hipError_tPvRmT1_T2_T3_mT4_P12ihipStream_tbEUlT_E0_NS1_11comp_targetILNS1_3genE10ELNS1_11target_archE1201ELNS1_3gpuE5ELNS1_3repE0EEENS1_30default_config_static_selectorELNS0_4arch9wavefront6targetE0EEEvSQ_
; %bb.0:
	.section	.rodata,"a",@progbits
	.p2align	6, 0x0
	.amdhsa_kernel _ZN7rocprim17ROCPRIM_400000_NS6detail17trampoline_kernelINS0_14default_configENS1_22reduce_config_selectorIiEEZNS1_11reduce_implILb1ES3_PiS7_iN6hipcub16HIPCUB_304000_NS6detail34convert_binary_result_type_wrapperINS9_3SumENS9_22TransformInputIteratorIbN2at6native12_GLOBAL__N_19NonZeroOpIhEEPKhlEEiEEEE10hipError_tPvRmT1_T2_T3_mT4_P12ihipStream_tbEUlT_E0_NS1_11comp_targetILNS1_3genE10ELNS1_11target_archE1201ELNS1_3gpuE5ELNS1_3repE0EEENS1_30default_config_static_selectorELNS0_4arch9wavefront6targetE0EEEvSQ_
		.amdhsa_group_segment_fixed_size 0
		.amdhsa_private_segment_fixed_size 0
		.amdhsa_kernarg_size 56
		.amdhsa_user_sgpr_count 15
		.amdhsa_user_sgpr_dispatch_ptr 0
		.amdhsa_user_sgpr_queue_ptr 0
		.amdhsa_user_sgpr_kernarg_segment_ptr 1
		.amdhsa_user_sgpr_dispatch_id 0
		.amdhsa_user_sgpr_private_segment_size 0
		.amdhsa_wavefront_size32 1
		.amdhsa_uses_dynamic_stack 0
		.amdhsa_enable_private_segment 0
		.amdhsa_system_sgpr_workgroup_id_x 1
		.amdhsa_system_sgpr_workgroup_id_y 0
		.amdhsa_system_sgpr_workgroup_id_z 0
		.amdhsa_system_sgpr_workgroup_info 0
		.amdhsa_system_vgpr_workitem_id 0
		.amdhsa_next_free_vgpr 1
		.amdhsa_next_free_sgpr 1
		.amdhsa_reserve_vcc 0
		.amdhsa_float_round_mode_32 0
		.amdhsa_float_round_mode_16_64 0
		.amdhsa_float_denorm_mode_32 3
		.amdhsa_float_denorm_mode_16_64 3
		.amdhsa_dx10_clamp 1
		.amdhsa_ieee_mode 1
		.amdhsa_fp16_overflow 0
		.amdhsa_workgroup_processor_mode 1
		.amdhsa_memory_ordered 1
		.amdhsa_forward_progress 0
		.amdhsa_shared_vgpr_count 0
		.amdhsa_exception_fp_ieee_invalid_op 0
		.amdhsa_exception_fp_denorm_src 0
		.amdhsa_exception_fp_ieee_div_zero 0
		.amdhsa_exception_fp_ieee_overflow 0
		.amdhsa_exception_fp_ieee_underflow 0
		.amdhsa_exception_fp_ieee_inexact 0
		.amdhsa_exception_int_div_zero 0
	.end_amdhsa_kernel
	.section	.text._ZN7rocprim17ROCPRIM_400000_NS6detail17trampoline_kernelINS0_14default_configENS1_22reduce_config_selectorIiEEZNS1_11reduce_implILb1ES3_PiS7_iN6hipcub16HIPCUB_304000_NS6detail34convert_binary_result_type_wrapperINS9_3SumENS9_22TransformInputIteratorIbN2at6native12_GLOBAL__N_19NonZeroOpIhEEPKhlEEiEEEE10hipError_tPvRmT1_T2_T3_mT4_P12ihipStream_tbEUlT_E0_NS1_11comp_targetILNS1_3genE10ELNS1_11target_archE1201ELNS1_3gpuE5ELNS1_3repE0EEENS1_30default_config_static_selectorELNS0_4arch9wavefront6targetE0EEEvSQ_,"axG",@progbits,_ZN7rocprim17ROCPRIM_400000_NS6detail17trampoline_kernelINS0_14default_configENS1_22reduce_config_selectorIiEEZNS1_11reduce_implILb1ES3_PiS7_iN6hipcub16HIPCUB_304000_NS6detail34convert_binary_result_type_wrapperINS9_3SumENS9_22TransformInputIteratorIbN2at6native12_GLOBAL__N_19NonZeroOpIhEEPKhlEEiEEEE10hipError_tPvRmT1_T2_T3_mT4_P12ihipStream_tbEUlT_E0_NS1_11comp_targetILNS1_3genE10ELNS1_11target_archE1201ELNS1_3gpuE5ELNS1_3repE0EEENS1_30default_config_static_selectorELNS0_4arch9wavefront6targetE0EEEvSQ_,comdat
.Lfunc_end6:
	.size	_ZN7rocprim17ROCPRIM_400000_NS6detail17trampoline_kernelINS0_14default_configENS1_22reduce_config_selectorIiEEZNS1_11reduce_implILb1ES3_PiS7_iN6hipcub16HIPCUB_304000_NS6detail34convert_binary_result_type_wrapperINS9_3SumENS9_22TransformInputIteratorIbN2at6native12_GLOBAL__N_19NonZeroOpIhEEPKhlEEiEEEE10hipError_tPvRmT1_T2_T3_mT4_P12ihipStream_tbEUlT_E0_NS1_11comp_targetILNS1_3genE10ELNS1_11target_archE1201ELNS1_3gpuE5ELNS1_3repE0EEENS1_30default_config_static_selectorELNS0_4arch9wavefront6targetE0EEEvSQ_, .Lfunc_end6-_ZN7rocprim17ROCPRIM_400000_NS6detail17trampoline_kernelINS0_14default_configENS1_22reduce_config_selectorIiEEZNS1_11reduce_implILb1ES3_PiS7_iN6hipcub16HIPCUB_304000_NS6detail34convert_binary_result_type_wrapperINS9_3SumENS9_22TransformInputIteratorIbN2at6native12_GLOBAL__N_19NonZeroOpIhEEPKhlEEiEEEE10hipError_tPvRmT1_T2_T3_mT4_P12ihipStream_tbEUlT_E0_NS1_11comp_targetILNS1_3genE10ELNS1_11target_archE1201ELNS1_3gpuE5ELNS1_3repE0EEENS1_30default_config_static_selectorELNS0_4arch9wavefront6targetE0EEEvSQ_
                                        ; -- End function
	.section	.AMDGPU.csdata,"",@progbits
; Kernel info:
; codeLenInByte = 0
; NumSgprs: 0
; NumVgprs: 0
; ScratchSize: 0
; MemoryBound: 0
; FloatMode: 240
; IeeeMode: 1
; LDSByteSize: 0 bytes/workgroup (compile time only)
; SGPRBlocks: 0
; VGPRBlocks: 0
; NumSGPRsForWavesPerEU: 1
; NumVGPRsForWavesPerEU: 1
; Occupancy: 16
; WaveLimiterHint : 0
; COMPUTE_PGM_RSRC2:SCRATCH_EN: 0
; COMPUTE_PGM_RSRC2:USER_SGPR: 15
; COMPUTE_PGM_RSRC2:TRAP_HANDLER: 0
; COMPUTE_PGM_RSRC2:TGID_X_EN: 1
; COMPUTE_PGM_RSRC2:TGID_Y_EN: 0
; COMPUTE_PGM_RSRC2:TGID_Z_EN: 0
; COMPUTE_PGM_RSRC2:TIDIG_COMP_CNT: 0
	.section	.text._ZN7rocprim17ROCPRIM_400000_NS6detail17trampoline_kernelINS0_14default_configENS1_22reduce_config_selectorIiEEZNS1_11reduce_implILb1ES3_PiS7_iN6hipcub16HIPCUB_304000_NS6detail34convert_binary_result_type_wrapperINS9_3SumENS9_22TransformInputIteratorIbN2at6native12_GLOBAL__N_19NonZeroOpIhEEPKhlEEiEEEE10hipError_tPvRmT1_T2_T3_mT4_P12ihipStream_tbEUlT_E0_NS1_11comp_targetILNS1_3genE10ELNS1_11target_archE1200ELNS1_3gpuE4ELNS1_3repE0EEENS1_30default_config_static_selectorELNS0_4arch9wavefront6targetE0EEEvSQ_,"axG",@progbits,_ZN7rocprim17ROCPRIM_400000_NS6detail17trampoline_kernelINS0_14default_configENS1_22reduce_config_selectorIiEEZNS1_11reduce_implILb1ES3_PiS7_iN6hipcub16HIPCUB_304000_NS6detail34convert_binary_result_type_wrapperINS9_3SumENS9_22TransformInputIteratorIbN2at6native12_GLOBAL__N_19NonZeroOpIhEEPKhlEEiEEEE10hipError_tPvRmT1_T2_T3_mT4_P12ihipStream_tbEUlT_E0_NS1_11comp_targetILNS1_3genE10ELNS1_11target_archE1200ELNS1_3gpuE4ELNS1_3repE0EEENS1_30default_config_static_selectorELNS0_4arch9wavefront6targetE0EEEvSQ_,comdat
	.globl	_ZN7rocprim17ROCPRIM_400000_NS6detail17trampoline_kernelINS0_14default_configENS1_22reduce_config_selectorIiEEZNS1_11reduce_implILb1ES3_PiS7_iN6hipcub16HIPCUB_304000_NS6detail34convert_binary_result_type_wrapperINS9_3SumENS9_22TransformInputIteratorIbN2at6native12_GLOBAL__N_19NonZeroOpIhEEPKhlEEiEEEE10hipError_tPvRmT1_T2_T3_mT4_P12ihipStream_tbEUlT_E0_NS1_11comp_targetILNS1_3genE10ELNS1_11target_archE1200ELNS1_3gpuE4ELNS1_3repE0EEENS1_30default_config_static_selectorELNS0_4arch9wavefront6targetE0EEEvSQ_ ; -- Begin function _ZN7rocprim17ROCPRIM_400000_NS6detail17trampoline_kernelINS0_14default_configENS1_22reduce_config_selectorIiEEZNS1_11reduce_implILb1ES3_PiS7_iN6hipcub16HIPCUB_304000_NS6detail34convert_binary_result_type_wrapperINS9_3SumENS9_22TransformInputIteratorIbN2at6native12_GLOBAL__N_19NonZeroOpIhEEPKhlEEiEEEE10hipError_tPvRmT1_T2_T3_mT4_P12ihipStream_tbEUlT_E0_NS1_11comp_targetILNS1_3genE10ELNS1_11target_archE1200ELNS1_3gpuE4ELNS1_3repE0EEENS1_30default_config_static_selectorELNS0_4arch9wavefront6targetE0EEEvSQ_
	.p2align	8
	.type	_ZN7rocprim17ROCPRIM_400000_NS6detail17trampoline_kernelINS0_14default_configENS1_22reduce_config_selectorIiEEZNS1_11reduce_implILb1ES3_PiS7_iN6hipcub16HIPCUB_304000_NS6detail34convert_binary_result_type_wrapperINS9_3SumENS9_22TransformInputIteratorIbN2at6native12_GLOBAL__N_19NonZeroOpIhEEPKhlEEiEEEE10hipError_tPvRmT1_T2_T3_mT4_P12ihipStream_tbEUlT_E0_NS1_11comp_targetILNS1_3genE10ELNS1_11target_archE1200ELNS1_3gpuE4ELNS1_3repE0EEENS1_30default_config_static_selectorELNS0_4arch9wavefront6targetE0EEEvSQ_,@function
_ZN7rocprim17ROCPRIM_400000_NS6detail17trampoline_kernelINS0_14default_configENS1_22reduce_config_selectorIiEEZNS1_11reduce_implILb1ES3_PiS7_iN6hipcub16HIPCUB_304000_NS6detail34convert_binary_result_type_wrapperINS9_3SumENS9_22TransformInputIteratorIbN2at6native12_GLOBAL__N_19NonZeroOpIhEEPKhlEEiEEEE10hipError_tPvRmT1_T2_T3_mT4_P12ihipStream_tbEUlT_E0_NS1_11comp_targetILNS1_3genE10ELNS1_11target_archE1200ELNS1_3gpuE4ELNS1_3repE0EEENS1_30default_config_static_selectorELNS0_4arch9wavefront6targetE0EEEvSQ_: ; @_ZN7rocprim17ROCPRIM_400000_NS6detail17trampoline_kernelINS0_14default_configENS1_22reduce_config_selectorIiEEZNS1_11reduce_implILb1ES3_PiS7_iN6hipcub16HIPCUB_304000_NS6detail34convert_binary_result_type_wrapperINS9_3SumENS9_22TransformInputIteratorIbN2at6native12_GLOBAL__N_19NonZeroOpIhEEPKhlEEiEEEE10hipError_tPvRmT1_T2_T3_mT4_P12ihipStream_tbEUlT_E0_NS1_11comp_targetILNS1_3genE10ELNS1_11target_archE1200ELNS1_3gpuE4ELNS1_3repE0EEENS1_30default_config_static_selectorELNS0_4arch9wavefront6targetE0EEEvSQ_
; %bb.0:
	.section	.rodata,"a",@progbits
	.p2align	6, 0x0
	.amdhsa_kernel _ZN7rocprim17ROCPRIM_400000_NS6detail17trampoline_kernelINS0_14default_configENS1_22reduce_config_selectorIiEEZNS1_11reduce_implILb1ES3_PiS7_iN6hipcub16HIPCUB_304000_NS6detail34convert_binary_result_type_wrapperINS9_3SumENS9_22TransformInputIteratorIbN2at6native12_GLOBAL__N_19NonZeroOpIhEEPKhlEEiEEEE10hipError_tPvRmT1_T2_T3_mT4_P12ihipStream_tbEUlT_E0_NS1_11comp_targetILNS1_3genE10ELNS1_11target_archE1200ELNS1_3gpuE4ELNS1_3repE0EEENS1_30default_config_static_selectorELNS0_4arch9wavefront6targetE0EEEvSQ_
		.amdhsa_group_segment_fixed_size 0
		.amdhsa_private_segment_fixed_size 0
		.amdhsa_kernarg_size 56
		.amdhsa_user_sgpr_count 15
		.amdhsa_user_sgpr_dispatch_ptr 0
		.amdhsa_user_sgpr_queue_ptr 0
		.amdhsa_user_sgpr_kernarg_segment_ptr 1
		.amdhsa_user_sgpr_dispatch_id 0
		.amdhsa_user_sgpr_private_segment_size 0
		.amdhsa_wavefront_size32 1
		.amdhsa_uses_dynamic_stack 0
		.amdhsa_enable_private_segment 0
		.amdhsa_system_sgpr_workgroup_id_x 1
		.amdhsa_system_sgpr_workgroup_id_y 0
		.amdhsa_system_sgpr_workgroup_id_z 0
		.amdhsa_system_sgpr_workgroup_info 0
		.amdhsa_system_vgpr_workitem_id 0
		.amdhsa_next_free_vgpr 1
		.amdhsa_next_free_sgpr 1
		.amdhsa_reserve_vcc 0
		.amdhsa_float_round_mode_32 0
		.amdhsa_float_round_mode_16_64 0
		.amdhsa_float_denorm_mode_32 3
		.amdhsa_float_denorm_mode_16_64 3
		.amdhsa_dx10_clamp 1
		.amdhsa_ieee_mode 1
		.amdhsa_fp16_overflow 0
		.amdhsa_workgroup_processor_mode 1
		.amdhsa_memory_ordered 1
		.amdhsa_forward_progress 0
		.amdhsa_shared_vgpr_count 0
		.amdhsa_exception_fp_ieee_invalid_op 0
		.amdhsa_exception_fp_denorm_src 0
		.amdhsa_exception_fp_ieee_div_zero 0
		.amdhsa_exception_fp_ieee_overflow 0
		.amdhsa_exception_fp_ieee_underflow 0
		.amdhsa_exception_fp_ieee_inexact 0
		.amdhsa_exception_int_div_zero 0
	.end_amdhsa_kernel
	.section	.text._ZN7rocprim17ROCPRIM_400000_NS6detail17trampoline_kernelINS0_14default_configENS1_22reduce_config_selectorIiEEZNS1_11reduce_implILb1ES3_PiS7_iN6hipcub16HIPCUB_304000_NS6detail34convert_binary_result_type_wrapperINS9_3SumENS9_22TransformInputIteratorIbN2at6native12_GLOBAL__N_19NonZeroOpIhEEPKhlEEiEEEE10hipError_tPvRmT1_T2_T3_mT4_P12ihipStream_tbEUlT_E0_NS1_11comp_targetILNS1_3genE10ELNS1_11target_archE1200ELNS1_3gpuE4ELNS1_3repE0EEENS1_30default_config_static_selectorELNS0_4arch9wavefront6targetE0EEEvSQ_,"axG",@progbits,_ZN7rocprim17ROCPRIM_400000_NS6detail17trampoline_kernelINS0_14default_configENS1_22reduce_config_selectorIiEEZNS1_11reduce_implILb1ES3_PiS7_iN6hipcub16HIPCUB_304000_NS6detail34convert_binary_result_type_wrapperINS9_3SumENS9_22TransformInputIteratorIbN2at6native12_GLOBAL__N_19NonZeroOpIhEEPKhlEEiEEEE10hipError_tPvRmT1_T2_T3_mT4_P12ihipStream_tbEUlT_E0_NS1_11comp_targetILNS1_3genE10ELNS1_11target_archE1200ELNS1_3gpuE4ELNS1_3repE0EEENS1_30default_config_static_selectorELNS0_4arch9wavefront6targetE0EEEvSQ_,comdat
.Lfunc_end7:
	.size	_ZN7rocprim17ROCPRIM_400000_NS6detail17trampoline_kernelINS0_14default_configENS1_22reduce_config_selectorIiEEZNS1_11reduce_implILb1ES3_PiS7_iN6hipcub16HIPCUB_304000_NS6detail34convert_binary_result_type_wrapperINS9_3SumENS9_22TransformInputIteratorIbN2at6native12_GLOBAL__N_19NonZeroOpIhEEPKhlEEiEEEE10hipError_tPvRmT1_T2_T3_mT4_P12ihipStream_tbEUlT_E0_NS1_11comp_targetILNS1_3genE10ELNS1_11target_archE1200ELNS1_3gpuE4ELNS1_3repE0EEENS1_30default_config_static_selectorELNS0_4arch9wavefront6targetE0EEEvSQ_, .Lfunc_end7-_ZN7rocprim17ROCPRIM_400000_NS6detail17trampoline_kernelINS0_14default_configENS1_22reduce_config_selectorIiEEZNS1_11reduce_implILb1ES3_PiS7_iN6hipcub16HIPCUB_304000_NS6detail34convert_binary_result_type_wrapperINS9_3SumENS9_22TransformInputIteratorIbN2at6native12_GLOBAL__N_19NonZeroOpIhEEPKhlEEiEEEE10hipError_tPvRmT1_T2_T3_mT4_P12ihipStream_tbEUlT_E0_NS1_11comp_targetILNS1_3genE10ELNS1_11target_archE1200ELNS1_3gpuE4ELNS1_3repE0EEENS1_30default_config_static_selectorELNS0_4arch9wavefront6targetE0EEEvSQ_
                                        ; -- End function
	.section	.AMDGPU.csdata,"",@progbits
; Kernel info:
; codeLenInByte = 0
; NumSgprs: 0
; NumVgprs: 0
; ScratchSize: 0
; MemoryBound: 0
; FloatMode: 240
; IeeeMode: 1
; LDSByteSize: 0 bytes/workgroup (compile time only)
; SGPRBlocks: 0
; VGPRBlocks: 0
; NumSGPRsForWavesPerEU: 1
; NumVGPRsForWavesPerEU: 1
; Occupancy: 16
; WaveLimiterHint : 0
; COMPUTE_PGM_RSRC2:SCRATCH_EN: 0
; COMPUTE_PGM_RSRC2:USER_SGPR: 15
; COMPUTE_PGM_RSRC2:TRAP_HANDLER: 0
; COMPUTE_PGM_RSRC2:TGID_X_EN: 1
; COMPUTE_PGM_RSRC2:TGID_Y_EN: 0
; COMPUTE_PGM_RSRC2:TGID_Z_EN: 0
; COMPUTE_PGM_RSRC2:TIDIG_COMP_CNT: 0
	.section	.text._ZN7rocprim17ROCPRIM_400000_NS6detail17trampoline_kernelINS0_14default_configENS1_22reduce_config_selectorIiEEZNS1_11reduce_implILb1ES3_PiS7_iN6hipcub16HIPCUB_304000_NS6detail34convert_binary_result_type_wrapperINS9_3SumENS9_22TransformInputIteratorIbN2at6native12_GLOBAL__N_19NonZeroOpIhEEPKhlEEiEEEE10hipError_tPvRmT1_T2_T3_mT4_P12ihipStream_tbEUlT_E0_NS1_11comp_targetILNS1_3genE9ELNS1_11target_archE1100ELNS1_3gpuE3ELNS1_3repE0EEENS1_30default_config_static_selectorELNS0_4arch9wavefront6targetE0EEEvSQ_,"axG",@progbits,_ZN7rocprim17ROCPRIM_400000_NS6detail17trampoline_kernelINS0_14default_configENS1_22reduce_config_selectorIiEEZNS1_11reduce_implILb1ES3_PiS7_iN6hipcub16HIPCUB_304000_NS6detail34convert_binary_result_type_wrapperINS9_3SumENS9_22TransformInputIteratorIbN2at6native12_GLOBAL__N_19NonZeroOpIhEEPKhlEEiEEEE10hipError_tPvRmT1_T2_T3_mT4_P12ihipStream_tbEUlT_E0_NS1_11comp_targetILNS1_3genE9ELNS1_11target_archE1100ELNS1_3gpuE3ELNS1_3repE0EEENS1_30default_config_static_selectorELNS0_4arch9wavefront6targetE0EEEvSQ_,comdat
	.globl	_ZN7rocprim17ROCPRIM_400000_NS6detail17trampoline_kernelINS0_14default_configENS1_22reduce_config_selectorIiEEZNS1_11reduce_implILb1ES3_PiS7_iN6hipcub16HIPCUB_304000_NS6detail34convert_binary_result_type_wrapperINS9_3SumENS9_22TransformInputIteratorIbN2at6native12_GLOBAL__N_19NonZeroOpIhEEPKhlEEiEEEE10hipError_tPvRmT1_T2_T3_mT4_P12ihipStream_tbEUlT_E0_NS1_11comp_targetILNS1_3genE9ELNS1_11target_archE1100ELNS1_3gpuE3ELNS1_3repE0EEENS1_30default_config_static_selectorELNS0_4arch9wavefront6targetE0EEEvSQ_ ; -- Begin function _ZN7rocprim17ROCPRIM_400000_NS6detail17trampoline_kernelINS0_14default_configENS1_22reduce_config_selectorIiEEZNS1_11reduce_implILb1ES3_PiS7_iN6hipcub16HIPCUB_304000_NS6detail34convert_binary_result_type_wrapperINS9_3SumENS9_22TransformInputIteratorIbN2at6native12_GLOBAL__N_19NonZeroOpIhEEPKhlEEiEEEE10hipError_tPvRmT1_T2_T3_mT4_P12ihipStream_tbEUlT_E0_NS1_11comp_targetILNS1_3genE9ELNS1_11target_archE1100ELNS1_3gpuE3ELNS1_3repE0EEENS1_30default_config_static_selectorELNS0_4arch9wavefront6targetE0EEEvSQ_
	.p2align	8
	.type	_ZN7rocprim17ROCPRIM_400000_NS6detail17trampoline_kernelINS0_14default_configENS1_22reduce_config_selectorIiEEZNS1_11reduce_implILb1ES3_PiS7_iN6hipcub16HIPCUB_304000_NS6detail34convert_binary_result_type_wrapperINS9_3SumENS9_22TransformInputIteratorIbN2at6native12_GLOBAL__N_19NonZeroOpIhEEPKhlEEiEEEE10hipError_tPvRmT1_T2_T3_mT4_P12ihipStream_tbEUlT_E0_NS1_11comp_targetILNS1_3genE9ELNS1_11target_archE1100ELNS1_3gpuE3ELNS1_3repE0EEENS1_30default_config_static_selectorELNS0_4arch9wavefront6targetE0EEEvSQ_,@function
_ZN7rocprim17ROCPRIM_400000_NS6detail17trampoline_kernelINS0_14default_configENS1_22reduce_config_selectorIiEEZNS1_11reduce_implILb1ES3_PiS7_iN6hipcub16HIPCUB_304000_NS6detail34convert_binary_result_type_wrapperINS9_3SumENS9_22TransformInputIteratorIbN2at6native12_GLOBAL__N_19NonZeroOpIhEEPKhlEEiEEEE10hipError_tPvRmT1_T2_T3_mT4_P12ihipStream_tbEUlT_E0_NS1_11comp_targetILNS1_3genE9ELNS1_11target_archE1100ELNS1_3gpuE3ELNS1_3repE0EEENS1_30default_config_static_selectorELNS0_4arch9wavefront6targetE0EEEvSQ_: ; @_ZN7rocprim17ROCPRIM_400000_NS6detail17trampoline_kernelINS0_14default_configENS1_22reduce_config_selectorIiEEZNS1_11reduce_implILb1ES3_PiS7_iN6hipcub16HIPCUB_304000_NS6detail34convert_binary_result_type_wrapperINS9_3SumENS9_22TransformInputIteratorIbN2at6native12_GLOBAL__N_19NonZeroOpIhEEPKhlEEiEEEE10hipError_tPvRmT1_T2_T3_mT4_P12ihipStream_tbEUlT_E0_NS1_11comp_targetILNS1_3genE9ELNS1_11target_archE1100ELNS1_3gpuE3ELNS1_3repE0EEENS1_30default_config_static_selectorELNS0_4arch9wavefront6targetE0EEEvSQ_
; %bb.0:
	s_mov_b32 s16, s15
	s_clause 0x1
	s_load_b256 s[4:11], s[0:1], 0x0
	s_load_b128 s[12:15], s[0:1], 0x20
	s_mov_b32 s3, 0
	v_lshlrev_b32_e32 v10, 2, v0
	v_mbcnt_lo_u32_b32 v9, -1, 0
	s_mov_b32 s17, s3
	s_waitcnt lgkmcnt(0)
	s_lshl_b64 s[6:7], s[6:7], 2
	s_delay_alu instid0(SALU_CYCLE_1) | instskip(SKIP_4) | instid1(SALU_CYCLE_1)
	s_add_u32 s18, s4, s6
	s_addc_u32 s19, s5, s7
	s_lshl_b32 s2, s16, 11
	s_lshr_b64 s[6:7], s[8:9], 11
	s_lshl_b64 s[4:5], s[2:3], 2
	s_add_u32 s18, s18, s4
	s_addc_u32 s19, s19, s5
	s_cmp_lg_u64 s[6:7], s[16:17]
	s_cbranch_scc0 .LBB8_6
; %bb.1:
	v_add_co_u32 v1, s3, s18, v10
	s_clause 0x1
	global_load_b32 v3, v10, s[18:19]
	global_load_b32 v4, v10, s[18:19] offset:1024
	v_add_co_ci_u32_e64 v2, null, s19, 0, s3
	v_add_co_u32 v1, vcc_lo, 0x1000, v1
	s_mov_b32 s3, exec_lo
	s_delay_alu instid0(VALU_DEP_2)
	v_add_co_ci_u32_e32 v2, vcc_lo, 0, v2, vcc_lo
	s_clause 0x5
	global_load_b32 v5, v10, s[18:19] offset:2048
	global_load_b32 v6, v10, s[18:19] offset:3072
	global_load_b32 v7, v[1:2], off
	global_load_b32 v8, v[1:2], off offset:1024
	global_load_b32 v11, v[1:2], off offset:2048
	;; [unrolled: 1-line block ×3, first 2 shown]
	s_waitcnt vmcnt(6)
	v_dual_mov_b32 v3, 0 :: v_dual_add_nc_u32 v2, v4, v3
	s_waitcnt vmcnt(4)
	s_delay_alu instid0(VALU_DEP_1) | instskip(SKIP_1) | instid1(VALU_DEP_1)
	v_add3_u32 v2, v2, v5, v6
	s_waitcnt vmcnt(2)
	v_add3_u32 v2, v2, v7, v8
	s_waitcnt vmcnt(0)
	s_delay_alu instid0(VALU_DEP_1) | instskip(NEXT) | instid1(VALU_DEP_1)
	v_add3_u32 v1, v2, v11, v1
	v_mov_b32_dpp v2, v1 quad_perm:[1,0,3,2] row_mask:0xf bank_mask:0xf
	s_delay_alu instid0(VALU_DEP_1) | instskip(NEXT) | instid1(VALU_DEP_1)
	v_add_nc_u32_e32 v1, v2, v1
	v_mov_b32_dpp v2, v1 quad_perm:[2,3,0,1] row_mask:0xf bank_mask:0xf
	s_delay_alu instid0(VALU_DEP_1) | instskip(NEXT) | instid1(VALU_DEP_1)
	v_add_nc_u32_e32 v1, v1, v2
	v_mov_b32_dpp v2, v1 row_ror:4 row_mask:0xf bank_mask:0xf
	s_delay_alu instid0(VALU_DEP_1) | instskip(NEXT) | instid1(VALU_DEP_1)
	v_add_nc_u32_e32 v1, v1, v2
	v_mov_b32_dpp v2, v1 row_ror:8 row_mask:0xf bank_mask:0xf
	s_delay_alu instid0(VALU_DEP_1)
	v_add_nc_u32_e32 v1, v1, v2
	ds_swizzle_b32 v2, v1 offset:swizzle(BROADCAST,32,15)
	s_waitcnt lgkmcnt(0)
	v_add_nc_u32_e32 v1, v1, v2
	ds_bpermute_b32 v1, v3, v1 offset:124
	v_cmpx_eq_u32_e32 0, v9
	s_cbranch_execz .LBB8_3
; %bb.2:
	v_lshrrev_b32_e32 v2, 3, v0
	s_delay_alu instid0(VALU_DEP_1)
	v_and_b32_e32 v2, 28, v2
	s_waitcnt lgkmcnt(0)
	ds_store_b32 v2, v1
.LBB8_3:
	s_or_b32 exec_lo, exec_lo, s3
	s_delay_alu instid0(SALU_CYCLE_1)
	s_mov_b32 s3, exec_lo
	s_waitcnt lgkmcnt(0)
	s_barrier
	buffer_gl0_inv
	v_cmpx_gt_u32_e32 32, v0
	s_cbranch_execz .LBB8_5
; %bb.4:
	v_and_b32_e32 v1, 7, v9
	s_delay_alu instid0(VALU_DEP_1) | instskip(SKIP_4) | instid1(VALU_DEP_2)
	v_lshlrev_b32_e32 v2, 2, v1
	v_cmp_ne_u32_e32 vcc_lo, 7, v1
	ds_load_b32 v2, v2
	v_add_co_ci_u32_e32 v3, vcc_lo, 0, v9, vcc_lo
	v_cmp_gt_u32_e32 vcc_lo, 6, v1
	v_lshlrev_b32_e32 v3, 2, v3
	v_cndmask_b32_e64 v4, 0, 1, vcc_lo
	v_cmp_gt_u32_e32 vcc_lo, 4, v1
	s_delay_alu instid0(VALU_DEP_2) | instskip(SKIP_1) | instid1(VALU_DEP_2)
	v_lshlrev_b32_e32 v4, 1, v4
	v_cndmask_b32_e64 v1, 0, 1, vcc_lo
	v_add_lshl_u32 v4, v4, v9, 2
	s_delay_alu instid0(VALU_DEP_2)
	v_lshlrev_b32_e32 v1, 2, v1
	s_waitcnt lgkmcnt(0)
	ds_bpermute_b32 v3, v3, v2
	v_add_lshl_u32 v1, v1, v9, 2
	s_waitcnt lgkmcnt(0)
	v_add_nc_u32_e32 v2, v3, v2
	ds_bpermute_b32 v3, v4, v2
	s_waitcnt lgkmcnt(0)
	v_add_nc_u32_e32 v2, v3, v2
	ds_bpermute_b32 v1, v1, v2
	s_waitcnt lgkmcnt(0)
	v_add_nc_u32_e32 v1, v1, v2
.LBB8_5:
	s_or_b32 exec_lo, exec_lo, s3
	s_branch .LBB8_28
.LBB8_6:
                                        ; implicit-def: $vgpr1
	s_cbranch_execz .LBB8_28
; %bb.7:
	s_sub_i32 s20, s8, s2
	s_mov_b32 s2, exec_lo
                                        ; implicit-def: $vgpr1_vgpr2_vgpr3_vgpr4_vgpr5_vgpr6_vgpr7_vgpr8
	v_cmpx_gt_u32_e64 s20, v0
	s_cbranch_execz .LBB8_9
; %bb.8:
	global_load_b32 v1, v10, s[18:19]
.LBB8_9:
	s_or_b32 exec_lo, exec_lo, s2
	v_or_b32_e32 v11, 0x100, v0
	s_delay_alu instid0(VALU_DEP_1)
	v_cmp_gt_u32_e32 vcc_lo, s20, v11
	s_and_saveexec_b32 s2, vcc_lo
	s_cbranch_execz .LBB8_11
; %bb.10:
	global_load_b32 v2, v10, s[18:19] offset:1024
.LBB8_11:
	s_or_b32 exec_lo, exec_lo, s2
	v_or_b32_e32 v11, 0x200, v0
	s_delay_alu instid0(VALU_DEP_1) | instskip(NEXT) | instid1(VALU_DEP_1)
	v_cmp_gt_u32_e64 s2, s20, v11
	s_and_saveexec_b32 s3, s2
	s_cbranch_execz .LBB8_13
; %bb.12:
	global_load_b32 v3, v10, s[18:19] offset:2048
.LBB8_13:
	s_or_b32 exec_lo, exec_lo, s3
	v_or_b32_e32 v11, 0x300, v0
	s_delay_alu instid0(VALU_DEP_1) | instskip(NEXT) | instid1(VALU_DEP_1)
	v_cmp_gt_u32_e64 s3, s20, v11
	s_and_saveexec_b32 s4, s3
	;; [unrolled: 9-line block ×3, first 2 shown]
	s_cbranch_execz .LBB8_17
; %bb.16:
	v_lshlrev_b32_e32 v5, 2, v10
	global_load_b32 v5, v5, s[18:19]
.LBB8_17:
	s_or_b32 exec_lo, exec_lo, s5
	v_or_b32_e32 v10, 0x500, v0
	s_delay_alu instid0(VALU_DEP_1) | instskip(NEXT) | instid1(VALU_DEP_1)
	v_cmp_gt_u32_e64 s5, s20, v10
	s_and_saveexec_b32 s6, s5
	s_cbranch_execz .LBB8_19
; %bb.18:
	v_lshlrev_b32_e32 v6, 2, v10
	global_load_b32 v6, v6, s[18:19]
.LBB8_19:
	s_or_b32 exec_lo, exec_lo, s6
	v_or_b32_e32 v10, 0x600, v0
	s_delay_alu instid0(VALU_DEP_1) | instskip(NEXT) | instid1(VALU_DEP_1)
	v_cmp_gt_u32_e64 s6, s20, v10
	s_and_saveexec_b32 s7, s6
	;; [unrolled: 10-line block ×3, first 2 shown]
	s_cbranch_execz .LBB8_23
; %bb.22:
	v_lshlrev_b32_e32 v8, 2, v10
	global_load_b32 v8, v8, s[18:19]
.LBB8_23:
	s_or_b32 exec_lo, exec_lo, s21
	s_waitcnt vmcnt(0)
	v_cndmask_b32_e32 v2, 0, v2, vcc_lo
	v_cndmask_b32_e64 v3, 0, v3, s2
	v_cndmask_b32_e64 v4, 0, v4, s3
	v_cmp_ne_u32_e32 vcc_lo, 31, v9
	s_min_u32 s2, s20, 0x100
	v_add_nc_u32_e32 v1, v2, v1
	v_cndmask_b32_e64 v2, 0, v5, s4
	v_cndmask_b32_e64 v5, 0, v6, s5
	v_cndmask_b32_e64 v6, 0, v7, s6
	s_mov_b32 s3, exec_lo
	v_add3_u32 v1, v1, v3, v4
	v_cndmask_b32_e64 v3, 0, v8, s7
	v_add_co_ci_u32_e32 v4, vcc_lo, 0, v9, vcc_lo
	v_cmp_gt_u32_e32 vcc_lo, 30, v9
	s_delay_alu instid0(VALU_DEP_4) | instskip(NEXT) | instid1(VALU_DEP_3)
	v_add3_u32 v1, v1, v2, v5
	v_lshlrev_b32_e32 v2, 2, v4
	v_add_nc_u32_e32 v4, 1, v9
	v_cndmask_b32_e64 v5, 0, 1, vcc_lo
	s_delay_alu instid0(VALU_DEP_4) | instskip(SKIP_1) | instid1(VALU_DEP_3)
	v_add3_u32 v1, v1, v6, v3
	v_and_b32_e32 v3, 0xe0, v0
	v_lshlrev_b32_e32 v5, 1, v5
	ds_bpermute_b32 v2, v2, v1
	v_sub_nc_u32_e64 v3, s2, v3 clamp
	s_delay_alu instid0(VALU_DEP_1) | instskip(SKIP_4) | instid1(VALU_DEP_2)
	v_cmp_lt_u32_e32 vcc_lo, v4, v3
	v_add_lshl_u32 v4, v5, v9, 2
	s_waitcnt lgkmcnt(0)
	v_dual_cndmask_b32 v2, 0, v2 :: v_dual_add_nc_u32 v5, 2, v9
	v_cmp_gt_u32_e32 vcc_lo, 28, v9
	v_add_nc_u32_e32 v1, v1, v2
	ds_bpermute_b32 v2, v4, v1
	v_cndmask_b32_e64 v4, 0, 1, vcc_lo
	v_cmp_lt_u32_e32 vcc_lo, v5, v3
	v_add_nc_u32_e32 v5, 4, v9
	s_delay_alu instid0(VALU_DEP_3) | instskip(NEXT) | instid1(VALU_DEP_1)
	v_lshlrev_b32_e32 v4, 2, v4
	v_add_lshl_u32 v4, v4, v9, 2
	s_waitcnt lgkmcnt(0)
	v_cndmask_b32_e32 v2, 0, v2, vcc_lo
	v_cmp_gt_u32_e32 vcc_lo, 24, v9
	s_delay_alu instid0(VALU_DEP_2) | instskip(SKIP_4) | instid1(VALU_DEP_3)
	v_add_nc_u32_e32 v1, v1, v2
	ds_bpermute_b32 v2, v4, v1
	v_cndmask_b32_e64 v4, 0, 1, vcc_lo
	v_cmp_lt_u32_e32 vcc_lo, v5, v3
	v_add_nc_u32_e32 v5, 8, v9
	v_lshlrev_b32_e32 v4, 3, v4
	s_delay_alu instid0(VALU_DEP_1) | instskip(SKIP_3) | instid1(VALU_DEP_2)
	v_add_lshl_u32 v4, v4, v9, 2
	s_waitcnt lgkmcnt(0)
	v_cndmask_b32_e32 v2, 0, v2, vcc_lo
	v_cmp_gt_u32_e32 vcc_lo, 16, v9
	v_add_nc_u32_e32 v1, v1, v2
	ds_bpermute_b32 v2, v4, v1
	v_cndmask_b32_e64 v4, 0, 1, vcc_lo
	v_cmp_lt_u32_e32 vcc_lo, v5, v3
	s_delay_alu instid0(VALU_DEP_2) | instskip(NEXT) | instid1(VALU_DEP_1)
	v_lshlrev_b32_e32 v4, 4, v4
	v_add_lshl_u32 v4, v4, v9, 2
	s_waitcnt lgkmcnt(0)
	v_cndmask_b32_e32 v2, 0, v2, vcc_lo
	s_delay_alu instid0(VALU_DEP_1) | instskip(SKIP_2) | instid1(VALU_DEP_1)
	v_add_nc_u32_e32 v1, v1, v2
	ds_bpermute_b32 v2, v4, v1
	v_add_nc_u32_e32 v4, 16, v9
	v_cmp_lt_u32_e32 vcc_lo, v4, v3
	s_waitcnt lgkmcnt(0)
	v_cndmask_b32_e32 v2, 0, v2, vcc_lo
	s_delay_alu instid0(VALU_DEP_1)
	v_add_nc_u32_e32 v1, v1, v2
	v_cmpx_eq_u32_e32 0, v9
	s_cbranch_execz .LBB8_25
; %bb.24:
	v_lshrrev_b32_e32 v2, 3, v0
	s_delay_alu instid0(VALU_DEP_1)
	v_and_b32_e32 v2, 28, v2
	ds_store_b32 v2, v1 offset:32
.LBB8_25:
	s_or_b32 exec_lo, exec_lo, s3
	s_delay_alu instid0(SALU_CYCLE_1)
	s_mov_b32 s3, exec_lo
	s_waitcnt lgkmcnt(0)
	s_barrier
	buffer_gl0_inv
	v_cmpx_gt_u32_e32 8, v0
	s_cbranch_execz .LBB8_27
; %bb.26:
	v_lshlrev_b32_e32 v1, 2, v9
	v_and_b32_e32 v2, 7, v9
	s_add_i32 s2, s2, 31
	s_delay_alu instid0(SALU_CYCLE_1)
	s_lshr_b32 s2, s2, 5
	ds_load_b32 v1, v1 offset:32
	v_cmp_ne_u32_e32 vcc_lo, 7, v2
	v_add_nc_u32_e32 v5, 1, v2
	v_add_co_ci_u32_e32 v3, vcc_lo, 0, v9, vcc_lo
	v_cmp_gt_u32_e32 vcc_lo, 6, v2
	s_delay_alu instid0(VALU_DEP_2) | instskip(SKIP_2) | instid1(VALU_DEP_2)
	v_lshlrev_b32_e32 v3, 2, v3
	v_cndmask_b32_e64 v4, 0, 1, vcc_lo
	v_cmp_gt_u32_e32 vcc_lo, s2, v5
	v_lshlrev_b32_e32 v4, 1, v4
	s_waitcnt lgkmcnt(0)
	ds_bpermute_b32 v3, v3, v1
	v_add_lshl_u32 v4, v4, v9, 2
	s_waitcnt lgkmcnt(0)
	v_cndmask_b32_e32 v3, 0, v3, vcc_lo
	v_cmp_gt_u32_e32 vcc_lo, 4, v2
	s_delay_alu instid0(VALU_DEP_2) | instskip(SKIP_4) | instid1(VALU_DEP_2)
	v_add_nc_u32_e32 v1, v3, v1
	v_cndmask_b32_e64 v5, 0, 1, vcc_lo
	ds_bpermute_b32 v3, v4, v1
	v_add_nc_u32_e32 v4, 2, v2
	v_add_nc_u32_e32 v2, 4, v2
	v_cmp_gt_u32_e32 vcc_lo, s2, v4
	s_waitcnt lgkmcnt(0)
	v_dual_cndmask_b32 v3, 0, v3 :: v_dual_lshlrev_b32 v4, 2, v5
	s_delay_alu instid0(VALU_DEP_3) | instskip(NEXT) | instid1(VALU_DEP_2)
	v_cmp_gt_u32_e32 vcc_lo, s2, v2
	v_add_nc_u32_e32 v1, v1, v3
	s_delay_alu instid0(VALU_DEP_3) | instskip(SKIP_3) | instid1(VALU_DEP_1)
	v_add_lshl_u32 v3, v4, v9, 2
	ds_bpermute_b32 v3, v3, v1
	s_waitcnt lgkmcnt(0)
	v_cndmask_b32_e32 v2, 0, v3, vcc_lo
	v_add_nc_u32_e32 v1, v1, v2
.LBB8_27:
	s_or_b32 exec_lo, exec_lo, s3
.LBB8_28:
	s_load_b32 s0, s[0:1], 0x30
	s_mov_b32 s1, exec_lo
	v_cmpx_eq_u32_e32 0, v0
	s_cbranch_execz .LBB8_30
; %bb.29:
	s_mul_i32 s1, s14, s13
	s_mul_hi_u32 s2, s14, s12
	s_mul_i32 s3, s15, s12
	s_add_i32 s1, s2, s1
	s_mul_i32 s2, s14, s12
	s_add_i32 s3, s1, s3
	s_delay_alu instid0(SALU_CYCLE_1) | instskip(NEXT) | instid1(SALU_CYCLE_1)
	s_lshl_b64 s[2:3], s[2:3], 2
	s_add_u32 s2, s10, s2
	s_addc_u32 s3, s11, s3
	s_cmp_eq_u64 s[8:9], 0
	s_cselect_b32 s1, -1, 0
	s_waitcnt lgkmcnt(0)
	v_cndmask_b32_e64 v0, v1, s0, s1
	s_lshl_b64 s[0:1], s[16:17], 2
	v_mov_b32_e32 v1, 0
	s_add_u32 s0, s2, s0
	s_addc_u32 s1, s3, s1
	global_store_b32 v1, v0, s[0:1]
.LBB8_30:
	s_nop 0
	s_sendmsg sendmsg(MSG_DEALLOC_VGPRS)
	s_endpgm
	.section	.rodata,"a",@progbits
	.p2align	6, 0x0
	.amdhsa_kernel _ZN7rocprim17ROCPRIM_400000_NS6detail17trampoline_kernelINS0_14default_configENS1_22reduce_config_selectorIiEEZNS1_11reduce_implILb1ES3_PiS7_iN6hipcub16HIPCUB_304000_NS6detail34convert_binary_result_type_wrapperINS9_3SumENS9_22TransformInputIteratorIbN2at6native12_GLOBAL__N_19NonZeroOpIhEEPKhlEEiEEEE10hipError_tPvRmT1_T2_T3_mT4_P12ihipStream_tbEUlT_E0_NS1_11comp_targetILNS1_3genE9ELNS1_11target_archE1100ELNS1_3gpuE3ELNS1_3repE0EEENS1_30default_config_static_selectorELNS0_4arch9wavefront6targetE0EEEvSQ_
		.amdhsa_group_segment_fixed_size 64
		.amdhsa_private_segment_fixed_size 0
		.amdhsa_kernarg_size 56
		.amdhsa_user_sgpr_count 15
		.amdhsa_user_sgpr_dispatch_ptr 0
		.amdhsa_user_sgpr_queue_ptr 0
		.amdhsa_user_sgpr_kernarg_segment_ptr 1
		.amdhsa_user_sgpr_dispatch_id 0
		.amdhsa_user_sgpr_private_segment_size 0
		.amdhsa_wavefront_size32 1
		.amdhsa_uses_dynamic_stack 0
		.amdhsa_enable_private_segment 0
		.amdhsa_system_sgpr_workgroup_id_x 1
		.amdhsa_system_sgpr_workgroup_id_y 0
		.amdhsa_system_sgpr_workgroup_id_z 0
		.amdhsa_system_sgpr_workgroup_info 0
		.amdhsa_system_vgpr_workitem_id 0
		.amdhsa_next_free_vgpr 12
		.amdhsa_next_free_sgpr 22
		.amdhsa_reserve_vcc 1
		.amdhsa_float_round_mode_32 0
		.amdhsa_float_round_mode_16_64 0
		.amdhsa_float_denorm_mode_32 3
		.amdhsa_float_denorm_mode_16_64 3
		.amdhsa_dx10_clamp 1
		.amdhsa_ieee_mode 1
		.amdhsa_fp16_overflow 0
		.amdhsa_workgroup_processor_mode 1
		.amdhsa_memory_ordered 1
		.amdhsa_forward_progress 0
		.amdhsa_shared_vgpr_count 0
		.amdhsa_exception_fp_ieee_invalid_op 0
		.amdhsa_exception_fp_denorm_src 0
		.amdhsa_exception_fp_ieee_div_zero 0
		.amdhsa_exception_fp_ieee_overflow 0
		.amdhsa_exception_fp_ieee_underflow 0
		.amdhsa_exception_fp_ieee_inexact 0
		.amdhsa_exception_int_div_zero 0
	.end_amdhsa_kernel
	.section	.text._ZN7rocprim17ROCPRIM_400000_NS6detail17trampoline_kernelINS0_14default_configENS1_22reduce_config_selectorIiEEZNS1_11reduce_implILb1ES3_PiS7_iN6hipcub16HIPCUB_304000_NS6detail34convert_binary_result_type_wrapperINS9_3SumENS9_22TransformInputIteratorIbN2at6native12_GLOBAL__N_19NonZeroOpIhEEPKhlEEiEEEE10hipError_tPvRmT1_T2_T3_mT4_P12ihipStream_tbEUlT_E0_NS1_11comp_targetILNS1_3genE9ELNS1_11target_archE1100ELNS1_3gpuE3ELNS1_3repE0EEENS1_30default_config_static_selectorELNS0_4arch9wavefront6targetE0EEEvSQ_,"axG",@progbits,_ZN7rocprim17ROCPRIM_400000_NS6detail17trampoline_kernelINS0_14default_configENS1_22reduce_config_selectorIiEEZNS1_11reduce_implILb1ES3_PiS7_iN6hipcub16HIPCUB_304000_NS6detail34convert_binary_result_type_wrapperINS9_3SumENS9_22TransformInputIteratorIbN2at6native12_GLOBAL__N_19NonZeroOpIhEEPKhlEEiEEEE10hipError_tPvRmT1_T2_T3_mT4_P12ihipStream_tbEUlT_E0_NS1_11comp_targetILNS1_3genE9ELNS1_11target_archE1100ELNS1_3gpuE3ELNS1_3repE0EEENS1_30default_config_static_selectorELNS0_4arch9wavefront6targetE0EEEvSQ_,comdat
.Lfunc_end8:
	.size	_ZN7rocprim17ROCPRIM_400000_NS6detail17trampoline_kernelINS0_14default_configENS1_22reduce_config_selectorIiEEZNS1_11reduce_implILb1ES3_PiS7_iN6hipcub16HIPCUB_304000_NS6detail34convert_binary_result_type_wrapperINS9_3SumENS9_22TransformInputIteratorIbN2at6native12_GLOBAL__N_19NonZeroOpIhEEPKhlEEiEEEE10hipError_tPvRmT1_T2_T3_mT4_P12ihipStream_tbEUlT_E0_NS1_11comp_targetILNS1_3genE9ELNS1_11target_archE1100ELNS1_3gpuE3ELNS1_3repE0EEENS1_30default_config_static_selectorELNS0_4arch9wavefront6targetE0EEEvSQ_, .Lfunc_end8-_ZN7rocprim17ROCPRIM_400000_NS6detail17trampoline_kernelINS0_14default_configENS1_22reduce_config_selectorIiEEZNS1_11reduce_implILb1ES3_PiS7_iN6hipcub16HIPCUB_304000_NS6detail34convert_binary_result_type_wrapperINS9_3SumENS9_22TransformInputIteratorIbN2at6native12_GLOBAL__N_19NonZeroOpIhEEPKhlEEiEEEE10hipError_tPvRmT1_T2_T3_mT4_P12ihipStream_tbEUlT_E0_NS1_11comp_targetILNS1_3genE9ELNS1_11target_archE1100ELNS1_3gpuE3ELNS1_3repE0EEENS1_30default_config_static_selectorELNS0_4arch9wavefront6targetE0EEEvSQ_
                                        ; -- End function
	.section	.AMDGPU.csdata,"",@progbits
; Kernel info:
; codeLenInByte = 1664
; NumSgprs: 24
; NumVgprs: 12
; ScratchSize: 0
; MemoryBound: 0
; FloatMode: 240
; IeeeMode: 1
; LDSByteSize: 64 bytes/workgroup (compile time only)
; SGPRBlocks: 2
; VGPRBlocks: 1
; NumSGPRsForWavesPerEU: 24
; NumVGPRsForWavesPerEU: 12
; Occupancy: 16
; WaveLimiterHint : 1
; COMPUTE_PGM_RSRC2:SCRATCH_EN: 0
; COMPUTE_PGM_RSRC2:USER_SGPR: 15
; COMPUTE_PGM_RSRC2:TRAP_HANDLER: 0
; COMPUTE_PGM_RSRC2:TGID_X_EN: 1
; COMPUTE_PGM_RSRC2:TGID_Y_EN: 0
; COMPUTE_PGM_RSRC2:TGID_Z_EN: 0
; COMPUTE_PGM_RSRC2:TIDIG_COMP_CNT: 0
	.section	.text._ZN7rocprim17ROCPRIM_400000_NS6detail17trampoline_kernelINS0_14default_configENS1_22reduce_config_selectorIiEEZNS1_11reduce_implILb1ES3_PiS7_iN6hipcub16HIPCUB_304000_NS6detail34convert_binary_result_type_wrapperINS9_3SumENS9_22TransformInputIteratorIbN2at6native12_GLOBAL__N_19NonZeroOpIhEEPKhlEEiEEEE10hipError_tPvRmT1_T2_T3_mT4_P12ihipStream_tbEUlT_E0_NS1_11comp_targetILNS1_3genE8ELNS1_11target_archE1030ELNS1_3gpuE2ELNS1_3repE0EEENS1_30default_config_static_selectorELNS0_4arch9wavefront6targetE0EEEvSQ_,"axG",@progbits,_ZN7rocprim17ROCPRIM_400000_NS6detail17trampoline_kernelINS0_14default_configENS1_22reduce_config_selectorIiEEZNS1_11reduce_implILb1ES3_PiS7_iN6hipcub16HIPCUB_304000_NS6detail34convert_binary_result_type_wrapperINS9_3SumENS9_22TransformInputIteratorIbN2at6native12_GLOBAL__N_19NonZeroOpIhEEPKhlEEiEEEE10hipError_tPvRmT1_T2_T3_mT4_P12ihipStream_tbEUlT_E0_NS1_11comp_targetILNS1_3genE8ELNS1_11target_archE1030ELNS1_3gpuE2ELNS1_3repE0EEENS1_30default_config_static_selectorELNS0_4arch9wavefront6targetE0EEEvSQ_,comdat
	.globl	_ZN7rocprim17ROCPRIM_400000_NS6detail17trampoline_kernelINS0_14default_configENS1_22reduce_config_selectorIiEEZNS1_11reduce_implILb1ES3_PiS7_iN6hipcub16HIPCUB_304000_NS6detail34convert_binary_result_type_wrapperINS9_3SumENS9_22TransformInputIteratorIbN2at6native12_GLOBAL__N_19NonZeroOpIhEEPKhlEEiEEEE10hipError_tPvRmT1_T2_T3_mT4_P12ihipStream_tbEUlT_E0_NS1_11comp_targetILNS1_3genE8ELNS1_11target_archE1030ELNS1_3gpuE2ELNS1_3repE0EEENS1_30default_config_static_selectorELNS0_4arch9wavefront6targetE0EEEvSQ_ ; -- Begin function _ZN7rocprim17ROCPRIM_400000_NS6detail17trampoline_kernelINS0_14default_configENS1_22reduce_config_selectorIiEEZNS1_11reduce_implILb1ES3_PiS7_iN6hipcub16HIPCUB_304000_NS6detail34convert_binary_result_type_wrapperINS9_3SumENS9_22TransformInputIteratorIbN2at6native12_GLOBAL__N_19NonZeroOpIhEEPKhlEEiEEEE10hipError_tPvRmT1_T2_T3_mT4_P12ihipStream_tbEUlT_E0_NS1_11comp_targetILNS1_3genE8ELNS1_11target_archE1030ELNS1_3gpuE2ELNS1_3repE0EEENS1_30default_config_static_selectorELNS0_4arch9wavefront6targetE0EEEvSQ_
	.p2align	8
	.type	_ZN7rocprim17ROCPRIM_400000_NS6detail17trampoline_kernelINS0_14default_configENS1_22reduce_config_selectorIiEEZNS1_11reduce_implILb1ES3_PiS7_iN6hipcub16HIPCUB_304000_NS6detail34convert_binary_result_type_wrapperINS9_3SumENS9_22TransformInputIteratorIbN2at6native12_GLOBAL__N_19NonZeroOpIhEEPKhlEEiEEEE10hipError_tPvRmT1_T2_T3_mT4_P12ihipStream_tbEUlT_E0_NS1_11comp_targetILNS1_3genE8ELNS1_11target_archE1030ELNS1_3gpuE2ELNS1_3repE0EEENS1_30default_config_static_selectorELNS0_4arch9wavefront6targetE0EEEvSQ_,@function
_ZN7rocprim17ROCPRIM_400000_NS6detail17trampoline_kernelINS0_14default_configENS1_22reduce_config_selectorIiEEZNS1_11reduce_implILb1ES3_PiS7_iN6hipcub16HIPCUB_304000_NS6detail34convert_binary_result_type_wrapperINS9_3SumENS9_22TransformInputIteratorIbN2at6native12_GLOBAL__N_19NonZeroOpIhEEPKhlEEiEEEE10hipError_tPvRmT1_T2_T3_mT4_P12ihipStream_tbEUlT_E0_NS1_11comp_targetILNS1_3genE8ELNS1_11target_archE1030ELNS1_3gpuE2ELNS1_3repE0EEENS1_30default_config_static_selectorELNS0_4arch9wavefront6targetE0EEEvSQ_: ; @_ZN7rocprim17ROCPRIM_400000_NS6detail17trampoline_kernelINS0_14default_configENS1_22reduce_config_selectorIiEEZNS1_11reduce_implILb1ES3_PiS7_iN6hipcub16HIPCUB_304000_NS6detail34convert_binary_result_type_wrapperINS9_3SumENS9_22TransformInputIteratorIbN2at6native12_GLOBAL__N_19NonZeroOpIhEEPKhlEEiEEEE10hipError_tPvRmT1_T2_T3_mT4_P12ihipStream_tbEUlT_E0_NS1_11comp_targetILNS1_3genE8ELNS1_11target_archE1030ELNS1_3gpuE2ELNS1_3repE0EEENS1_30default_config_static_selectorELNS0_4arch9wavefront6targetE0EEEvSQ_
; %bb.0:
	.section	.rodata,"a",@progbits
	.p2align	6, 0x0
	.amdhsa_kernel _ZN7rocprim17ROCPRIM_400000_NS6detail17trampoline_kernelINS0_14default_configENS1_22reduce_config_selectorIiEEZNS1_11reduce_implILb1ES3_PiS7_iN6hipcub16HIPCUB_304000_NS6detail34convert_binary_result_type_wrapperINS9_3SumENS9_22TransformInputIteratorIbN2at6native12_GLOBAL__N_19NonZeroOpIhEEPKhlEEiEEEE10hipError_tPvRmT1_T2_T3_mT4_P12ihipStream_tbEUlT_E0_NS1_11comp_targetILNS1_3genE8ELNS1_11target_archE1030ELNS1_3gpuE2ELNS1_3repE0EEENS1_30default_config_static_selectorELNS0_4arch9wavefront6targetE0EEEvSQ_
		.amdhsa_group_segment_fixed_size 0
		.amdhsa_private_segment_fixed_size 0
		.amdhsa_kernarg_size 56
		.amdhsa_user_sgpr_count 15
		.amdhsa_user_sgpr_dispatch_ptr 0
		.amdhsa_user_sgpr_queue_ptr 0
		.amdhsa_user_sgpr_kernarg_segment_ptr 1
		.amdhsa_user_sgpr_dispatch_id 0
		.amdhsa_user_sgpr_private_segment_size 0
		.amdhsa_wavefront_size32 1
		.amdhsa_uses_dynamic_stack 0
		.amdhsa_enable_private_segment 0
		.amdhsa_system_sgpr_workgroup_id_x 1
		.amdhsa_system_sgpr_workgroup_id_y 0
		.amdhsa_system_sgpr_workgroup_id_z 0
		.amdhsa_system_sgpr_workgroup_info 0
		.amdhsa_system_vgpr_workitem_id 0
		.amdhsa_next_free_vgpr 1
		.amdhsa_next_free_sgpr 1
		.amdhsa_reserve_vcc 0
		.amdhsa_float_round_mode_32 0
		.amdhsa_float_round_mode_16_64 0
		.amdhsa_float_denorm_mode_32 3
		.amdhsa_float_denorm_mode_16_64 3
		.amdhsa_dx10_clamp 1
		.amdhsa_ieee_mode 1
		.amdhsa_fp16_overflow 0
		.amdhsa_workgroup_processor_mode 1
		.amdhsa_memory_ordered 1
		.amdhsa_forward_progress 0
		.amdhsa_shared_vgpr_count 0
		.amdhsa_exception_fp_ieee_invalid_op 0
		.amdhsa_exception_fp_denorm_src 0
		.amdhsa_exception_fp_ieee_div_zero 0
		.amdhsa_exception_fp_ieee_overflow 0
		.amdhsa_exception_fp_ieee_underflow 0
		.amdhsa_exception_fp_ieee_inexact 0
		.amdhsa_exception_int_div_zero 0
	.end_amdhsa_kernel
	.section	.text._ZN7rocprim17ROCPRIM_400000_NS6detail17trampoline_kernelINS0_14default_configENS1_22reduce_config_selectorIiEEZNS1_11reduce_implILb1ES3_PiS7_iN6hipcub16HIPCUB_304000_NS6detail34convert_binary_result_type_wrapperINS9_3SumENS9_22TransformInputIteratorIbN2at6native12_GLOBAL__N_19NonZeroOpIhEEPKhlEEiEEEE10hipError_tPvRmT1_T2_T3_mT4_P12ihipStream_tbEUlT_E0_NS1_11comp_targetILNS1_3genE8ELNS1_11target_archE1030ELNS1_3gpuE2ELNS1_3repE0EEENS1_30default_config_static_selectorELNS0_4arch9wavefront6targetE0EEEvSQ_,"axG",@progbits,_ZN7rocprim17ROCPRIM_400000_NS6detail17trampoline_kernelINS0_14default_configENS1_22reduce_config_selectorIiEEZNS1_11reduce_implILb1ES3_PiS7_iN6hipcub16HIPCUB_304000_NS6detail34convert_binary_result_type_wrapperINS9_3SumENS9_22TransformInputIteratorIbN2at6native12_GLOBAL__N_19NonZeroOpIhEEPKhlEEiEEEE10hipError_tPvRmT1_T2_T3_mT4_P12ihipStream_tbEUlT_E0_NS1_11comp_targetILNS1_3genE8ELNS1_11target_archE1030ELNS1_3gpuE2ELNS1_3repE0EEENS1_30default_config_static_selectorELNS0_4arch9wavefront6targetE0EEEvSQ_,comdat
.Lfunc_end9:
	.size	_ZN7rocprim17ROCPRIM_400000_NS6detail17trampoline_kernelINS0_14default_configENS1_22reduce_config_selectorIiEEZNS1_11reduce_implILb1ES3_PiS7_iN6hipcub16HIPCUB_304000_NS6detail34convert_binary_result_type_wrapperINS9_3SumENS9_22TransformInputIteratorIbN2at6native12_GLOBAL__N_19NonZeroOpIhEEPKhlEEiEEEE10hipError_tPvRmT1_T2_T3_mT4_P12ihipStream_tbEUlT_E0_NS1_11comp_targetILNS1_3genE8ELNS1_11target_archE1030ELNS1_3gpuE2ELNS1_3repE0EEENS1_30default_config_static_selectorELNS0_4arch9wavefront6targetE0EEEvSQ_, .Lfunc_end9-_ZN7rocprim17ROCPRIM_400000_NS6detail17trampoline_kernelINS0_14default_configENS1_22reduce_config_selectorIiEEZNS1_11reduce_implILb1ES3_PiS7_iN6hipcub16HIPCUB_304000_NS6detail34convert_binary_result_type_wrapperINS9_3SumENS9_22TransformInputIteratorIbN2at6native12_GLOBAL__N_19NonZeroOpIhEEPKhlEEiEEEE10hipError_tPvRmT1_T2_T3_mT4_P12ihipStream_tbEUlT_E0_NS1_11comp_targetILNS1_3genE8ELNS1_11target_archE1030ELNS1_3gpuE2ELNS1_3repE0EEENS1_30default_config_static_selectorELNS0_4arch9wavefront6targetE0EEEvSQ_
                                        ; -- End function
	.section	.AMDGPU.csdata,"",@progbits
; Kernel info:
; codeLenInByte = 0
; NumSgprs: 0
; NumVgprs: 0
; ScratchSize: 0
; MemoryBound: 0
; FloatMode: 240
; IeeeMode: 1
; LDSByteSize: 0 bytes/workgroup (compile time only)
; SGPRBlocks: 0
; VGPRBlocks: 0
; NumSGPRsForWavesPerEU: 1
; NumVGPRsForWavesPerEU: 1
; Occupancy: 16
; WaveLimiterHint : 0
; COMPUTE_PGM_RSRC2:SCRATCH_EN: 0
; COMPUTE_PGM_RSRC2:USER_SGPR: 15
; COMPUTE_PGM_RSRC2:TRAP_HANDLER: 0
; COMPUTE_PGM_RSRC2:TGID_X_EN: 1
; COMPUTE_PGM_RSRC2:TGID_Y_EN: 0
; COMPUTE_PGM_RSRC2:TGID_Z_EN: 0
; COMPUTE_PGM_RSRC2:TIDIG_COMP_CNT: 0
	.section	.text._ZN7rocprim17ROCPRIM_400000_NS6detail17trampoline_kernelINS0_14default_configENS1_22reduce_config_selectorIiEEZNS1_11reduce_implILb1ES3_PiS7_iN6hipcub16HIPCUB_304000_NS6detail34convert_binary_result_type_wrapperINS9_3SumENS9_22TransformInputIteratorIbN2at6native12_GLOBAL__N_19NonZeroOpIhEEPKhlEEiEEEE10hipError_tPvRmT1_T2_T3_mT4_P12ihipStream_tbEUlT_E1_NS1_11comp_targetILNS1_3genE0ELNS1_11target_archE4294967295ELNS1_3gpuE0ELNS1_3repE0EEENS1_30default_config_static_selectorELNS0_4arch9wavefront6targetE0EEEvSQ_,"axG",@progbits,_ZN7rocprim17ROCPRIM_400000_NS6detail17trampoline_kernelINS0_14default_configENS1_22reduce_config_selectorIiEEZNS1_11reduce_implILb1ES3_PiS7_iN6hipcub16HIPCUB_304000_NS6detail34convert_binary_result_type_wrapperINS9_3SumENS9_22TransformInputIteratorIbN2at6native12_GLOBAL__N_19NonZeroOpIhEEPKhlEEiEEEE10hipError_tPvRmT1_T2_T3_mT4_P12ihipStream_tbEUlT_E1_NS1_11comp_targetILNS1_3genE0ELNS1_11target_archE4294967295ELNS1_3gpuE0ELNS1_3repE0EEENS1_30default_config_static_selectorELNS0_4arch9wavefront6targetE0EEEvSQ_,comdat
	.globl	_ZN7rocprim17ROCPRIM_400000_NS6detail17trampoline_kernelINS0_14default_configENS1_22reduce_config_selectorIiEEZNS1_11reduce_implILb1ES3_PiS7_iN6hipcub16HIPCUB_304000_NS6detail34convert_binary_result_type_wrapperINS9_3SumENS9_22TransformInputIteratorIbN2at6native12_GLOBAL__N_19NonZeroOpIhEEPKhlEEiEEEE10hipError_tPvRmT1_T2_T3_mT4_P12ihipStream_tbEUlT_E1_NS1_11comp_targetILNS1_3genE0ELNS1_11target_archE4294967295ELNS1_3gpuE0ELNS1_3repE0EEENS1_30default_config_static_selectorELNS0_4arch9wavefront6targetE0EEEvSQ_ ; -- Begin function _ZN7rocprim17ROCPRIM_400000_NS6detail17trampoline_kernelINS0_14default_configENS1_22reduce_config_selectorIiEEZNS1_11reduce_implILb1ES3_PiS7_iN6hipcub16HIPCUB_304000_NS6detail34convert_binary_result_type_wrapperINS9_3SumENS9_22TransformInputIteratorIbN2at6native12_GLOBAL__N_19NonZeroOpIhEEPKhlEEiEEEE10hipError_tPvRmT1_T2_T3_mT4_P12ihipStream_tbEUlT_E1_NS1_11comp_targetILNS1_3genE0ELNS1_11target_archE4294967295ELNS1_3gpuE0ELNS1_3repE0EEENS1_30default_config_static_selectorELNS0_4arch9wavefront6targetE0EEEvSQ_
	.p2align	8
	.type	_ZN7rocprim17ROCPRIM_400000_NS6detail17trampoline_kernelINS0_14default_configENS1_22reduce_config_selectorIiEEZNS1_11reduce_implILb1ES3_PiS7_iN6hipcub16HIPCUB_304000_NS6detail34convert_binary_result_type_wrapperINS9_3SumENS9_22TransformInputIteratorIbN2at6native12_GLOBAL__N_19NonZeroOpIhEEPKhlEEiEEEE10hipError_tPvRmT1_T2_T3_mT4_P12ihipStream_tbEUlT_E1_NS1_11comp_targetILNS1_3genE0ELNS1_11target_archE4294967295ELNS1_3gpuE0ELNS1_3repE0EEENS1_30default_config_static_selectorELNS0_4arch9wavefront6targetE0EEEvSQ_,@function
_ZN7rocprim17ROCPRIM_400000_NS6detail17trampoline_kernelINS0_14default_configENS1_22reduce_config_selectorIiEEZNS1_11reduce_implILb1ES3_PiS7_iN6hipcub16HIPCUB_304000_NS6detail34convert_binary_result_type_wrapperINS9_3SumENS9_22TransformInputIteratorIbN2at6native12_GLOBAL__N_19NonZeroOpIhEEPKhlEEiEEEE10hipError_tPvRmT1_T2_T3_mT4_P12ihipStream_tbEUlT_E1_NS1_11comp_targetILNS1_3genE0ELNS1_11target_archE4294967295ELNS1_3gpuE0ELNS1_3repE0EEENS1_30default_config_static_selectorELNS0_4arch9wavefront6targetE0EEEvSQ_: ; @_ZN7rocprim17ROCPRIM_400000_NS6detail17trampoline_kernelINS0_14default_configENS1_22reduce_config_selectorIiEEZNS1_11reduce_implILb1ES3_PiS7_iN6hipcub16HIPCUB_304000_NS6detail34convert_binary_result_type_wrapperINS9_3SumENS9_22TransformInputIteratorIbN2at6native12_GLOBAL__N_19NonZeroOpIhEEPKhlEEiEEEE10hipError_tPvRmT1_T2_T3_mT4_P12ihipStream_tbEUlT_E1_NS1_11comp_targetILNS1_3genE0ELNS1_11target_archE4294967295ELNS1_3gpuE0ELNS1_3repE0EEENS1_30default_config_static_selectorELNS0_4arch9wavefront6targetE0EEEvSQ_
; %bb.0:
	.section	.rodata,"a",@progbits
	.p2align	6, 0x0
	.amdhsa_kernel _ZN7rocprim17ROCPRIM_400000_NS6detail17trampoline_kernelINS0_14default_configENS1_22reduce_config_selectorIiEEZNS1_11reduce_implILb1ES3_PiS7_iN6hipcub16HIPCUB_304000_NS6detail34convert_binary_result_type_wrapperINS9_3SumENS9_22TransformInputIteratorIbN2at6native12_GLOBAL__N_19NonZeroOpIhEEPKhlEEiEEEE10hipError_tPvRmT1_T2_T3_mT4_P12ihipStream_tbEUlT_E1_NS1_11comp_targetILNS1_3genE0ELNS1_11target_archE4294967295ELNS1_3gpuE0ELNS1_3repE0EEENS1_30default_config_static_selectorELNS0_4arch9wavefront6targetE0EEEvSQ_
		.amdhsa_group_segment_fixed_size 0
		.amdhsa_private_segment_fixed_size 0
		.amdhsa_kernarg_size 40
		.amdhsa_user_sgpr_count 15
		.amdhsa_user_sgpr_dispatch_ptr 0
		.amdhsa_user_sgpr_queue_ptr 0
		.amdhsa_user_sgpr_kernarg_segment_ptr 1
		.amdhsa_user_sgpr_dispatch_id 0
		.amdhsa_user_sgpr_private_segment_size 0
		.amdhsa_wavefront_size32 1
		.amdhsa_uses_dynamic_stack 0
		.amdhsa_enable_private_segment 0
		.amdhsa_system_sgpr_workgroup_id_x 1
		.amdhsa_system_sgpr_workgroup_id_y 0
		.amdhsa_system_sgpr_workgroup_id_z 0
		.amdhsa_system_sgpr_workgroup_info 0
		.amdhsa_system_vgpr_workitem_id 0
		.amdhsa_next_free_vgpr 1
		.amdhsa_next_free_sgpr 1
		.amdhsa_reserve_vcc 0
		.amdhsa_float_round_mode_32 0
		.amdhsa_float_round_mode_16_64 0
		.amdhsa_float_denorm_mode_32 3
		.amdhsa_float_denorm_mode_16_64 3
		.amdhsa_dx10_clamp 1
		.amdhsa_ieee_mode 1
		.amdhsa_fp16_overflow 0
		.amdhsa_workgroup_processor_mode 1
		.amdhsa_memory_ordered 1
		.amdhsa_forward_progress 0
		.amdhsa_shared_vgpr_count 0
		.amdhsa_exception_fp_ieee_invalid_op 0
		.amdhsa_exception_fp_denorm_src 0
		.amdhsa_exception_fp_ieee_div_zero 0
		.amdhsa_exception_fp_ieee_overflow 0
		.amdhsa_exception_fp_ieee_underflow 0
		.amdhsa_exception_fp_ieee_inexact 0
		.amdhsa_exception_int_div_zero 0
	.end_amdhsa_kernel
	.section	.text._ZN7rocprim17ROCPRIM_400000_NS6detail17trampoline_kernelINS0_14default_configENS1_22reduce_config_selectorIiEEZNS1_11reduce_implILb1ES3_PiS7_iN6hipcub16HIPCUB_304000_NS6detail34convert_binary_result_type_wrapperINS9_3SumENS9_22TransformInputIteratorIbN2at6native12_GLOBAL__N_19NonZeroOpIhEEPKhlEEiEEEE10hipError_tPvRmT1_T2_T3_mT4_P12ihipStream_tbEUlT_E1_NS1_11comp_targetILNS1_3genE0ELNS1_11target_archE4294967295ELNS1_3gpuE0ELNS1_3repE0EEENS1_30default_config_static_selectorELNS0_4arch9wavefront6targetE0EEEvSQ_,"axG",@progbits,_ZN7rocprim17ROCPRIM_400000_NS6detail17trampoline_kernelINS0_14default_configENS1_22reduce_config_selectorIiEEZNS1_11reduce_implILb1ES3_PiS7_iN6hipcub16HIPCUB_304000_NS6detail34convert_binary_result_type_wrapperINS9_3SumENS9_22TransformInputIteratorIbN2at6native12_GLOBAL__N_19NonZeroOpIhEEPKhlEEiEEEE10hipError_tPvRmT1_T2_T3_mT4_P12ihipStream_tbEUlT_E1_NS1_11comp_targetILNS1_3genE0ELNS1_11target_archE4294967295ELNS1_3gpuE0ELNS1_3repE0EEENS1_30default_config_static_selectorELNS0_4arch9wavefront6targetE0EEEvSQ_,comdat
.Lfunc_end10:
	.size	_ZN7rocprim17ROCPRIM_400000_NS6detail17trampoline_kernelINS0_14default_configENS1_22reduce_config_selectorIiEEZNS1_11reduce_implILb1ES3_PiS7_iN6hipcub16HIPCUB_304000_NS6detail34convert_binary_result_type_wrapperINS9_3SumENS9_22TransformInputIteratorIbN2at6native12_GLOBAL__N_19NonZeroOpIhEEPKhlEEiEEEE10hipError_tPvRmT1_T2_T3_mT4_P12ihipStream_tbEUlT_E1_NS1_11comp_targetILNS1_3genE0ELNS1_11target_archE4294967295ELNS1_3gpuE0ELNS1_3repE0EEENS1_30default_config_static_selectorELNS0_4arch9wavefront6targetE0EEEvSQ_, .Lfunc_end10-_ZN7rocprim17ROCPRIM_400000_NS6detail17trampoline_kernelINS0_14default_configENS1_22reduce_config_selectorIiEEZNS1_11reduce_implILb1ES3_PiS7_iN6hipcub16HIPCUB_304000_NS6detail34convert_binary_result_type_wrapperINS9_3SumENS9_22TransformInputIteratorIbN2at6native12_GLOBAL__N_19NonZeroOpIhEEPKhlEEiEEEE10hipError_tPvRmT1_T2_T3_mT4_P12ihipStream_tbEUlT_E1_NS1_11comp_targetILNS1_3genE0ELNS1_11target_archE4294967295ELNS1_3gpuE0ELNS1_3repE0EEENS1_30default_config_static_selectorELNS0_4arch9wavefront6targetE0EEEvSQ_
                                        ; -- End function
	.section	.AMDGPU.csdata,"",@progbits
; Kernel info:
; codeLenInByte = 0
; NumSgprs: 0
; NumVgprs: 0
; ScratchSize: 0
; MemoryBound: 0
; FloatMode: 240
; IeeeMode: 1
; LDSByteSize: 0 bytes/workgroup (compile time only)
; SGPRBlocks: 0
; VGPRBlocks: 0
; NumSGPRsForWavesPerEU: 1
; NumVGPRsForWavesPerEU: 1
; Occupancy: 16
; WaveLimiterHint : 0
; COMPUTE_PGM_RSRC2:SCRATCH_EN: 0
; COMPUTE_PGM_RSRC2:USER_SGPR: 15
; COMPUTE_PGM_RSRC2:TRAP_HANDLER: 0
; COMPUTE_PGM_RSRC2:TGID_X_EN: 1
; COMPUTE_PGM_RSRC2:TGID_Y_EN: 0
; COMPUTE_PGM_RSRC2:TGID_Z_EN: 0
; COMPUTE_PGM_RSRC2:TIDIG_COMP_CNT: 0
	.section	.text._ZN7rocprim17ROCPRIM_400000_NS6detail17trampoline_kernelINS0_14default_configENS1_22reduce_config_selectorIiEEZNS1_11reduce_implILb1ES3_PiS7_iN6hipcub16HIPCUB_304000_NS6detail34convert_binary_result_type_wrapperINS9_3SumENS9_22TransformInputIteratorIbN2at6native12_GLOBAL__N_19NonZeroOpIhEEPKhlEEiEEEE10hipError_tPvRmT1_T2_T3_mT4_P12ihipStream_tbEUlT_E1_NS1_11comp_targetILNS1_3genE5ELNS1_11target_archE942ELNS1_3gpuE9ELNS1_3repE0EEENS1_30default_config_static_selectorELNS0_4arch9wavefront6targetE0EEEvSQ_,"axG",@progbits,_ZN7rocprim17ROCPRIM_400000_NS6detail17trampoline_kernelINS0_14default_configENS1_22reduce_config_selectorIiEEZNS1_11reduce_implILb1ES3_PiS7_iN6hipcub16HIPCUB_304000_NS6detail34convert_binary_result_type_wrapperINS9_3SumENS9_22TransformInputIteratorIbN2at6native12_GLOBAL__N_19NonZeroOpIhEEPKhlEEiEEEE10hipError_tPvRmT1_T2_T3_mT4_P12ihipStream_tbEUlT_E1_NS1_11comp_targetILNS1_3genE5ELNS1_11target_archE942ELNS1_3gpuE9ELNS1_3repE0EEENS1_30default_config_static_selectorELNS0_4arch9wavefront6targetE0EEEvSQ_,comdat
	.globl	_ZN7rocprim17ROCPRIM_400000_NS6detail17trampoline_kernelINS0_14default_configENS1_22reduce_config_selectorIiEEZNS1_11reduce_implILb1ES3_PiS7_iN6hipcub16HIPCUB_304000_NS6detail34convert_binary_result_type_wrapperINS9_3SumENS9_22TransformInputIteratorIbN2at6native12_GLOBAL__N_19NonZeroOpIhEEPKhlEEiEEEE10hipError_tPvRmT1_T2_T3_mT4_P12ihipStream_tbEUlT_E1_NS1_11comp_targetILNS1_3genE5ELNS1_11target_archE942ELNS1_3gpuE9ELNS1_3repE0EEENS1_30default_config_static_selectorELNS0_4arch9wavefront6targetE0EEEvSQ_ ; -- Begin function _ZN7rocprim17ROCPRIM_400000_NS6detail17trampoline_kernelINS0_14default_configENS1_22reduce_config_selectorIiEEZNS1_11reduce_implILb1ES3_PiS7_iN6hipcub16HIPCUB_304000_NS6detail34convert_binary_result_type_wrapperINS9_3SumENS9_22TransformInputIteratorIbN2at6native12_GLOBAL__N_19NonZeroOpIhEEPKhlEEiEEEE10hipError_tPvRmT1_T2_T3_mT4_P12ihipStream_tbEUlT_E1_NS1_11comp_targetILNS1_3genE5ELNS1_11target_archE942ELNS1_3gpuE9ELNS1_3repE0EEENS1_30default_config_static_selectorELNS0_4arch9wavefront6targetE0EEEvSQ_
	.p2align	8
	.type	_ZN7rocprim17ROCPRIM_400000_NS6detail17trampoline_kernelINS0_14default_configENS1_22reduce_config_selectorIiEEZNS1_11reduce_implILb1ES3_PiS7_iN6hipcub16HIPCUB_304000_NS6detail34convert_binary_result_type_wrapperINS9_3SumENS9_22TransformInputIteratorIbN2at6native12_GLOBAL__N_19NonZeroOpIhEEPKhlEEiEEEE10hipError_tPvRmT1_T2_T3_mT4_P12ihipStream_tbEUlT_E1_NS1_11comp_targetILNS1_3genE5ELNS1_11target_archE942ELNS1_3gpuE9ELNS1_3repE0EEENS1_30default_config_static_selectorELNS0_4arch9wavefront6targetE0EEEvSQ_,@function
_ZN7rocprim17ROCPRIM_400000_NS6detail17trampoline_kernelINS0_14default_configENS1_22reduce_config_selectorIiEEZNS1_11reduce_implILb1ES3_PiS7_iN6hipcub16HIPCUB_304000_NS6detail34convert_binary_result_type_wrapperINS9_3SumENS9_22TransformInputIteratorIbN2at6native12_GLOBAL__N_19NonZeroOpIhEEPKhlEEiEEEE10hipError_tPvRmT1_T2_T3_mT4_P12ihipStream_tbEUlT_E1_NS1_11comp_targetILNS1_3genE5ELNS1_11target_archE942ELNS1_3gpuE9ELNS1_3repE0EEENS1_30default_config_static_selectorELNS0_4arch9wavefront6targetE0EEEvSQ_: ; @_ZN7rocprim17ROCPRIM_400000_NS6detail17trampoline_kernelINS0_14default_configENS1_22reduce_config_selectorIiEEZNS1_11reduce_implILb1ES3_PiS7_iN6hipcub16HIPCUB_304000_NS6detail34convert_binary_result_type_wrapperINS9_3SumENS9_22TransformInputIteratorIbN2at6native12_GLOBAL__N_19NonZeroOpIhEEPKhlEEiEEEE10hipError_tPvRmT1_T2_T3_mT4_P12ihipStream_tbEUlT_E1_NS1_11comp_targetILNS1_3genE5ELNS1_11target_archE942ELNS1_3gpuE9ELNS1_3repE0EEENS1_30default_config_static_selectorELNS0_4arch9wavefront6targetE0EEEvSQ_
; %bb.0:
	.section	.rodata,"a",@progbits
	.p2align	6, 0x0
	.amdhsa_kernel _ZN7rocprim17ROCPRIM_400000_NS6detail17trampoline_kernelINS0_14default_configENS1_22reduce_config_selectorIiEEZNS1_11reduce_implILb1ES3_PiS7_iN6hipcub16HIPCUB_304000_NS6detail34convert_binary_result_type_wrapperINS9_3SumENS9_22TransformInputIteratorIbN2at6native12_GLOBAL__N_19NonZeroOpIhEEPKhlEEiEEEE10hipError_tPvRmT1_T2_T3_mT4_P12ihipStream_tbEUlT_E1_NS1_11comp_targetILNS1_3genE5ELNS1_11target_archE942ELNS1_3gpuE9ELNS1_3repE0EEENS1_30default_config_static_selectorELNS0_4arch9wavefront6targetE0EEEvSQ_
		.amdhsa_group_segment_fixed_size 0
		.amdhsa_private_segment_fixed_size 0
		.amdhsa_kernarg_size 40
		.amdhsa_user_sgpr_count 15
		.amdhsa_user_sgpr_dispatch_ptr 0
		.amdhsa_user_sgpr_queue_ptr 0
		.amdhsa_user_sgpr_kernarg_segment_ptr 1
		.amdhsa_user_sgpr_dispatch_id 0
		.amdhsa_user_sgpr_private_segment_size 0
		.amdhsa_wavefront_size32 1
		.amdhsa_uses_dynamic_stack 0
		.amdhsa_enable_private_segment 0
		.amdhsa_system_sgpr_workgroup_id_x 1
		.amdhsa_system_sgpr_workgroup_id_y 0
		.amdhsa_system_sgpr_workgroup_id_z 0
		.amdhsa_system_sgpr_workgroup_info 0
		.amdhsa_system_vgpr_workitem_id 0
		.amdhsa_next_free_vgpr 1
		.amdhsa_next_free_sgpr 1
		.amdhsa_reserve_vcc 0
		.amdhsa_float_round_mode_32 0
		.amdhsa_float_round_mode_16_64 0
		.amdhsa_float_denorm_mode_32 3
		.amdhsa_float_denorm_mode_16_64 3
		.amdhsa_dx10_clamp 1
		.amdhsa_ieee_mode 1
		.amdhsa_fp16_overflow 0
		.amdhsa_workgroup_processor_mode 1
		.amdhsa_memory_ordered 1
		.amdhsa_forward_progress 0
		.amdhsa_shared_vgpr_count 0
		.amdhsa_exception_fp_ieee_invalid_op 0
		.amdhsa_exception_fp_denorm_src 0
		.amdhsa_exception_fp_ieee_div_zero 0
		.amdhsa_exception_fp_ieee_overflow 0
		.amdhsa_exception_fp_ieee_underflow 0
		.amdhsa_exception_fp_ieee_inexact 0
		.amdhsa_exception_int_div_zero 0
	.end_amdhsa_kernel
	.section	.text._ZN7rocprim17ROCPRIM_400000_NS6detail17trampoline_kernelINS0_14default_configENS1_22reduce_config_selectorIiEEZNS1_11reduce_implILb1ES3_PiS7_iN6hipcub16HIPCUB_304000_NS6detail34convert_binary_result_type_wrapperINS9_3SumENS9_22TransformInputIteratorIbN2at6native12_GLOBAL__N_19NonZeroOpIhEEPKhlEEiEEEE10hipError_tPvRmT1_T2_T3_mT4_P12ihipStream_tbEUlT_E1_NS1_11comp_targetILNS1_3genE5ELNS1_11target_archE942ELNS1_3gpuE9ELNS1_3repE0EEENS1_30default_config_static_selectorELNS0_4arch9wavefront6targetE0EEEvSQ_,"axG",@progbits,_ZN7rocprim17ROCPRIM_400000_NS6detail17trampoline_kernelINS0_14default_configENS1_22reduce_config_selectorIiEEZNS1_11reduce_implILb1ES3_PiS7_iN6hipcub16HIPCUB_304000_NS6detail34convert_binary_result_type_wrapperINS9_3SumENS9_22TransformInputIteratorIbN2at6native12_GLOBAL__N_19NonZeroOpIhEEPKhlEEiEEEE10hipError_tPvRmT1_T2_T3_mT4_P12ihipStream_tbEUlT_E1_NS1_11comp_targetILNS1_3genE5ELNS1_11target_archE942ELNS1_3gpuE9ELNS1_3repE0EEENS1_30default_config_static_selectorELNS0_4arch9wavefront6targetE0EEEvSQ_,comdat
.Lfunc_end11:
	.size	_ZN7rocprim17ROCPRIM_400000_NS6detail17trampoline_kernelINS0_14default_configENS1_22reduce_config_selectorIiEEZNS1_11reduce_implILb1ES3_PiS7_iN6hipcub16HIPCUB_304000_NS6detail34convert_binary_result_type_wrapperINS9_3SumENS9_22TransformInputIteratorIbN2at6native12_GLOBAL__N_19NonZeroOpIhEEPKhlEEiEEEE10hipError_tPvRmT1_T2_T3_mT4_P12ihipStream_tbEUlT_E1_NS1_11comp_targetILNS1_3genE5ELNS1_11target_archE942ELNS1_3gpuE9ELNS1_3repE0EEENS1_30default_config_static_selectorELNS0_4arch9wavefront6targetE0EEEvSQ_, .Lfunc_end11-_ZN7rocprim17ROCPRIM_400000_NS6detail17trampoline_kernelINS0_14default_configENS1_22reduce_config_selectorIiEEZNS1_11reduce_implILb1ES3_PiS7_iN6hipcub16HIPCUB_304000_NS6detail34convert_binary_result_type_wrapperINS9_3SumENS9_22TransformInputIteratorIbN2at6native12_GLOBAL__N_19NonZeroOpIhEEPKhlEEiEEEE10hipError_tPvRmT1_T2_T3_mT4_P12ihipStream_tbEUlT_E1_NS1_11comp_targetILNS1_3genE5ELNS1_11target_archE942ELNS1_3gpuE9ELNS1_3repE0EEENS1_30default_config_static_selectorELNS0_4arch9wavefront6targetE0EEEvSQ_
                                        ; -- End function
	.section	.AMDGPU.csdata,"",@progbits
; Kernel info:
; codeLenInByte = 0
; NumSgprs: 0
; NumVgprs: 0
; ScratchSize: 0
; MemoryBound: 0
; FloatMode: 240
; IeeeMode: 1
; LDSByteSize: 0 bytes/workgroup (compile time only)
; SGPRBlocks: 0
; VGPRBlocks: 0
; NumSGPRsForWavesPerEU: 1
; NumVGPRsForWavesPerEU: 1
; Occupancy: 16
; WaveLimiterHint : 0
; COMPUTE_PGM_RSRC2:SCRATCH_EN: 0
; COMPUTE_PGM_RSRC2:USER_SGPR: 15
; COMPUTE_PGM_RSRC2:TRAP_HANDLER: 0
; COMPUTE_PGM_RSRC2:TGID_X_EN: 1
; COMPUTE_PGM_RSRC2:TGID_Y_EN: 0
; COMPUTE_PGM_RSRC2:TGID_Z_EN: 0
; COMPUTE_PGM_RSRC2:TIDIG_COMP_CNT: 0
	.section	.text._ZN7rocprim17ROCPRIM_400000_NS6detail17trampoline_kernelINS0_14default_configENS1_22reduce_config_selectorIiEEZNS1_11reduce_implILb1ES3_PiS7_iN6hipcub16HIPCUB_304000_NS6detail34convert_binary_result_type_wrapperINS9_3SumENS9_22TransformInputIteratorIbN2at6native12_GLOBAL__N_19NonZeroOpIhEEPKhlEEiEEEE10hipError_tPvRmT1_T2_T3_mT4_P12ihipStream_tbEUlT_E1_NS1_11comp_targetILNS1_3genE4ELNS1_11target_archE910ELNS1_3gpuE8ELNS1_3repE0EEENS1_30default_config_static_selectorELNS0_4arch9wavefront6targetE0EEEvSQ_,"axG",@progbits,_ZN7rocprim17ROCPRIM_400000_NS6detail17trampoline_kernelINS0_14default_configENS1_22reduce_config_selectorIiEEZNS1_11reduce_implILb1ES3_PiS7_iN6hipcub16HIPCUB_304000_NS6detail34convert_binary_result_type_wrapperINS9_3SumENS9_22TransformInputIteratorIbN2at6native12_GLOBAL__N_19NonZeroOpIhEEPKhlEEiEEEE10hipError_tPvRmT1_T2_T3_mT4_P12ihipStream_tbEUlT_E1_NS1_11comp_targetILNS1_3genE4ELNS1_11target_archE910ELNS1_3gpuE8ELNS1_3repE0EEENS1_30default_config_static_selectorELNS0_4arch9wavefront6targetE0EEEvSQ_,comdat
	.globl	_ZN7rocprim17ROCPRIM_400000_NS6detail17trampoline_kernelINS0_14default_configENS1_22reduce_config_selectorIiEEZNS1_11reduce_implILb1ES3_PiS7_iN6hipcub16HIPCUB_304000_NS6detail34convert_binary_result_type_wrapperINS9_3SumENS9_22TransformInputIteratorIbN2at6native12_GLOBAL__N_19NonZeroOpIhEEPKhlEEiEEEE10hipError_tPvRmT1_T2_T3_mT4_P12ihipStream_tbEUlT_E1_NS1_11comp_targetILNS1_3genE4ELNS1_11target_archE910ELNS1_3gpuE8ELNS1_3repE0EEENS1_30default_config_static_selectorELNS0_4arch9wavefront6targetE0EEEvSQ_ ; -- Begin function _ZN7rocprim17ROCPRIM_400000_NS6detail17trampoline_kernelINS0_14default_configENS1_22reduce_config_selectorIiEEZNS1_11reduce_implILb1ES3_PiS7_iN6hipcub16HIPCUB_304000_NS6detail34convert_binary_result_type_wrapperINS9_3SumENS9_22TransformInputIteratorIbN2at6native12_GLOBAL__N_19NonZeroOpIhEEPKhlEEiEEEE10hipError_tPvRmT1_T2_T3_mT4_P12ihipStream_tbEUlT_E1_NS1_11comp_targetILNS1_3genE4ELNS1_11target_archE910ELNS1_3gpuE8ELNS1_3repE0EEENS1_30default_config_static_selectorELNS0_4arch9wavefront6targetE0EEEvSQ_
	.p2align	8
	.type	_ZN7rocprim17ROCPRIM_400000_NS6detail17trampoline_kernelINS0_14default_configENS1_22reduce_config_selectorIiEEZNS1_11reduce_implILb1ES3_PiS7_iN6hipcub16HIPCUB_304000_NS6detail34convert_binary_result_type_wrapperINS9_3SumENS9_22TransformInputIteratorIbN2at6native12_GLOBAL__N_19NonZeroOpIhEEPKhlEEiEEEE10hipError_tPvRmT1_T2_T3_mT4_P12ihipStream_tbEUlT_E1_NS1_11comp_targetILNS1_3genE4ELNS1_11target_archE910ELNS1_3gpuE8ELNS1_3repE0EEENS1_30default_config_static_selectorELNS0_4arch9wavefront6targetE0EEEvSQ_,@function
_ZN7rocprim17ROCPRIM_400000_NS6detail17trampoline_kernelINS0_14default_configENS1_22reduce_config_selectorIiEEZNS1_11reduce_implILb1ES3_PiS7_iN6hipcub16HIPCUB_304000_NS6detail34convert_binary_result_type_wrapperINS9_3SumENS9_22TransformInputIteratorIbN2at6native12_GLOBAL__N_19NonZeroOpIhEEPKhlEEiEEEE10hipError_tPvRmT1_T2_T3_mT4_P12ihipStream_tbEUlT_E1_NS1_11comp_targetILNS1_3genE4ELNS1_11target_archE910ELNS1_3gpuE8ELNS1_3repE0EEENS1_30default_config_static_selectorELNS0_4arch9wavefront6targetE0EEEvSQ_: ; @_ZN7rocprim17ROCPRIM_400000_NS6detail17trampoline_kernelINS0_14default_configENS1_22reduce_config_selectorIiEEZNS1_11reduce_implILb1ES3_PiS7_iN6hipcub16HIPCUB_304000_NS6detail34convert_binary_result_type_wrapperINS9_3SumENS9_22TransformInputIteratorIbN2at6native12_GLOBAL__N_19NonZeroOpIhEEPKhlEEiEEEE10hipError_tPvRmT1_T2_T3_mT4_P12ihipStream_tbEUlT_E1_NS1_11comp_targetILNS1_3genE4ELNS1_11target_archE910ELNS1_3gpuE8ELNS1_3repE0EEENS1_30default_config_static_selectorELNS0_4arch9wavefront6targetE0EEEvSQ_
; %bb.0:
	.section	.rodata,"a",@progbits
	.p2align	6, 0x0
	.amdhsa_kernel _ZN7rocprim17ROCPRIM_400000_NS6detail17trampoline_kernelINS0_14default_configENS1_22reduce_config_selectorIiEEZNS1_11reduce_implILb1ES3_PiS7_iN6hipcub16HIPCUB_304000_NS6detail34convert_binary_result_type_wrapperINS9_3SumENS9_22TransformInputIteratorIbN2at6native12_GLOBAL__N_19NonZeroOpIhEEPKhlEEiEEEE10hipError_tPvRmT1_T2_T3_mT4_P12ihipStream_tbEUlT_E1_NS1_11comp_targetILNS1_3genE4ELNS1_11target_archE910ELNS1_3gpuE8ELNS1_3repE0EEENS1_30default_config_static_selectorELNS0_4arch9wavefront6targetE0EEEvSQ_
		.amdhsa_group_segment_fixed_size 0
		.amdhsa_private_segment_fixed_size 0
		.amdhsa_kernarg_size 40
		.amdhsa_user_sgpr_count 15
		.amdhsa_user_sgpr_dispatch_ptr 0
		.amdhsa_user_sgpr_queue_ptr 0
		.amdhsa_user_sgpr_kernarg_segment_ptr 1
		.amdhsa_user_sgpr_dispatch_id 0
		.amdhsa_user_sgpr_private_segment_size 0
		.amdhsa_wavefront_size32 1
		.amdhsa_uses_dynamic_stack 0
		.amdhsa_enable_private_segment 0
		.amdhsa_system_sgpr_workgroup_id_x 1
		.amdhsa_system_sgpr_workgroup_id_y 0
		.amdhsa_system_sgpr_workgroup_id_z 0
		.amdhsa_system_sgpr_workgroup_info 0
		.amdhsa_system_vgpr_workitem_id 0
		.amdhsa_next_free_vgpr 1
		.amdhsa_next_free_sgpr 1
		.amdhsa_reserve_vcc 0
		.amdhsa_float_round_mode_32 0
		.amdhsa_float_round_mode_16_64 0
		.amdhsa_float_denorm_mode_32 3
		.amdhsa_float_denorm_mode_16_64 3
		.amdhsa_dx10_clamp 1
		.amdhsa_ieee_mode 1
		.amdhsa_fp16_overflow 0
		.amdhsa_workgroup_processor_mode 1
		.amdhsa_memory_ordered 1
		.amdhsa_forward_progress 0
		.amdhsa_shared_vgpr_count 0
		.amdhsa_exception_fp_ieee_invalid_op 0
		.amdhsa_exception_fp_denorm_src 0
		.amdhsa_exception_fp_ieee_div_zero 0
		.amdhsa_exception_fp_ieee_overflow 0
		.amdhsa_exception_fp_ieee_underflow 0
		.amdhsa_exception_fp_ieee_inexact 0
		.amdhsa_exception_int_div_zero 0
	.end_amdhsa_kernel
	.section	.text._ZN7rocprim17ROCPRIM_400000_NS6detail17trampoline_kernelINS0_14default_configENS1_22reduce_config_selectorIiEEZNS1_11reduce_implILb1ES3_PiS7_iN6hipcub16HIPCUB_304000_NS6detail34convert_binary_result_type_wrapperINS9_3SumENS9_22TransformInputIteratorIbN2at6native12_GLOBAL__N_19NonZeroOpIhEEPKhlEEiEEEE10hipError_tPvRmT1_T2_T3_mT4_P12ihipStream_tbEUlT_E1_NS1_11comp_targetILNS1_3genE4ELNS1_11target_archE910ELNS1_3gpuE8ELNS1_3repE0EEENS1_30default_config_static_selectorELNS0_4arch9wavefront6targetE0EEEvSQ_,"axG",@progbits,_ZN7rocprim17ROCPRIM_400000_NS6detail17trampoline_kernelINS0_14default_configENS1_22reduce_config_selectorIiEEZNS1_11reduce_implILb1ES3_PiS7_iN6hipcub16HIPCUB_304000_NS6detail34convert_binary_result_type_wrapperINS9_3SumENS9_22TransformInputIteratorIbN2at6native12_GLOBAL__N_19NonZeroOpIhEEPKhlEEiEEEE10hipError_tPvRmT1_T2_T3_mT4_P12ihipStream_tbEUlT_E1_NS1_11comp_targetILNS1_3genE4ELNS1_11target_archE910ELNS1_3gpuE8ELNS1_3repE0EEENS1_30default_config_static_selectorELNS0_4arch9wavefront6targetE0EEEvSQ_,comdat
.Lfunc_end12:
	.size	_ZN7rocprim17ROCPRIM_400000_NS6detail17trampoline_kernelINS0_14default_configENS1_22reduce_config_selectorIiEEZNS1_11reduce_implILb1ES3_PiS7_iN6hipcub16HIPCUB_304000_NS6detail34convert_binary_result_type_wrapperINS9_3SumENS9_22TransformInputIteratorIbN2at6native12_GLOBAL__N_19NonZeroOpIhEEPKhlEEiEEEE10hipError_tPvRmT1_T2_T3_mT4_P12ihipStream_tbEUlT_E1_NS1_11comp_targetILNS1_3genE4ELNS1_11target_archE910ELNS1_3gpuE8ELNS1_3repE0EEENS1_30default_config_static_selectorELNS0_4arch9wavefront6targetE0EEEvSQ_, .Lfunc_end12-_ZN7rocprim17ROCPRIM_400000_NS6detail17trampoline_kernelINS0_14default_configENS1_22reduce_config_selectorIiEEZNS1_11reduce_implILb1ES3_PiS7_iN6hipcub16HIPCUB_304000_NS6detail34convert_binary_result_type_wrapperINS9_3SumENS9_22TransformInputIteratorIbN2at6native12_GLOBAL__N_19NonZeroOpIhEEPKhlEEiEEEE10hipError_tPvRmT1_T2_T3_mT4_P12ihipStream_tbEUlT_E1_NS1_11comp_targetILNS1_3genE4ELNS1_11target_archE910ELNS1_3gpuE8ELNS1_3repE0EEENS1_30default_config_static_selectorELNS0_4arch9wavefront6targetE0EEEvSQ_
                                        ; -- End function
	.section	.AMDGPU.csdata,"",@progbits
; Kernel info:
; codeLenInByte = 0
; NumSgprs: 0
; NumVgprs: 0
; ScratchSize: 0
; MemoryBound: 0
; FloatMode: 240
; IeeeMode: 1
; LDSByteSize: 0 bytes/workgroup (compile time only)
; SGPRBlocks: 0
; VGPRBlocks: 0
; NumSGPRsForWavesPerEU: 1
; NumVGPRsForWavesPerEU: 1
; Occupancy: 16
; WaveLimiterHint : 0
; COMPUTE_PGM_RSRC2:SCRATCH_EN: 0
; COMPUTE_PGM_RSRC2:USER_SGPR: 15
; COMPUTE_PGM_RSRC2:TRAP_HANDLER: 0
; COMPUTE_PGM_RSRC2:TGID_X_EN: 1
; COMPUTE_PGM_RSRC2:TGID_Y_EN: 0
; COMPUTE_PGM_RSRC2:TGID_Z_EN: 0
; COMPUTE_PGM_RSRC2:TIDIG_COMP_CNT: 0
	.section	.text._ZN7rocprim17ROCPRIM_400000_NS6detail17trampoline_kernelINS0_14default_configENS1_22reduce_config_selectorIiEEZNS1_11reduce_implILb1ES3_PiS7_iN6hipcub16HIPCUB_304000_NS6detail34convert_binary_result_type_wrapperINS9_3SumENS9_22TransformInputIteratorIbN2at6native12_GLOBAL__N_19NonZeroOpIhEEPKhlEEiEEEE10hipError_tPvRmT1_T2_T3_mT4_P12ihipStream_tbEUlT_E1_NS1_11comp_targetILNS1_3genE3ELNS1_11target_archE908ELNS1_3gpuE7ELNS1_3repE0EEENS1_30default_config_static_selectorELNS0_4arch9wavefront6targetE0EEEvSQ_,"axG",@progbits,_ZN7rocprim17ROCPRIM_400000_NS6detail17trampoline_kernelINS0_14default_configENS1_22reduce_config_selectorIiEEZNS1_11reduce_implILb1ES3_PiS7_iN6hipcub16HIPCUB_304000_NS6detail34convert_binary_result_type_wrapperINS9_3SumENS9_22TransformInputIteratorIbN2at6native12_GLOBAL__N_19NonZeroOpIhEEPKhlEEiEEEE10hipError_tPvRmT1_T2_T3_mT4_P12ihipStream_tbEUlT_E1_NS1_11comp_targetILNS1_3genE3ELNS1_11target_archE908ELNS1_3gpuE7ELNS1_3repE0EEENS1_30default_config_static_selectorELNS0_4arch9wavefront6targetE0EEEvSQ_,comdat
	.globl	_ZN7rocprim17ROCPRIM_400000_NS6detail17trampoline_kernelINS0_14default_configENS1_22reduce_config_selectorIiEEZNS1_11reduce_implILb1ES3_PiS7_iN6hipcub16HIPCUB_304000_NS6detail34convert_binary_result_type_wrapperINS9_3SumENS9_22TransformInputIteratorIbN2at6native12_GLOBAL__N_19NonZeroOpIhEEPKhlEEiEEEE10hipError_tPvRmT1_T2_T3_mT4_P12ihipStream_tbEUlT_E1_NS1_11comp_targetILNS1_3genE3ELNS1_11target_archE908ELNS1_3gpuE7ELNS1_3repE0EEENS1_30default_config_static_selectorELNS0_4arch9wavefront6targetE0EEEvSQ_ ; -- Begin function _ZN7rocprim17ROCPRIM_400000_NS6detail17trampoline_kernelINS0_14default_configENS1_22reduce_config_selectorIiEEZNS1_11reduce_implILb1ES3_PiS7_iN6hipcub16HIPCUB_304000_NS6detail34convert_binary_result_type_wrapperINS9_3SumENS9_22TransformInputIteratorIbN2at6native12_GLOBAL__N_19NonZeroOpIhEEPKhlEEiEEEE10hipError_tPvRmT1_T2_T3_mT4_P12ihipStream_tbEUlT_E1_NS1_11comp_targetILNS1_3genE3ELNS1_11target_archE908ELNS1_3gpuE7ELNS1_3repE0EEENS1_30default_config_static_selectorELNS0_4arch9wavefront6targetE0EEEvSQ_
	.p2align	8
	.type	_ZN7rocprim17ROCPRIM_400000_NS6detail17trampoline_kernelINS0_14default_configENS1_22reduce_config_selectorIiEEZNS1_11reduce_implILb1ES3_PiS7_iN6hipcub16HIPCUB_304000_NS6detail34convert_binary_result_type_wrapperINS9_3SumENS9_22TransformInputIteratorIbN2at6native12_GLOBAL__N_19NonZeroOpIhEEPKhlEEiEEEE10hipError_tPvRmT1_T2_T3_mT4_P12ihipStream_tbEUlT_E1_NS1_11comp_targetILNS1_3genE3ELNS1_11target_archE908ELNS1_3gpuE7ELNS1_3repE0EEENS1_30default_config_static_selectorELNS0_4arch9wavefront6targetE0EEEvSQ_,@function
_ZN7rocprim17ROCPRIM_400000_NS6detail17trampoline_kernelINS0_14default_configENS1_22reduce_config_selectorIiEEZNS1_11reduce_implILb1ES3_PiS7_iN6hipcub16HIPCUB_304000_NS6detail34convert_binary_result_type_wrapperINS9_3SumENS9_22TransformInputIteratorIbN2at6native12_GLOBAL__N_19NonZeroOpIhEEPKhlEEiEEEE10hipError_tPvRmT1_T2_T3_mT4_P12ihipStream_tbEUlT_E1_NS1_11comp_targetILNS1_3genE3ELNS1_11target_archE908ELNS1_3gpuE7ELNS1_3repE0EEENS1_30default_config_static_selectorELNS0_4arch9wavefront6targetE0EEEvSQ_: ; @_ZN7rocprim17ROCPRIM_400000_NS6detail17trampoline_kernelINS0_14default_configENS1_22reduce_config_selectorIiEEZNS1_11reduce_implILb1ES3_PiS7_iN6hipcub16HIPCUB_304000_NS6detail34convert_binary_result_type_wrapperINS9_3SumENS9_22TransformInputIteratorIbN2at6native12_GLOBAL__N_19NonZeroOpIhEEPKhlEEiEEEE10hipError_tPvRmT1_T2_T3_mT4_P12ihipStream_tbEUlT_E1_NS1_11comp_targetILNS1_3genE3ELNS1_11target_archE908ELNS1_3gpuE7ELNS1_3repE0EEENS1_30default_config_static_selectorELNS0_4arch9wavefront6targetE0EEEvSQ_
; %bb.0:
	.section	.rodata,"a",@progbits
	.p2align	6, 0x0
	.amdhsa_kernel _ZN7rocprim17ROCPRIM_400000_NS6detail17trampoline_kernelINS0_14default_configENS1_22reduce_config_selectorIiEEZNS1_11reduce_implILb1ES3_PiS7_iN6hipcub16HIPCUB_304000_NS6detail34convert_binary_result_type_wrapperINS9_3SumENS9_22TransformInputIteratorIbN2at6native12_GLOBAL__N_19NonZeroOpIhEEPKhlEEiEEEE10hipError_tPvRmT1_T2_T3_mT4_P12ihipStream_tbEUlT_E1_NS1_11comp_targetILNS1_3genE3ELNS1_11target_archE908ELNS1_3gpuE7ELNS1_3repE0EEENS1_30default_config_static_selectorELNS0_4arch9wavefront6targetE0EEEvSQ_
		.amdhsa_group_segment_fixed_size 0
		.amdhsa_private_segment_fixed_size 0
		.amdhsa_kernarg_size 40
		.amdhsa_user_sgpr_count 15
		.amdhsa_user_sgpr_dispatch_ptr 0
		.amdhsa_user_sgpr_queue_ptr 0
		.amdhsa_user_sgpr_kernarg_segment_ptr 1
		.amdhsa_user_sgpr_dispatch_id 0
		.amdhsa_user_sgpr_private_segment_size 0
		.amdhsa_wavefront_size32 1
		.amdhsa_uses_dynamic_stack 0
		.amdhsa_enable_private_segment 0
		.amdhsa_system_sgpr_workgroup_id_x 1
		.amdhsa_system_sgpr_workgroup_id_y 0
		.amdhsa_system_sgpr_workgroup_id_z 0
		.amdhsa_system_sgpr_workgroup_info 0
		.amdhsa_system_vgpr_workitem_id 0
		.amdhsa_next_free_vgpr 1
		.amdhsa_next_free_sgpr 1
		.amdhsa_reserve_vcc 0
		.amdhsa_float_round_mode_32 0
		.amdhsa_float_round_mode_16_64 0
		.amdhsa_float_denorm_mode_32 3
		.amdhsa_float_denorm_mode_16_64 3
		.amdhsa_dx10_clamp 1
		.amdhsa_ieee_mode 1
		.amdhsa_fp16_overflow 0
		.amdhsa_workgroup_processor_mode 1
		.amdhsa_memory_ordered 1
		.amdhsa_forward_progress 0
		.amdhsa_shared_vgpr_count 0
		.amdhsa_exception_fp_ieee_invalid_op 0
		.amdhsa_exception_fp_denorm_src 0
		.amdhsa_exception_fp_ieee_div_zero 0
		.amdhsa_exception_fp_ieee_overflow 0
		.amdhsa_exception_fp_ieee_underflow 0
		.amdhsa_exception_fp_ieee_inexact 0
		.amdhsa_exception_int_div_zero 0
	.end_amdhsa_kernel
	.section	.text._ZN7rocprim17ROCPRIM_400000_NS6detail17trampoline_kernelINS0_14default_configENS1_22reduce_config_selectorIiEEZNS1_11reduce_implILb1ES3_PiS7_iN6hipcub16HIPCUB_304000_NS6detail34convert_binary_result_type_wrapperINS9_3SumENS9_22TransformInputIteratorIbN2at6native12_GLOBAL__N_19NonZeroOpIhEEPKhlEEiEEEE10hipError_tPvRmT1_T2_T3_mT4_P12ihipStream_tbEUlT_E1_NS1_11comp_targetILNS1_3genE3ELNS1_11target_archE908ELNS1_3gpuE7ELNS1_3repE0EEENS1_30default_config_static_selectorELNS0_4arch9wavefront6targetE0EEEvSQ_,"axG",@progbits,_ZN7rocprim17ROCPRIM_400000_NS6detail17trampoline_kernelINS0_14default_configENS1_22reduce_config_selectorIiEEZNS1_11reduce_implILb1ES3_PiS7_iN6hipcub16HIPCUB_304000_NS6detail34convert_binary_result_type_wrapperINS9_3SumENS9_22TransformInputIteratorIbN2at6native12_GLOBAL__N_19NonZeroOpIhEEPKhlEEiEEEE10hipError_tPvRmT1_T2_T3_mT4_P12ihipStream_tbEUlT_E1_NS1_11comp_targetILNS1_3genE3ELNS1_11target_archE908ELNS1_3gpuE7ELNS1_3repE0EEENS1_30default_config_static_selectorELNS0_4arch9wavefront6targetE0EEEvSQ_,comdat
.Lfunc_end13:
	.size	_ZN7rocprim17ROCPRIM_400000_NS6detail17trampoline_kernelINS0_14default_configENS1_22reduce_config_selectorIiEEZNS1_11reduce_implILb1ES3_PiS7_iN6hipcub16HIPCUB_304000_NS6detail34convert_binary_result_type_wrapperINS9_3SumENS9_22TransformInputIteratorIbN2at6native12_GLOBAL__N_19NonZeroOpIhEEPKhlEEiEEEE10hipError_tPvRmT1_T2_T3_mT4_P12ihipStream_tbEUlT_E1_NS1_11comp_targetILNS1_3genE3ELNS1_11target_archE908ELNS1_3gpuE7ELNS1_3repE0EEENS1_30default_config_static_selectorELNS0_4arch9wavefront6targetE0EEEvSQ_, .Lfunc_end13-_ZN7rocprim17ROCPRIM_400000_NS6detail17trampoline_kernelINS0_14default_configENS1_22reduce_config_selectorIiEEZNS1_11reduce_implILb1ES3_PiS7_iN6hipcub16HIPCUB_304000_NS6detail34convert_binary_result_type_wrapperINS9_3SumENS9_22TransformInputIteratorIbN2at6native12_GLOBAL__N_19NonZeroOpIhEEPKhlEEiEEEE10hipError_tPvRmT1_T2_T3_mT4_P12ihipStream_tbEUlT_E1_NS1_11comp_targetILNS1_3genE3ELNS1_11target_archE908ELNS1_3gpuE7ELNS1_3repE0EEENS1_30default_config_static_selectorELNS0_4arch9wavefront6targetE0EEEvSQ_
                                        ; -- End function
	.section	.AMDGPU.csdata,"",@progbits
; Kernel info:
; codeLenInByte = 0
; NumSgprs: 0
; NumVgprs: 0
; ScratchSize: 0
; MemoryBound: 0
; FloatMode: 240
; IeeeMode: 1
; LDSByteSize: 0 bytes/workgroup (compile time only)
; SGPRBlocks: 0
; VGPRBlocks: 0
; NumSGPRsForWavesPerEU: 1
; NumVGPRsForWavesPerEU: 1
; Occupancy: 16
; WaveLimiterHint : 0
; COMPUTE_PGM_RSRC2:SCRATCH_EN: 0
; COMPUTE_PGM_RSRC2:USER_SGPR: 15
; COMPUTE_PGM_RSRC2:TRAP_HANDLER: 0
; COMPUTE_PGM_RSRC2:TGID_X_EN: 1
; COMPUTE_PGM_RSRC2:TGID_Y_EN: 0
; COMPUTE_PGM_RSRC2:TGID_Z_EN: 0
; COMPUTE_PGM_RSRC2:TIDIG_COMP_CNT: 0
	.section	.text._ZN7rocprim17ROCPRIM_400000_NS6detail17trampoline_kernelINS0_14default_configENS1_22reduce_config_selectorIiEEZNS1_11reduce_implILb1ES3_PiS7_iN6hipcub16HIPCUB_304000_NS6detail34convert_binary_result_type_wrapperINS9_3SumENS9_22TransformInputIteratorIbN2at6native12_GLOBAL__N_19NonZeroOpIhEEPKhlEEiEEEE10hipError_tPvRmT1_T2_T3_mT4_P12ihipStream_tbEUlT_E1_NS1_11comp_targetILNS1_3genE2ELNS1_11target_archE906ELNS1_3gpuE6ELNS1_3repE0EEENS1_30default_config_static_selectorELNS0_4arch9wavefront6targetE0EEEvSQ_,"axG",@progbits,_ZN7rocprim17ROCPRIM_400000_NS6detail17trampoline_kernelINS0_14default_configENS1_22reduce_config_selectorIiEEZNS1_11reduce_implILb1ES3_PiS7_iN6hipcub16HIPCUB_304000_NS6detail34convert_binary_result_type_wrapperINS9_3SumENS9_22TransformInputIteratorIbN2at6native12_GLOBAL__N_19NonZeroOpIhEEPKhlEEiEEEE10hipError_tPvRmT1_T2_T3_mT4_P12ihipStream_tbEUlT_E1_NS1_11comp_targetILNS1_3genE2ELNS1_11target_archE906ELNS1_3gpuE6ELNS1_3repE0EEENS1_30default_config_static_selectorELNS0_4arch9wavefront6targetE0EEEvSQ_,comdat
	.globl	_ZN7rocprim17ROCPRIM_400000_NS6detail17trampoline_kernelINS0_14default_configENS1_22reduce_config_selectorIiEEZNS1_11reduce_implILb1ES3_PiS7_iN6hipcub16HIPCUB_304000_NS6detail34convert_binary_result_type_wrapperINS9_3SumENS9_22TransformInputIteratorIbN2at6native12_GLOBAL__N_19NonZeroOpIhEEPKhlEEiEEEE10hipError_tPvRmT1_T2_T3_mT4_P12ihipStream_tbEUlT_E1_NS1_11comp_targetILNS1_3genE2ELNS1_11target_archE906ELNS1_3gpuE6ELNS1_3repE0EEENS1_30default_config_static_selectorELNS0_4arch9wavefront6targetE0EEEvSQ_ ; -- Begin function _ZN7rocprim17ROCPRIM_400000_NS6detail17trampoline_kernelINS0_14default_configENS1_22reduce_config_selectorIiEEZNS1_11reduce_implILb1ES3_PiS7_iN6hipcub16HIPCUB_304000_NS6detail34convert_binary_result_type_wrapperINS9_3SumENS9_22TransformInputIteratorIbN2at6native12_GLOBAL__N_19NonZeroOpIhEEPKhlEEiEEEE10hipError_tPvRmT1_T2_T3_mT4_P12ihipStream_tbEUlT_E1_NS1_11comp_targetILNS1_3genE2ELNS1_11target_archE906ELNS1_3gpuE6ELNS1_3repE0EEENS1_30default_config_static_selectorELNS0_4arch9wavefront6targetE0EEEvSQ_
	.p2align	8
	.type	_ZN7rocprim17ROCPRIM_400000_NS6detail17trampoline_kernelINS0_14default_configENS1_22reduce_config_selectorIiEEZNS1_11reduce_implILb1ES3_PiS7_iN6hipcub16HIPCUB_304000_NS6detail34convert_binary_result_type_wrapperINS9_3SumENS9_22TransformInputIteratorIbN2at6native12_GLOBAL__N_19NonZeroOpIhEEPKhlEEiEEEE10hipError_tPvRmT1_T2_T3_mT4_P12ihipStream_tbEUlT_E1_NS1_11comp_targetILNS1_3genE2ELNS1_11target_archE906ELNS1_3gpuE6ELNS1_3repE0EEENS1_30default_config_static_selectorELNS0_4arch9wavefront6targetE0EEEvSQ_,@function
_ZN7rocprim17ROCPRIM_400000_NS6detail17trampoline_kernelINS0_14default_configENS1_22reduce_config_selectorIiEEZNS1_11reduce_implILb1ES3_PiS7_iN6hipcub16HIPCUB_304000_NS6detail34convert_binary_result_type_wrapperINS9_3SumENS9_22TransformInputIteratorIbN2at6native12_GLOBAL__N_19NonZeroOpIhEEPKhlEEiEEEE10hipError_tPvRmT1_T2_T3_mT4_P12ihipStream_tbEUlT_E1_NS1_11comp_targetILNS1_3genE2ELNS1_11target_archE906ELNS1_3gpuE6ELNS1_3repE0EEENS1_30default_config_static_selectorELNS0_4arch9wavefront6targetE0EEEvSQ_: ; @_ZN7rocprim17ROCPRIM_400000_NS6detail17trampoline_kernelINS0_14default_configENS1_22reduce_config_selectorIiEEZNS1_11reduce_implILb1ES3_PiS7_iN6hipcub16HIPCUB_304000_NS6detail34convert_binary_result_type_wrapperINS9_3SumENS9_22TransformInputIteratorIbN2at6native12_GLOBAL__N_19NonZeroOpIhEEPKhlEEiEEEE10hipError_tPvRmT1_T2_T3_mT4_P12ihipStream_tbEUlT_E1_NS1_11comp_targetILNS1_3genE2ELNS1_11target_archE906ELNS1_3gpuE6ELNS1_3repE0EEENS1_30default_config_static_selectorELNS0_4arch9wavefront6targetE0EEEvSQ_
; %bb.0:
	.section	.rodata,"a",@progbits
	.p2align	6, 0x0
	.amdhsa_kernel _ZN7rocprim17ROCPRIM_400000_NS6detail17trampoline_kernelINS0_14default_configENS1_22reduce_config_selectorIiEEZNS1_11reduce_implILb1ES3_PiS7_iN6hipcub16HIPCUB_304000_NS6detail34convert_binary_result_type_wrapperINS9_3SumENS9_22TransformInputIteratorIbN2at6native12_GLOBAL__N_19NonZeroOpIhEEPKhlEEiEEEE10hipError_tPvRmT1_T2_T3_mT4_P12ihipStream_tbEUlT_E1_NS1_11comp_targetILNS1_3genE2ELNS1_11target_archE906ELNS1_3gpuE6ELNS1_3repE0EEENS1_30default_config_static_selectorELNS0_4arch9wavefront6targetE0EEEvSQ_
		.amdhsa_group_segment_fixed_size 0
		.amdhsa_private_segment_fixed_size 0
		.amdhsa_kernarg_size 40
		.amdhsa_user_sgpr_count 15
		.amdhsa_user_sgpr_dispatch_ptr 0
		.amdhsa_user_sgpr_queue_ptr 0
		.amdhsa_user_sgpr_kernarg_segment_ptr 1
		.amdhsa_user_sgpr_dispatch_id 0
		.amdhsa_user_sgpr_private_segment_size 0
		.amdhsa_wavefront_size32 1
		.amdhsa_uses_dynamic_stack 0
		.amdhsa_enable_private_segment 0
		.amdhsa_system_sgpr_workgroup_id_x 1
		.amdhsa_system_sgpr_workgroup_id_y 0
		.amdhsa_system_sgpr_workgroup_id_z 0
		.amdhsa_system_sgpr_workgroup_info 0
		.amdhsa_system_vgpr_workitem_id 0
		.amdhsa_next_free_vgpr 1
		.amdhsa_next_free_sgpr 1
		.amdhsa_reserve_vcc 0
		.amdhsa_float_round_mode_32 0
		.amdhsa_float_round_mode_16_64 0
		.amdhsa_float_denorm_mode_32 3
		.amdhsa_float_denorm_mode_16_64 3
		.amdhsa_dx10_clamp 1
		.amdhsa_ieee_mode 1
		.amdhsa_fp16_overflow 0
		.amdhsa_workgroup_processor_mode 1
		.amdhsa_memory_ordered 1
		.amdhsa_forward_progress 0
		.amdhsa_shared_vgpr_count 0
		.amdhsa_exception_fp_ieee_invalid_op 0
		.amdhsa_exception_fp_denorm_src 0
		.amdhsa_exception_fp_ieee_div_zero 0
		.amdhsa_exception_fp_ieee_overflow 0
		.amdhsa_exception_fp_ieee_underflow 0
		.amdhsa_exception_fp_ieee_inexact 0
		.amdhsa_exception_int_div_zero 0
	.end_amdhsa_kernel
	.section	.text._ZN7rocprim17ROCPRIM_400000_NS6detail17trampoline_kernelINS0_14default_configENS1_22reduce_config_selectorIiEEZNS1_11reduce_implILb1ES3_PiS7_iN6hipcub16HIPCUB_304000_NS6detail34convert_binary_result_type_wrapperINS9_3SumENS9_22TransformInputIteratorIbN2at6native12_GLOBAL__N_19NonZeroOpIhEEPKhlEEiEEEE10hipError_tPvRmT1_T2_T3_mT4_P12ihipStream_tbEUlT_E1_NS1_11comp_targetILNS1_3genE2ELNS1_11target_archE906ELNS1_3gpuE6ELNS1_3repE0EEENS1_30default_config_static_selectorELNS0_4arch9wavefront6targetE0EEEvSQ_,"axG",@progbits,_ZN7rocprim17ROCPRIM_400000_NS6detail17trampoline_kernelINS0_14default_configENS1_22reduce_config_selectorIiEEZNS1_11reduce_implILb1ES3_PiS7_iN6hipcub16HIPCUB_304000_NS6detail34convert_binary_result_type_wrapperINS9_3SumENS9_22TransformInputIteratorIbN2at6native12_GLOBAL__N_19NonZeroOpIhEEPKhlEEiEEEE10hipError_tPvRmT1_T2_T3_mT4_P12ihipStream_tbEUlT_E1_NS1_11comp_targetILNS1_3genE2ELNS1_11target_archE906ELNS1_3gpuE6ELNS1_3repE0EEENS1_30default_config_static_selectorELNS0_4arch9wavefront6targetE0EEEvSQ_,comdat
.Lfunc_end14:
	.size	_ZN7rocprim17ROCPRIM_400000_NS6detail17trampoline_kernelINS0_14default_configENS1_22reduce_config_selectorIiEEZNS1_11reduce_implILb1ES3_PiS7_iN6hipcub16HIPCUB_304000_NS6detail34convert_binary_result_type_wrapperINS9_3SumENS9_22TransformInputIteratorIbN2at6native12_GLOBAL__N_19NonZeroOpIhEEPKhlEEiEEEE10hipError_tPvRmT1_T2_T3_mT4_P12ihipStream_tbEUlT_E1_NS1_11comp_targetILNS1_3genE2ELNS1_11target_archE906ELNS1_3gpuE6ELNS1_3repE0EEENS1_30default_config_static_selectorELNS0_4arch9wavefront6targetE0EEEvSQ_, .Lfunc_end14-_ZN7rocprim17ROCPRIM_400000_NS6detail17trampoline_kernelINS0_14default_configENS1_22reduce_config_selectorIiEEZNS1_11reduce_implILb1ES3_PiS7_iN6hipcub16HIPCUB_304000_NS6detail34convert_binary_result_type_wrapperINS9_3SumENS9_22TransformInputIteratorIbN2at6native12_GLOBAL__N_19NonZeroOpIhEEPKhlEEiEEEE10hipError_tPvRmT1_T2_T3_mT4_P12ihipStream_tbEUlT_E1_NS1_11comp_targetILNS1_3genE2ELNS1_11target_archE906ELNS1_3gpuE6ELNS1_3repE0EEENS1_30default_config_static_selectorELNS0_4arch9wavefront6targetE0EEEvSQ_
                                        ; -- End function
	.section	.AMDGPU.csdata,"",@progbits
; Kernel info:
; codeLenInByte = 0
; NumSgprs: 0
; NumVgprs: 0
; ScratchSize: 0
; MemoryBound: 0
; FloatMode: 240
; IeeeMode: 1
; LDSByteSize: 0 bytes/workgroup (compile time only)
; SGPRBlocks: 0
; VGPRBlocks: 0
; NumSGPRsForWavesPerEU: 1
; NumVGPRsForWavesPerEU: 1
; Occupancy: 16
; WaveLimiterHint : 0
; COMPUTE_PGM_RSRC2:SCRATCH_EN: 0
; COMPUTE_PGM_RSRC2:USER_SGPR: 15
; COMPUTE_PGM_RSRC2:TRAP_HANDLER: 0
; COMPUTE_PGM_RSRC2:TGID_X_EN: 1
; COMPUTE_PGM_RSRC2:TGID_Y_EN: 0
; COMPUTE_PGM_RSRC2:TGID_Z_EN: 0
; COMPUTE_PGM_RSRC2:TIDIG_COMP_CNT: 0
	.section	.text._ZN7rocprim17ROCPRIM_400000_NS6detail17trampoline_kernelINS0_14default_configENS1_22reduce_config_selectorIiEEZNS1_11reduce_implILb1ES3_PiS7_iN6hipcub16HIPCUB_304000_NS6detail34convert_binary_result_type_wrapperINS9_3SumENS9_22TransformInputIteratorIbN2at6native12_GLOBAL__N_19NonZeroOpIhEEPKhlEEiEEEE10hipError_tPvRmT1_T2_T3_mT4_P12ihipStream_tbEUlT_E1_NS1_11comp_targetILNS1_3genE10ELNS1_11target_archE1201ELNS1_3gpuE5ELNS1_3repE0EEENS1_30default_config_static_selectorELNS0_4arch9wavefront6targetE0EEEvSQ_,"axG",@progbits,_ZN7rocprim17ROCPRIM_400000_NS6detail17trampoline_kernelINS0_14default_configENS1_22reduce_config_selectorIiEEZNS1_11reduce_implILb1ES3_PiS7_iN6hipcub16HIPCUB_304000_NS6detail34convert_binary_result_type_wrapperINS9_3SumENS9_22TransformInputIteratorIbN2at6native12_GLOBAL__N_19NonZeroOpIhEEPKhlEEiEEEE10hipError_tPvRmT1_T2_T3_mT4_P12ihipStream_tbEUlT_E1_NS1_11comp_targetILNS1_3genE10ELNS1_11target_archE1201ELNS1_3gpuE5ELNS1_3repE0EEENS1_30default_config_static_selectorELNS0_4arch9wavefront6targetE0EEEvSQ_,comdat
	.globl	_ZN7rocprim17ROCPRIM_400000_NS6detail17trampoline_kernelINS0_14default_configENS1_22reduce_config_selectorIiEEZNS1_11reduce_implILb1ES3_PiS7_iN6hipcub16HIPCUB_304000_NS6detail34convert_binary_result_type_wrapperINS9_3SumENS9_22TransformInputIteratorIbN2at6native12_GLOBAL__N_19NonZeroOpIhEEPKhlEEiEEEE10hipError_tPvRmT1_T2_T3_mT4_P12ihipStream_tbEUlT_E1_NS1_11comp_targetILNS1_3genE10ELNS1_11target_archE1201ELNS1_3gpuE5ELNS1_3repE0EEENS1_30default_config_static_selectorELNS0_4arch9wavefront6targetE0EEEvSQ_ ; -- Begin function _ZN7rocprim17ROCPRIM_400000_NS6detail17trampoline_kernelINS0_14default_configENS1_22reduce_config_selectorIiEEZNS1_11reduce_implILb1ES3_PiS7_iN6hipcub16HIPCUB_304000_NS6detail34convert_binary_result_type_wrapperINS9_3SumENS9_22TransformInputIteratorIbN2at6native12_GLOBAL__N_19NonZeroOpIhEEPKhlEEiEEEE10hipError_tPvRmT1_T2_T3_mT4_P12ihipStream_tbEUlT_E1_NS1_11comp_targetILNS1_3genE10ELNS1_11target_archE1201ELNS1_3gpuE5ELNS1_3repE0EEENS1_30default_config_static_selectorELNS0_4arch9wavefront6targetE0EEEvSQ_
	.p2align	8
	.type	_ZN7rocprim17ROCPRIM_400000_NS6detail17trampoline_kernelINS0_14default_configENS1_22reduce_config_selectorIiEEZNS1_11reduce_implILb1ES3_PiS7_iN6hipcub16HIPCUB_304000_NS6detail34convert_binary_result_type_wrapperINS9_3SumENS9_22TransformInputIteratorIbN2at6native12_GLOBAL__N_19NonZeroOpIhEEPKhlEEiEEEE10hipError_tPvRmT1_T2_T3_mT4_P12ihipStream_tbEUlT_E1_NS1_11comp_targetILNS1_3genE10ELNS1_11target_archE1201ELNS1_3gpuE5ELNS1_3repE0EEENS1_30default_config_static_selectorELNS0_4arch9wavefront6targetE0EEEvSQ_,@function
_ZN7rocprim17ROCPRIM_400000_NS6detail17trampoline_kernelINS0_14default_configENS1_22reduce_config_selectorIiEEZNS1_11reduce_implILb1ES3_PiS7_iN6hipcub16HIPCUB_304000_NS6detail34convert_binary_result_type_wrapperINS9_3SumENS9_22TransformInputIteratorIbN2at6native12_GLOBAL__N_19NonZeroOpIhEEPKhlEEiEEEE10hipError_tPvRmT1_T2_T3_mT4_P12ihipStream_tbEUlT_E1_NS1_11comp_targetILNS1_3genE10ELNS1_11target_archE1201ELNS1_3gpuE5ELNS1_3repE0EEENS1_30default_config_static_selectorELNS0_4arch9wavefront6targetE0EEEvSQ_: ; @_ZN7rocprim17ROCPRIM_400000_NS6detail17trampoline_kernelINS0_14default_configENS1_22reduce_config_selectorIiEEZNS1_11reduce_implILb1ES3_PiS7_iN6hipcub16HIPCUB_304000_NS6detail34convert_binary_result_type_wrapperINS9_3SumENS9_22TransformInputIteratorIbN2at6native12_GLOBAL__N_19NonZeroOpIhEEPKhlEEiEEEE10hipError_tPvRmT1_T2_T3_mT4_P12ihipStream_tbEUlT_E1_NS1_11comp_targetILNS1_3genE10ELNS1_11target_archE1201ELNS1_3gpuE5ELNS1_3repE0EEENS1_30default_config_static_selectorELNS0_4arch9wavefront6targetE0EEEvSQ_
; %bb.0:
	.section	.rodata,"a",@progbits
	.p2align	6, 0x0
	.amdhsa_kernel _ZN7rocprim17ROCPRIM_400000_NS6detail17trampoline_kernelINS0_14default_configENS1_22reduce_config_selectorIiEEZNS1_11reduce_implILb1ES3_PiS7_iN6hipcub16HIPCUB_304000_NS6detail34convert_binary_result_type_wrapperINS9_3SumENS9_22TransformInputIteratorIbN2at6native12_GLOBAL__N_19NonZeroOpIhEEPKhlEEiEEEE10hipError_tPvRmT1_T2_T3_mT4_P12ihipStream_tbEUlT_E1_NS1_11comp_targetILNS1_3genE10ELNS1_11target_archE1201ELNS1_3gpuE5ELNS1_3repE0EEENS1_30default_config_static_selectorELNS0_4arch9wavefront6targetE0EEEvSQ_
		.amdhsa_group_segment_fixed_size 0
		.amdhsa_private_segment_fixed_size 0
		.amdhsa_kernarg_size 40
		.amdhsa_user_sgpr_count 15
		.amdhsa_user_sgpr_dispatch_ptr 0
		.amdhsa_user_sgpr_queue_ptr 0
		.amdhsa_user_sgpr_kernarg_segment_ptr 1
		.amdhsa_user_sgpr_dispatch_id 0
		.amdhsa_user_sgpr_private_segment_size 0
		.amdhsa_wavefront_size32 1
		.amdhsa_uses_dynamic_stack 0
		.amdhsa_enable_private_segment 0
		.amdhsa_system_sgpr_workgroup_id_x 1
		.amdhsa_system_sgpr_workgroup_id_y 0
		.amdhsa_system_sgpr_workgroup_id_z 0
		.amdhsa_system_sgpr_workgroup_info 0
		.amdhsa_system_vgpr_workitem_id 0
		.amdhsa_next_free_vgpr 1
		.amdhsa_next_free_sgpr 1
		.amdhsa_reserve_vcc 0
		.amdhsa_float_round_mode_32 0
		.amdhsa_float_round_mode_16_64 0
		.amdhsa_float_denorm_mode_32 3
		.amdhsa_float_denorm_mode_16_64 3
		.amdhsa_dx10_clamp 1
		.amdhsa_ieee_mode 1
		.amdhsa_fp16_overflow 0
		.amdhsa_workgroup_processor_mode 1
		.amdhsa_memory_ordered 1
		.amdhsa_forward_progress 0
		.amdhsa_shared_vgpr_count 0
		.amdhsa_exception_fp_ieee_invalid_op 0
		.amdhsa_exception_fp_denorm_src 0
		.amdhsa_exception_fp_ieee_div_zero 0
		.amdhsa_exception_fp_ieee_overflow 0
		.amdhsa_exception_fp_ieee_underflow 0
		.amdhsa_exception_fp_ieee_inexact 0
		.amdhsa_exception_int_div_zero 0
	.end_amdhsa_kernel
	.section	.text._ZN7rocprim17ROCPRIM_400000_NS6detail17trampoline_kernelINS0_14default_configENS1_22reduce_config_selectorIiEEZNS1_11reduce_implILb1ES3_PiS7_iN6hipcub16HIPCUB_304000_NS6detail34convert_binary_result_type_wrapperINS9_3SumENS9_22TransformInputIteratorIbN2at6native12_GLOBAL__N_19NonZeroOpIhEEPKhlEEiEEEE10hipError_tPvRmT1_T2_T3_mT4_P12ihipStream_tbEUlT_E1_NS1_11comp_targetILNS1_3genE10ELNS1_11target_archE1201ELNS1_3gpuE5ELNS1_3repE0EEENS1_30default_config_static_selectorELNS0_4arch9wavefront6targetE0EEEvSQ_,"axG",@progbits,_ZN7rocprim17ROCPRIM_400000_NS6detail17trampoline_kernelINS0_14default_configENS1_22reduce_config_selectorIiEEZNS1_11reduce_implILb1ES3_PiS7_iN6hipcub16HIPCUB_304000_NS6detail34convert_binary_result_type_wrapperINS9_3SumENS9_22TransformInputIteratorIbN2at6native12_GLOBAL__N_19NonZeroOpIhEEPKhlEEiEEEE10hipError_tPvRmT1_T2_T3_mT4_P12ihipStream_tbEUlT_E1_NS1_11comp_targetILNS1_3genE10ELNS1_11target_archE1201ELNS1_3gpuE5ELNS1_3repE0EEENS1_30default_config_static_selectorELNS0_4arch9wavefront6targetE0EEEvSQ_,comdat
.Lfunc_end15:
	.size	_ZN7rocprim17ROCPRIM_400000_NS6detail17trampoline_kernelINS0_14default_configENS1_22reduce_config_selectorIiEEZNS1_11reduce_implILb1ES3_PiS7_iN6hipcub16HIPCUB_304000_NS6detail34convert_binary_result_type_wrapperINS9_3SumENS9_22TransformInputIteratorIbN2at6native12_GLOBAL__N_19NonZeroOpIhEEPKhlEEiEEEE10hipError_tPvRmT1_T2_T3_mT4_P12ihipStream_tbEUlT_E1_NS1_11comp_targetILNS1_3genE10ELNS1_11target_archE1201ELNS1_3gpuE5ELNS1_3repE0EEENS1_30default_config_static_selectorELNS0_4arch9wavefront6targetE0EEEvSQ_, .Lfunc_end15-_ZN7rocprim17ROCPRIM_400000_NS6detail17trampoline_kernelINS0_14default_configENS1_22reduce_config_selectorIiEEZNS1_11reduce_implILb1ES3_PiS7_iN6hipcub16HIPCUB_304000_NS6detail34convert_binary_result_type_wrapperINS9_3SumENS9_22TransformInputIteratorIbN2at6native12_GLOBAL__N_19NonZeroOpIhEEPKhlEEiEEEE10hipError_tPvRmT1_T2_T3_mT4_P12ihipStream_tbEUlT_E1_NS1_11comp_targetILNS1_3genE10ELNS1_11target_archE1201ELNS1_3gpuE5ELNS1_3repE0EEENS1_30default_config_static_selectorELNS0_4arch9wavefront6targetE0EEEvSQ_
                                        ; -- End function
	.section	.AMDGPU.csdata,"",@progbits
; Kernel info:
; codeLenInByte = 0
; NumSgprs: 0
; NumVgprs: 0
; ScratchSize: 0
; MemoryBound: 0
; FloatMode: 240
; IeeeMode: 1
; LDSByteSize: 0 bytes/workgroup (compile time only)
; SGPRBlocks: 0
; VGPRBlocks: 0
; NumSGPRsForWavesPerEU: 1
; NumVGPRsForWavesPerEU: 1
; Occupancy: 16
; WaveLimiterHint : 0
; COMPUTE_PGM_RSRC2:SCRATCH_EN: 0
; COMPUTE_PGM_RSRC2:USER_SGPR: 15
; COMPUTE_PGM_RSRC2:TRAP_HANDLER: 0
; COMPUTE_PGM_RSRC2:TGID_X_EN: 1
; COMPUTE_PGM_RSRC2:TGID_Y_EN: 0
; COMPUTE_PGM_RSRC2:TGID_Z_EN: 0
; COMPUTE_PGM_RSRC2:TIDIG_COMP_CNT: 0
	.section	.text._ZN7rocprim17ROCPRIM_400000_NS6detail17trampoline_kernelINS0_14default_configENS1_22reduce_config_selectorIiEEZNS1_11reduce_implILb1ES3_PiS7_iN6hipcub16HIPCUB_304000_NS6detail34convert_binary_result_type_wrapperINS9_3SumENS9_22TransformInputIteratorIbN2at6native12_GLOBAL__N_19NonZeroOpIhEEPKhlEEiEEEE10hipError_tPvRmT1_T2_T3_mT4_P12ihipStream_tbEUlT_E1_NS1_11comp_targetILNS1_3genE10ELNS1_11target_archE1200ELNS1_3gpuE4ELNS1_3repE0EEENS1_30default_config_static_selectorELNS0_4arch9wavefront6targetE0EEEvSQ_,"axG",@progbits,_ZN7rocprim17ROCPRIM_400000_NS6detail17trampoline_kernelINS0_14default_configENS1_22reduce_config_selectorIiEEZNS1_11reduce_implILb1ES3_PiS7_iN6hipcub16HIPCUB_304000_NS6detail34convert_binary_result_type_wrapperINS9_3SumENS9_22TransformInputIteratorIbN2at6native12_GLOBAL__N_19NonZeroOpIhEEPKhlEEiEEEE10hipError_tPvRmT1_T2_T3_mT4_P12ihipStream_tbEUlT_E1_NS1_11comp_targetILNS1_3genE10ELNS1_11target_archE1200ELNS1_3gpuE4ELNS1_3repE0EEENS1_30default_config_static_selectorELNS0_4arch9wavefront6targetE0EEEvSQ_,comdat
	.globl	_ZN7rocprim17ROCPRIM_400000_NS6detail17trampoline_kernelINS0_14default_configENS1_22reduce_config_selectorIiEEZNS1_11reduce_implILb1ES3_PiS7_iN6hipcub16HIPCUB_304000_NS6detail34convert_binary_result_type_wrapperINS9_3SumENS9_22TransformInputIteratorIbN2at6native12_GLOBAL__N_19NonZeroOpIhEEPKhlEEiEEEE10hipError_tPvRmT1_T2_T3_mT4_P12ihipStream_tbEUlT_E1_NS1_11comp_targetILNS1_3genE10ELNS1_11target_archE1200ELNS1_3gpuE4ELNS1_3repE0EEENS1_30default_config_static_selectorELNS0_4arch9wavefront6targetE0EEEvSQ_ ; -- Begin function _ZN7rocprim17ROCPRIM_400000_NS6detail17trampoline_kernelINS0_14default_configENS1_22reduce_config_selectorIiEEZNS1_11reduce_implILb1ES3_PiS7_iN6hipcub16HIPCUB_304000_NS6detail34convert_binary_result_type_wrapperINS9_3SumENS9_22TransformInputIteratorIbN2at6native12_GLOBAL__N_19NonZeroOpIhEEPKhlEEiEEEE10hipError_tPvRmT1_T2_T3_mT4_P12ihipStream_tbEUlT_E1_NS1_11comp_targetILNS1_3genE10ELNS1_11target_archE1200ELNS1_3gpuE4ELNS1_3repE0EEENS1_30default_config_static_selectorELNS0_4arch9wavefront6targetE0EEEvSQ_
	.p2align	8
	.type	_ZN7rocprim17ROCPRIM_400000_NS6detail17trampoline_kernelINS0_14default_configENS1_22reduce_config_selectorIiEEZNS1_11reduce_implILb1ES3_PiS7_iN6hipcub16HIPCUB_304000_NS6detail34convert_binary_result_type_wrapperINS9_3SumENS9_22TransformInputIteratorIbN2at6native12_GLOBAL__N_19NonZeroOpIhEEPKhlEEiEEEE10hipError_tPvRmT1_T2_T3_mT4_P12ihipStream_tbEUlT_E1_NS1_11comp_targetILNS1_3genE10ELNS1_11target_archE1200ELNS1_3gpuE4ELNS1_3repE0EEENS1_30default_config_static_selectorELNS0_4arch9wavefront6targetE0EEEvSQ_,@function
_ZN7rocprim17ROCPRIM_400000_NS6detail17trampoline_kernelINS0_14default_configENS1_22reduce_config_selectorIiEEZNS1_11reduce_implILb1ES3_PiS7_iN6hipcub16HIPCUB_304000_NS6detail34convert_binary_result_type_wrapperINS9_3SumENS9_22TransformInputIteratorIbN2at6native12_GLOBAL__N_19NonZeroOpIhEEPKhlEEiEEEE10hipError_tPvRmT1_T2_T3_mT4_P12ihipStream_tbEUlT_E1_NS1_11comp_targetILNS1_3genE10ELNS1_11target_archE1200ELNS1_3gpuE4ELNS1_3repE0EEENS1_30default_config_static_selectorELNS0_4arch9wavefront6targetE0EEEvSQ_: ; @_ZN7rocprim17ROCPRIM_400000_NS6detail17trampoline_kernelINS0_14default_configENS1_22reduce_config_selectorIiEEZNS1_11reduce_implILb1ES3_PiS7_iN6hipcub16HIPCUB_304000_NS6detail34convert_binary_result_type_wrapperINS9_3SumENS9_22TransformInputIteratorIbN2at6native12_GLOBAL__N_19NonZeroOpIhEEPKhlEEiEEEE10hipError_tPvRmT1_T2_T3_mT4_P12ihipStream_tbEUlT_E1_NS1_11comp_targetILNS1_3genE10ELNS1_11target_archE1200ELNS1_3gpuE4ELNS1_3repE0EEENS1_30default_config_static_selectorELNS0_4arch9wavefront6targetE0EEEvSQ_
; %bb.0:
	.section	.rodata,"a",@progbits
	.p2align	6, 0x0
	.amdhsa_kernel _ZN7rocprim17ROCPRIM_400000_NS6detail17trampoline_kernelINS0_14default_configENS1_22reduce_config_selectorIiEEZNS1_11reduce_implILb1ES3_PiS7_iN6hipcub16HIPCUB_304000_NS6detail34convert_binary_result_type_wrapperINS9_3SumENS9_22TransformInputIteratorIbN2at6native12_GLOBAL__N_19NonZeroOpIhEEPKhlEEiEEEE10hipError_tPvRmT1_T2_T3_mT4_P12ihipStream_tbEUlT_E1_NS1_11comp_targetILNS1_3genE10ELNS1_11target_archE1200ELNS1_3gpuE4ELNS1_3repE0EEENS1_30default_config_static_selectorELNS0_4arch9wavefront6targetE0EEEvSQ_
		.amdhsa_group_segment_fixed_size 0
		.amdhsa_private_segment_fixed_size 0
		.amdhsa_kernarg_size 40
		.amdhsa_user_sgpr_count 15
		.amdhsa_user_sgpr_dispatch_ptr 0
		.amdhsa_user_sgpr_queue_ptr 0
		.amdhsa_user_sgpr_kernarg_segment_ptr 1
		.amdhsa_user_sgpr_dispatch_id 0
		.amdhsa_user_sgpr_private_segment_size 0
		.amdhsa_wavefront_size32 1
		.amdhsa_uses_dynamic_stack 0
		.amdhsa_enable_private_segment 0
		.amdhsa_system_sgpr_workgroup_id_x 1
		.amdhsa_system_sgpr_workgroup_id_y 0
		.amdhsa_system_sgpr_workgroup_id_z 0
		.amdhsa_system_sgpr_workgroup_info 0
		.amdhsa_system_vgpr_workitem_id 0
		.amdhsa_next_free_vgpr 1
		.amdhsa_next_free_sgpr 1
		.amdhsa_reserve_vcc 0
		.amdhsa_float_round_mode_32 0
		.amdhsa_float_round_mode_16_64 0
		.amdhsa_float_denorm_mode_32 3
		.amdhsa_float_denorm_mode_16_64 3
		.amdhsa_dx10_clamp 1
		.amdhsa_ieee_mode 1
		.amdhsa_fp16_overflow 0
		.amdhsa_workgroup_processor_mode 1
		.amdhsa_memory_ordered 1
		.amdhsa_forward_progress 0
		.amdhsa_shared_vgpr_count 0
		.amdhsa_exception_fp_ieee_invalid_op 0
		.amdhsa_exception_fp_denorm_src 0
		.amdhsa_exception_fp_ieee_div_zero 0
		.amdhsa_exception_fp_ieee_overflow 0
		.amdhsa_exception_fp_ieee_underflow 0
		.amdhsa_exception_fp_ieee_inexact 0
		.amdhsa_exception_int_div_zero 0
	.end_amdhsa_kernel
	.section	.text._ZN7rocprim17ROCPRIM_400000_NS6detail17trampoline_kernelINS0_14default_configENS1_22reduce_config_selectorIiEEZNS1_11reduce_implILb1ES3_PiS7_iN6hipcub16HIPCUB_304000_NS6detail34convert_binary_result_type_wrapperINS9_3SumENS9_22TransformInputIteratorIbN2at6native12_GLOBAL__N_19NonZeroOpIhEEPKhlEEiEEEE10hipError_tPvRmT1_T2_T3_mT4_P12ihipStream_tbEUlT_E1_NS1_11comp_targetILNS1_3genE10ELNS1_11target_archE1200ELNS1_3gpuE4ELNS1_3repE0EEENS1_30default_config_static_selectorELNS0_4arch9wavefront6targetE0EEEvSQ_,"axG",@progbits,_ZN7rocprim17ROCPRIM_400000_NS6detail17trampoline_kernelINS0_14default_configENS1_22reduce_config_selectorIiEEZNS1_11reduce_implILb1ES3_PiS7_iN6hipcub16HIPCUB_304000_NS6detail34convert_binary_result_type_wrapperINS9_3SumENS9_22TransformInputIteratorIbN2at6native12_GLOBAL__N_19NonZeroOpIhEEPKhlEEiEEEE10hipError_tPvRmT1_T2_T3_mT4_P12ihipStream_tbEUlT_E1_NS1_11comp_targetILNS1_3genE10ELNS1_11target_archE1200ELNS1_3gpuE4ELNS1_3repE0EEENS1_30default_config_static_selectorELNS0_4arch9wavefront6targetE0EEEvSQ_,comdat
.Lfunc_end16:
	.size	_ZN7rocprim17ROCPRIM_400000_NS6detail17trampoline_kernelINS0_14default_configENS1_22reduce_config_selectorIiEEZNS1_11reduce_implILb1ES3_PiS7_iN6hipcub16HIPCUB_304000_NS6detail34convert_binary_result_type_wrapperINS9_3SumENS9_22TransformInputIteratorIbN2at6native12_GLOBAL__N_19NonZeroOpIhEEPKhlEEiEEEE10hipError_tPvRmT1_T2_T3_mT4_P12ihipStream_tbEUlT_E1_NS1_11comp_targetILNS1_3genE10ELNS1_11target_archE1200ELNS1_3gpuE4ELNS1_3repE0EEENS1_30default_config_static_selectorELNS0_4arch9wavefront6targetE0EEEvSQ_, .Lfunc_end16-_ZN7rocprim17ROCPRIM_400000_NS6detail17trampoline_kernelINS0_14default_configENS1_22reduce_config_selectorIiEEZNS1_11reduce_implILb1ES3_PiS7_iN6hipcub16HIPCUB_304000_NS6detail34convert_binary_result_type_wrapperINS9_3SumENS9_22TransformInputIteratorIbN2at6native12_GLOBAL__N_19NonZeroOpIhEEPKhlEEiEEEE10hipError_tPvRmT1_T2_T3_mT4_P12ihipStream_tbEUlT_E1_NS1_11comp_targetILNS1_3genE10ELNS1_11target_archE1200ELNS1_3gpuE4ELNS1_3repE0EEENS1_30default_config_static_selectorELNS0_4arch9wavefront6targetE0EEEvSQ_
                                        ; -- End function
	.section	.AMDGPU.csdata,"",@progbits
; Kernel info:
; codeLenInByte = 0
; NumSgprs: 0
; NumVgprs: 0
; ScratchSize: 0
; MemoryBound: 0
; FloatMode: 240
; IeeeMode: 1
; LDSByteSize: 0 bytes/workgroup (compile time only)
; SGPRBlocks: 0
; VGPRBlocks: 0
; NumSGPRsForWavesPerEU: 1
; NumVGPRsForWavesPerEU: 1
; Occupancy: 16
; WaveLimiterHint : 0
; COMPUTE_PGM_RSRC2:SCRATCH_EN: 0
; COMPUTE_PGM_RSRC2:USER_SGPR: 15
; COMPUTE_PGM_RSRC2:TRAP_HANDLER: 0
; COMPUTE_PGM_RSRC2:TGID_X_EN: 1
; COMPUTE_PGM_RSRC2:TGID_Y_EN: 0
; COMPUTE_PGM_RSRC2:TGID_Z_EN: 0
; COMPUTE_PGM_RSRC2:TIDIG_COMP_CNT: 0
	.section	.text._ZN7rocprim17ROCPRIM_400000_NS6detail17trampoline_kernelINS0_14default_configENS1_22reduce_config_selectorIiEEZNS1_11reduce_implILb1ES3_PiS7_iN6hipcub16HIPCUB_304000_NS6detail34convert_binary_result_type_wrapperINS9_3SumENS9_22TransformInputIteratorIbN2at6native12_GLOBAL__N_19NonZeroOpIhEEPKhlEEiEEEE10hipError_tPvRmT1_T2_T3_mT4_P12ihipStream_tbEUlT_E1_NS1_11comp_targetILNS1_3genE9ELNS1_11target_archE1100ELNS1_3gpuE3ELNS1_3repE0EEENS1_30default_config_static_selectorELNS0_4arch9wavefront6targetE0EEEvSQ_,"axG",@progbits,_ZN7rocprim17ROCPRIM_400000_NS6detail17trampoline_kernelINS0_14default_configENS1_22reduce_config_selectorIiEEZNS1_11reduce_implILb1ES3_PiS7_iN6hipcub16HIPCUB_304000_NS6detail34convert_binary_result_type_wrapperINS9_3SumENS9_22TransformInputIteratorIbN2at6native12_GLOBAL__N_19NonZeroOpIhEEPKhlEEiEEEE10hipError_tPvRmT1_T2_T3_mT4_P12ihipStream_tbEUlT_E1_NS1_11comp_targetILNS1_3genE9ELNS1_11target_archE1100ELNS1_3gpuE3ELNS1_3repE0EEENS1_30default_config_static_selectorELNS0_4arch9wavefront6targetE0EEEvSQ_,comdat
	.globl	_ZN7rocprim17ROCPRIM_400000_NS6detail17trampoline_kernelINS0_14default_configENS1_22reduce_config_selectorIiEEZNS1_11reduce_implILb1ES3_PiS7_iN6hipcub16HIPCUB_304000_NS6detail34convert_binary_result_type_wrapperINS9_3SumENS9_22TransformInputIteratorIbN2at6native12_GLOBAL__N_19NonZeroOpIhEEPKhlEEiEEEE10hipError_tPvRmT1_T2_T3_mT4_P12ihipStream_tbEUlT_E1_NS1_11comp_targetILNS1_3genE9ELNS1_11target_archE1100ELNS1_3gpuE3ELNS1_3repE0EEENS1_30default_config_static_selectorELNS0_4arch9wavefront6targetE0EEEvSQ_ ; -- Begin function _ZN7rocprim17ROCPRIM_400000_NS6detail17trampoline_kernelINS0_14default_configENS1_22reduce_config_selectorIiEEZNS1_11reduce_implILb1ES3_PiS7_iN6hipcub16HIPCUB_304000_NS6detail34convert_binary_result_type_wrapperINS9_3SumENS9_22TransformInputIteratorIbN2at6native12_GLOBAL__N_19NonZeroOpIhEEPKhlEEiEEEE10hipError_tPvRmT1_T2_T3_mT4_P12ihipStream_tbEUlT_E1_NS1_11comp_targetILNS1_3genE9ELNS1_11target_archE1100ELNS1_3gpuE3ELNS1_3repE0EEENS1_30default_config_static_selectorELNS0_4arch9wavefront6targetE0EEEvSQ_
	.p2align	8
	.type	_ZN7rocprim17ROCPRIM_400000_NS6detail17trampoline_kernelINS0_14default_configENS1_22reduce_config_selectorIiEEZNS1_11reduce_implILb1ES3_PiS7_iN6hipcub16HIPCUB_304000_NS6detail34convert_binary_result_type_wrapperINS9_3SumENS9_22TransformInputIteratorIbN2at6native12_GLOBAL__N_19NonZeroOpIhEEPKhlEEiEEEE10hipError_tPvRmT1_T2_T3_mT4_P12ihipStream_tbEUlT_E1_NS1_11comp_targetILNS1_3genE9ELNS1_11target_archE1100ELNS1_3gpuE3ELNS1_3repE0EEENS1_30default_config_static_selectorELNS0_4arch9wavefront6targetE0EEEvSQ_,@function
_ZN7rocprim17ROCPRIM_400000_NS6detail17trampoline_kernelINS0_14default_configENS1_22reduce_config_selectorIiEEZNS1_11reduce_implILb1ES3_PiS7_iN6hipcub16HIPCUB_304000_NS6detail34convert_binary_result_type_wrapperINS9_3SumENS9_22TransformInputIteratorIbN2at6native12_GLOBAL__N_19NonZeroOpIhEEPKhlEEiEEEE10hipError_tPvRmT1_T2_T3_mT4_P12ihipStream_tbEUlT_E1_NS1_11comp_targetILNS1_3genE9ELNS1_11target_archE1100ELNS1_3gpuE3ELNS1_3repE0EEENS1_30default_config_static_selectorELNS0_4arch9wavefront6targetE0EEEvSQ_: ; @_ZN7rocprim17ROCPRIM_400000_NS6detail17trampoline_kernelINS0_14default_configENS1_22reduce_config_selectorIiEEZNS1_11reduce_implILb1ES3_PiS7_iN6hipcub16HIPCUB_304000_NS6detail34convert_binary_result_type_wrapperINS9_3SumENS9_22TransformInputIteratorIbN2at6native12_GLOBAL__N_19NonZeroOpIhEEPKhlEEiEEEE10hipError_tPvRmT1_T2_T3_mT4_P12ihipStream_tbEUlT_E1_NS1_11comp_targetILNS1_3genE9ELNS1_11target_archE1100ELNS1_3gpuE3ELNS1_3repE0EEENS1_30default_config_static_selectorELNS0_4arch9wavefront6targetE0EEEvSQ_
; %bb.0:
	s_clause 0x1
	s_load_b32 s24, s[0:1], 0x4
	s_load_b128 s[16:19], s[0:1], 0x8
	s_mov_b32 s20, s15
	s_waitcnt lgkmcnt(0)
	s_cmp_lt_i32 s24, 8
	s_cbranch_scc1 .LBB17_11
; %bb.1:
	s_cmp_gt_i32 s24, 15
	s_cbranch_scc0 .LBB17_12
; %bb.2:
	s_cmp_gt_i32 s24, 31
	s_cbranch_scc0 .LBB17_13
; %bb.3:
	s_cmp_eq_u32 s24, 32
	s_mov_b32 s6, 0
	s_cbranch_scc0 .LBB17_14
; %bb.4:
	s_mov_b32 s21, 0
	s_lshl_b32 s4, s20, 13
	s_mov_b32 s5, s21
	s_lshr_b64 s[8:9], s[18:19], 13
	s_lshl_b64 s[2:3], s[4:5], 2
	s_delay_alu instid0(SALU_CYCLE_1)
	s_add_u32 s2, s16, s2
	s_addc_u32 s3, s17, s3
	s_cmp_lg_u64 s[8:9], s[20:21]
	s_cbranch_scc0 .LBB17_23
; %bb.5:
	v_lshlrev_b32_e32 v5, 2, v0
	s_clause 0x1
	global_load_b32 v9, v5, s[2:3]
	global_load_b32 v10, v5, s[2:3] offset:1024
	v_add_co_u32 v7, s5, s2, v5
	s_delay_alu instid0(VALU_DEP_1) | instskip(SKIP_1) | instid1(VALU_DEP_2)
	v_add_co_ci_u32_e64 v8, null, s3, 0, s5
	s_mov_b32 s5, exec_lo
	v_add_co_u32 v1, vcc_lo, 0x1000, v7
	s_delay_alu instid0(VALU_DEP_2)
	v_add_co_ci_u32_e32 v2, vcc_lo, 0, v8, vcc_lo
	s_clause 0x2
	global_load_b32 v11, v5, s[2:3] offset:2048
	global_load_b32 v12, v5, s[2:3] offset:3072
	global_load_b32 v13, v[1:2], off offset:1024
	v_add_co_u32 v3, vcc_lo, v7, 0x2000
	v_add_co_ci_u32_e32 v4, vcc_lo, 0, v8, vcc_lo
	v_add_co_u32 v5, vcc_lo, 0x2000, v7
	v_add_co_ci_u32_e32 v6, vcc_lo, 0, v8, vcc_lo
	s_clause 0x4
	global_load_b32 v14, v[3:4], off offset:-4096
	global_load_b32 v15, v[3:4], off
	global_load_b32 v16, v[1:2], off offset:2048
	global_load_b32 v17, v[1:2], off offset:3072
	;; [unrolled: 1-line block ×3, first 2 shown]
	v_add_co_u32 v1, vcc_lo, 0x3000, v7
	v_add_co_ci_u32_e32 v2, vcc_lo, 0, v8, vcc_lo
	s_clause 0x2
	global_load_b32 v19, v[5:6], off offset:2048
	global_load_b32 v20, v[5:6], off offset:3072
	global_load_b32 v21, v[1:2], off offset:1024
	v_add_co_u32 v3, vcc_lo, v7, 0x4000
	v_add_co_ci_u32_e32 v4, vcc_lo, 0, v8, vcc_lo
	v_add_co_u32 v5, vcc_lo, 0x4000, v7
	v_add_co_ci_u32_e32 v6, vcc_lo, 0, v8, vcc_lo
	s_clause 0x4
	global_load_b32 v22, v[3:4], off offset:-4096
	global_load_b32 v23, v[3:4], off
	global_load_b32 v24, v[1:2], off offset:2048
	global_load_b32 v25, v[1:2], off offset:3072
	;; [unrolled: 1-line block ×3, first 2 shown]
	v_add_co_u32 v1, vcc_lo, 0x5000, v7
	v_add_co_ci_u32_e32 v2, vcc_lo, 0, v8, vcc_lo
	v_add_co_u32 v3, vcc_lo, v7, 0x6000
	v_add_co_ci_u32_e32 v4, vcc_lo, 0, v8, vcc_lo
	s_clause 0x3
	global_load_b32 v27, v[5:6], off offset:2048
	global_load_b32 v28, v[5:6], off offset:3072
	global_load_b32 v29, v[3:4], off offset:-4096
	global_load_b32 v30, v[1:2], off offset:1024
	v_add_co_u32 v5, vcc_lo, 0x6000, v7
	v_add_co_ci_u32_e32 v6, vcc_lo, 0, v8, vcc_lo
	s_clause 0x3
	global_load_b32 v31, v[1:2], off offset:2048
	global_load_b32 v32, v[1:2], off offset:3072
	global_load_b32 v3, v[3:4], off
	global_load_b32 v4, v[5:6], off offset:1024
	v_add_co_u32 v1, vcc_lo, 0x7000, v7
	v_add_co_ci_u32_e32 v2, vcc_lo, 0, v8, vcc_lo
	s_clause 0x5
	global_load_b32 v7, v[5:6], off offset:2048
	global_load_b32 v5, v[5:6], off offset:3072
	global_load_b32 v6, v[1:2], off
	global_load_b32 v8, v[1:2], off offset:1024
	global_load_b32 v33, v[1:2], off offset:2048
	;; [unrolled: 1-line block ×3, first 2 shown]
	s_waitcnt vmcnt(30)
	v_add_nc_u32_e32 v2, v10, v9
	s_waitcnt vmcnt(28)
	s_delay_alu instid0(VALU_DEP_1) | instskip(SKIP_1) | instid1(VALU_DEP_1)
	v_add3_u32 v2, v2, v11, v12
	s_waitcnt vmcnt(26)
	v_add3_u32 v2, v2, v14, v13
	s_waitcnt vmcnt(23)
	s_delay_alu instid0(VALU_DEP_1) | instskip(SKIP_1) | instid1(VALU_DEP_1)
	v_add3_u32 v2, v2, v16, v17
	s_waitcnt vmcnt(22)
	v_add3_u32 v2, v2, v15, v18
	;; [unrolled: 5-line block ×6, first 2 shown]
	v_mov_b32_e32 v3, 0
	s_waitcnt vmcnt(4)
	s_delay_alu instid0(VALU_DEP_2) | instskip(SKIP_1) | instid1(VALU_DEP_1)
	v_add3_u32 v2, v2, v7, v5
	s_waitcnt vmcnt(2)
	v_add3_u32 v2, v2, v6, v8
	s_waitcnt vmcnt(0)
	s_delay_alu instid0(VALU_DEP_1) | instskip(NEXT) | instid1(VALU_DEP_1)
	v_add3_u32 v1, v2, v33, v1
	v_mov_b32_dpp v2, v1 quad_perm:[1,0,3,2] row_mask:0xf bank_mask:0xf
	s_delay_alu instid0(VALU_DEP_1) | instskip(NEXT) | instid1(VALU_DEP_1)
	v_add_nc_u32_e32 v1, v2, v1
	v_mov_b32_dpp v2, v1 quad_perm:[2,3,0,1] row_mask:0xf bank_mask:0xf
	s_delay_alu instid0(VALU_DEP_1) | instskip(NEXT) | instid1(VALU_DEP_1)
	v_add_nc_u32_e32 v1, v1, v2
	v_mov_b32_dpp v2, v1 row_ror:4 row_mask:0xf bank_mask:0xf
	s_delay_alu instid0(VALU_DEP_1) | instskip(NEXT) | instid1(VALU_DEP_1)
	v_add_nc_u32_e32 v1, v1, v2
	v_mov_b32_dpp v2, v1 row_ror:8 row_mask:0xf bank_mask:0xf
	s_delay_alu instid0(VALU_DEP_1)
	v_add_nc_u32_e32 v1, v1, v2
	ds_swizzle_b32 v2, v1 offset:swizzle(BROADCAST,32,15)
	s_waitcnt lgkmcnt(0)
	v_add_nc_u32_e32 v1, v1, v2
	v_mbcnt_lo_u32_b32 v2, -1, 0
	ds_bpermute_b32 v1, v3, v1 offset:124
	v_cmpx_eq_u32_e32 0, v2
	s_cbranch_execz .LBB17_7
; %bb.6:
	v_lshrrev_b32_e32 v3, 3, v0
	s_delay_alu instid0(VALU_DEP_1)
	v_and_b32_e32 v3, 28, v3
	s_waitcnt lgkmcnt(0)
	ds_store_b32 v3, v1 offset:96
.LBB17_7:
	s_or_b32 exec_lo, exec_lo, s5
	s_delay_alu instid0(SALU_CYCLE_1)
	s_mov_b32 s5, exec_lo
	s_waitcnt lgkmcnt(0)
	s_barrier
	buffer_gl0_inv
	v_cmpx_gt_u32_e32 32, v0
	s_cbranch_execz .LBB17_9
; %bb.8:
	v_lshl_or_b32 v1, v2, 2, 0x60
	v_and_b32_e32 v3, 7, v2
	ds_load_b32 v1, v1
	v_cmp_ne_u32_e32 vcc_lo, 7, v3
	v_add_co_ci_u32_e32 v4, vcc_lo, 0, v2, vcc_lo
	v_cmp_gt_u32_e32 vcc_lo, 6, v3
	s_delay_alu instid0(VALU_DEP_2) | instskip(SKIP_2) | instid1(VALU_DEP_2)
	v_lshlrev_b32_e32 v4, 2, v4
	v_cndmask_b32_e64 v5, 0, 1, vcc_lo
	v_cmp_gt_u32_e32 vcc_lo, 4, v3
	v_lshlrev_b32_e32 v5, 1, v5
	v_cndmask_b32_e64 v3, 0, 1, vcc_lo
	s_waitcnt lgkmcnt(0)
	ds_bpermute_b32 v4, v4, v1
	v_add_lshl_u32 v5, v5, v2, 2
	v_lshlrev_b32_e32 v3, 2, v3
	s_delay_alu instid0(VALU_DEP_1)
	v_add_lshl_u32 v2, v3, v2, 2
	s_waitcnt lgkmcnt(0)
	v_add_nc_u32_e32 v1, v4, v1
	ds_bpermute_b32 v4, v5, v1
	s_waitcnt lgkmcnt(0)
	v_add_nc_u32_e32 v1, v4, v1
	ds_bpermute_b32 v2, v2, v1
	s_waitcnt lgkmcnt(0)
	v_add_nc_u32_e32 v1, v2, v1
.LBB17_9:
	s_or_b32 exec_lo, exec_lo, s5
.LBB17_10:
	v_cmp_eq_u32_e64 s2, 0, v0
	s_and_b32 vcc_lo, exec_lo, s6
	s_cbranch_vccnz .LBB17_15
	s_branch .LBB17_93
.LBB17_11:
	s_mov_b32 s2, 0
                                        ; implicit-def: $vgpr1
	s_cbranch_execnz .LBB17_166
	s_branch .LBB17_224
.LBB17_12:
	s_mov_b32 s2, 0
                                        ; implicit-def: $vgpr1
	s_cbranch_execnz .LBB17_134
	s_branch .LBB17_142
.LBB17_13:
	s_mov_b32 s6, -1
.LBB17_14:
	s_mov_b32 s2, 0
                                        ; implicit-def: $vgpr1
	s_and_b32 vcc_lo, exec_lo, s6
	s_cbranch_vccz .LBB17_93
.LBB17_15:
	s_cmp_eq_u32 s24, 16
	s_cbranch_scc0 .LBB17_22
; %bb.16:
	s_mov_b32 s21, 0
	s_lshl_b32 s2, s20, 12
	s_mov_b32 s3, s21
	s_lshr_b64 s[6:7], s[18:19], 12
	s_lshl_b64 s[4:5], s[2:3], 2
	s_delay_alu instid0(SALU_CYCLE_1)
	s_add_u32 s22, s16, s4
	s_addc_u32 s23, s17, s5
	s_cmp_lg_u64 s[6:7], s[20:21]
	s_cbranch_scc0 .LBB17_94
; %bb.17:
	v_lshlrev_b32_e32 v5, 2, v0
	s_clause 0x1
	global_load_b32 v9, v5, s[22:23]
	global_load_b32 v10, v5, s[22:23] offset:1024
	v_add_co_u32 v7, s3, s22, v5
	s_delay_alu instid0(VALU_DEP_1) | instskip(SKIP_1) | instid1(VALU_DEP_2)
	v_add_co_ci_u32_e64 v8, null, s23, 0, s3
	s_mov_b32 s3, exec_lo
	v_add_co_u32 v1, vcc_lo, 0x1000, v7
	s_delay_alu instid0(VALU_DEP_2)
	v_add_co_ci_u32_e32 v2, vcc_lo, 0, v8, vcc_lo
	v_add_co_u32 v3, vcc_lo, v7, 0x2000
	v_add_co_ci_u32_e32 v4, vcc_lo, 0, v8, vcc_lo
	s_clause 0x3
	global_load_b32 v11, v5, s[22:23] offset:2048
	global_load_b32 v12, v5, s[22:23] offset:3072
	global_load_b32 v13, v[3:4], off offset:-4096
	global_load_b32 v14, v[1:2], off offset:1024
	v_add_co_u32 v5, vcc_lo, 0x2000, v7
	v_add_co_ci_u32_e32 v6, vcc_lo, 0, v8, vcc_lo
	s_clause 0x3
	global_load_b32 v15, v[1:2], off offset:2048
	global_load_b32 v16, v[1:2], off offset:3072
	global_load_b32 v3, v[3:4], off
	global_load_b32 v4, v[5:6], off offset:1024
	v_add_co_u32 v1, vcc_lo, 0x3000, v7
	v_add_co_ci_u32_e32 v2, vcc_lo, 0, v8, vcc_lo
	s_clause 0x5
	global_load_b32 v7, v[5:6], off offset:2048
	global_load_b32 v5, v[5:6], off offset:3072
	global_load_b32 v6, v[1:2], off
	global_load_b32 v8, v[1:2], off offset:1024
	global_load_b32 v17, v[1:2], off offset:2048
	;; [unrolled: 1-line block ×3, first 2 shown]
	s_waitcnt vmcnt(14)
	v_add_nc_u32_e32 v2, v10, v9
	s_waitcnt vmcnt(12)
	s_delay_alu instid0(VALU_DEP_1) | instskip(SKIP_1) | instid1(VALU_DEP_1)
	v_add3_u32 v2, v2, v11, v12
	s_waitcnt vmcnt(10)
	v_add3_u32 v2, v2, v13, v14
	s_waitcnt vmcnt(8)
	s_delay_alu instid0(VALU_DEP_1) | instskip(SKIP_1) | instid1(VALU_DEP_1)
	v_add3_u32 v2, v2, v15, v16
	s_waitcnt vmcnt(6)
	v_add3_u32 v2, v2, v3, v4
	v_mov_b32_e32 v3, 0
	s_waitcnt vmcnt(4)
	s_delay_alu instid0(VALU_DEP_2) | instskip(SKIP_1) | instid1(VALU_DEP_1)
	v_add3_u32 v2, v2, v7, v5
	s_waitcnt vmcnt(2)
	v_add3_u32 v2, v2, v6, v8
	s_waitcnt vmcnt(0)
	s_delay_alu instid0(VALU_DEP_1) | instskip(NEXT) | instid1(VALU_DEP_1)
	v_add3_u32 v1, v2, v17, v1
	v_mov_b32_dpp v2, v1 quad_perm:[1,0,3,2] row_mask:0xf bank_mask:0xf
	s_delay_alu instid0(VALU_DEP_1) | instskip(NEXT) | instid1(VALU_DEP_1)
	v_add_nc_u32_e32 v1, v2, v1
	v_mov_b32_dpp v2, v1 quad_perm:[2,3,0,1] row_mask:0xf bank_mask:0xf
	s_delay_alu instid0(VALU_DEP_1) | instskip(NEXT) | instid1(VALU_DEP_1)
	v_add_nc_u32_e32 v1, v1, v2
	v_mov_b32_dpp v2, v1 row_ror:4 row_mask:0xf bank_mask:0xf
	s_delay_alu instid0(VALU_DEP_1) | instskip(NEXT) | instid1(VALU_DEP_1)
	v_add_nc_u32_e32 v1, v1, v2
	v_mov_b32_dpp v2, v1 row_ror:8 row_mask:0xf bank_mask:0xf
	s_delay_alu instid0(VALU_DEP_1)
	v_add_nc_u32_e32 v1, v1, v2
	ds_swizzle_b32 v2, v1 offset:swizzle(BROADCAST,32,15)
	s_waitcnt lgkmcnt(0)
	v_add_nc_u32_e32 v1, v1, v2
	v_mbcnt_lo_u32_b32 v2, -1, 0
	ds_bpermute_b32 v1, v3, v1 offset:124
	v_cmpx_eq_u32_e32 0, v2
	s_cbranch_execz .LBB17_19
; %bb.18:
	v_lshrrev_b32_e32 v3, 3, v0
	s_delay_alu instid0(VALU_DEP_1)
	v_and_b32_e32 v3, 28, v3
	s_waitcnt lgkmcnt(0)
	ds_store_b32 v3, v1
.LBB17_19:
	s_or_b32 exec_lo, exec_lo, s3
	s_delay_alu instid0(SALU_CYCLE_1)
	s_mov_b32 s3, exec_lo
	s_waitcnt lgkmcnt(0)
	s_barrier
	buffer_gl0_inv
	v_cmpx_gt_u32_e32 32, v0
	s_cbranch_execz .LBB17_21
; %bb.20:
	v_and_b32_e32 v1, 7, v2
	s_delay_alu instid0(VALU_DEP_1) | instskip(SKIP_4) | instid1(VALU_DEP_2)
	v_lshlrev_b32_e32 v3, 2, v1
	v_cmp_ne_u32_e32 vcc_lo, 7, v1
	ds_load_b32 v3, v3
	v_add_co_ci_u32_e32 v4, vcc_lo, 0, v2, vcc_lo
	v_cmp_gt_u32_e32 vcc_lo, 6, v1
	v_lshlrev_b32_e32 v4, 2, v4
	v_cndmask_b32_e64 v5, 0, 1, vcc_lo
	v_cmp_gt_u32_e32 vcc_lo, 4, v1
	s_delay_alu instid0(VALU_DEP_2) | instskip(SKIP_1) | instid1(VALU_DEP_2)
	v_lshlrev_b32_e32 v5, 1, v5
	v_cndmask_b32_e64 v1, 0, 1, vcc_lo
	v_add_lshl_u32 v5, v5, v2, 2
	s_delay_alu instid0(VALU_DEP_2)
	v_lshlrev_b32_e32 v1, 2, v1
	s_waitcnt lgkmcnt(0)
	ds_bpermute_b32 v4, v4, v3
	v_add_lshl_u32 v1, v1, v2, 2
	s_waitcnt lgkmcnt(0)
	v_add_nc_u32_e32 v3, v4, v3
	ds_bpermute_b32 v4, v5, v3
	s_waitcnt lgkmcnt(0)
	v_add_nc_u32_e32 v3, v4, v3
	ds_bpermute_b32 v1, v1, v3
	s_waitcnt lgkmcnt(0)
	v_add_nc_u32_e32 v1, v1, v3
.LBB17_21:
	s_or_b32 exec_lo, exec_lo, s3
	s_mov_b32 s3, 0
	s_branch .LBB17_95
.LBB17_22:
                                        ; implicit-def: $vgpr1
	s_branch .LBB17_142
.LBB17_23:
                                        ; implicit-def: $vgpr1
	s_cbranch_execz .LBB17_10
; %bb.24:
	s_sub_i32 s4, s18, s4
	s_mov_b32 s5, exec_lo
                                        ; implicit-def: $vgpr1
	v_cmpx_gt_u32_e64 s4, v0
	s_cbranch_execz .LBB17_26
; %bb.25:
	v_lshlrev_b32_e32 v1, 2, v0
	global_load_b32 v1, v1, s[2:3]
.LBB17_26:
	s_or_b32 exec_lo, exec_lo, s5
	v_or_b32_e32 v3, 0x100, v0
	v_mov_b32_e32 v2, 0
	s_delay_alu instid0(VALU_DEP_2)
	v_cmp_gt_u32_e32 vcc_lo, s4, v3
	v_mov_b32_e32 v3, 0
	s_and_saveexec_b32 s5, vcc_lo
	s_cbranch_execz .LBB17_28
; %bb.27:
	v_lshlrev_b32_e32 v3, 2, v0
	global_load_b32 v3, v3, s[2:3] offset:1024
.LBB17_28:
	s_or_b32 exec_lo, exec_lo, s5
	v_or_b32_e32 v4, 0x200, v0
	s_mov_b32 s5, exec_lo
	s_delay_alu instid0(VALU_DEP_1)
	v_cmpx_gt_u32_e64 s4, v4
	s_cbranch_execz .LBB17_30
; %bb.29:
	v_lshlrev_b32_e32 v2, 2, v0
	global_load_b32 v2, v2, s[2:3] offset:2048
.LBB17_30:
	s_or_b32 exec_lo, exec_lo, s5
	v_or_b32_e32 v5, 0x300, v0
	v_mov_b32_e32 v4, 0
	s_delay_alu instid0(VALU_DEP_2)
	v_cmp_gt_u32_e32 vcc_lo, s4, v5
	v_mov_b32_e32 v5, 0
	s_and_saveexec_b32 s5, vcc_lo
	s_cbranch_execz .LBB17_32
; %bb.31:
	v_lshlrev_b32_e32 v5, 2, v0
	global_load_b32 v5, v5, s[2:3] offset:3072
.LBB17_32:
	s_or_b32 exec_lo, exec_lo, s5
	v_or_b32_e32 v6, 0x400, v0
	s_mov_b32 s5, exec_lo
	s_delay_alu instid0(VALU_DEP_1)
	v_cmpx_gt_u32_e64 s4, v6
	s_cbranch_execz .LBB17_34
; %bb.33:
	v_lshlrev_b32_e32 v4, 2, v6
	global_load_b32 v4, v4, s[2:3]
.LBB17_34:
	s_or_b32 exec_lo, exec_lo, s5
	v_or_b32_e32 v8, 0x500, v0
	v_dual_mov_b32 v6, 0 :: v_dual_mov_b32 v7, 0
	s_mov_b32 s5, exec_lo
	s_delay_alu instid0(VALU_DEP_2)
	v_cmpx_gt_u32_e64 s4, v8
	s_cbranch_execz .LBB17_36
; %bb.35:
	v_lshlrev_b32_e32 v7, 2, v8
	global_load_b32 v7, v7, s[2:3]
.LBB17_36:
	s_or_b32 exec_lo, exec_lo, s5
	v_or_b32_e32 v8, 0x600, v0
	s_mov_b32 s5, exec_lo
	s_delay_alu instid0(VALU_DEP_1)
	v_cmpx_gt_u32_e64 s4, v8
	s_cbranch_execz .LBB17_38
; %bb.37:
	v_lshlrev_b32_e32 v6, 2, v8
	global_load_b32 v6, v6, s[2:3]
.LBB17_38:
	s_or_b32 exec_lo, exec_lo, s5
	v_or_b32_e32 v10, 0x700, v0
	v_dual_mov_b32 v8, 0 :: v_dual_mov_b32 v9, 0
	s_mov_b32 s5, exec_lo
	s_delay_alu instid0(VALU_DEP_2)
	v_cmpx_gt_u32_e64 s4, v10
	s_cbranch_execz .LBB17_40
; %bb.39:
	v_lshlrev_b32_e32 v9, 2, v10
	global_load_b32 v9, v9, s[2:3]
.LBB17_40:
	;; [unrolled: 21-line block ×13, first 2 shown]
	s_or_b32 exec_lo, exec_lo, s5
	v_or_b32_e32 v32, 0x1e00, v0
	s_mov_b32 s5, exec_lo
	s_delay_alu instid0(VALU_DEP_1)
	v_cmpx_gt_u32_e64 s4, v32
	s_cbranch_execz .LBB17_86
; %bb.85:
	v_lshlrev_b32_e32 v30, 2, v32
	global_load_b32 v30, v30, s[2:3]
.LBB17_86:
	s_or_b32 exec_lo, exec_lo, s5
	v_or_b32_e32 v33, 0x1f00, v0
	v_mov_b32_e32 v32, 0
	s_mov_b32 s5, exec_lo
	s_delay_alu instid0(VALU_DEP_2)
	v_cmpx_gt_u32_e64 s4, v33
	s_cbranch_execz .LBB17_88
; %bb.87:
	v_lshlrev_b32_e32 v32, 2, v33
	global_load_b32 v32, v32, s[2:3]
.LBB17_88:
	s_or_b32 exec_lo, exec_lo, s5
	s_waitcnt vmcnt(0)
	v_add_nc_u32_e32 v1, v3, v1
	s_min_u32 s2, s4, 0x100
	s_mov_b32 s3, exec_lo
	s_delay_alu instid0(VALU_DEP_1) | instskip(SKIP_1) | instid1(VALU_DEP_2)
	v_add3_u32 v1, v1, v2, v5
	v_mbcnt_lo_u32_b32 v2, -1, 0
	v_add3_u32 v1, v1, v4, v7
	s_delay_alu instid0(VALU_DEP_2) | instskip(NEXT) | instid1(VALU_DEP_2)
	v_cmp_ne_u32_e32 vcc_lo, 31, v2
	v_add3_u32 v1, v1, v6, v9
	v_add_co_ci_u32_e32 v3, vcc_lo, 0, v2, vcc_lo
	v_cmp_gt_u32_e32 vcc_lo, 30, v2
	v_add_nc_u32_e32 v6, 1, v2
	s_delay_alu instid0(VALU_DEP_4) | instskip(NEXT) | instid1(VALU_DEP_4)
	v_add3_u32 v1, v1, v8, v11
	v_lshlrev_b32_e32 v3, 2, v3
	v_cndmask_b32_e64 v5, 0, 1, vcc_lo
	s_delay_alu instid0(VALU_DEP_3) | instskip(NEXT) | instid1(VALU_DEP_2)
	v_add3_u32 v1, v1, v10, v13
	v_lshlrev_b32_e32 v5, 1, v5
	s_delay_alu instid0(VALU_DEP_2) | instskip(NEXT) | instid1(VALU_DEP_2)
	v_add3_u32 v1, v1, v12, v15
	v_add_lshl_u32 v5, v5, v2, 2
	s_delay_alu instid0(VALU_DEP_2) | instskip(NEXT) | instid1(VALU_DEP_1)
	v_add3_u32 v1, v1, v14, v17
	v_add3_u32 v1, v1, v16, v19
	s_delay_alu instid0(VALU_DEP_1) | instskip(NEXT) | instid1(VALU_DEP_1)
	v_add3_u32 v1, v1, v18, v21
	v_add3_u32 v1, v1, v20, v23
	s_delay_alu instid0(VALU_DEP_1) | instskip(NEXT) | instid1(VALU_DEP_1)
	;; [unrolled: 3-line block ×3, first 2 shown]
	v_add3_u32 v1, v1, v26, v29
	v_add3_u32 v1, v1, v28, v31
	s_delay_alu instid0(VALU_DEP_1) | instskip(SKIP_2) | instid1(VALU_DEP_1)
	v_add3_u32 v1, v1, v30, v32
	ds_bpermute_b32 v3, v3, v1
	v_and_b32_e32 v4, 0xe0, v0
	v_sub_nc_u32_e64 v4, s2, v4 clamp
	s_delay_alu instid0(VALU_DEP_1) | instskip(SKIP_3) | instid1(VALU_DEP_2)
	v_cmp_lt_u32_e32 vcc_lo, v6, v4
	s_waitcnt lgkmcnt(0)
	v_dual_cndmask_b32 v3, 0, v3 :: v_dual_add_nc_u32 v6, 2, v2
	v_cmp_gt_u32_e32 vcc_lo, 28, v2
	v_add_nc_u32_e32 v1, v3, v1
	ds_bpermute_b32 v3, v5, v1
	v_cndmask_b32_e64 v5, 0, 1, vcc_lo
	v_cmp_lt_u32_e32 vcc_lo, v6, v4
	v_add_nc_u32_e32 v6, 4, v2
	s_delay_alu instid0(VALU_DEP_3) | instskip(NEXT) | instid1(VALU_DEP_1)
	v_lshlrev_b32_e32 v5, 2, v5
	v_add_lshl_u32 v5, v5, v2, 2
	s_waitcnt lgkmcnt(0)
	v_cndmask_b32_e32 v3, 0, v3, vcc_lo
	v_cmp_gt_u32_e32 vcc_lo, 24, v2
	s_delay_alu instid0(VALU_DEP_2) | instskip(SKIP_4) | instid1(VALU_DEP_3)
	v_add_nc_u32_e32 v1, v1, v3
	ds_bpermute_b32 v3, v5, v1
	v_cndmask_b32_e64 v5, 0, 1, vcc_lo
	v_cmp_lt_u32_e32 vcc_lo, v6, v4
	v_add_nc_u32_e32 v6, 8, v2
	v_lshlrev_b32_e32 v5, 3, v5
	s_delay_alu instid0(VALU_DEP_1) | instskip(SKIP_3) | instid1(VALU_DEP_2)
	v_add_lshl_u32 v5, v5, v2, 2
	s_waitcnt lgkmcnt(0)
	v_cndmask_b32_e32 v3, 0, v3, vcc_lo
	v_cmp_gt_u32_e32 vcc_lo, 16, v2
	v_add_nc_u32_e32 v1, v1, v3
	ds_bpermute_b32 v3, v5, v1
	v_cndmask_b32_e64 v5, 0, 1, vcc_lo
	v_cmp_lt_u32_e32 vcc_lo, v6, v4
	s_delay_alu instid0(VALU_DEP_2) | instskip(NEXT) | instid1(VALU_DEP_1)
	v_lshlrev_b32_e32 v5, 4, v5
	v_add_lshl_u32 v5, v5, v2, 2
	s_waitcnt lgkmcnt(0)
	v_cndmask_b32_e32 v3, 0, v3, vcc_lo
	s_delay_alu instid0(VALU_DEP_1) | instskip(SKIP_2) | instid1(VALU_DEP_1)
	v_add_nc_u32_e32 v1, v1, v3
	ds_bpermute_b32 v3, v5, v1
	v_add_nc_u32_e32 v5, 16, v2
	v_cmp_lt_u32_e32 vcc_lo, v5, v4
	s_waitcnt lgkmcnt(0)
	v_cndmask_b32_e32 v3, 0, v3, vcc_lo
	s_delay_alu instid0(VALU_DEP_1)
	v_add_nc_u32_e32 v1, v1, v3
	v_cmpx_eq_u32_e32 0, v2
	s_cbranch_execz .LBB17_90
; %bb.89:
	v_lshrrev_b32_e32 v3, 3, v0
	s_delay_alu instid0(VALU_DEP_1)
	v_and_b32_e32 v3, 28, v3
	ds_store_b32 v3, v1 offset:192
.LBB17_90:
	s_or_b32 exec_lo, exec_lo, s3
	s_delay_alu instid0(SALU_CYCLE_1)
	s_mov_b32 s3, exec_lo
	s_waitcnt lgkmcnt(0)
	s_barrier
	buffer_gl0_inv
	v_cmpx_gt_u32_e32 8, v0
	s_cbranch_execz .LBB17_92
; %bb.91:
	v_and_b32_e32 v3, 7, v2
	s_add_i32 s2, s2, 31
	s_delay_alu instid0(SALU_CYCLE_1) | instskip(NEXT) | instid1(VALU_DEP_1)
	s_lshr_b32 s2, s2, 5
	v_cmp_ne_u32_e32 vcc_lo, 7, v3
	v_add_nc_u32_e32 v6, 1, v3
	v_add_co_ci_u32_e32 v4, vcc_lo, 0, v2, vcc_lo
	v_cmp_gt_u32_e32 vcc_lo, 6, v3
	s_delay_alu instid0(VALU_DEP_2) | instskip(SKIP_3) | instid1(VALU_DEP_3)
	v_lshlrev_b32_e32 v4, 2, v4
	v_cndmask_b32_e64 v5, 0, 1, vcc_lo
	v_cmp_gt_u32_e32 vcc_lo, s2, v6
	v_lshlrev_b32_e32 v1, 2, v2
	v_lshlrev_b32_e32 v5, 1, v5
	ds_load_b32 v1, v1 offset:192
	v_add_lshl_u32 v5, v5, v2, 2
	s_waitcnt lgkmcnt(0)
	ds_bpermute_b32 v4, v4, v1
	s_waitcnt lgkmcnt(0)
	v_cndmask_b32_e32 v4, 0, v4, vcc_lo
	v_cmp_gt_u32_e32 vcc_lo, 4, v3
	s_delay_alu instid0(VALU_DEP_2) | instskip(SKIP_3) | instid1(VALU_DEP_1)
	v_add_nc_u32_e32 v1, v4, v1
	v_cndmask_b32_e64 v6, 0, 1, vcc_lo
	ds_bpermute_b32 v4, v5, v1
	v_add_nc_u32_e32 v5, 2, v3
	v_cmp_gt_u32_e32 vcc_lo, s2, v5
	v_lshlrev_b32_e32 v5, 2, v6
	s_delay_alu instid0(VALU_DEP_1) | instskip(SKIP_2) | instid1(VALU_DEP_1)
	v_add_lshl_u32 v2, v5, v2, 2
	s_waitcnt lgkmcnt(0)
	v_dual_cndmask_b32 v4, 0, v4 :: v_dual_add_nc_u32 v3, 4, v3
	v_add_nc_u32_e32 v1, v1, v4
	s_delay_alu instid0(VALU_DEP_2) | instskip(SKIP_3) | instid1(VALU_DEP_1)
	v_cmp_gt_u32_e32 vcc_lo, s2, v3
	ds_bpermute_b32 v2, v2, v1
	s_waitcnt lgkmcnt(0)
	v_cndmask_b32_e32 v2, 0, v2, vcc_lo
	v_add_nc_u32_e32 v1, v1, v2
.LBB17_92:
	s_or_b32 exec_lo, exec_lo, s3
	v_cmp_eq_u32_e64 s2, 0, v0
	s_and_b32 vcc_lo, exec_lo, s6
	s_cbranch_vccnz .LBB17_15
.LBB17_93:
	s_branch .LBB17_142
.LBB17_94:
	s_mov_b32 s3, -1
                                        ; implicit-def: $vgpr1
.LBB17_95:
	s_delay_alu instid0(SALU_CYCLE_1)
	s_and_b32 vcc_lo, exec_lo, s3
	s_cbranch_vccz .LBB17_133
; %bb.96:
	s_sub_i32 s25, s18, s2
	s_mov_b32 s2, exec_lo
                                        ; implicit-def: $vgpr1_vgpr2_vgpr3_vgpr4_vgpr5_vgpr6_vgpr7_vgpr8_vgpr9_vgpr10_vgpr11_vgpr12_vgpr13_vgpr14_vgpr15_vgpr16
	v_cmpx_gt_u32_e64 s25, v0
	s_cbranch_execz .LBB17_98
; %bb.97:
	v_lshlrev_b32_e32 v1, 2, v0
	global_load_b32 v1, v1, s[22:23]
.LBB17_98:
	s_or_b32 exec_lo, exec_lo, s2
	v_or_b32_e32 v17, 0x100, v0
	s_delay_alu instid0(VALU_DEP_1)
	v_cmp_gt_u32_e32 vcc_lo, s25, v17
	s_and_saveexec_b32 s2, vcc_lo
	s_cbranch_execz .LBB17_100
; %bb.99:
	v_lshlrev_b32_e32 v2, 2, v0
	global_load_b32 v2, v2, s[22:23] offset:1024
.LBB17_100:
	s_or_b32 exec_lo, exec_lo, s2
	v_or_b32_e32 v17, 0x200, v0
	s_delay_alu instid0(VALU_DEP_1) | instskip(NEXT) | instid1(VALU_DEP_1)
	v_cmp_gt_u32_e64 s2, s25, v17
	s_and_saveexec_b32 s3, s2
	s_cbranch_execz .LBB17_102
; %bb.101:
	v_lshlrev_b32_e32 v3, 2, v0
	global_load_b32 v3, v3, s[22:23] offset:2048
.LBB17_102:
	s_or_b32 exec_lo, exec_lo, s3
	v_or_b32_e32 v17, 0x300, v0
	s_delay_alu instid0(VALU_DEP_1) | instskip(NEXT) | instid1(VALU_DEP_1)
	v_cmp_gt_u32_e64 s3, s25, v17
	s_and_saveexec_b32 s4, s3
	;; [unrolled: 10-line block ×3, first 2 shown]
	s_cbranch_execz .LBB17_106
; %bb.105:
	v_lshlrev_b32_e32 v5, 2, v17
	global_load_b32 v5, v5, s[22:23]
.LBB17_106:
	s_or_b32 exec_lo, exec_lo, s5
	v_or_b32_e32 v17, 0x500, v0
	s_delay_alu instid0(VALU_DEP_1) | instskip(NEXT) | instid1(VALU_DEP_1)
	v_cmp_gt_u32_e64 s5, s25, v17
	s_and_saveexec_b32 s6, s5
	s_cbranch_execz .LBB17_108
; %bb.107:
	v_lshlrev_b32_e32 v6, 2, v17
	global_load_b32 v6, v6, s[22:23]
.LBB17_108:
	s_or_b32 exec_lo, exec_lo, s6
	v_or_b32_e32 v17, 0x600, v0
	s_delay_alu instid0(VALU_DEP_1) | instskip(NEXT) | instid1(VALU_DEP_1)
	v_cmp_gt_u32_e64 s6, s25, v17
	s_and_saveexec_b32 s7, s6
	;; [unrolled: 10-line block ×11, first 2 shown]
	s_cbranch_execz .LBB17_128
; %bb.127:
	v_lshlrev_b32_e32 v16, 2, v17
	global_load_b32 v16, v16, s[22:23]
.LBB17_128:
	s_or_b32 exec_lo, exec_lo, s26
	s_waitcnt vmcnt(0)
	v_cndmask_b32_e32 v2, 0, v2, vcc_lo
	v_cndmask_b32_e64 v3, 0, v3, s2
	v_cndmask_b32_e64 v4, 0, v4, s3
	s_min_u32 s2, s25, 0x100
	s_mov_b32 s3, exec_lo
	v_add_nc_u32_e32 v1, v2, v1
	v_cndmask_b32_e64 v2, 0, v5, s4
	v_cndmask_b32_e64 v5, 0, v6, s5
	;; [unrolled: 1-line block ×3, first 2 shown]
	s_delay_alu instid0(VALU_DEP_4) | instskip(SKIP_3) | instid1(VALU_DEP_4)
	v_add3_u32 v1, v1, v3, v4
	v_cndmask_b32_e64 v3, 0, v7, s6
	v_cndmask_b32_e64 v4, 0, v8, s7
	;; [unrolled: 1-line block ×3, first 2 shown]
	v_add3_u32 v1, v1, v2, v5
	v_cndmask_b32_e64 v2, 0, v9, s8
	v_cndmask_b32_e64 v5, 0, v10, s9
	s_delay_alu instid0(VALU_DEP_3) | instskip(SKIP_2) | instid1(VALU_DEP_3)
	v_add3_u32 v1, v1, v3, v4
	v_cndmask_b32_e64 v3, 0, v11, s10
	v_cndmask_b32_e64 v4, 0, v12, s11
	v_add3_u32 v1, v1, v2, v5
	v_mbcnt_lo_u32_b32 v2, -1, 0
	v_cndmask_b32_e64 v5, 0, v13, s12
	s_delay_alu instid0(VALU_DEP_3) | instskip(NEXT) | instid1(VALU_DEP_3)
	v_add3_u32 v1, v1, v3, v4
	v_cmp_ne_u32_e32 vcc_lo, 31, v2
	v_cndmask_b32_e64 v3, 0, v16, s15
	s_delay_alu instid0(VALU_DEP_3) | instskip(SKIP_3) | instid1(VALU_DEP_4)
	v_add3_u32 v1, v1, v5, v6
	v_add_co_ci_u32_e32 v4, vcc_lo, 0, v2, vcc_lo
	v_cmp_gt_u32_e32 vcc_lo, 30, v2
	v_add_nc_u32_e32 v6, 1, v2
	v_add3_u32 v1, v1, v7, v3
	s_delay_alu instid0(VALU_DEP_4) | instskip(SKIP_4) | instid1(VALU_DEP_2)
	v_lshlrev_b32_e32 v4, 2, v4
	v_cndmask_b32_e64 v5, 0, 1, vcc_lo
	ds_bpermute_b32 v3, v4, v1
	v_and_b32_e32 v4, 0xe0, v0
	v_lshlrev_b32_e32 v5, 1, v5
	v_sub_nc_u32_e64 v4, s2, v4 clamp
	s_delay_alu instid0(VALU_DEP_2) | instskip(NEXT) | instid1(VALU_DEP_2)
	v_add_lshl_u32 v5, v5, v2, 2
	v_cmp_lt_u32_e32 vcc_lo, v6, v4
	s_waitcnt lgkmcnt(0)
	v_dual_cndmask_b32 v3, 0, v3 :: v_dual_add_nc_u32 v6, 2, v2
	v_cmp_gt_u32_e32 vcc_lo, 28, v2
	s_delay_alu instid0(VALU_DEP_2) | instskip(SKIP_4) | instid1(VALU_DEP_3)
	v_add_nc_u32_e32 v1, v1, v3
	ds_bpermute_b32 v3, v5, v1
	v_cndmask_b32_e64 v5, 0, 1, vcc_lo
	v_cmp_lt_u32_e32 vcc_lo, v6, v4
	v_add_nc_u32_e32 v6, 4, v2
	v_lshlrev_b32_e32 v5, 2, v5
	s_delay_alu instid0(VALU_DEP_1) | instskip(SKIP_3) | instid1(VALU_DEP_2)
	v_add_lshl_u32 v5, v5, v2, 2
	s_waitcnt lgkmcnt(0)
	v_cndmask_b32_e32 v3, 0, v3, vcc_lo
	v_cmp_gt_u32_e32 vcc_lo, 24, v2
	v_add_nc_u32_e32 v1, v1, v3
	ds_bpermute_b32 v3, v5, v1
	v_cndmask_b32_e64 v5, 0, 1, vcc_lo
	v_cmp_lt_u32_e32 vcc_lo, v6, v4
	v_add_nc_u32_e32 v6, 8, v2
	s_delay_alu instid0(VALU_DEP_3) | instskip(NEXT) | instid1(VALU_DEP_1)
	v_lshlrev_b32_e32 v5, 3, v5
	v_add_lshl_u32 v5, v5, v2, 2
	s_waitcnt lgkmcnt(0)
	v_cndmask_b32_e32 v3, 0, v3, vcc_lo
	v_cmp_gt_u32_e32 vcc_lo, 16, v2
	s_delay_alu instid0(VALU_DEP_2) | instskip(SKIP_3) | instid1(VALU_DEP_2)
	v_add_nc_u32_e32 v1, v1, v3
	ds_bpermute_b32 v3, v5, v1
	v_cndmask_b32_e64 v5, 0, 1, vcc_lo
	v_cmp_lt_u32_e32 vcc_lo, v6, v4
	v_lshlrev_b32_e32 v5, 4, v5
	s_delay_alu instid0(VALU_DEP_1) | instskip(SKIP_2) | instid1(VALU_DEP_1)
	v_add_lshl_u32 v5, v5, v2, 2
	s_waitcnt lgkmcnt(0)
	v_cndmask_b32_e32 v3, 0, v3, vcc_lo
	v_add_nc_u32_e32 v1, v1, v3
	ds_bpermute_b32 v3, v5, v1
	v_add_nc_u32_e32 v5, 16, v2
	s_delay_alu instid0(VALU_DEP_1) | instskip(SKIP_2) | instid1(VALU_DEP_1)
	v_cmp_lt_u32_e32 vcc_lo, v5, v4
	s_waitcnt lgkmcnt(0)
	v_cndmask_b32_e32 v3, 0, v3, vcc_lo
	v_add_nc_u32_e32 v1, v1, v3
	v_cmpx_eq_u32_e32 0, v2
	s_cbranch_execz .LBB17_130
; %bb.129:
	v_lshrrev_b32_e32 v3, 3, v0
	s_delay_alu instid0(VALU_DEP_1)
	v_and_b32_e32 v3, 28, v3
	ds_store_b32 v3, v1 offset:192
.LBB17_130:
	s_or_b32 exec_lo, exec_lo, s3
	s_delay_alu instid0(SALU_CYCLE_1)
	s_mov_b32 s3, exec_lo
	s_waitcnt lgkmcnt(0)
	s_barrier
	buffer_gl0_inv
	v_cmpx_gt_u32_e32 8, v0
	s_cbranch_execz .LBB17_132
; %bb.131:
	v_and_b32_e32 v3, 7, v2
	s_add_i32 s2, s2, 31
	s_delay_alu instid0(SALU_CYCLE_1) | instskip(NEXT) | instid1(VALU_DEP_1)
	s_lshr_b32 s2, s2, 5
	v_cmp_ne_u32_e32 vcc_lo, 7, v3
	v_add_nc_u32_e32 v6, 1, v3
	v_add_co_ci_u32_e32 v4, vcc_lo, 0, v2, vcc_lo
	v_cmp_gt_u32_e32 vcc_lo, 6, v3
	s_delay_alu instid0(VALU_DEP_2) | instskip(SKIP_3) | instid1(VALU_DEP_3)
	v_lshlrev_b32_e32 v4, 2, v4
	v_cndmask_b32_e64 v5, 0, 1, vcc_lo
	v_cmp_gt_u32_e32 vcc_lo, s2, v6
	v_lshlrev_b32_e32 v1, 2, v2
	v_lshlrev_b32_e32 v5, 1, v5
	ds_load_b32 v1, v1 offset:192
	v_add_lshl_u32 v5, v5, v2, 2
	s_waitcnt lgkmcnt(0)
	ds_bpermute_b32 v4, v4, v1
	s_waitcnt lgkmcnt(0)
	v_cndmask_b32_e32 v4, 0, v4, vcc_lo
	v_cmp_gt_u32_e32 vcc_lo, 4, v3
	s_delay_alu instid0(VALU_DEP_2) | instskip(SKIP_3) | instid1(VALU_DEP_1)
	v_add_nc_u32_e32 v1, v4, v1
	v_cndmask_b32_e64 v6, 0, 1, vcc_lo
	ds_bpermute_b32 v4, v5, v1
	v_add_nc_u32_e32 v5, 2, v3
	v_cmp_gt_u32_e32 vcc_lo, s2, v5
	v_lshlrev_b32_e32 v5, 2, v6
	s_delay_alu instid0(VALU_DEP_1) | instskip(SKIP_2) | instid1(VALU_DEP_1)
	v_add_lshl_u32 v2, v5, v2, 2
	s_waitcnt lgkmcnt(0)
	v_dual_cndmask_b32 v4, 0, v4 :: v_dual_add_nc_u32 v3, 4, v3
	v_add_nc_u32_e32 v1, v1, v4
	s_delay_alu instid0(VALU_DEP_2) | instskip(SKIP_3) | instid1(VALU_DEP_1)
	v_cmp_gt_u32_e32 vcc_lo, s2, v3
	ds_bpermute_b32 v2, v2, v1
	s_waitcnt lgkmcnt(0)
	v_cndmask_b32_e32 v2, 0, v2, vcc_lo
	v_add_nc_u32_e32 v1, v1, v2
.LBB17_132:
	s_or_b32 exec_lo, exec_lo, s3
.LBB17_133:
	v_cmp_eq_u32_e64 s2, 0, v0
	s_branch .LBB17_142
.LBB17_134:
	s_cmp_eq_u32 s24, 8
	s_cbranch_scc0 .LBB17_141
; %bb.135:
	s_mov_b32 s21, 0
	s_lshl_b32 s2, s20, 11
	s_mov_b32 s3, s21
	s_lshr_b64 s[6:7], s[18:19], 11
	s_lshl_b64 s[4:5], s[2:3], 2
	s_delay_alu instid0(SALU_CYCLE_1)
	s_add_u32 s8, s16, s4
	s_addc_u32 s9, s17, s5
	s_cmp_lg_u64 s[6:7], s[20:21]
	s_cbranch_scc0 .LBB17_143
; %bb.136:
	v_lshlrev_b32_e32 v3, 2, v0
	s_clause 0x1
	global_load_b32 v4, v3, s[8:9]
	global_load_b32 v5, v3, s[8:9] offset:1024
	v_add_co_u32 v1, s3, s8, v3
	s_delay_alu instid0(VALU_DEP_1) | instskip(SKIP_1) | instid1(VALU_DEP_2)
	v_add_co_ci_u32_e64 v2, null, s9, 0, s3
	s_mov_b32 s3, exec_lo
	v_add_co_u32 v1, vcc_lo, 0x1000, v1
	s_delay_alu instid0(VALU_DEP_2)
	v_add_co_ci_u32_e32 v2, vcc_lo, 0, v2, vcc_lo
	s_clause 0x5
	global_load_b32 v6, v3, s[8:9] offset:2048
	global_load_b32 v3, v3, s[8:9] offset:3072
	global_load_b32 v7, v[1:2], off
	global_load_b32 v8, v[1:2], off offset:1024
	global_load_b32 v9, v[1:2], off offset:2048
	;; [unrolled: 1-line block ×3, first 2 shown]
	s_waitcnt vmcnt(6)
	v_add_nc_u32_e32 v2, v5, v4
	s_waitcnt vmcnt(4)
	s_delay_alu instid0(VALU_DEP_1) | instskip(SKIP_2) | instid1(VALU_DEP_2)
	v_add3_u32 v2, v2, v6, v3
	v_mov_b32_e32 v3, 0
	s_waitcnt vmcnt(2)
	v_add3_u32 v2, v2, v7, v8
	s_waitcnt vmcnt(0)
	s_delay_alu instid0(VALU_DEP_1) | instskip(NEXT) | instid1(VALU_DEP_1)
	v_add3_u32 v1, v2, v9, v1
	v_mov_b32_dpp v2, v1 quad_perm:[1,0,3,2] row_mask:0xf bank_mask:0xf
	s_delay_alu instid0(VALU_DEP_1) | instskip(NEXT) | instid1(VALU_DEP_1)
	v_add_nc_u32_e32 v1, v2, v1
	v_mov_b32_dpp v2, v1 quad_perm:[2,3,0,1] row_mask:0xf bank_mask:0xf
	s_delay_alu instid0(VALU_DEP_1) | instskip(NEXT) | instid1(VALU_DEP_1)
	v_add_nc_u32_e32 v1, v1, v2
	v_mov_b32_dpp v2, v1 row_ror:4 row_mask:0xf bank_mask:0xf
	s_delay_alu instid0(VALU_DEP_1) | instskip(NEXT) | instid1(VALU_DEP_1)
	v_add_nc_u32_e32 v1, v1, v2
	v_mov_b32_dpp v2, v1 row_ror:8 row_mask:0xf bank_mask:0xf
	s_delay_alu instid0(VALU_DEP_1)
	v_add_nc_u32_e32 v1, v1, v2
	ds_swizzle_b32 v2, v1 offset:swizzle(BROADCAST,32,15)
	s_waitcnt lgkmcnt(0)
	v_add_nc_u32_e32 v1, v1, v2
	v_mbcnt_lo_u32_b32 v2, -1, 0
	ds_bpermute_b32 v1, v3, v1 offset:124
	v_cmpx_eq_u32_e32 0, v2
	s_cbranch_execz .LBB17_138
; %bb.137:
	v_lshrrev_b32_e32 v3, 3, v0
	s_delay_alu instid0(VALU_DEP_1)
	v_and_b32_e32 v3, 28, v3
	s_waitcnt lgkmcnt(0)
	ds_store_b32 v3, v1 offset:160
.LBB17_138:
	s_or_b32 exec_lo, exec_lo, s3
	s_delay_alu instid0(SALU_CYCLE_1)
	s_mov_b32 s3, exec_lo
	s_waitcnt lgkmcnt(0)
	s_barrier
	buffer_gl0_inv
	v_cmpx_gt_u32_e32 32, v0
	s_cbranch_execz .LBB17_140
; %bb.139:
	v_and_b32_e32 v1, 7, v2
	s_delay_alu instid0(VALU_DEP_1) | instskip(SKIP_4) | instid1(VALU_DEP_2)
	v_lshlrev_b32_e32 v3, 2, v1
	v_cmp_ne_u32_e32 vcc_lo, 7, v1
	ds_load_b32 v3, v3 offset:160
	v_add_co_ci_u32_e32 v4, vcc_lo, 0, v2, vcc_lo
	v_cmp_gt_u32_e32 vcc_lo, 6, v1
	v_lshlrev_b32_e32 v4, 2, v4
	v_cndmask_b32_e64 v5, 0, 1, vcc_lo
	v_cmp_gt_u32_e32 vcc_lo, 4, v1
	s_delay_alu instid0(VALU_DEP_2) | instskip(SKIP_1) | instid1(VALU_DEP_2)
	v_lshlrev_b32_e32 v5, 1, v5
	v_cndmask_b32_e64 v1, 0, 1, vcc_lo
	v_add_lshl_u32 v5, v5, v2, 2
	s_delay_alu instid0(VALU_DEP_2)
	v_lshlrev_b32_e32 v1, 2, v1
	s_waitcnt lgkmcnt(0)
	ds_bpermute_b32 v4, v4, v3
	v_add_lshl_u32 v1, v1, v2, 2
	s_waitcnt lgkmcnt(0)
	v_add_nc_u32_e32 v3, v4, v3
	ds_bpermute_b32 v4, v5, v3
	s_waitcnt lgkmcnt(0)
	v_add_nc_u32_e32 v3, v4, v3
	ds_bpermute_b32 v1, v1, v3
	s_waitcnt lgkmcnt(0)
	v_add_nc_u32_e32 v1, v1, v3
.LBB17_140:
	s_or_b32 exec_lo, exec_lo, s3
	s_branch .LBB17_165
.LBB17_141:
                                        ; implicit-def: $vgpr1
.LBB17_142:
	s_branch .LBB17_224
.LBB17_143:
                                        ; implicit-def: $vgpr1
	s_cbranch_execz .LBB17_165
; %bb.144:
	s_sub_i32 s10, s18, s2
	s_mov_b32 s2, exec_lo
                                        ; implicit-def: $vgpr1_vgpr2_vgpr3_vgpr4_vgpr5_vgpr6_vgpr7_vgpr8
	v_cmpx_gt_u32_e64 s10, v0
	s_cbranch_execz .LBB17_146
; %bb.145:
	v_lshlrev_b32_e32 v1, 2, v0
	global_load_b32 v1, v1, s[8:9]
.LBB17_146:
	s_or_b32 exec_lo, exec_lo, s2
	v_or_b32_e32 v9, 0x100, v0
	s_delay_alu instid0(VALU_DEP_1)
	v_cmp_gt_u32_e32 vcc_lo, s10, v9
	s_and_saveexec_b32 s2, vcc_lo
	s_cbranch_execz .LBB17_148
; %bb.147:
	v_lshlrev_b32_e32 v2, 2, v0
	global_load_b32 v2, v2, s[8:9] offset:1024
.LBB17_148:
	s_or_b32 exec_lo, exec_lo, s2
	v_or_b32_e32 v9, 0x200, v0
	s_delay_alu instid0(VALU_DEP_1) | instskip(NEXT) | instid1(VALU_DEP_1)
	v_cmp_gt_u32_e64 s2, s10, v9
	s_and_saveexec_b32 s3, s2
	s_cbranch_execz .LBB17_150
; %bb.149:
	v_lshlrev_b32_e32 v3, 2, v0
	global_load_b32 v3, v3, s[8:9] offset:2048
.LBB17_150:
	s_or_b32 exec_lo, exec_lo, s3
	v_or_b32_e32 v9, 0x300, v0
	s_delay_alu instid0(VALU_DEP_1) | instskip(NEXT) | instid1(VALU_DEP_1)
	v_cmp_gt_u32_e64 s3, s10, v9
	s_and_saveexec_b32 s4, s3
	;; [unrolled: 10-line block ×3, first 2 shown]
	s_cbranch_execz .LBB17_154
; %bb.153:
	v_lshlrev_b32_e32 v5, 2, v9
	global_load_b32 v5, v5, s[8:9]
.LBB17_154:
	s_or_b32 exec_lo, exec_lo, s5
	v_or_b32_e32 v9, 0x500, v0
	s_delay_alu instid0(VALU_DEP_1) | instskip(NEXT) | instid1(VALU_DEP_1)
	v_cmp_gt_u32_e64 s5, s10, v9
	s_and_saveexec_b32 s6, s5
	s_cbranch_execz .LBB17_156
; %bb.155:
	v_lshlrev_b32_e32 v6, 2, v9
	global_load_b32 v6, v6, s[8:9]
.LBB17_156:
	s_or_b32 exec_lo, exec_lo, s6
	v_or_b32_e32 v9, 0x600, v0
	s_delay_alu instid0(VALU_DEP_1) | instskip(NEXT) | instid1(VALU_DEP_1)
	v_cmp_gt_u32_e64 s6, s10, v9
	s_and_saveexec_b32 s7, s6
	;; [unrolled: 10-line block ×3, first 2 shown]
	s_cbranch_execz .LBB17_160
; %bb.159:
	v_lshlrev_b32_e32 v8, 2, v9
	global_load_b32 v8, v8, s[8:9]
.LBB17_160:
	s_or_b32 exec_lo, exec_lo, s11
	s_waitcnt vmcnt(0)
	v_cndmask_b32_e32 v2, 0, v2, vcc_lo
	v_cndmask_b32_e64 v3, 0, v3, s2
	v_cndmask_b32_e64 v4, 0, v4, s3
	;; [unrolled: 1-line block ×4, first 2 shown]
	v_add_nc_u32_e32 v1, v2, v1
	v_mbcnt_lo_u32_b32 v2, -1, 0
	v_cndmask_b32_e64 v7, 0, v7, s6
	s_min_u32 s2, s10, 0x100
	s_mov_b32 s3, exec_lo
	v_add3_u32 v1, v1, v3, v4
	v_cmp_ne_u32_e32 vcc_lo, 31, v2
	v_cndmask_b32_e64 v3, 0, v8, s7
	s_delay_alu instid0(VALU_DEP_3) | instskip(SKIP_3) | instid1(VALU_DEP_4)
	v_add3_u32 v1, v1, v5, v6
	v_add_co_ci_u32_e32 v4, vcc_lo, 0, v2, vcc_lo
	v_cmp_gt_u32_e32 vcc_lo, 30, v2
	v_add_nc_u32_e32 v6, 1, v2
	v_add3_u32 v1, v1, v7, v3
	s_delay_alu instid0(VALU_DEP_4) | instskip(SKIP_4) | instid1(VALU_DEP_2)
	v_lshlrev_b32_e32 v4, 2, v4
	v_cndmask_b32_e64 v5, 0, 1, vcc_lo
	ds_bpermute_b32 v3, v4, v1
	v_and_b32_e32 v4, 0xe0, v0
	v_lshlrev_b32_e32 v5, 1, v5
	v_sub_nc_u32_e64 v4, s2, v4 clamp
	s_delay_alu instid0(VALU_DEP_2) | instskip(NEXT) | instid1(VALU_DEP_2)
	v_add_lshl_u32 v5, v5, v2, 2
	v_cmp_lt_u32_e32 vcc_lo, v6, v4
	s_waitcnt lgkmcnt(0)
	v_dual_cndmask_b32 v3, 0, v3 :: v_dual_add_nc_u32 v6, 2, v2
	v_cmp_gt_u32_e32 vcc_lo, 28, v2
	s_delay_alu instid0(VALU_DEP_2) | instskip(SKIP_4) | instid1(VALU_DEP_3)
	v_add_nc_u32_e32 v1, v1, v3
	ds_bpermute_b32 v3, v5, v1
	v_cndmask_b32_e64 v5, 0, 1, vcc_lo
	v_cmp_lt_u32_e32 vcc_lo, v6, v4
	v_add_nc_u32_e32 v6, 4, v2
	v_lshlrev_b32_e32 v5, 2, v5
	s_delay_alu instid0(VALU_DEP_1) | instskip(SKIP_3) | instid1(VALU_DEP_2)
	v_add_lshl_u32 v5, v5, v2, 2
	s_waitcnt lgkmcnt(0)
	v_cndmask_b32_e32 v3, 0, v3, vcc_lo
	v_cmp_gt_u32_e32 vcc_lo, 24, v2
	v_add_nc_u32_e32 v1, v1, v3
	ds_bpermute_b32 v3, v5, v1
	v_cndmask_b32_e64 v5, 0, 1, vcc_lo
	v_cmp_lt_u32_e32 vcc_lo, v6, v4
	v_add_nc_u32_e32 v6, 8, v2
	s_delay_alu instid0(VALU_DEP_3) | instskip(NEXT) | instid1(VALU_DEP_1)
	v_lshlrev_b32_e32 v5, 3, v5
	v_add_lshl_u32 v5, v5, v2, 2
	s_waitcnt lgkmcnt(0)
	v_cndmask_b32_e32 v3, 0, v3, vcc_lo
	v_cmp_gt_u32_e32 vcc_lo, 16, v2
	s_delay_alu instid0(VALU_DEP_2) | instskip(SKIP_3) | instid1(VALU_DEP_2)
	v_add_nc_u32_e32 v1, v1, v3
	ds_bpermute_b32 v3, v5, v1
	v_cndmask_b32_e64 v5, 0, 1, vcc_lo
	v_cmp_lt_u32_e32 vcc_lo, v6, v4
	v_lshlrev_b32_e32 v5, 4, v5
	s_delay_alu instid0(VALU_DEP_1) | instskip(SKIP_2) | instid1(VALU_DEP_1)
	v_add_lshl_u32 v5, v5, v2, 2
	s_waitcnt lgkmcnt(0)
	v_cndmask_b32_e32 v3, 0, v3, vcc_lo
	v_add_nc_u32_e32 v1, v1, v3
	ds_bpermute_b32 v3, v5, v1
	v_add_nc_u32_e32 v5, 16, v2
	s_delay_alu instid0(VALU_DEP_1) | instskip(SKIP_2) | instid1(VALU_DEP_1)
	v_cmp_lt_u32_e32 vcc_lo, v5, v4
	s_waitcnt lgkmcnt(0)
	v_cndmask_b32_e32 v3, 0, v3, vcc_lo
	v_add_nc_u32_e32 v1, v1, v3
	v_cmpx_eq_u32_e32 0, v2
	s_cbranch_execz .LBB17_162
; %bb.161:
	v_lshrrev_b32_e32 v3, 3, v0
	s_delay_alu instid0(VALU_DEP_1)
	v_and_b32_e32 v3, 28, v3
	ds_store_b32 v3, v1 offset:192
.LBB17_162:
	s_or_b32 exec_lo, exec_lo, s3
	s_delay_alu instid0(SALU_CYCLE_1)
	s_mov_b32 s3, exec_lo
	s_waitcnt lgkmcnt(0)
	s_barrier
	buffer_gl0_inv
	v_cmpx_gt_u32_e32 8, v0
	s_cbranch_execz .LBB17_164
; %bb.163:
	v_and_b32_e32 v3, 7, v2
	s_add_i32 s2, s2, 31
	s_delay_alu instid0(SALU_CYCLE_1) | instskip(NEXT) | instid1(VALU_DEP_1)
	s_lshr_b32 s2, s2, 5
	v_cmp_ne_u32_e32 vcc_lo, 7, v3
	v_add_nc_u32_e32 v6, 1, v3
	v_add_co_ci_u32_e32 v4, vcc_lo, 0, v2, vcc_lo
	v_cmp_gt_u32_e32 vcc_lo, 6, v3
	s_delay_alu instid0(VALU_DEP_2) | instskip(SKIP_3) | instid1(VALU_DEP_3)
	v_lshlrev_b32_e32 v4, 2, v4
	v_cndmask_b32_e64 v5, 0, 1, vcc_lo
	v_cmp_gt_u32_e32 vcc_lo, s2, v6
	v_lshlrev_b32_e32 v1, 2, v2
	v_lshlrev_b32_e32 v5, 1, v5
	ds_load_b32 v1, v1 offset:192
	v_add_lshl_u32 v5, v5, v2, 2
	s_waitcnt lgkmcnt(0)
	ds_bpermute_b32 v4, v4, v1
	s_waitcnt lgkmcnt(0)
	v_cndmask_b32_e32 v4, 0, v4, vcc_lo
	v_cmp_gt_u32_e32 vcc_lo, 4, v3
	s_delay_alu instid0(VALU_DEP_2) | instskip(SKIP_3) | instid1(VALU_DEP_1)
	v_add_nc_u32_e32 v1, v4, v1
	v_cndmask_b32_e64 v6, 0, 1, vcc_lo
	ds_bpermute_b32 v4, v5, v1
	v_add_nc_u32_e32 v5, 2, v3
	v_cmp_gt_u32_e32 vcc_lo, s2, v5
	v_lshlrev_b32_e32 v5, 2, v6
	s_delay_alu instid0(VALU_DEP_1) | instskip(SKIP_2) | instid1(VALU_DEP_1)
	v_add_lshl_u32 v2, v5, v2, 2
	s_waitcnt lgkmcnt(0)
	v_dual_cndmask_b32 v4, 0, v4 :: v_dual_add_nc_u32 v3, 4, v3
	v_add_nc_u32_e32 v1, v1, v4
	s_delay_alu instid0(VALU_DEP_2) | instskip(SKIP_3) | instid1(VALU_DEP_1)
	v_cmp_gt_u32_e32 vcc_lo, s2, v3
	ds_bpermute_b32 v2, v2, v1
	s_waitcnt lgkmcnt(0)
	v_cndmask_b32_e32 v2, 0, v2, vcc_lo
	v_add_nc_u32_e32 v1, v1, v2
.LBB17_164:
	s_or_b32 exec_lo, exec_lo, s3
.LBB17_165:
	v_cmp_eq_u32_e64 s2, 0, v0
	s_branch .LBB17_224
.LBB17_166:
	s_cmp_gt_i32 s24, 1
	s_cbranch_scc0 .LBB17_175
; %bb.167:
	s_cmp_gt_i32 s24, 3
	s_cbranch_scc0 .LBB17_176
; %bb.168:
	s_cmp_eq_u32 s24, 4
	s_cbranch_scc0 .LBB17_177
; %bb.169:
	s_mov_b32 s21, 0
	s_lshl_b32 s2, s20, 10
	s_mov_b32 s3, s21
	s_lshr_b64 s[6:7], s[18:19], 10
	s_lshl_b64 s[4:5], s[2:3], 2
	s_delay_alu instid0(SALU_CYCLE_1)
	s_add_u32 s4, s16, s4
	s_addc_u32 s5, s17, s5
	s_cmp_lg_u64 s[6:7], s[20:21]
	s_cbranch_scc0 .LBB17_179
; %bb.170:
	v_lshlrev_b32_e32 v1, 2, v0
	s_mov_b32 s3, exec_lo
	s_clause 0x3
	global_load_b32 v2, v1, s[4:5]
	global_load_b32 v3, v1, s[4:5] offset:1024
	global_load_b32 v4, v1, s[4:5] offset:2048
	;; [unrolled: 1-line block ×3, first 2 shown]
	s_waitcnt vmcnt(2)
	v_add_nc_u32_e32 v2, v3, v2
	s_waitcnt vmcnt(0)
	s_delay_alu instid0(VALU_DEP_1) | instskip(NEXT) | instid1(VALU_DEP_1)
	v_add3_u32 v1, v2, v4, v1
	v_mov_b32_dpp v2, v1 quad_perm:[1,0,3,2] row_mask:0xf bank_mask:0xf
	s_delay_alu instid0(VALU_DEP_1) | instskip(NEXT) | instid1(VALU_DEP_1)
	v_add_nc_u32_e32 v1, v2, v1
	v_mov_b32_dpp v2, v1 quad_perm:[2,3,0,1] row_mask:0xf bank_mask:0xf
	s_delay_alu instid0(VALU_DEP_1) | instskip(NEXT) | instid1(VALU_DEP_1)
	v_add_nc_u32_e32 v1, v1, v2
	v_mov_b32_dpp v2, v1 row_ror:4 row_mask:0xf bank_mask:0xf
	s_delay_alu instid0(VALU_DEP_1) | instskip(NEXT) | instid1(VALU_DEP_1)
	v_add_nc_u32_e32 v1, v1, v2
	v_mov_b32_dpp v2, v1 row_ror:8 row_mask:0xf bank_mask:0xf
	s_delay_alu instid0(VALU_DEP_1)
	v_add_nc_u32_e32 v1, v1, v2
	ds_swizzle_b32 v2, v1 offset:swizzle(BROADCAST,32,15)
	s_waitcnt lgkmcnt(0)
	v_dual_mov_b32 v2, 0 :: v_dual_add_nc_u32 v1, v1, v2
	ds_bpermute_b32 v1, v2, v1 offset:124
	v_mbcnt_lo_u32_b32 v2, -1, 0
	s_delay_alu instid0(VALU_DEP_1)
	v_cmpx_eq_u32_e32 0, v2
	s_cbranch_execz .LBB17_172
; %bb.171:
	v_lshrrev_b32_e32 v3, 3, v0
	s_delay_alu instid0(VALU_DEP_1)
	v_and_b32_e32 v3, 28, v3
	s_waitcnt lgkmcnt(0)
	ds_store_b32 v3, v1 offset:128
.LBB17_172:
	s_or_b32 exec_lo, exec_lo, s3
	s_delay_alu instid0(SALU_CYCLE_1)
	s_mov_b32 s3, exec_lo
	s_waitcnt lgkmcnt(0)
	s_barrier
	buffer_gl0_inv
	v_cmpx_gt_u32_e32 32, v0
	s_cbranch_execz .LBB17_174
; %bb.173:
	v_and_b32_e32 v1, 7, v2
	s_delay_alu instid0(VALU_DEP_1) | instskip(SKIP_4) | instid1(VALU_DEP_2)
	v_lshlrev_b32_e32 v3, 2, v1
	v_cmp_ne_u32_e32 vcc_lo, 7, v1
	ds_load_b32 v3, v3 offset:128
	v_add_co_ci_u32_e32 v4, vcc_lo, 0, v2, vcc_lo
	v_cmp_gt_u32_e32 vcc_lo, 6, v1
	v_lshlrev_b32_e32 v4, 2, v4
	v_cndmask_b32_e64 v5, 0, 1, vcc_lo
	v_cmp_gt_u32_e32 vcc_lo, 4, v1
	s_delay_alu instid0(VALU_DEP_2) | instskip(SKIP_1) | instid1(VALU_DEP_2)
	v_lshlrev_b32_e32 v5, 1, v5
	v_cndmask_b32_e64 v1, 0, 1, vcc_lo
	v_add_lshl_u32 v5, v5, v2, 2
	s_delay_alu instid0(VALU_DEP_2)
	v_lshlrev_b32_e32 v1, 2, v1
	s_waitcnt lgkmcnt(0)
	ds_bpermute_b32 v4, v4, v3
	v_add_lshl_u32 v1, v1, v2, 2
	s_waitcnt lgkmcnt(0)
	v_add_nc_u32_e32 v3, v4, v3
	ds_bpermute_b32 v4, v5, v3
	s_waitcnt lgkmcnt(0)
	v_add_nc_u32_e32 v3, v4, v3
	ds_bpermute_b32 v1, v1, v3
	s_waitcnt lgkmcnt(0)
	v_add_nc_u32_e32 v1, v1, v3
.LBB17_174:
	s_or_b32 exec_lo, exec_lo, s3
	s_mov_b32 s3, 0
	s_branch .LBB17_180
.LBB17_175:
                                        ; implicit-def: $vgpr1
	s_cbranch_execnz .LBB17_215
	s_branch .LBB17_224
.LBB17_176:
                                        ; implicit-def: $vgpr1
	s_cbranch_execz .LBB17_178
	s_branch .LBB17_195
.LBB17_177:
                                        ; implicit-def: $vgpr1
.LBB17_178:
	s_branch .LBB17_224
.LBB17_179:
	s_mov_b32 s3, -1
                                        ; implicit-def: $vgpr1
.LBB17_180:
	s_delay_alu instid0(SALU_CYCLE_1)
	s_and_b32 vcc_lo, exec_lo, s3
	s_cbranch_vccz .LBB17_194
; %bb.181:
	s_sub_i32 s6, s18, s2
	s_mov_b32 s2, exec_lo
                                        ; implicit-def: $vgpr1_vgpr2_vgpr3_vgpr4
	v_cmpx_gt_u32_e64 s6, v0
	s_cbranch_execz .LBB17_183
; %bb.182:
	v_lshlrev_b32_e32 v1, 2, v0
	global_load_b32 v1, v1, s[4:5]
.LBB17_183:
	s_or_b32 exec_lo, exec_lo, s2
	v_or_b32_e32 v5, 0x100, v0
	s_delay_alu instid0(VALU_DEP_1)
	v_cmp_gt_u32_e32 vcc_lo, s6, v5
	s_and_saveexec_b32 s2, vcc_lo
	s_cbranch_execz .LBB17_185
; %bb.184:
	v_lshlrev_b32_e32 v2, 2, v0
	global_load_b32 v2, v2, s[4:5] offset:1024
.LBB17_185:
	s_or_b32 exec_lo, exec_lo, s2
	v_or_b32_e32 v5, 0x200, v0
	s_delay_alu instid0(VALU_DEP_1) | instskip(NEXT) | instid1(VALU_DEP_1)
	v_cmp_gt_u32_e64 s2, s6, v5
	s_and_saveexec_b32 s3, s2
	s_cbranch_execz .LBB17_187
; %bb.186:
	v_lshlrev_b32_e32 v3, 2, v0
	global_load_b32 v3, v3, s[4:5] offset:2048
.LBB17_187:
	s_or_b32 exec_lo, exec_lo, s3
	v_or_b32_e32 v5, 0x300, v0
	s_delay_alu instid0(VALU_DEP_1) | instskip(NEXT) | instid1(VALU_DEP_1)
	v_cmp_gt_u32_e64 s3, s6, v5
	s_and_saveexec_b32 s7, s3
	s_cbranch_execz .LBB17_189
; %bb.188:
	v_lshlrev_b32_e32 v4, 2, v0
	global_load_b32 v4, v4, s[4:5] offset:3072
.LBB17_189:
	s_or_b32 exec_lo, exec_lo, s7
	s_waitcnt vmcnt(0)
	v_cndmask_b32_e32 v5, 0, v2, vcc_lo
	v_mbcnt_lo_u32_b32 v2, -1, 0
	v_cndmask_b32_e64 v3, 0, v3, s2
	v_cndmask_b32_e64 v4, 0, v4, s3
	s_min_u32 s2, s6, 0x100
	v_add_nc_u32_e32 v1, v5, v1
	v_cmp_ne_u32_e32 vcc_lo, 31, v2
	s_mov_b32 s3, exec_lo
	s_delay_alu instid0(VALU_DEP_2) | instskip(SKIP_3) | instid1(VALU_DEP_3)
	v_add3_u32 v1, v1, v3, v4
	v_and_b32_e32 v4, 0xe0, v0
	v_add_co_ci_u32_e32 v5, vcc_lo, 0, v2, vcc_lo
	v_cmp_gt_u32_e32 vcc_lo, 30, v2
	v_sub_nc_u32_e64 v4, s2, v4 clamp
	s_delay_alu instid0(VALU_DEP_3) | instskip(SKIP_4) | instid1(VALU_DEP_2)
	v_lshlrev_b32_e32 v3, 2, v5
	v_cndmask_b32_e64 v5, 0, 1, vcc_lo
	ds_bpermute_b32 v3, v3, v1
	v_add_nc_u32_e32 v6, 1, v2
	v_lshlrev_b32_e32 v5, 1, v5
	v_cmp_lt_u32_e32 vcc_lo, v6, v4
	s_delay_alu instid0(VALU_DEP_2) | instskip(SKIP_3) | instid1(VALU_DEP_2)
	v_add_lshl_u32 v5, v5, v2, 2
	s_waitcnt lgkmcnt(0)
	v_cndmask_b32_e32 v3, 0, v3, vcc_lo
	v_cmp_gt_u32_e32 vcc_lo, 28, v2
	v_add_nc_u32_e32 v1, v3, v1
	ds_bpermute_b32 v3, v5, v1
	v_add_nc_u32_e32 v6, 2, v2
	v_cndmask_b32_e64 v5, 0, 1, vcc_lo
	s_delay_alu instid0(VALU_DEP_2) | instskip(NEXT) | instid1(VALU_DEP_2)
	v_cmp_lt_u32_e32 vcc_lo, v6, v4
	v_lshlrev_b32_e32 v5, 2, v5
	s_delay_alu instid0(VALU_DEP_1) | instskip(SKIP_3) | instid1(VALU_DEP_2)
	v_add_lshl_u32 v5, v5, v2, 2
	s_waitcnt lgkmcnt(0)
	v_cndmask_b32_e32 v3, 0, v3, vcc_lo
	v_cmp_gt_u32_e32 vcc_lo, 24, v2
	v_add_nc_u32_e32 v1, v1, v3
	ds_bpermute_b32 v3, v5, v1
	v_add_nc_u32_e32 v6, 4, v2
	v_cndmask_b32_e64 v5, 0, 1, vcc_lo
	s_delay_alu instid0(VALU_DEP_2) | instskip(NEXT) | instid1(VALU_DEP_2)
	v_cmp_lt_u32_e32 vcc_lo, v6, v4
	v_lshlrev_b32_e32 v5, 3, v5
	s_delay_alu instid0(VALU_DEP_1) | instskip(SKIP_3) | instid1(VALU_DEP_2)
	v_add_lshl_u32 v5, v5, v2, 2
	s_waitcnt lgkmcnt(0)
	v_cndmask_b32_e32 v3, 0, v3, vcc_lo
	v_cmp_gt_u32_e32 vcc_lo, 16, v2
	v_add_nc_u32_e32 v1, v1, v3
	ds_bpermute_b32 v3, v5, v1
	v_add_nc_u32_e32 v6, 8, v2
	v_cndmask_b32_e64 v5, 0, 1, vcc_lo
	s_delay_alu instid0(VALU_DEP_2) | instskip(NEXT) | instid1(VALU_DEP_2)
	v_cmp_lt_u32_e32 vcc_lo, v6, v4
	v_lshlrev_b32_e32 v5, 4, v5
	s_delay_alu instid0(VALU_DEP_1) | instskip(SKIP_2) | instid1(VALU_DEP_1)
	v_add_lshl_u32 v5, v5, v2, 2
	s_waitcnt lgkmcnt(0)
	v_cndmask_b32_e32 v3, 0, v3, vcc_lo
	v_add_nc_u32_e32 v1, v1, v3
	ds_bpermute_b32 v3, v5, v1
	v_add_nc_u32_e32 v5, 16, v2
	s_delay_alu instid0(VALU_DEP_1) | instskip(SKIP_2) | instid1(VALU_DEP_1)
	v_cmp_lt_u32_e32 vcc_lo, v5, v4
	s_waitcnt lgkmcnt(0)
	v_cndmask_b32_e32 v3, 0, v3, vcc_lo
	v_add_nc_u32_e32 v1, v1, v3
	v_cmpx_eq_u32_e32 0, v2
	s_cbranch_execz .LBB17_191
; %bb.190:
	v_lshrrev_b32_e32 v3, 3, v0
	s_delay_alu instid0(VALU_DEP_1)
	v_and_b32_e32 v3, 28, v3
	ds_store_b32 v3, v1 offset:192
.LBB17_191:
	s_or_b32 exec_lo, exec_lo, s3
	s_delay_alu instid0(SALU_CYCLE_1)
	s_mov_b32 s3, exec_lo
	s_waitcnt lgkmcnt(0)
	s_barrier
	buffer_gl0_inv
	v_cmpx_gt_u32_e32 8, v0
	s_cbranch_execz .LBB17_193
; %bb.192:
	v_and_b32_e32 v3, 7, v2
	s_add_i32 s2, s2, 31
	s_delay_alu instid0(SALU_CYCLE_1) | instskip(NEXT) | instid1(VALU_DEP_1)
	s_lshr_b32 s2, s2, 5
	v_cmp_ne_u32_e32 vcc_lo, 7, v3
	v_add_nc_u32_e32 v6, 1, v3
	v_add_co_ci_u32_e32 v4, vcc_lo, 0, v2, vcc_lo
	v_cmp_gt_u32_e32 vcc_lo, 6, v3
	s_delay_alu instid0(VALU_DEP_2) | instskip(SKIP_3) | instid1(VALU_DEP_3)
	v_lshlrev_b32_e32 v4, 2, v4
	v_cndmask_b32_e64 v5, 0, 1, vcc_lo
	v_cmp_gt_u32_e32 vcc_lo, s2, v6
	v_lshlrev_b32_e32 v1, 2, v2
	v_lshlrev_b32_e32 v5, 1, v5
	ds_load_b32 v1, v1 offset:192
	v_add_lshl_u32 v5, v5, v2, 2
	s_waitcnt lgkmcnt(0)
	ds_bpermute_b32 v4, v4, v1
	s_waitcnt lgkmcnt(0)
	v_cndmask_b32_e32 v4, 0, v4, vcc_lo
	v_cmp_gt_u32_e32 vcc_lo, 4, v3
	s_delay_alu instid0(VALU_DEP_2) | instskip(SKIP_3) | instid1(VALU_DEP_1)
	v_add_nc_u32_e32 v1, v4, v1
	v_cndmask_b32_e64 v6, 0, 1, vcc_lo
	ds_bpermute_b32 v4, v5, v1
	v_add_nc_u32_e32 v5, 2, v3
	v_cmp_gt_u32_e32 vcc_lo, s2, v5
	v_lshlrev_b32_e32 v5, 2, v6
	s_delay_alu instid0(VALU_DEP_1) | instskip(SKIP_2) | instid1(VALU_DEP_1)
	v_add_lshl_u32 v2, v5, v2, 2
	s_waitcnt lgkmcnt(0)
	v_dual_cndmask_b32 v4, 0, v4 :: v_dual_add_nc_u32 v3, 4, v3
	v_add_nc_u32_e32 v1, v1, v4
	s_delay_alu instid0(VALU_DEP_2) | instskip(SKIP_3) | instid1(VALU_DEP_1)
	v_cmp_gt_u32_e32 vcc_lo, s2, v3
	ds_bpermute_b32 v2, v2, v1
	s_waitcnt lgkmcnt(0)
	v_cndmask_b32_e32 v2, 0, v2, vcc_lo
	v_add_nc_u32_e32 v1, v1, v2
.LBB17_193:
	s_or_b32 exec_lo, exec_lo, s3
.LBB17_194:
	v_cmp_eq_u32_e64 s2, 0, v0
	s_branch .LBB17_178
.LBB17_195:
	s_cmp_eq_u32 s24, 2
	s_cbranch_scc0 .LBB17_202
; %bb.196:
	s_mov_b32 s21, 0
	s_lshl_b32 s4, s20, 9
	s_mov_b32 s5, s21
	s_lshr_b64 s[6:7], s[18:19], 9
	s_lshl_b64 s[2:3], s[4:5], 2
	s_delay_alu instid0(SALU_CYCLE_1)
	s_add_u32 s2, s16, s2
	s_addc_u32 s3, s17, s3
	s_cmp_lg_u64 s[6:7], s[20:21]
	s_cbranch_scc0 .LBB17_203
; %bb.197:
	v_lshlrev_b32_e32 v1, 2, v0
	s_mov_b32 s5, exec_lo
	s_clause 0x1
	global_load_b32 v2, v1, s[2:3]
	global_load_b32 v1, v1, s[2:3] offset:1024
	s_waitcnt vmcnt(0)
	v_add_nc_u32_e32 v1, v1, v2
	s_delay_alu instid0(VALU_DEP_1) | instskip(NEXT) | instid1(VALU_DEP_1)
	v_mov_b32_dpp v2, v1 quad_perm:[1,0,3,2] row_mask:0xf bank_mask:0xf
	v_add_nc_u32_e32 v1, v2, v1
	s_delay_alu instid0(VALU_DEP_1) | instskip(NEXT) | instid1(VALU_DEP_1)
	v_mov_b32_dpp v2, v1 quad_perm:[2,3,0,1] row_mask:0xf bank_mask:0xf
	v_add_nc_u32_e32 v1, v1, v2
	s_delay_alu instid0(VALU_DEP_1) | instskip(NEXT) | instid1(VALU_DEP_1)
	v_mov_b32_dpp v2, v1 row_ror:4 row_mask:0xf bank_mask:0xf
	v_add_nc_u32_e32 v1, v1, v2
	s_delay_alu instid0(VALU_DEP_1) | instskip(NEXT) | instid1(VALU_DEP_1)
	v_mov_b32_dpp v2, v1 row_ror:8 row_mask:0xf bank_mask:0xf
	v_add_nc_u32_e32 v1, v1, v2
	ds_swizzle_b32 v2, v1 offset:swizzle(BROADCAST,32,15)
	s_waitcnt lgkmcnt(0)
	v_dual_mov_b32 v2, 0 :: v_dual_add_nc_u32 v1, v1, v2
	ds_bpermute_b32 v1, v2, v1 offset:124
	v_mbcnt_lo_u32_b32 v2, -1, 0
	s_delay_alu instid0(VALU_DEP_1)
	v_cmpx_eq_u32_e32 0, v2
	s_cbranch_execz .LBB17_199
; %bb.198:
	v_lshrrev_b32_e32 v3, 3, v0
	s_delay_alu instid0(VALU_DEP_1)
	v_and_b32_e32 v3, 28, v3
	s_waitcnt lgkmcnt(0)
	ds_store_b32 v3, v1 offset:64
.LBB17_199:
	s_or_b32 exec_lo, exec_lo, s5
	s_delay_alu instid0(SALU_CYCLE_1)
	s_mov_b32 s5, exec_lo
	s_waitcnt lgkmcnt(0)
	s_barrier
	buffer_gl0_inv
	v_cmpx_gt_u32_e32 32, v0
	s_cbranch_execz .LBB17_201
; %bb.200:
	v_and_b32_e32 v1, 7, v2
	s_delay_alu instid0(VALU_DEP_1) | instskip(SKIP_4) | instid1(VALU_DEP_2)
	v_lshlrev_b32_e32 v3, 2, v1
	v_cmp_ne_u32_e32 vcc_lo, 7, v1
	ds_load_b32 v3, v3 offset:64
	v_add_co_ci_u32_e32 v4, vcc_lo, 0, v2, vcc_lo
	v_cmp_gt_u32_e32 vcc_lo, 6, v1
	v_lshlrev_b32_e32 v4, 2, v4
	v_cndmask_b32_e64 v5, 0, 1, vcc_lo
	v_cmp_gt_u32_e32 vcc_lo, 4, v1
	s_delay_alu instid0(VALU_DEP_2) | instskip(SKIP_1) | instid1(VALU_DEP_2)
	v_lshlrev_b32_e32 v5, 1, v5
	v_cndmask_b32_e64 v1, 0, 1, vcc_lo
	v_add_lshl_u32 v5, v5, v2, 2
	s_delay_alu instid0(VALU_DEP_2)
	v_lshlrev_b32_e32 v1, 2, v1
	s_waitcnt lgkmcnt(0)
	ds_bpermute_b32 v4, v4, v3
	v_add_lshl_u32 v1, v1, v2, 2
	s_waitcnt lgkmcnt(0)
	v_add_nc_u32_e32 v3, v4, v3
	ds_bpermute_b32 v4, v5, v3
	s_waitcnt lgkmcnt(0)
	v_add_nc_u32_e32 v3, v4, v3
	ds_bpermute_b32 v1, v1, v3
	s_waitcnt lgkmcnt(0)
	v_add_nc_u32_e32 v1, v1, v3
.LBB17_201:
	s_or_b32 exec_lo, exec_lo, s5
	s_mov_b32 s5, 0
	s_branch .LBB17_204
.LBB17_202:
                                        ; implicit-def: $vgpr1
	s_branch .LBB17_224
.LBB17_203:
	s_mov_b32 s5, -1
                                        ; implicit-def: $vgpr1
.LBB17_204:
	s_delay_alu instid0(SALU_CYCLE_1)
	s_and_b32 vcc_lo, exec_lo, s5
	s_cbranch_vccz .LBB17_214
; %bb.205:
	s_sub_i32 s4, s18, s4
	s_mov_b32 s5, exec_lo
                                        ; implicit-def: $vgpr1_vgpr2
	v_cmpx_gt_u32_e64 s4, v0
	s_cbranch_execz .LBB17_207
; %bb.206:
	v_lshlrev_b32_e32 v1, 2, v0
	global_load_b32 v1, v1, s[2:3]
.LBB17_207:
	s_or_b32 exec_lo, exec_lo, s5
	v_or_b32_e32 v3, 0x100, v0
	s_delay_alu instid0(VALU_DEP_1)
	v_cmp_gt_u32_e32 vcc_lo, s4, v3
	s_and_saveexec_b32 s5, vcc_lo
	s_cbranch_execz .LBB17_209
; %bb.208:
	v_lshlrev_b32_e32 v2, 2, v0
	global_load_b32 v2, v2, s[2:3] offset:1024
.LBB17_209:
	s_or_b32 exec_lo, exec_lo, s5
	v_mbcnt_lo_u32_b32 v3, -1, 0
	s_waitcnt vmcnt(0)
	v_cndmask_b32_e32 v2, 0, v2, vcc_lo
	s_min_u32 s2, s4, 0x100
	s_mov_b32 s3, exec_lo
	v_cmp_ne_u32_e32 vcc_lo, 31, v3
	v_add_nc_u32_e32 v6, 1, v3
	v_add_co_ci_u32_e32 v4, vcc_lo, 0, v3, vcc_lo
	v_cmp_gt_u32_e32 vcc_lo, 30, v3
	v_cndmask_b32_e64 v5, 0, 1, vcc_lo
	s_delay_alu instid0(VALU_DEP_1) | instskip(SKIP_3) | instid1(VALU_DEP_4)
	v_lshlrev_b32_e32 v5, 1, v5
	v_add_nc_u32_e32 v1, v2, v1
	v_lshlrev_b32_e32 v2, 2, v4
	v_and_b32_e32 v4, 0xe0, v0
	v_add_lshl_u32 v5, v5, v3, 2
	ds_bpermute_b32 v2, v2, v1
	v_sub_nc_u32_e64 v4, s2, v4 clamp
	s_delay_alu instid0(VALU_DEP_1) | instskip(SKIP_4) | instid1(VALU_DEP_2)
	v_cmp_lt_u32_e32 vcc_lo, v6, v4
	v_add_nc_u32_e32 v6, 2, v3
	s_waitcnt lgkmcnt(0)
	v_cndmask_b32_e32 v2, 0, v2, vcc_lo
	v_cmp_gt_u32_e32 vcc_lo, 28, v3
	v_add_nc_u32_e32 v1, v2, v1
	ds_bpermute_b32 v2, v5, v1
	v_cndmask_b32_e64 v5, 0, 1, vcc_lo
	v_cmp_lt_u32_e32 vcc_lo, v6, v4
	v_add_nc_u32_e32 v6, 4, v3
	s_delay_alu instid0(VALU_DEP_3) | instskip(NEXT) | instid1(VALU_DEP_1)
	v_lshlrev_b32_e32 v5, 2, v5
	v_add_lshl_u32 v5, v5, v3, 2
	s_waitcnt lgkmcnt(0)
	v_cndmask_b32_e32 v2, 0, v2, vcc_lo
	v_cmp_gt_u32_e32 vcc_lo, 24, v3
	s_delay_alu instid0(VALU_DEP_2) | instskip(SKIP_4) | instid1(VALU_DEP_3)
	v_add_nc_u32_e32 v1, v1, v2
	ds_bpermute_b32 v2, v5, v1
	v_cndmask_b32_e64 v5, 0, 1, vcc_lo
	v_cmp_lt_u32_e32 vcc_lo, v6, v4
	v_add_nc_u32_e32 v6, 8, v3
	v_lshlrev_b32_e32 v5, 3, v5
	s_delay_alu instid0(VALU_DEP_1) | instskip(SKIP_3) | instid1(VALU_DEP_2)
	v_add_lshl_u32 v5, v5, v3, 2
	s_waitcnt lgkmcnt(0)
	v_cndmask_b32_e32 v2, 0, v2, vcc_lo
	v_cmp_gt_u32_e32 vcc_lo, 16, v3
	v_add_nc_u32_e32 v1, v1, v2
	ds_bpermute_b32 v2, v5, v1
	v_cndmask_b32_e64 v5, 0, 1, vcc_lo
	v_cmp_lt_u32_e32 vcc_lo, v6, v4
	s_delay_alu instid0(VALU_DEP_2) | instskip(NEXT) | instid1(VALU_DEP_1)
	v_lshlrev_b32_e32 v5, 4, v5
	v_add_lshl_u32 v5, v5, v3, 2
	s_waitcnt lgkmcnt(0)
	v_cndmask_b32_e32 v2, 0, v2, vcc_lo
	s_delay_alu instid0(VALU_DEP_1) | instskip(SKIP_2) | instid1(VALU_DEP_1)
	v_add_nc_u32_e32 v1, v1, v2
	ds_bpermute_b32 v2, v5, v1
	v_add_nc_u32_e32 v5, 16, v3
	v_cmp_lt_u32_e32 vcc_lo, v5, v4
	s_waitcnt lgkmcnt(0)
	v_cndmask_b32_e32 v2, 0, v2, vcc_lo
	s_delay_alu instid0(VALU_DEP_1)
	v_add_nc_u32_e32 v1, v1, v2
	v_cmpx_eq_u32_e32 0, v3
	s_cbranch_execz .LBB17_211
; %bb.210:
	v_lshrrev_b32_e32 v2, 3, v0
	s_delay_alu instid0(VALU_DEP_1)
	v_and_b32_e32 v2, 28, v2
	ds_store_b32 v2, v1 offset:192
.LBB17_211:
	s_or_b32 exec_lo, exec_lo, s3
	s_delay_alu instid0(SALU_CYCLE_1)
	s_mov_b32 s3, exec_lo
	s_waitcnt lgkmcnt(0)
	s_barrier
	buffer_gl0_inv
	v_cmpx_gt_u32_e32 8, v0
	s_cbranch_execz .LBB17_213
; %bb.212:
	v_and_b32_e32 v2, 7, v3
	s_add_i32 s2, s2, 31
	s_delay_alu instid0(SALU_CYCLE_1) | instskip(NEXT) | instid1(VALU_DEP_1)
	s_lshr_b32 s2, s2, 5
	v_cmp_ne_u32_e32 vcc_lo, 7, v2
	v_add_nc_u32_e32 v6, 1, v2
	v_add_co_ci_u32_e32 v4, vcc_lo, 0, v3, vcc_lo
	v_cmp_gt_u32_e32 vcc_lo, 6, v2
	s_delay_alu instid0(VALU_DEP_2) | instskip(SKIP_3) | instid1(VALU_DEP_3)
	v_lshlrev_b32_e32 v4, 2, v4
	v_cndmask_b32_e64 v5, 0, 1, vcc_lo
	v_cmp_gt_u32_e32 vcc_lo, s2, v6
	v_lshlrev_b32_e32 v1, 2, v3
	v_lshlrev_b32_e32 v5, 1, v5
	ds_load_b32 v1, v1 offset:192
	v_add_lshl_u32 v5, v5, v3, 2
	s_waitcnt lgkmcnt(0)
	ds_bpermute_b32 v4, v4, v1
	s_waitcnt lgkmcnt(0)
	v_cndmask_b32_e32 v4, 0, v4, vcc_lo
	v_cmp_gt_u32_e32 vcc_lo, 4, v2
	s_delay_alu instid0(VALU_DEP_2) | instskip(SKIP_4) | instid1(VALU_DEP_2)
	v_add_nc_u32_e32 v1, v4, v1
	v_cndmask_b32_e64 v6, 0, 1, vcc_lo
	ds_bpermute_b32 v4, v5, v1
	v_add_nc_u32_e32 v5, 2, v2
	v_add_nc_u32_e32 v2, 4, v2
	v_cmp_gt_u32_e32 vcc_lo, s2, v5
	v_lshlrev_b32_e32 v5, 2, v6
	s_delay_alu instid0(VALU_DEP_1) | instskip(SKIP_3) | instid1(VALU_DEP_2)
	v_add_lshl_u32 v3, v5, v3, 2
	s_waitcnt lgkmcnt(0)
	v_cndmask_b32_e32 v4, 0, v4, vcc_lo
	v_cmp_gt_u32_e32 vcc_lo, s2, v2
	v_add_nc_u32_e32 v1, v1, v4
	ds_bpermute_b32 v3, v3, v1
	s_waitcnt lgkmcnt(0)
	v_cndmask_b32_e32 v2, 0, v3, vcc_lo
	s_delay_alu instid0(VALU_DEP_1)
	v_add_nc_u32_e32 v1, v1, v2
.LBB17_213:
	s_or_b32 exec_lo, exec_lo, s3
.LBB17_214:
	v_cmp_eq_u32_e64 s2, 0, v0
	s_branch .LBB17_224
.LBB17_215:
	s_cmp_eq_u32 s24, 1
	s_cbranch_scc0 .LBB17_223
; %bb.216:
	s_mov_b32 s3, 0
	v_mbcnt_lo_u32_b32 v2, -1, 0
	s_lshr_b64 s[4:5], s[18:19], 8
	s_mov_b32 s21, s3
	s_lshl_b32 s2, s20, 8
	s_cmp_lg_u64 s[4:5], s[20:21]
	s_cbranch_scc0 .LBB17_227
; %bb.217:
	s_lshl_b64 s[4:5], s[2:3], 2
	v_lshlrev_b32_e32 v1, 2, v0
	s_add_u32 s4, s16, s4
	s_addc_u32 s5, s17, s5
	global_load_b32 v1, v1, s[4:5]
	s_mov_b32 s4, exec_lo
	s_waitcnt vmcnt(0)
	v_mov_b32_dpp v3, v1 quad_perm:[1,0,3,2] row_mask:0xf bank_mask:0xf
	s_delay_alu instid0(VALU_DEP_1) | instskip(NEXT) | instid1(VALU_DEP_1)
	v_add_nc_u32_e32 v1, v3, v1
	v_mov_b32_dpp v3, v1 quad_perm:[2,3,0,1] row_mask:0xf bank_mask:0xf
	s_delay_alu instid0(VALU_DEP_1) | instskip(NEXT) | instid1(VALU_DEP_1)
	v_add_nc_u32_e32 v1, v1, v3
	v_mov_b32_dpp v3, v1 row_ror:4 row_mask:0xf bank_mask:0xf
	s_delay_alu instid0(VALU_DEP_1) | instskip(NEXT) | instid1(VALU_DEP_1)
	v_add_nc_u32_e32 v1, v1, v3
	v_mov_b32_dpp v3, v1 row_ror:8 row_mask:0xf bank_mask:0xf
	s_delay_alu instid0(VALU_DEP_1)
	v_add_nc_u32_e32 v1, v1, v3
	ds_swizzle_b32 v3, v1 offset:swizzle(BROADCAST,32,15)
	s_waitcnt lgkmcnt(0)
	v_add_nc_u32_e32 v1, v1, v3
	v_mov_b32_e32 v3, 0
	ds_bpermute_b32 v1, v3, v1 offset:124
	v_cmpx_eq_u32_e32 0, v2
	s_cbranch_execz .LBB17_219
; %bb.218:
	v_lshrrev_b32_e32 v3, 3, v0
	s_delay_alu instid0(VALU_DEP_1)
	v_and_b32_e32 v3, 28, v3
	s_waitcnt lgkmcnt(0)
	ds_store_b32 v3, v1 offset:32
.LBB17_219:
	s_or_b32 exec_lo, exec_lo, s4
	s_delay_alu instid0(SALU_CYCLE_1)
	s_mov_b32 s4, exec_lo
	s_waitcnt lgkmcnt(0)
	s_barrier
	buffer_gl0_inv
	v_cmpx_gt_u32_e32 32, v0
	s_cbranch_execz .LBB17_221
; %bb.220:
	v_and_b32_e32 v1, 7, v2
	s_delay_alu instid0(VALU_DEP_1) | instskip(SKIP_4) | instid1(VALU_DEP_2)
	v_lshlrev_b32_e32 v3, 2, v1
	v_cmp_ne_u32_e32 vcc_lo, 7, v1
	ds_load_b32 v3, v3 offset:32
	v_add_co_ci_u32_e32 v4, vcc_lo, 0, v2, vcc_lo
	v_cmp_gt_u32_e32 vcc_lo, 6, v1
	v_lshlrev_b32_e32 v4, 2, v4
	v_cndmask_b32_e64 v5, 0, 1, vcc_lo
	v_cmp_gt_u32_e32 vcc_lo, 4, v1
	s_delay_alu instid0(VALU_DEP_2) | instskip(SKIP_1) | instid1(VALU_DEP_2)
	v_lshlrev_b32_e32 v5, 1, v5
	v_cndmask_b32_e64 v1, 0, 1, vcc_lo
	v_add_lshl_u32 v5, v5, v2, 2
	s_delay_alu instid0(VALU_DEP_2)
	v_lshlrev_b32_e32 v1, 2, v1
	s_waitcnt lgkmcnt(0)
	ds_bpermute_b32 v4, v4, v3
	v_add_lshl_u32 v1, v1, v2, 2
	s_waitcnt lgkmcnt(0)
	v_add_nc_u32_e32 v3, v4, v3
	ds_bpermute_b32 v4, v5, v3
	s_waitcnt lgkmcnt(0)
	v_add_nc_u32_e32 v3, v4, v3
	ds_bpermute_b32 v1, v1, v3
	s_waitcnt lgkmcnt(0)
	v_add_nc_u32_e32 v1, v1, v3
.LBB17_221:
	s_or_b32 exec_lo, exec_lo, s4
.LBB17_222:
	v_cmp_eq_u32_e64 s2, 0, v0
	s_delay_alu instid0(VALU_DEP_1)
	s_and_saveexec_b32 s3, s2
	s_cbranch_execnz .LBB17_225
	s_branch .LBB17_226
.LBB17_223:
                                        ; implicit-def: $vgpr1
                                        ; implicit-def: $sgpr20_sgpr21
.LBB17_224:
	s_delay_alu instid0(VALU_DEP_1)
	s_and_saveexec_b32 s3, s2
	s_cbranch_execz .LBB17_226
.LBB17_225:
	s_clause 0x1
	s_load_b64 s[2:3], s[0:1], 0x18
	s_load_b32 s4, s[0:1], 0x20
	s_lshl_b64 s[0:1], s[20:21], 2
	s_waitcnt lgkmcnt(0)
	s_add_u32 s0, s2, s0
	s_addc_u32 s1, s3, s1
	s_cmp_lg_u64 s[18:19], 0
	s_cselect_b32 vcc_lo, -1, 0
	v_dual_cndmask_b32 v0, 0, v1 :: v_dual_mov_b32 v1, 0
	s_delay_alu instid0(VALU_DEP_1)
	v_add_nc_u32_e32 v0, s4, v0
	global_store_b32 v1, v0, s[0:1]
.LBB17_226:
	s_nop 0
	s_sendmsg sendmsg(MSG_DEALLOC_VGPRS)
	s_endpgm
.LBB17_227:
                                        ; implicit-def: $vgpr1
	s_cbranch_execz .LBB17_222
; %bb.228:
	s_sub_i32 s4, s18, s2
	s_mov_b32 s5, exec_lo
                                        ; implicit-def: $vgpr1
	v_cmpx_gt_u32_e64 s4, v0
	s_cbranch_execz .LBB17_230
; %bb.229:
	s_lshl_b64 s[2:3], s[2:3], 2
	v_lshlrev_b32_e32 v1, 2, v0
	s_add_u32 s2, s16, s2
	s_addc_u32 s3, s17, s3
	global_load_b32 v1, v1, s[2:3]
.LBB17_230:
	s_or_b32 exec_lo, exec_lo, s5
	v_cmp_ne_u32_e32 vcc_lo, 31, v2
	s_min_u32 s2, s4, 0x100
	v_add_nc_u32_e32 v5, 1, v2
	s_mov_b32 s3, exec_lo
	v_add_co_ci_u32_e32 v3, vcc_lo, 0, v2, vcc_lo
	v_cmp_gt_u32_e32 vcc_lo, 30, v2
	s_delay_alu instid0(VALU_DEP_2)
	v_lshlrev_b32_e32 v3, 2, v3
	v_cndmask_b32_e64 v6, 0, 1, vcc_lo
	s_waitcnt vmcnt(0)
	ds_bpermute_b32 v3, v3, v1
	v_and_b32_e32 v4, 0xe0, v0
	v_lshlrev_b32_e32 v6, 1, v6
	s_delay_alu instid0(VALU_DEP_2) | instskip(NEXT) | instid1(VALU_DEP_1)
	v_sub_nc_u32_e64 v4, s2, v4 clamp
	v_cmp_lt_u32_e32 vcc_lo, v5, v4
	s_delay_alu instid0(VALU_DEP_3) | instskip(SKIP_3) | instid1(VALU_DEP_2)
	v_add_lshl_u32 v5, v6, v2, 2
	s_waitcnt lgkmcnt(0)
	v_dual_cndmask_b32 v3, 0, v3 :: v_dual_add_nc_u32 v6, 2, v2
	v_cmp_gt_u32_e32 vcc_lo, 28, v2
	v_add_nc_u32_e32 v1, v3, v1
	ds_bpermute_b32 v3, v5, v1
	v_cndmask_b32_e64 v5, 0, 1, vcc_lo
	v_cmp_lt_u32_e32 vcc_lo, v6, v4
	v_add_nc_u32_e32 v6, 4, v2
	s_delay_alu instid0(VALU_DEP_3) | instskip(NEXT) | instid1(VALU_DEP_1)
	v_lshlrev_b32_e32 v5, 2, v5
	v_add_lshl_u32 v5, v5, v2, 2
	s_waitcnt lgkmcnt(0)
	v_cndmask_b32_e32 v3, 0, v3, vcc_lo
	v_cmp_gt_u32_e32 vcc_lo, 24, v2
	s_delay_alu instid0(VALU_DEP_2) | instskip(SKIP_4) | instid1(VALU_DEP_3)
	v_add_nc_u32_e32 v1, v1, v3
	ds_bpermute_b32 v3, v5, v1
	v_cndmask_b32_e64 v5, 0, 1, vcc_lo
	v_cmp_lt_u32_e32 vcc_lo, v6, v4
	v_add_nc_u32_e32 v6, 8, v2
	v_lshlrev_b32_e32 v5, 3, v5
	s_delay_alu instid0(VALU_DEP_1) | instskip(SKIP_3) | instid1(VALU_DEP_2)
	v_add_lshl_u32 v5, v5, v2, 2
	s_waitcnt lgkmcnt(0)
	v_cndmask_b32_e32 v3, 0, v3, vcc_lo
	v_cmp_gt_u32_e32 vcc_lo, 16, v2
	v_add_nc_u32_e32 v1, v1, v3
	ds_bpermute_b32 v3, v5, v1
	v_cndmask_b32_e64 v5, 0, 1, vcc_lo
	v_cmp_lt_u32_e32 vcc_lo, v6, v4
	s_delay_alu instid0(VALU_DEP_2) | instskip(NEXT) | instid1(VALU_DEP_1)
	v_lshlrev_b32_e32 v5, 4, v5
	v_add_lshl_u32 v5, v5, v2, 2
	s_waitcnt lgkmcnt(0)
	v_cndmask_b32_e32 v3, 0, v3, vcc_lo
	s_delay_alu instid0(VALU_DEP_1) | instskip(SKIP_2) | instid1(VALU_DEP_1)
	v_add_nc_u32_e32 v1, v1, v3
	ds_bpermute_b32 v3, v5, v1
	v_add_nc_u32_e32 v5, 16, v2
	v_cmp_lt_u32_e32 vcc_lo, v5, v4
	s_waitcnt lgkmcnt(0)
	v_cndmask_b32_e32 v3, 0, v3, vcc_lo
	s_delay_alu instid0(VALU_DEP_1)
	v_add_nc_u32_e32 v1, v1, v3
	v_cmpx_eq_u32_e32 0, v2
	s_cbranch_execz .LBB17_232
; %bb.231:
	v_lshrrev_b32_e32 v3, 3, v0
	s_delay_alu instid0(VALU_DEP_1)
	v_and_b32_e32 v3, 28, v3
	ds_store_b32 v3, v1 offset:192
.LBB17_232:
	s_or_b32 exec_lo, exec_lo, s3
	s_delay_alu instid0(SALU_CYCLE_1)
	s_mov_b32 s3, exec_lo
	s_waitcnt lgkmcnt(0)
	s_barrier
	buffer_gl0_inv
	v_cmpx_gt_u32_e32 8, v0
	s_cbranch_execz .LBB17_234
; %bb.233:
	v_and_b32_e32 v3, 7, v2
	s_add_i32 s2, s2, 31
	s_delay_alu instid0(SALU_CYCLE_1) | instskip(NEXT) | instid1(VALU_DEP_1)
	s_lshr_b32 s2, s2, 5
	v_cmp_ne_u32_e32 vcc_lo, 7, v3
	v_add_nc_u32_e32 v6, 1, v3
	v_add_co_ci_u32_e32 v4, vcc_lo, 0, v2, vcc_lo
	v_cmp_gt_u32_e32 vcc_lo, 6, v3
	s_delay_alu instid0(VALU_DEP_2) | instskip(SKIP_3) | instid1(VALU_DEP_3)
	v_lshlrev_b32_e32 v4, 2, v4
	v_cndmask_b32_e64 v5, 0, 1, vcc_lo
	v_cmp_gt_u32_e32 vcc_lo, s2, v6
	v_lshlrev_b32_e32 v1, 2, v2
	v_lshlrev_b32_e32 v5, 1, v5
	ds_load_b32 v1, v1 offset:192
	v_add_lshl_u32 v5, v5, v2, 2
	s_waitcnt lgkmcnt(0)
	ds_bpermute_b32 v4, v4, v1
	s_waitcnt lgkmcnt(0)
	v_cndmask_b32_e32 v4, 0, v4, vcc_lo
	v_cmp_gt_u32_e32 vcc_lo, 4, v3
	s_delay_alu instid0(VALU_DEP_2) | instskip(SKIP_3) | instid1(VALU_DEP_1)
	v_add_nc_u32_e32 v1, v4, v1
	v_cndmask_b32_e64 v6, 0, 1, vcc_lo
	ds_bpermute_b32 v4, v5, v1
	v_add_nc_u32_e32 v5, 2, v3
	v_cmp_gt_u32_e32 vcc_lo, s2, v5
	v_lshlrev_b32_e32 v5, 2, v6
	s_delay_alu instid0(VALU_DEP_1) | instskip(SKIP_2) | instid1(VALU_DEP_1)
	v_add_lshl_u32 v2, v5, v2, 2
	s_waitcnt lgkmcnt(0)
	v_dual_cndmask_b32 v4, 0, v4 :: v_dual_add_nc_u32 v3, 4, v3
	v_add_nc_u32_e32 v1, v1, v4
	s_delay_alu instid0(VALU_DEP_2) | instskip(SKIP_3) | instid1(VALU_DEP_1)
	v_cmp_gt_u32_e32 vcc_lo, s2, v3
	ds_bpermute_b32 v2, v2, v1
	s_waitcnt lgkmcnt(0)
	v_cndmask_b32_e32 v2, 0, v2, vcc_lo
	v_add_nc_u32_e32 v1, v1, v2
.LBB17_234:
	s_or_b32 exec_lo, exec_lo, s3
	v_cmp_eq_u32_e64 s2, 0, v0
	s_delay_alu instid0(VALU_DEP_1)
	s_and_saveexec_b32 s3, s2
	s_cbranch_execnz .LBB17_225
	s_branch .LBB17_226
	.section	.rodata,"a",@progbits
	.p2align	6, 0x0
	.amdhsa_kernel _ZN7rocprim17ROCPRIM_400000_NS6detail17trampoline_kernelINS0_14default_configENS1_22reduce_config_selectorIiEEZNS1_11reduce_implILb1ES3_PiS7_iN6hipcub16HIPCUB_304000_NS6detail34convert_binary_result_type_wrapperINS9_3SumENS9_22TransformInputIteratorIbN2at6native12_GLOBAL__N_19NonZeroOpIhEEPKhlEEiEEEE10hipError_tPvRmT1_T2_T3_mT4_P12ihipStream_tbEUlT_E1_NS1_11comp_targetILNS1_3genE9ELNS1_11target_archE1100ELNS1_3gpuE3ELNS1_3repE0EEENS1_30default_config_static_selectorELNS0_4arch9wavefront6targetE0EEEvSQ_
		.amdhsa_group_segment_fixed_size 224
		.amdhsa_private_segment_fixed_size 0
		.amdhsa_kernarg_size 40
		.amdhsa_user_sgpr_count 15
		.amdhsa_user_sgpr_dispatch_ptr 0
		.amdhsa_user_sgpr_queue_ptr 0
		.amdhsa_user_sgpr_kernarg_segment_ptr 1
		.amdhsa_user_sgpr_dispatch_id 0
		.amdhsa_user_sgpr_private_segment_size 0
		.amdhsa_wavefront_size32 1
		.amdhsa_uses_dynamic_stack 0
		.amdhsa_enable_private_segment 0
		.amdhsa_system_sgpr_workgroup_id_x 1
		.amdhsa_system_sgpr_workgroup_id_y 0
		.amdhsa_system_sgpr_workgroup_id_z 0
		.amdhsa_system_sgpr_workgroup_info 0
		.amdhsa_system_vgpr_workitem_id 0
		.amdhsa_next_free_vgpr 34
		.amdhsa_next_free_sgpr 27
		.amdhsa_reserve_vcc 1
		.amdhsa_float_round_mode_32 0
		.amdhsa_float_round_mode_16_64 0
		.amdhsa_float_denorm_mode_32 3
		.amdhsa_float_denorm_mode_16_64 3
		.amdhsa_dx10_clamp 1
		.amdhsa_ieee_mode 1
		.amdhsa_fp16_overflow 0
		.amdhsa_workgroup_processor_mode 1
		.amdhsa_memory_ordered 1
		.amdhsa_forward_progress 0
		.amdhsa_shared_vgpr_count 0
		.amdhsa_exception_fp_ieee_invalid_op 0
		.amdhsa_exception_fp_denorm_src 0
		.amdhsa_exception_fp_ieee_div_zero 0
		.amdhsa_exception_fp_ieee_overflow 0
		.amdhsa_exception_fp_ieee_underflow 0
		.amdhsa_exception_fp_ieee_inexact 0
		.amdhsa_exception_int_div_zero 0
	.end_amdhsa_kernel
	.section	.text._ZN7rocprim17ROCPRIM_400000_NS6detail17trampoline_kernelINS0_14default_configENS1_22reduce_config_selectorIiEEZNS1_11reduce_implILb1ES3_PiS7_iN6hipcub16HIPCUB_304000_NS6detail34convert_binary_result_type_wrapperINS9_3SumENS9_22TransformInputIteratorIbN2at6native12_GLOBAL__N_19NonZeroOpIhEEPKhlEEiEEEE10hipError_tPvRmT1_T2_T3_mT4_P12ihipStream_tbEUlT_E1_NS1_11comp_targetILNS1_3genE9ELNS1_11target_archE1100ELNS1_3gpuE3ELNS1_3repE0EEENS1_30default_config_static_selectorELNS0_4arch9wavefront6targetE0EEEvSQ_,"axG",@progbits,_ZN7rocprim17ROCPRIM_400000_NS6detail17trampoline_kernelINS0_14default_configENS1_22reduce_config_selectorIiEEZNS1_11reduce_implILb1ES3_PiS7_iN6hipcub16HIPCUB_304000_NS6detail34convert_binary_result_type_wrapperINS9_3SumENS9_22TransformInputIteratorIbN2at6native12_GLOBAL__N_19NonZeroOpIhEEPKhlEEiEEEE10hipError_tPvRmT1_T2_T3_mT4_P12ihipStream_tbEUlT_E1_NS1_11comp_targetILNS1_3genE9ELNS1_11target_archE1100ELNS1_3gpuE3ELNS1_3repE0EEENS1_30default_config_static_selectorELNS0_4arch9wavefront6targetE0EEEvSQ_,comdat
.Lfunc_end17:
	.size	_ZN7rocprim17ROCPRIM_400000_NS6detail17trampoline_kernelINS0_14default_configENS1_22reduce_config_selectorIiEEZNS1_11reduce_implILb1ES3_PiS7_iN6hipcub16HIPCUB_304000_NS6detail34convert_binary_result_type_wrapperINS9_3SumENS9_22TransformInputIteratorIbN2at6native12_GLOBAL__N_19NonZeroOpIhEEPKhlEEiEEEE10hipError_tPvRmT1_T2_T3_mT4_P12ihipStream_tbEUlT_E1_NS1_11comp_targetILNS1_3genE9ELNS1_11target_archE1100ELNS1_3gpuE3ELNS1_3repE0EEENS1_30default_config_static_selectorELNS0_4arch9wavefront6targetE0EEEvSQ_, .Lfunc_end17-_ZN7rocprim17ROCPRIM_400000_NS6detail17trampoline_kernelINS0_14default_configENS1_22reduce_config_selectorIiEEZNS1_11reduce_implILb1ES3_PiS7_iN6hipcub16HIPCUB_304000_NS6detail34convert_binary_result_type_wrapperINS9_3SumENS9_22TransformInputIteratorIbN2at6native12_GLOBAL__N_19NonZeroOpIhEEPKhlEEiEEEE10hipError_tPvRmT1_T2_T3_mT4_P12ihipStream_tbEUlT_E1_NS1_11comp_targetILNS1_3genE9ELNS1_11target_archE1100ELNS1_3gpuE3ELNS1_3repE0EEENS1_30default_config_static_selectorELNS0_4arch9wavefront6targetE0EEEvSQ_
                                        ; -- End function
	.section	.AMDGPU.csdata,"",@progbits
; Kernel info:
; codeLenInByte = 10768
; NumSgprs: 29
; NumVgprs: 34
; ScratchSize: 0
; MemoryBound: 0
; FloatMode: 240
; IeeeMode: 1
; LDSByteSize: 224 bytes/workgroup (compile time only)
; SGPRBlocks: 3
; VGPRBlocks: 4
; NumSGPRsForWavesPerEU: 29
; NumVGPRsForWavesPerEU: 34
; Occupancy: 16
; WaveLimiterHint : 1
; COMPUTE_PGM_RSRC2:SCRATCH_EN: 0
; COMPUTE_PGM_RSRC2:USER_SGPR: 15
; COMPUTE_PGM_RSRC2:TRAP_HANDLER: 0
; COMPUTE_PGM_RSRC2:TGID_X_EN: 1
; COMPUTE_PGM_RSRC2:TGID_Y_EN: 0
; COMPUTE_PGM_RSRC2:TGID_Z_EN: 0
; COMPUTE_PGM_RSRC2:TIDIG_COMP_CNT: 0
	.section	.text._ZN7rocprim17ROCPRIM_400000_NS6detail17trampoline_kernelINS0_14default_configENS1_22reduce_config_selectorIiEEZNS1_11reduce_implILb1ES3_PiS7_iN6hipcub16HIPCUB_304000_NS6detail34convert_binary_result_type_wrapperINS9_3SumENS9_22TransformInputIteratorIbN2at6native12_GLOBAL__N_19NonZeroOpIhEEPKhlEEiEEEE10hipError_tPvRmT1_T2_T3_mT4_P12ihipStream_tbEUlT_E1_NS1_11comp_targetILNS1_3genE8ELNS1_11target_archE1030ELNS1_3gpuE2ELNS1_3repE0EEENS1_30default_config_static_selectorELNS0_4arch9wavefront6targetE0EEEvSQ_,"axG",@progbits,_ZN7rocprim17ROCPRIM_400000_NS6detail17trampoline_kernelINS0_14default_configENS1_22reduce_config_selectorIiEEZNS1_11reduce_implILb1ES3_PiS7_iN6hipcub16HIPCUB_304000_NS6detail34convert_binary_result_type_wrapperINS9_3SumENS9_22TransformInputIteratorIbN2at6native12_GLOBAL__N_19NonZeroOpIhEEPKhlEEiEEEE10hipError_tPvRmT1_T2_T3_mT4_P12ihipStream_tbEUlT_E1_NS1_11comp_targetILNS1_3genE8ELNS1_11target_archE1030ELNS1_3gpuE2ELNS1_3repE0EEENS1_30default_config_static_selectorELNS0_4arch9wavefront6targetE0EEEvSQ_,comdat
	.globl	_ZN7rocprim17ROCPRIM_400000_NS6detail17trampoline_kernelINS0_14default_configENS1_22reduce_config_selectorIiEEZNS1_11reduce_implILb1ES3_PiS7_iN6hipcub16HIPCUB_304000_NS6detail34convert_binary_result_type_wrapperINS9_3SumENS9_22TransformInputIteratorIbN2at6native12_GLOBAL__N_19NonZeroOpIhEEPKhlEEiEEEE10hipError_tPvRmT1_T2_T3_mT4_P12ihipStream_tbEUlT_E1_NS1_11comp_targetILNS1_3genE8ELNS1_11target_archE1030ELNS1_3gpuE2ELNS1_3repE0EEENS1_30default_config_static_selectorELNS0_4arch9wavefront6targetE0EEEvSQ_ ; -- Begin function _ZN7rocprim17ROCPRIM_400000_NS6detail17trampoline_kernelINS0_14default_configENS1_22reduce_config_selectorIiEEZNS1_11reduce_implILb1ES3_PiS7_iN6hipcub16HIPCUB_304000_NS6detail34convert_binary_result_type_wrapperINS9_3SumENS9_22TransformInputIteratorIbN2at6native12_GLOBAL__N_19NonZeroOpIhEEPKhlEEiEEEE10hipError_tPvRmT1_T2_T3_mT4_P12ihipStream_tbEUlT_E1_NS1_11comp_targetILNS1_3genE8ELNS1_11target_archE1030ELNS1_3gpuE2ELNS1_3repE0EEENS1_30default_config_static_selectorELNS0_4arch9wavefront6targetE0EEEvSQ_
	.p2align	8
	.type	_ZN7rocprim17ROCPRIM_400000_NS6detail17trampoline_kernelINS0_14default_configENS1_22reduce_config_selectorIiEEZNS1_11reduce_implILb1ES3_PiS7_iN6hipcub16HIPCUB_304000_NS6detail34convert_binary_result_type_wrapperINS9_3SumENS9_22TransformInputIteratorIbN2at6native12_GLOBAL__N_19NonZeroOpIhEEPKhlEEiEEEE10hipError_tPvRmT1_T2_T3_mT4_P12ihipStream_tbEUlT_E1_NS1_11comp_targetILNS1_3genE8ELNS1_11target_archE1030ELNS1_3gpuE2ELNS1_3repE0EEENS1_30default_config_static_selectorELNS0_4arch9wavefront6targetE0EEEvSQ_,@function
_ZN7rocprim17ROCPRIM_400000_NS6detail17trampoline_kernelINS0_14default_configENS1_22reduce_config_selectorIiEEZNS1_11reduce_implILb1ES3_PiS7_iN6hipcub16HIPCUB_304000_NS6detail34convert_binary_result_type_wrapperINS9_3SumENS9_22TransformInputIteratorIbN2at6native12_GLOBAL__N_19NonZeroOpIhEEPKhlEEiEEEE10hipError_tPvRmT1_T2_T3_mT4_P12ihipStream_tbEUlT_E1_NS1_11comp_targetILNS1_3genE8ELNS1_11target_archE1030ELNS1_3gpuE2ELNS1_3repE0EEENS1_30default_config_static_selectorELNS0_4arch9wavefront6targetE0EEEvSQ_: ; @_ZN7rocprim17ROCPRIM_400000_NS6detail17trampoline_kernelINS0_14default_configENS1_22reduce_config_selectorIiEEZNS1_11reduce_implILb1ES3_PiS7_iN6hipcub16HIPCUB_304000_NS6detail34convert_binary_result_type_wrapperINS9_3SumENS9_22TransformInputIteratorIbN2at6native12_GLOBAL__N_19NonZeroOpIhEEPKhlEEiEEEE10hipError_tPvRmT1_T2_T3_mT4_P12ihipStream_tbEUlT_E1_NS1_11comp_targetILNS1_3genE8ELNS1_11target_archE1030ELNS1_3gpuE2ELNS1_3repE0EEENS1_30default_config_static_selectorELNS0_4arch9wavefront6targetE0EEEvSQ_
; %bb.0:
	.section	.rodata,"a",@progbits
	.p2align	6, 0x0
	.amdhsa_kernel _ZN7rocprim17ROCPRIM_400000_NS6detail17trampoline_kernelINS0_14default_configENS1_22reduce_config_selectorIiEEZNS1_11reduce_implILb1ES3_PiS7_iN6hipcub16HIPCUB_304000_NS6detail34convert_binary_result_type_wrapperINS9_3SumENS9_22TransformInputIteratorIbN2at6native12_GLOBAL__N_19NonZeroOpIhEEPKhlEEiEEEE10hipError_tPvRmT1_T2_T3_mT4_P12ihipStream_tbEUlT_E1_NS1_11comp_targetILNS1_3genE8ELNS1_11target_archE1030ELNS1_3gpuE2ELNS1_3repE0EEENS1_30default_config_static_selectorELNS0_4arch9wavefront6targetE0EEEvSQ_
		.amdhsa_group_segment_fixed_size 0
		.amdhsa_private_segment_fixed_size 0
		.amdhsa_kernarg_size 40
		.amdhsa_user_sgpr_count 15
		.amdhsa_user_sgpr_dispatch_ptr 0
		.amdhsa_user_sgpr_queue_ptr 0
		.amdhsa_user_sgpr_kernarg_segment_ptr 1
		.amdhsa_user_sgpr_dispatch_id 0
		.amdhsa_user_sgpr_private_segment_size 0
		.amdhsa_wavefront_size32 1
		.amdhsa_uses_dynamic_stack 0
		.amdhsa_enable_private_segment 0
		.amdhsa_system_sgpr_workgroup_id_x 1
		.amdhsa_system_sgpr_workgroup_id_y 0
		.amdhsa_system_sgpr_workgroup_id_z 0
		.amdhsa_system_sgpr_workgroup_info 0
		.amdhsa_system_vgpr_workitem_id 0
		.amdhsa_next_free_vgpr 1
		.amdhsa_next_free_sgpr 1
		.amdhsa_reserve_vcc 0
		.amdhsa_float_round_mode_32 0
		.amdhsa_float_round_mode_16_64 0
		.amdhsa_float_denorm_mode_32 3
		.amdhsa_float_denorm_mode_16_64 3
		.amdhsa_dx10_clamp 1
		.amdhsa_ieee_mode 1
		.amdhsa_fp16_overflow 0
		.amdhsa_workgroup_processor_mode 1
		.amdhsa_memory_ordered 1
		.amdhsa_forward_progress 0
		.amdhsa_shared_vgpr_count 0
		.amdhsa_exception_fp_ieee_invalid_op 0
		.amdhsa_exception_fp_denorm_src 0
		.amdhsa_exception_fp_ieee_div_zero 0
		.amdhsa_exception_fp_ieee_overflow 0
		.amdhsa_exception_fp_ieee_underflow 0
		.amdhsa_exception_fp_ieee_inexact 0
		.amdhsa_exception_int_div_zero 0
	.end_amdhsa_kernel
	.section	.text._ZN7rocprim17ROCPRIM_400000_NS6detail17trampoline_kernelINS0_14default_configENS1_22reduce_config_selectorIiEEZNS1_11reduce_implILb1ES3_PiS7_iN6hipcub16HIPCUB_304000_NS6detail34convert_binary_result_type_wrapperINS9_3SumENS9_22TransformInputIteratorIbN2at6native12_GLOBAL__N_19NonZeroOpIhEEPKhlEEiEEEE10hipError_tPvRmT1_T2_T3_mT4_P12ihipStream_tbEUlT_E1_NS1_11comp_targetILNS1_3genE8ELNS1_11target_archE1030ELNS1_3gpuE2ELNS1_3repE0EEENS1_30default_config_static_selectorELNS0_4arch9wavefront6targetE0EEEvSQ_,"axG",@progbits,_ZN7rocprim17ROCPRIM_400000_NS6detail17trampoline_kernelINS0_14default_configENS1_22reduce_config_selectorIiEEZNS1_11reduce_implILb1ES3_PiS7_iN6hipcub16HIPCUB_304000_NS6detail34convert_binary_result_type_wrapperINS9_3SumENS9_22TransformInputIteratorIbN2at6native12_GLOBAL__N_19NonZeroOpIhEEPKhlEEiEEEE10hipError_tPvRmT1_T2_T3_mT4_P12ihipStream_tbEUlT_E1_NS1_11comp_targetILNS1_3genE8ELNS1_11target_archE1030ELNS1_3gpuE2ELNS1_3repE0EEENS1_30default_config_static_selectorELNS0_4arch9wavefront6targetE0EEEvSQ_,comdat
.Lfunc_end18:
	.size	_ZN7rocprim17ROCPRIM_400000_NS6detail17trampoline_kernelINS0_14default_configENS1_22reduce_config_selectorIiEEZNS1_11reduce_implILb1ES3_PiS7_iN6hipcub16HIPCUB_304000_NS6detail34convert_binary_result_type_wrapperINS9_3SumENS9_22TransformInputIteratorIbN2at6native12_GLOBAL__N_19NonZeroOpIhEEPKhlEEiEEEE10hipError_tPvRmT1_T2_T3_mT4_P12ihipStream_tbEUlT_E1_NS1_11comp_targetILNS1_3genE8ELNS1_11target_archE1030ELNS1_3gpuE2ELNS1_3repE0EEENS1_30default_config_static_selectorELNS0_4arch9wavefront6targetE0EEEvSQ_, .Lfunc_end18-_ZN7rocprim17ROCPRIM_400000_NS6detail17trampoline_kernelINS0_14default_configENS1_22reduce_config_selectorIiEEZNS1_11reduce_implILb1ES3_PiS7_iN6hipcub16HIPCUB_304000_NS6detail34convert_binary_result_type_wrapperINS9_3SumENS9_22TransformInputIteratorIbN2at6native12_GLOBAL__N_19NonZeroOpIhEEPKhlEEiEEEE10hipError_tPvRmT1_T2_T3_mT4_P12ihipStream_tbEUlT_E1_NS1_11comp_targetILNS1_3genE8ELNS1_11target_archE1030ELNS1_3gpuE2ELNS1_3repE0EEENS1_30default_config_static_selectorELNS0_4arch9wavefront6targetE0EEEvSQ_
                                        ; -- End function
	.section	.AMDGPU.csdata,"",@progbits
; Kernel info:
; codeLenInByte = 0
; NumSgprs: 0
; NumVgprs: 0
; ScratchSize: 0
; MemoryBound: 0
; FloatMode: 240
; IeeeMode: 1
; LDSByteSize: 0 bytes/workgroup (compile time only)
; SGPRBlocks: 0
; VGPRBlocks: 0
; NumSGPRsForWavesPerEU: 1
; NumVGPRsForWavesPerEU: 1
; Occupancy: 16
; WaveLimiterHint : 0
; COMPUTE_PGM_RSRC2:SCRATCH_EN: 0
; COMPUTE_PGM_RSRC2:USER_SGPR: 15
; COMPUTE_PGM_RSRC2:TRAP_HANDLER: 0
; COMPUTE_PGM_RSRC2:TGID_X_EN: 1
; COMPUTE_PGM_RSRC2:TGID_Y_EN: 0
; COMPUTE_PGM_RSRC2:TGID_Z_EN: 0
; COMPUTE_PGM_RSRC2:TIDIG_COMP_CNT: 0
	.section	.text._ZN7rocprim17ROCPRIM_400000_NS6detail17trampoline_kernelINS0_14default_configENS1_22reduce_config_selectorIbEEZNS1_11reduce_implILb1ES3_N6hipcub16HIPCUB_304000_NS22TransformInputIteratorIbN2at6native12_GLOBAL__N_19NonZeroOpIhEEPKhlEEPiiNS8_6detail34convert_binary_result_type_wrapperINS8_3SumESH_iEEEE10hipError_tPvRmT1_T2_T3_mT4_P12ihipStream_tbEUlT_E0_NS1_11comp_targetILNS1_3genE0ELNS1_11target_archE4294967295ELNS1_3gpuE0ELNS1_3repE0EEENS1_30default_config_static_selectorELNS0_4arch9wavefront6targetE0EEEvSQ_,"axG",@progbits,_ZN7rocprim17ROCPRIM_400000_NS6detail17trampoline_kernelINS0_14default_configENS1_22reduce_config_selectorIbEEZNS1_11reduce_implILb1ES3_N6hipcub16HIPCUB_304000_NS22TransformInputIteratorIbN2at6native12_GLOBAL__N_19NonZeroOpIhEEPKhlEEPiiNS8_6detail34convert_binary_result_type_wrapperINS8_3SumESH_iEEEE10hipError_tPvRmT1_T2_T3_mT4_P12ihipStream_tbEUlT_E0_NS1_11comp_targetILNS1_3genE0ELNS1_11target_archE4294967295ELNS1_3gpuE0ELNS1_3repE0EEENS1_30default_config_static_selectorELNS0_4arch9wavefront6targetE0EEEvSQ_,comdat
	.globl	_ZN7rocprim17ROCPRIM_400000_NS6detail17trampoline_kernelINS0_14default_configENS1_22reduce_config_selectorIbEEZNS1_11reduce_implILb1ES3_N6hipcub16HIPCUB_304000_NS22TransformInputIteratorIbN2at6native12_GLOBAL__N_19NonZeroOpIhEEPKhlEEPiiNS8_6detail34convert_binary_result_type_wrapperINS8_3SumESH_iEEEE10hipError_tPvRmT1_T2_T3_mT4_P12ihipStream_tbEUlT_E0_NS1_11comp_targetILNS1_3genE0ELNS1_11target_archE4294967295ELNS1_3gpuE0ELNS1_3repE0EEENS1_30default_config_static_selectorELNS0_4arch9wavefront6targetE0EEEvSQ_ ; -- Begin function _ZN7rocprim17ROCPRIM_400000_NS6detail17trampoline_kernelINS0_14default_configENS1_22reduce_config_selectorIbEEZNS1_11reduce_implILb1ES3_N6hipcub16HIPCUB_304000_NS22TransformInputIteratorIbN2at6native12_GLOBAL__N_19NonZeroOpIhEEPKhlEEPiiNS8_6detail34convert_binary_result_type_wrapperINS8_3SumESH_iEEEE10hipError_tPvRmT1_T2_T3_mT4_P12ihipStream_tbEUlT_E0_NS1_11comp_targetILNS1_3genE0ELNS1_11target_archE4294967295ELNS1_3gpuE0ELNS1_3repE0EEENS1_30default_config_static_selectorELNS0_4arch9wavefront6targetE0EEEvSQ_
	.p2align	8
	.type	_ZN7rocprim17ROCPRIM_400000_NS6detail17trampoline_kernelINS0_14default_configENS1_22reduce_config_selectorIbEEZNS1_11reduce_implILb1ES3_N6hipcub16HIPCUB_304000_NS22TransformInputIteratorIbN2at6native12_GLOBAL__N_19NonZeroOpIhEEPKhlEEPiiNS8_6detail34convert_binary_result_type_wrapperINS8_3SumESH_iEEEE10hipError_tPvRmT1_T2_T3_mT4_P12ihipStream_tbEUlT_E0_NS1_11comp_targetILNS1_3genE0ELNS1_11target_archE4294967295ELNS1_3gpuE0ELNS1_3repE0EEENS1_30default_config_static_selectorELNS0_4arch9wavefront6targetE0EEEvSQ_,@function
_ZN7rocprim17ROCPRIM_400000_NS6detail17trampoline_kernelINS0_14default_configENS1_22reduce_config_selectorIbEEZNS1_11reduce_implILb1ES3_N6hipcub16HIPCUB_304000_NS22TransformInputIteratorIbN2at6native12_GLOBAL__N_19NonZeroOpIhEEPKhlEEPiiNS8_6detail34convert_binary_result_type_wrapperINS8_3SumESH_iEEEE10hipError_tPvRmT1_T2_T3_mT4_P12ihipStream_tbEUlT_E0_NS1_11comp_targetILNS1_3genE0ELNS1_11target_archE4294967295ELNS1_3gpuE0ELNS1_3repE0EEENS1_30default_config_static_selectorELNS0_4arch9wavefront6targetE0EEEvSQ_: ; @_ZN7rocprim17ROCPRIM_400000_NS6detail17trampoline_kernelINS0_14default_configENS1_22reduce_config_selectorIbEEZNS1_11reduce_implILb1ES3_N6hipcub16HIPCUB_304000_NS22TransformInputIteratorIbN2at6native12_GLOBAL__N_19NonZeroOpIhEEPKhlEEPiiNS8_6detail34convert_binary_result_type_wrapperINS8_3SumESH_iEEEE10hipError_tPvRmT1_T2_T3_mT4_P12ihipStream_tbEUlT_E0_NS1_11comp_targetILNS1_3genE0ELNS1_11target_archE4294967295ELNS1_3gpuE0ELNS1_3repE0EEENS1_30default_config_static_selectorELNS0_4arch9wavefront6targetE0EEEvSQ_
; %bb.0:
	.section	.rodata,"a",@progbits
	.p2align	6, 0x0
	.amdhsa_kernel _ZN7rocprim17ROCPRIM_400000_NS6detail17trampoline_kernelINS0_14default_configENS1_22reduce_config_selectorIbEEZNS1_11reduce_implILb1ES3_N6hipcub16HIPCUB_304000_NS22TransformInputIteratorIbN2at6native12_GLOBAL__N_19NonZeroOpIhEEPKhlEEPiiNS8_6detail34convert_binary_result_type_wrapperINS8_3SumESH_iEEEE10hipError_tPvRmT1_T2_T3_mT4_P12ihipStream_tbEUlT_E0_NS1_11comp_targetILNS1_3genE0ELNS1_11target_archE4294967295ELNS1_3gpuE0ELNS1_3repE0EEENS1_30default_config_static_selectorELNS0_4arch9wavefront6targetE0EEEvSQ_
		.amdhsa_group_segment_fixed_size 0
		.amdhsa_private_segment_fixed_size 0
		.amdhsa_kernarg_size 64
		.amdhsa_user_sgpr_count 15
		.amdhsa_user_sgpr_dispatch_ptr 0
		.amdhsa_user_sgpr_queue_ptr 0
		.amdhsa_user_sgpr_kernarg_segment_ptr 1
		.amdhsa_user_sgpr_dispatch_id 0
		.amdhsa_user_sgpr_private_segment_size 0
		.amdhsa_wavefront_size32 1
		.amdhsa_uses_dynamic_stack 0
		.amdhsa_enable_private_segment 0
		.amdhsa_system_sgpr_workgroup_id_x 1
		.amdhsa_system_sgpr_workgroup_id_y 0
		.amdhsa_system_sgpr_workgroup_id_z 0
		.amdhsa_system_sgpr_workgroup_info 0
		.amdhsa_system_vgpr_workitem_id 0
		.amdhsa_next_free_vgpr 1
		.amdhsa_next_free_sgpr 1
		.amdhsa_reserve_vcc 0
		.amdhsa_float_round_mode_32 0
		.amdhsa_float_round_mode_16_64 0
		.amdhsa_float_denorm_mode_32 3
		.amdhsa_float_denorm_mode_16_64 3
		.amdhsa_dx10_clamp 1
		.amdhsa_ieee_mode 1
		.amdhsa_fp16_overflow 0
		.amdhsa_workgroup_processor_mode 1
		.amdhsa_memory_ordered 1
		.amdhsa_forward_progress 0
		.amdhsa_shared_vgpr_count 0
		.amdhsa_exception_fp_ieee_invalid_op 0
		.amdhsa_exception_fp_denorm_src 0
		.amdhsa_exception_fp_ieee_div_zero 0
		.amdhsa_exception_fp_ieee_overflow 0
		.amdhsa_exception_fp_ieee_underflow 0
		.amdhsa_exception_fp_ieee_inexact 0
		.amdhsa_exception_int_div_zero 0
	.end_amdhsa_kernel
	.section	.text._ZN7rocprim17ROCPRIM_400000_NS6detail17trampoline_kernelINS0_14default_configENS1_22reduce_config_selectorIbEEZNS1_11reduce_implILb1ES3_N6hipcub16HIPCUB_304000_NS22TransformInputIteratorIbN2at6native12_GLOBAL__N_19NonZeroOpIhEEPKhlEEPiiNS8_6detail34convert_binary_result_type_wrapperINS8_3SumESH_iEEEE10hipError_tPvRmT1_T2_T3_mT4_P12ihipStream_tbEUlT_E0_NS1_11comp_targetILNS1_3genE0ELNS1_11target_archE4294967295ELNS1_3gpuE0ELNS1_3repE0EEENS1_30default_config_static_selectorELNS0_4arch9wavefront6targetE0EEEvSQ_,"axG",@progbits,_ZN7rocprim17ROCPRIM_400000_NS6detail17trampoline_kernelINS0_14default_configENS1_22reduce_config_selectorIbEEZNS1_11reduce_implILb1ES3_N6hipcub16HIPCUB_304000_NS22TransformInputIteratorIbN2at6native12_GLOBAL__N_19NonZeroOpIhEEPKhlEEPiiNS8_6detail34convert_binary_result_type_wrapperINS8_3SumESH_iEEEE10hipError_tPvRmT1_T2_T3_mT4_P12ihipStream_tbEUlT_E0_NS1_11comp_targetILNS1_3genE0ELNS1_11target_archE4294967295ELNS1_3gpuE0ELNS1_3repE0EEENS1_30default_config_static_selectorELNS0_4arch9wavefront6targetE0EEEvSQ_,comdat
.Lfunc_end19:
	.size	_ZN7rocprim17ROCPRIM_400000_NS6detail17trampoline_kernelINS0_14default_configENS1_22reduce_config_selectorIbEEZNS1_11reduce_implILb1ES3_N6hipcub16HIPCUB_304000_NS22TransformInputIteratorIbN2at6native12_GLOBAL__N_19NonZeroOpIhEEPKhlEEPiiNS8_6detail34convert_binary_result_type_wrapperINS8_3SumESH_iEEEE10hipError_tPvRmT1_T2_T3_mT4_P12ihipStream_tbEUlT_E0_NS1_11comp_targetILNS1_3genE0ELNS1_11target_archE4294967295ELNS1_3gpuE0ELNS1_3repE0EEENS1_30default_config_static_selectorELNS0_4arch9wavefront6targetE0EEEvSQ_, .Lfunc_end19-_ZN7rocprim17ROCPRIM_400000_NS6detail17trampoline_kernelINS0_14default_configENS1_22reduce_config_selectorIbEEZNS1_11reduce_implILb1ES3_N6hipcub16HIPCUB_304000_NS22TransformInputIteratorIbN2at6native12_GLOBAL__N_19NonZeroOpIhEEPKhlEEPiiNS8_6detail34convert_binary_result_type_wrapperINS8_3SumESH_iEEEE10hipError_tPvRmT1_T2_T3_mT4_P12ihipStream_tbEUlT_E0_NS1_11comp_targetILNS1_3genE0ELNS1_11target_archE4294967295ELNS1_3gpuE0ELNS1_3repE0EEENS1_30default_config_static_selectorELNS0_4arch9wavefront6targetE0EEEvSQ_
                                        ; -- End function
	.section	.AMDGPU.csdata,"",@progbits
; Kernel info:
; codeLenInByte = 0
; NumSgprs: 0
; NumVgprs: 0
; ScratchSize: 0
; MemoryBound: 0
; FloatMode: 240
; IeeeMode: 1
; LDSByteSize: 0 bytes/workgroup (compile time only)
; SGPRBlocks: 0
; VGPRBlocks: 0
; NumSGPRsForWavesPerEU: 1
; NumVGPRsForWavesPerEU: 1
; Occupancy: 16
; WaveLimiterHint : 0
; COMPUTE_PGM_RSRC2:SCRATCH_EN: 0
; COMPUTE_PGM_RSRC2:USER_SGPR: 15
; COMPUTE_PGM_RSRC2:TRAP_HANDLER: 0
; COMPUTE_PGM_RSRC2:TGID_X_EN: 1
; COMPUTE_PGM_RSRC2:TGID_Y_EN: 0
; COMPUTE_PGM_RSRC2:TGID_Z_EN: 0
; COMPUTE_PGM_RSRC2:TIDIG_COMP_CNT: 0
	.section	.text._ZN7rocprim17ROCPRIM_400000_NS6detail17trampoline_kernelINS0_14default_configENS1_22reduce_config_selectorIbEEZNS1_11reduce_implILb1ES3_N6hipcub16HIPCUB_304000_NS22TransformInputIteratorIbN2at6native12_GLOBAL__N_19NonZeroOpIhEEPKhlEEPiiNS8_6detail34convert_binary_result_type_wrapperINS8_3SumESH_iEEEE10hipError_tPvRmT1_T2_T3_mT4_P12ihipStream_tbEUlT_E0_NS1_11comp_targetILNS1_3genE5ELNS1_11target_archE942ELNS1_3gpuE9ELNS1_3repE0EEENS1_30default_config_static_selectorELNS0_4arch9wavefront6targetE0EEEvSQ_,"axG",@progbits,_ZN7rocprim17ROCPRIM_400000_NS6detail17trampoline_kernelINS0_14default_configENS1_22reduce_config_selectorIbEEZNS1_11reduce_implILb1ES3_N6hipcub16HIPCUB_304000_NS22TransformInputIteratorIbN2at6native12_GLOBAL__N_19NonZeroOpIhEEPKhlEEPiiNS8_6detail34convert_binary_result_type_wrapperINS8_3SumESH_iEEEE10hipError_tPvRmT1_T2_T3_mT4_P12ihipStream_tbEUlT_E0_NS1_11comp_targetILNS1_3genE5ELNS1_11target_archE942ELNS1_3gpuE9ELNS1_3repE0EEENS1_30default_config_static_selectorELNS0_4arch9wavefront6targetE0EEEvSQ_,comdat
	.globl	_ZN7rocprim17ROCPRIM_400000_NS6detail17trampoline_kernelINS0_14default_configENS1_22reduce_config_selectorIbEEZNS1_11reduce_implILb1ES3_N6hipcub16HIPCUB_304000_NS22TransformInputIteratorIbN2at6native12_GLOBAL__N_19NonZeroOpIhEEPKhlEEPiiNS8_6detail34convert_binary_result_type_wrapperINS8_3SumESH_iEEEE10hipError_tPvRmT1_T2_T3_mT4_P12ihipStream_tbEUlT_E0_NS1_11comp_targetILNS1_3genE5ELNS1_11target_archE942ELNS1_3gpuE9ELNS1_3repE0EEENS1_30default_config_static_selectorELNS0_4arch9wavefront6targetE0EEEvSQ_ ; -- Begin function _ZN7rocprim17ROCPRIM_400000_NS6detail17trampoline_kernelINS0_14default_configENS1_22reduce_config_selectorIbEEZNS1_11reduce_implILb1ES3_N6hipcub16HIPCUB_304000_NS22TransformInputIteratorIbN2at6native12_GLOBAL__N_19NonZeroOpIhEEPKhlEEPiiNS8_6detail34convert_binary_result_type_wrapperINS8_3SumESH_iEEEE10hipError_tPvRmT1_T2_T3_mT4_P12ihipStream_tbEUlT_E0_NS1_11comp_targetILNS1_3genE5ELNS1_11target_archE942ELNS1_3gpuE9ELNS1_3repE0EEENS1_30default_config_static_selectorELNS0_4arch9wavefront6targetE0EEEvSQ_
	.p2align	8
	.type	_ZN7rocprim17ROCPRIM_400000_NS6detail17trampoline_kernelINS0_14default_configENS1_22reduce_config_selectorIbEEZNS1_11reduce_implILb1ES3_N6hipcub16HIPCUB_304000_NS22TransformInputIteratorIbN2at6native12_GLOBAL__N_19NonZeroOpIhEEPKhlEEPiiNS8_6detail34convert_binary_result_type_wrapperINS8_3SumESH_iEEEE10hipError_tPvRmT1_T2_T3_mT4_P12ihipStream_tbEUlT_E0_NS1_11comp_targetILNS1_3genE5ELNS1_11target_archE942ELNS1_3gpuE9ELNS1_3repE0EEENS1_30default_config_static_selectorELNS0_4arch9wavefront6targetE0EEEvSQ_,@function
_ZN7rocprim17ROCPRIM_400000_NS6detail17trampoline_kernelINS0_14default_configENS1_22reduce_config_selectorIbEEZNS1_11reduce_implILb1ES3_N6hipcub16HIPCUB_304000_NS22TransformInputIteratorIbN2at6native12_GLOBAL__N_19NonZeroOpIhEEPKhlEEPiiNS8_6detail34convert_binary_result_type_wrapperINS8_3SumESH_iEEEE10hipError_tPvRmT1_T2_T3_mT4_P12ihipStream_tbEUlT_E0_NS1_11comp_targetILNS1_3genE5ELNS1_11target_archE942ELNS1_3gpuE9ELNS1_3repE0EEENS1_30default_config_static_selectorELNS0_4arch9wavefront6targetE0EEEvSQ_: ; @_ZN7rocprim17ROCPRIM_400000_NS6detail17trampoline_kernelINS0_14default_configENS1_22reduce_config_selectorIbEEZNS1_11reduce_implILb1ES3_N6hipcub16HIPCUB_304000_NS22TransformInputIteratorIbN2at6native12_GLOBAL__N_19NonZeroOpIhEEPKhlEEPiiNS8_6detail34convert_binary_result_type_wrapperINS8_3SumESH_iEEEE10hipError_tPvRmT1_T2_T3_mT4_P12ihipStream_tbEUlT_E0_NS1_11comp_targetILNS1_3genE5ELNS1_11target_archE942ELNS1_3gpuE9ELNS1_3repE0EEENS1_30default_config_static_selectorELNS0_4arch9wavefront6targetE0EEEvSQ_
; %bb.0:
	.section	.rodata,"a",@progbits
	.p2align	6, 0x0
	.amdhsa_kernel _ZN7rocprim17ROCPRIM_400000_NS6detail17trampoline_kernelINS0_14default_configENS1_22reduce_config_selectorIbEEZNS1_11reduce_implILb1ES3_N6hipcub16HIPCUB_304000_NS22TransformInputIteratorIbN2at6native12_GLOBAL__N_19NonZeroOpIhEEPKhlEEPiiNS8_6detail34convert_binary_result_type_wrapperINS8_3SumESH_iEEEE10hipError_tPvRmT1_T2_T3_mT4_P12ihipStream_tbEUlT_E0_NS1_11comp_targetILNS1_3genE5ELNS1_11target_archE942ELNS1_3gpuE9ELNS1_3repE0EEENS1_30default_config_static_selectorELNS0_4arch9wavefront6targetE0EEEvSQ_
		.amdhsa_group_segment_fixed_size 0
		.amdhsa_private_segment_fixed_size 0
		.amdhsa_kernarg_size 64
		.amdhsa_user_sgpr_count 15
		.amdhsa_user_sgpr_dispatch_ptr 0
		.amdhsa_user_sgpr_queue_ptr 0
		.amdhsa_user_sgpr_kernarg_segment_ptr 1
		.amdhsa_user_sgpr_dispatch_id 0
		.amdhsa_user_sgpr_private_segment_size 0
		.amdhsa_wavefront_size32 1
		.amdhsa_uses_dynamic_stack 0
		.amdhsa_enable_private_segment 0
		.amdhsa_system_sgpr_workgroup_id_x 1
		.amdhsa_system_sgpr_workgroup_id_y 0
		.amdhsa_system_sgpr_workgroup_id_z 0
		.amdhsa_system_sgpr_workgroup_info 0
		.amdhsa_system_vgpr_workitem_id 0
		.amdhsa_next_free_vgpr 1
		.amdhsa_next_free_sgpr 1
		.amdhsa_reserve_vcc 0
		.amdhsa_float_round_mode_32 0
		.amdhsa_float_round_mode_16_64 0
		.amdhsa_float_denorm_mode_32 3
		.amdhsa_float_denorm_mode_16_64 3
		.amdhsa_dx10_clamp 1
		.amdhsa_ieee_mode 1
		.amdhsa_fp16_overflow 0
		.amdhsa_workgroup_processor_mode 1
		.amdhsa_memory_ordered 1
		.amdhsa_forward_progress 0
		.amdhsa_shared_vgpr_count 0
		.amdhsa_exception_fp_ieee_invalid_op 0
		.amdhsa_exception_fp_denorm_src 0
		.amdhsa_exception_fp_ieee_div_zero 0
		.amdhsa_exception_fp_ieee_overflow 0
		.amdhsa_exception_fp_ieee_underflow 0
		.amdhsa_exception_fp_ieee_inexact 0
		.amdhsa_exception_int_div_zero 0
	.end_amdhsa_kernel
	.section	.text._ZN7rocprim17ROCPRIM_400000_NS6detail17trampoline_kernelINS0_14default_configENS1_22reduce_config_selectorIbEEZNS1_11reduce_implILb1ES3_N6hipcub16HIPCUB_304000_NS22TransformInputIteratorIbN2at6native12_GLOBAL__N_19NonZeroOpIhEEPKhlEEPiiNS8_6detail34convert_binary_result_type_wrapperINS8_3SumESH_iEEEE10hipError_tPvRmT1_T2_T3_mT4_P12ihipStream_tbEUlT_E0_NS1_11comp_targetILNS1_3genE5ELNS1_11target_archE942ELNS1_3gpuE9ELNS1_3repE0EEENS1_30default_config_static_selectorELNS0_4arch9wavefront6targetE0EEEvSQ_,"axG",@progbits,_ZN7rocprim17ROCPRIM_400000_NS6detail17trampoline_kernelINS0_14default_configENS1_22reduce_config_selectorIbEEZNS1_11reduce_implILb1ES3_N6hipcub16HIPCUB_304000_NS22TransformInputIteratorIbN2at6native12_GLOBAL__N_19NonZeroOpIhEEPKhlEEPiiNS8_6detail34convert_binary_result_type_wrapperINS8_3SumESH_iEEEE10hipError_tPvRmT1_T2_T3_mT4_P12ihipStream_tbEUlT_E0_NS1_11comp_targetILNS1_3genE5ELNS1_11target_archE942ELNS1_3gpuE9ELNS1_3repE0EEENS1_30default_config_static_selectorELNS0_4arch9wavefront6targetE0EEEvSQ_,comdat
.Lfunc_end20:
	.size	_ZN7rocprim17ROCPRIM_400000_NS6detail17trampoline_kernelINS0_14default_configENS1_22reduce_config_selectorIbEEZNS1_11reduce_implILb1ES3_N6hipcub16HIPCUB_304000_NS22TransformInputIteratorIbN2at6native12_GLOBAL__N_19NonZeroOpIhEEPKhlEEPiiNS8_6detail34convert_binary_result_type_wrapperINS8_3SumESH_iEEEE10hipError_tPvRmT1_T2_T3_mT4_P12ihipStream_tbEUlT_E0_NS1_11comp_targetILNS1_3genE5ELNS1_11target_archE942ELNS1_3gpuE9ELNS1_3repE0EEENS1_30default_config_static_selectorELNS0_4arch9wavefront6targetE0EEEvSQ_, .Lfunc_end20-_ZN7rocprim17ROCPRIM_400000_NS6detail17trampoline_kernelINS0_14default_configENS1_22reduce_config_selectorIbEEZNS1_11reduce_implILb1ES3_N6hipcub16HIPCUB_304000_NS22TransformInputIteratorIbN2at6native12_GLOBAL__N_19NonZeroOpIhEEPKhlEEPiiNS8_6detail34convert_binary_result_type_wrapperINS8_3SumESH_iEEEE10hipError_tPvRmT1_T2_T3_mT4_P12ihipStream_tbEUlT_E0_NS1_11comp_targetILNS1_3genE5ELNS1_11target_archE942ELNS1_3gpuE9ELNS1_3repE0EEENS1_30default_config_static_selectorELNS0_4arch9wavefront6targetE0EEEvSQ_
                                        ; -- End function
	.section	.AMDGPU.csdata,"",@progbits
; Kernel info:
; codeLenInByte = 0
; NumSgprs: 0
; NumVgprs: 0
; ScratchSize: 0
; MemoryBound: 0
; FloatMode: 240
; IeeeMode: 1
; LDSByteSize: 0 bytes/workgroup (compile time only)
; SGPRBlocks: 0
; VGPRBlocks: 0
; NumSGPRsForWavesPerEU: 1
; NumVGPRsForWavesPerEU: 1
; Occupancy: 16
; WaveLimiterHint : 0
; COMPUTE_PGM_RSRC2:SCRATCH_EN: 0
; COMPUTE_PGM_RSRC2:USER_SGPR: 15
; COMPUTE_PGM_RSRC2:TRAP_HANDLER: 0
; COMPUTE_PGM_RSRC2:TGID_X_EN: 1
; COMPUTE_PGM_RSRC2:TGID_Y_EN: 0
; COMPUTE_PGM_RSRC2:TGID_Z_EN: 0
; COMPUTE_PGM_RSRC2:TIDIG_COMP_CNT: 0
	.section	.text._ZN7rocprim17ROCPRIM_400000_NS6detail17trampoline_kernelINS0_14default_configENS1_22reduce_config_selectorIbEEZNS1_11reduce_implILb1ES3_N6hipcub16HIPCUB_304000_NS22TransformInputIteratorIbN2at6native12_GLOBAL__N_19NonZeroOpIhEEPKhlEEPiiNS8_6detail34convert_binary_result_type_wrapperINS8_3SumESH_iEEEE10hipError_tPvRmT1_T2_T3_mT4_P12ihipStream_tbEUlT_E0_NS1_11comp_targetILNS1_3genE4ELNS1_11target_archE910ELNS1_3gpuE8ELNS1_3repE0EEENS1_30default_config_static_selectorELNS0_4arch9wavefront6targetE0EEEvSQ_,"axG",@progbits,_ZN7rocprim17ROCPRIM_400000_NS6detail17trampoline_kernelINS0_14default_configENS1_22reduce_config_selectorIbEEZNS1_11reduce_implILb1ES3_N6hipcub16HIPCUB_304000_NS22TransformInputIteratorIbN2at6native12_GLOBAL__N_19NonZeroOpIhEEPKhlEEPiiNS8_6detail34convert_binary_result_type_wrapperINS8_3SumESH_iEEEE10hipError_tPvRmT1_T2_T3_mT4_P12ihipStream_tbEUlT_E0_NS1_11comp_targetILNS1_3genE4ELNS1_11target_archE910ELNS1_3gpuE8ELNS1_3repE0EEENS1_30default_config_static_selectorELNS0_4arch9wavefront6targetE0EEEvSQ_,comdat
	.globl	_ZN7rocprim17ROCPRIM_400000_NS6detail17trampoline_kernelINS0_14default_configENS1_22reduce_config_selectorIbEEZNS1_11reduce_implILb1ES3_N6hipcub16HIPCUB_304000_NS22TransformInputIteratorIbN2at6native12_GLOBAL__N_19NonZeroOpIhEEPKhlEEPiiNS8_6detail34convert_binary_result_type_wrapperINS8_3SumESH_iEEEE10hipError_tPvRmT1_T2_T3_mT4_P12ihipStream_tbEUlT_E0_NS1_11comp_targetILNS1_3genE4ELNS1_11target_archE910ELNS1_3gpuE8ELNS1_3repE0EEENS1_30default_config_static_selectorELNS0_4arch9wavefront6targetE0EEEvSQ_ ; -- Begin function _ZN7rocprim17ROCPRIM_400000_NS6detail17trampoline_kernelINS0_14default_configENS1_22reduce_config_selectorIbEEZNS1_11reduce_implILb1ES3_N6hipcub16HIPCUB_304000_NS22TransformInputIteratorIbN2at6native12_GLOBAL__N_19NonZeroOpIhEEPKhlEEPiiNS8_6detail34convert_binary_result_type_wrapperINS8_3SumESH_iEEEE10hipError_tPvRmT1_T2_T3_mT4_P12ihipStream_tbEUlT_E0_NS1_11comp_targetILNS1_3genE4ELNS1_11target_archE910ELNS1_3gpuE8ELNS1_3repE0EEENS1_30default_config_static_selectorELNS0_4arch9wavefront6targetE0EEEvSQ_
	.p2align	8
	.type	_ZN7rocprim17ROCPRIM_400000_NS6detail17trampoline_kernelINS0_14default_configENS1_22reduce_config_selectorIbEEZNS1_11reduce_implILb1ES3_N6hipcub16HIPCUB_304000_NS22TransformInputIteratorIbN2at6native12_GLOBAL__N_19NonZeroOpIhEEPKhlEEPiiNS8_6detail34convert_binary_result_type_wrapperINS8_3SumESH_iEEEE10hipError_tPvRmT1_T2_T3_mT4_P12ihipStream_tbEUlT_E0_NS1_11comp_targetILNS1_3genE4ELNS1_11target_archE910ELNS1_3gpuE8ELNS1_3repE0EEENS1_30default_config_static_selectorELNS0_4arch9wavefront6targetE0EEEvSQ_,@function
_ZN7rocprim17ROCPRIM_400000_NS6detail17trampoline_kernelINS0_14default_configENS1_22reduce_config_selectorIbEEZNS1_11reduce_implILb1ES3_N6hipcub16HIPCUB_304000_NS22TransformInputIteratorIbN2at6native12_GLOBAL__N_19NonZeroOpIhEEPKhlEEPiiNS8_6detail34convert_binary_result_type_wrapperINS8_3SumESH_iEEEE10hipError_tPvRmT1_T2_T3_mT4_P12ihipStream_tbEUlT_E0_NS1_11comp_targetILNS1_3genE4ELNS1_11target_archE910ELNS1_3gpuE8ELNS1_3repE0EEENS1_30default_config_static_selectorELNS0_4arch9wavefront6targetE0EEEvSQ_: ; @_ZN7rocprim17ROCPRIM_400000_NS6detail17trampoline_kernelINS0_14default_configENS1_22reduce_config_selectorIbEEZNS1_11reduce_implILb1ES3_N6hipcub16HIPCUB_304000_NS22TransformInputIteratorIbN2at6native12_GLOBAL__N_19NonZeroOpIhEEPKhlEEPiiNS8_6detail34convert_binary_result_type_wrapperINS8_3SumESH_iEEEE10hipError_tPvRmT1_T2_T3_mT4_P12ihipStream_tbEUlT_E0_NS1_11comp_targetILNS1_3genE4ELNS1_11target_archE910ELNS1_3gpuE8ELNS1_3repE0EEENS1_30default_config_static_selectorELNS0_4arch9wavefront6targetE0EEEvSQ_
; %bb.0:
	.section	.rodata,"a",@progbits
	.p2align	6, 0x0
	.amdhsa_kernel _ZN7rocprim17ROCPRIM_400000_NS6detail17trampoline_kernelINS0_14default_configENS1_22reduce_config_selectorIbEEZNS1_11reduce_implILb1ES3_N6hipcub16HIPCUB_304000_NS22TransformInputIteratorIbN2at6native12_GLOBAL__N_19NonZeroOpIhEEPKhlEEPiiNS8_6detail34convert_binary_result_type_wrapperINS8_3SumESH_iEEEE10hipError_tPvRmT1_T2_T3_mT4_P12ihipStream_tbEUlT_E0_NS1_11comp_targetILNS1_3genE4ELNS1_11target_archE910ELNS1_3gpuE8ELNS1_3repE0EEENS1_30default_config_static_selectorELNS0_4arch9wavefront6targetE0EEEvSQ_
		.amdhsa_group_segment_fixed_size 0
		.amdhsa_private_segment_fixed_size 0
		.amdhsa_kernarg_size 64
		.amdhsa_user_sgpr_count 15
		.amdhsa_user_sgpr_dispatch_ptr 0
		.amdhsa_user_sgpr_queue_ptr 0
		.amdhsa_user_sgpr_kernarg_segment_ptr 1
		.amdhsa_user_sgpr_dispatch_id 0
		.amdhsa_user_sgpr_private_segment_size 0
		.amdhsa_wavefront_size32 1
		.amdhsa_uses_dynamic_stack 0
		.amdhsa_enable_private_segment 0
		.amdhsa_system_sgpr_workgroup_id_x 1
		.amdhsa_system_sgpr_workgroup_id_y 0
		.amdhsa_system_sgpr_workgroup_id_z 0
		.amdhsa_system_sgpr_workgroup_info 0
		.amdhsa_system_vgpr_workitem_id 0
		.amdhsa_next_free_vgpr 1
		.amdhsa_next_free_sgpr 1
		.amdhsa_reserve_vcc 0
		.amdhsa_float_round_mode_32 0
		.amdhsa_float_round_mode_16_64 0
		.amdhsa_float_denorm_mode_32 3
		.amdhsa_float_denorm_mode_16_64 3
		.amdhsa_dx10_clamp 1
		.amdhsa_ieee_mode 1
		.amdhsa_fp16_overflow 0
		.amdhsa_workgroup_processor_mode 1
		.amdhsa_memory_ordered 1
		.amdhsa_forward_progress 0
		.amdhsa_shared_vgpr_count 0
		.amdhsa_exception_fp_ieee_invalid_op 0
		.amdhsa_exception_fp_denorm_src 0
		.amdhsa_exception_fp_ieee_div_zero 0
		.amdhsa_exception_fp_ieee_overflow 0
		.amdhsa_exception_fp_ieee_underflow 0
		.amdhsa_exception_fp_ieee_inexact 0
		.amdhsa_exception_int_div_zero 0
	.end_amdhsa_kernel
	.section	.text._ZN7rocprim17ROCPRIM_400000_NS6detail17trampoline_kernelINS0_14default_configENS1_22reduce_config_selectorIbEEZNS1_11reduce_implILb1ES3_N6hipcub16HIPCUB_304000_NS22TransformInputIteratorIbN2at6native12_GLOBAL__N_19NonZeroOpIhEEPKhlEEPiiNS8_6detail34convert_binary_result_type_wrapperINS8_3SumESH_iEEEE10hipError_tPvRmT1_T2_T3_mT4_P12ihipStream_tbEUlT_E0_NS1_11comp_targetILNS1_3genE4ELNS1_11target_archE910ELNS1_3gpuE8ELNS1_3repE0EEENS1_30default_config_static_selectorELNS0_4arch9wavefront6targetE0EEEvSQ_,"axG",@progbits,_ZN7rocprim17ROCPRIM_400000_NS6detail17trampoline_kernelINS0_14default_configENS1_22reduce_config_selectorIbEEZNS1_11reduce_implILb1ES3_N6hipcub16HIPCUB_304000_NS22TransformInputIteratorIbN2at6native12_GLOBAL__N_19NonZeroOpIhEEPKhlEEPiiNS8_6detail34convert_binary_result_type_wrapperINS8_3SumESH_iEEEE10hipError_tPvRmT1_T2_T3_mT4_P12ihipStream_tbEUlT_E0_NS1_11comp_targetILNS1_3genE4ELNS1_11target_archE910ELNS1_3gpuE8ELNS1_3repE0EEENS1_30default_config_static_selectorELNS0_4arch9wavefront6targetE0EEEvSQ_,comdat
.Lfunc_end21:
	.size	_ZN7rocprim17ROCPRIM_400000_NS6detail17trampoline_kernelINS0_14default_configENS1_22reduce_config_selectorIbEEZNS1_11reduce_implILb1ES3_N6hipcub16HIPCUB_304000_NS22TransformInputIteratorIbN2at6native12_GLOBAL__N_19NonZeroOpIhEEPKhlEEPiiNS8_6detail34convert_binary_result_type_wrapperINS8_3SumESH_iEEEE10hipError_tPvRmT1_T2_T3_mT4_P12ihipStream_tbEUlT_E0_NS1_11comp_targetILNS1_3genE4ELNS1_11target_archE910ELNS1_3gpuE8ELNS1_3repE0EEENS1_30default_config_static_selectorELNS0_4arch9wavefront6targetE0EEEvSQ_, .Lfunc_end21-_ZN7rocprim17ROCPRIM_400000_NS6detail17trampoline_kernelINS0_14default_configENS1_22reduce_config_selectorIbEEZNS1_11reduce_implILb1ES3_N6hipcub16HIPCUB_304000_NS22TransformInputIteratorIbN2at6native12_GLOBAL__N_19NonZeroOpIhEEPKhlEEPiiNS8_6detail34convert_binary_result_type_wrapperINS8_3SumESH_iEEEE10hipError_tPvRmT1_T2_T3_mT4_P12ihipStream_tbEUlT_E0_NS1_11comp_targetILNS1_3genE4ELNS1_11target_archE910ELNS1_3gpuE8ELNS1_3repE0EEENS1_30default_config_static_selectorELNS0_4arch9wavefront6targetE0EEEvSQ_
                                        ; -- End function
	.section	.AMDGPU.csdata,"",@progbits
; Kernel info:
; codeLenInByte = 0
; NumSgprs: 0
; NumVgprs: 0
; ScratchSize: 0
; MemoryBound: 0
; FloatMode: 240
; IeeeMode: 1
; LDSByteSize: 0 bytes/workgroup (compile time only)
; SGPRBlocks: 0
; VGPRBlocks: 0
; NumSGPRsForWavesPerEU: 1
; NumVGPRsForWavesPerEU: 1
; Occupancy: 16
; WaveLimiterHint : 0
; COMPUTE_PGM_RSRC2:SCRATCH_EN: 0
; COMPUTE_PGM_RSRC2:USER_SGPR: 15
; COMPUTE_PGM_RSRC2:TRAP_HANDLER: 0
; COMPUTE_PGM_RSRC2:TGID_X_EN: 1
; COMPUTE_PGM_RSRC2:TGID_Y_EN: 0
; COMPUTE_PGM_RSRC2:TGID_Z_EN: 0
; COMPUTE_PGM_RSRC2:TIDIG_COMP_CNT: 0
	.section	.text._ZN7rocprim17ROCPRIM_400000_NS6detail17trampoline_kernelINS0_14default_configENS1_22reduce_config_selectorIbEEZNS1_11reduce_implILb1ES3_N6hipcub16HIPCUB_304000_NS22TransformInputIteratorIbN2at6native12_GLOBAL__N_19NonZeroOpIhEEPKhlEEPiiNS8_6detail34convert_binary_result_type_wrapperINS8_3SumESH_iEEEE10hipError_tPvRmT1_T2_T3_mT4_P12ihipStream_tbEUlT_E0_NS1_11comp_targetILNS1_3genE3ELNS1_11target_archE908ELNS1_3gpuE7ELNS1_3repE0EEENS1_30default_config_static_selectorELNS0_4arch9wavefront6targetE0EEEvSQ_,"axG",@progbits,_ZN7rocprim17ROCPRIM_400000_NS6detail17trampoline_kernelINS0_14default_configENS1_22reduce_config_selectorIbEEZNS1_11reduce_implILb1ES3_N6hipcub16HIPCUB_304000_NS22TransformInputIteratorIbN2at6native12_GLOBAL__N_19NonZeroOpIhEEPKhlEEPiiNS8_6detail34convert_binary_result_type_wrapperINS8_3SumESH_iEEEE10hipError_tPvRmT1_T2_T3_mT4_P12ihipStream_tbEUlT_E0_NS1_11comp_targetILNS1_3genE3ELNS1_11target_archE908ELNS1_3gpuE7ELNS1_3repE0EEENS1_30default_config_static_selectorELNS0_4arch9wavefront6targetE0EEEvSQ_,comdat
	.globl	_ZN7rocprim17ROCPRIM_400000_NS6detail17trampoline_kernelINS0_14default_configENS1_22reduce_config_selectorIbEEZNS1_11reduce_implILb1ES3_N6hipcub16HIPCUB_304000_NS22TransformInputIteratorIbN2at6native12_GLOBAL__N_19NonZeroOpIhEEPKhlEEPiiNS8_6detail34convert_binary_result_type_wrapperINS8_3SumESH_iEEEE10hipError_tPvRmT1_T2_T3_mT4_P12ihipStream_tbEUlT_E0_NS1_11comp_targetILNS1_3genE3ELNS1_11target_archE908ELNS1_3gpuE7ELNS1_3repE0EEENS1_30default_config_static_selectorELNS0_4arch9wavefront6targetE0EEEvSQ_ ; -- Begin function _ZN7rocprim17ROCPRIM_400000_NS6detail17trampoline_kernelINS0_14default_configENS1_22reduce_config_selectorIbEEZNS1_11reduce_implILb1ES3_N6hipcub16HIPCUB_304000_NS22TransformInputIteratorIbN2at6native12_GLOBAL__N_19NonZeroOpIhEEPKhlEEPiiNS8_6detail34convert_binary_result_type_wrapperINS8_3SumESH_iEEEE10hipError_tPvRmT1_T2_T3_mT4_P12ihipStream_tbEUlT_E0_NS1_11comp_targetILNS1_3genE3ELNS1_11target_archE908ELNS1_3gpuE7ELNS1_3repE0EEENS1_30default_config_static_selectorELNS0_4arch9wavefront6targetE0EEEvSQ_
	.p2align	8
	.type	_ZN7rocprim17ROCPRIM_400000_NS6detail17trampoline_kernelINS0_14default_configENS1_22reduce_config_selectorIbEEZNS1_11reduce_implILb1ES3_N6hipcub16HIPCUB_304000_NS22TransformInputIteratorIbN2at6native12_GLOBAL__N_19NonZeroOpIhEEPKhlEEPiiNS8_6detail34convert_binary_result_type_wrapperINS8_3SumESH_iEEEE10hipError_tPvRmT1_T2_T3_mT4_P12ihipStream_tbEUlT_E0_NS1_11comp_targetILNS1_3genE3ELNS1_11target_archE908ELNS1_3gpuE7ELNS1_3repE0EEENS1_30default_config_static_selectorELNS0_4arch9wavefront6targetE0EEEvSQ_,@function
_ZN7rocprim17ROCPRIM_400000_NS6detail17trampoline_kernelINS0_14default_configENS1_22reduce_config_selectorIbEEZNS1_11reduce_implILb1ES3_N6hipcub16HIPCUB_304000_NS22TransformInputIteratorIbN2at6native12_GLOBAL__N_19NonZeroOpIhEEPKhlEEPiiNS8_6detail34convert_binary_result_type_wrapperINS8_3SumESH_iEEEE10hipError_tPvRmT1_T2_T3_mT4_P12ihipStream_tbEUlT_E0_NS1_11comp_targetILNS1_3genE3ELNS1_11target_archE908ELNS1_3gpuE7ELNS1_3repE0EEENS1_30default_config_static_selectorELNS0_4arch9wavefront6targetE0EEEvSQ_: ; @_ZN7rocprim17ROCPRIM_400000_NS6detail17trampoline_kernelINS0_14default_configENS1_22reduce_config_selectorIbEEZNS1_11reduce_implILb1ES3_N6hipcub16HIPCUB_304000_NS22TransformInputIteratorIbN2at6native12_GLOBAL__N_19NonZeroOpIhEEPKhlEEPiiNS8_6detail34convert_binary_result_type_wrapperINS8_3SumESH_iEEEE10hipError_tPvRmT1_T2_T3_mT4_P12ihipStream_tbEUlT_E0_NS1_11comp_targetILNS1_3genE3ELNS1_11target_archE908ELNS1_3gpuE7ELNS1_3repE0EEENS1_30default_config_static_selectorELNS0_4arch9wavefront6targetE0EEEvSQ_
; %bb.0:
	.section	.rodata,"a",@progbits
	.p2align	6, 0x0
	.amdhsa_kernel _ZN7rocprim17ROCPRIM_400000_NS6detail17trampoline_kernelINS0_14default_configENS1_22reduce_config_selectorIbEEZNS1_11reduce_implILb1ES3_N6hipcub16HIPCUB_304000_NS22TransformInputIteratorIbN2at6native12_GLOBAL__N_19NonZeroOpIhEEPKhlEEPiiNS8_6detail34convert_binary_result_type_wrapperINS8_3SumESH_iEEEE10hipError_tPvRmT1_T2_T3_mT4_P12ihipStream_tbEUlT_E0_NS1_11comp_targetILNS1_3genE3ELNS1_11target_archE908ELNS1_3gpuE7ELNS1_3repE0EEENS1_30default_config_static_selectorELNS0_4arch9wavefront6targetE0EEEvSQ_
		.amdhsa_group_segment_fixed_size 0
		.amdhsa_private_segment_fixed_size 0
		.amdhsa_kernarg_size 64
		.amdhsa_user_sgpr_count 15
		.amdhsa_user_sgpr_dispatch_ptr 0
		.amdhsa_user_sgpr_queue_ptr 0
		.amdhsa_user_sgpr_kernarg_segment_ptr 1
		.amdhsa_user_sgpr_dispatch_id 0
		.amdhsa_user_sgpr_private_segment_size 0
		.amdhsa_wavefront_size32 1
		.amdhsa_uses_dynamic_stack 0
		.amdhsa_enable_private_segment 0
		.amdhsa_system_sgpr_workgroup_id_x 1
		.amdhsa_system_sgpr_workgroup_id_y 0
		.amdhsa_system_sgpr_workgroup_id_z 0
		.amdhsa_system_sgpr_workgroup_info 0
		.amdhsa_system_vgpr_workitem_id 0
		.amdhsa_next_free_vgpr 1
		.amdhsa_next_free_sgpr 1
		.amdhsa_reserve_vcc 0
		.amdhsa_float_round_mode_32 0
		.amdhsa_float_round_mode_16_64 0
		.amdhsa_float_denorm_mode_32 3
		.amdhsa_float_denorm_mode_16_64 3
		.amdhsa_dx10_clamp 1
		.amdhsa_ieee_mode 1
		.amdhsa_fp16_overflow 0
		.amdhsa_workgroup_processor_mode 1
		.amdhsa_memory_ordered 1
		.amdhsa_forward_progress 0
		.amdhsa_shared_vgpr_count 0
		.amdhsa_exception_fp_ieee_invalid_op 0
		.amdhsa_exception_fp_denorm_src 0
		.amdhsa_exception_fp_ieee_div_zero 0
		.amdhsa_exception_fp_ieee_overflow 0
		.amdhsa_exception_fp_ieee_underflow 0
		.amdhsa_exception_fp_ieee_inexact 0
		.amdhsa_exception_int_div_zero 0
	.end_amdhsa_kernel
	.section	.text._ZN7rocprim17ROCPRIM_400000_NS6detail17trampoline_kernelINS0_14default_configENS1_22reduce_config_selectorIbEEZNS1_11reduce_implILb1ES3_N6hipcub16HIPCUB_304000_NS22TransformInputIteratorIbN2at6native12_GLOBAL__N_19NonZeroOpIhEEPKhlEEPiiNS8_6detail34convert_binary_result_type_wrapperINS8_3SumESH_iEEEE10hipError_tPvRmT1_T2_T3_mT4_P12ihipStream_tbEUlT_E0_NS1_11comp_targetILNS1_3genE3ELNS1_11target_archE908ELNS1_3gpuE7ELNS1_3repE0EEENS1_30default_config_static_selectorELNS0_4arch9wavefront6targetE0EEEvSQ_,"axG",@progbits,_ZN7rocprim17ROCPRIM_400000_NS6detail17trampoline_kernelINS0_14default_configENS1_22reduce_config_selectorIbEEZNS1_11reduce_implILb1ES3_N6hipcub16HIPCUB_304000_NS22TransformInputIteratorIbN2at6native12_GLOBAL__N_19NonZeroOpIhEEPKhlEEPiiNS8_6detail34convert_binary_result_type_wrapperINS8_3SumESH_iEEEE10hipError_tPvRmT1_T2_T3_mT4_P12ihipStream_tbEUlT_E0_NS1_11comp_targetILNS1_3genE3ELNS1_11target_archE908ELNS1_3gpuE7ELNS1_3repE0EEENS1_30default_config_static_selectorELNS0_4arch9wavefront6targetE0EEEvSQ_,comdat
.Lfunc_end22:
	.size	_ZN7rocprim17ROCPRIM_400000_NS6detail17trampoline_kernelINS0_14default_configENS1_22reduce_config_selectorIbEEZNS1_11reduce_implILb1ES3_N6hipcub16HIPCUB_304000_NS22TransformInputIteratorIbN2at6native12_GLOBAL__N_19NonZeroOpIhEEPKhlEEPiiNS8_6detail34convert_binary_result_type_wrapperINS8_3SumESH_iEEEE10hipError_tPvRmT1_T2_T3_mT4_P12ihipStream_tbEUlT_E0_NS1_11comp_targetILNS1_3genE3ELNS1_11target_archE908ELNS1_3gpuE7ELNS1_3repE0EEENS1_30default_config_static_selectorELNS0_4arch9wavefront6targetE0EEEvSQ_, .Lfunc_end22-_ZN7rocprim17ROCPRIM_400000_NS6detail17trampoline_kernelINS0_14default_configENS1_22reduce_config_selectorIbEEZNS1_11reduce_implILb1ES3_N6hipcub16HIPCUB_304000_NS22TransformInputIteratorIbN2at6native12_GLOBAL__N_19NonZeroOpIhEEPKhlEEPiiNS8_6detail34convert_binary_result_type_wrapperINS8_3SumESH_iEEEE10hipError_tPvRmT1_T2_T3_mT4_P12ihipStream_tbEUlT_E0_NS1_11comp_targetILNS1_3genE3ELNS1_11target_archE908ELNS1_3gpuE7ELNS1_3repE0EEENS1_30default_config_static_selectorELNS0_4arch9wavefront6targetE0EEEvSQ_
                                        ; -- End function
	.section	.AMDGPU.csdata,"",@progbits
; Kernel info:
; codeLenInByte = 0
; NumSgprs: 0
; NumVgprs: 0
; ScratchSize: 0
; MemoryBound: 0
; FloatMode: 240
; IeeeMode: 1
; LDSByteSize: 0 bytes/workgroup (compile time only)
; SGPRBlocks: 0
; VGPRBlocks: 0
; NumSGPRsForWavesPerEU: 1
; NumVGPRsForWavesPerEU: 1
; Occupancy: 16
; WaveLimiterHint : 0
; COMPUTE_PGM_RSRC2:SCRATCH_EN: 0
; COMPUTE_PGM_RSRC2:USER_SGPR: 15
; COMPUTE_PGM_RSRC2:TRAP_HANDLER: 0
; COMPUTE_PGM_RSRC2:TGID_X_EN: 1
; COMPUTE_PGM_RSRC2:TGID_Y_EN: 0
; COMPUTE_PGM_RSRC2:TGID_Z_EN: 0
; COMPUTE_PGM_RSRC2:TIDIG_COMP_CNT: 0
	.section	.text._ZN7rocprim17ROCPRIM_400000_NS6detail17trampoline_kernelINS0_14default_configENS1_22reduce_config_selectorIbEEZNS1_11reduce_implILb1ES3_N6hipcub16HIPCUB_304000_NS22TransformInputIteratorIbN2at6native12_GLOBAL__N_19NonZeroOpIhEEPKhlEEPiiNS8_6detail34convert_binary_result_type_wrapperINS8_3SumESH_iEEEE10hipError_tPvRmT1_T2_T3_mT4_P12ihipStream_tbEUlT_E0_NS1_11comp_targetILNS1_3genE2ELNS1_11target_archE906ELNS1_3gpuE6ELNS1_3repE0EEENS1_30default_config_static_selectorELNS0_4arch9wavefront6targetE0EEEvSQ_,"axG",@progbits,_ZN7rocprim17ROCPRIM_400000_NS6detail17trampoline_kernelINS0_14default_configENS1_22reduce_config_selectorIbEEZNS1_11reduce_implILb1ES3_N6hipcub16HIPCUB_304000_NS22TransformInputIteratorIbN2at6native12_GLOBAL__N_19NonZeroOpIhEEPKhlEEPiiNS8_6detail34convert_binary_result_type_wrapperINS8_3SumESH_iEEEE10hipError_tPvRmT1_T2_T3_mT4_P12ihipStream_tbEUlT_E0_NS1_11comp_targetILNS1_3genE2ELNS1_11target_archE906ELNS1_3gpuE6ELNS1_3repE0EEENS1_30default_config_static_selectorELNS0_4arch9wavefront6targetE0EEEvSQ_,comdat
	.globl	_ZN7rocprim17ROCPRIM_400000_NS6detail17trampoline_kernelINS0_14default_configENS1_22reduce_config_selectorIbEEZNS1_11reduce_implILb1ES3_N6hipcub16HIPCUB_304000_NS22TransformInputIteratorIbN2at6native12_GLOBAL__N_19NonZeroOpIhEEPKhlEEPiiNS8_6detail34convert_binary_result_type_wrapperINS8_3SumESH_iEEEE10hipError_tPvRmT1_T2_T3_mT4_P12ihipStream_tbEUlT_E0_NS1_11comp_targetILNS1_3genE2ELNS1_11target_archE906ELNS1_3gpuE6ELNS1_3repE0EEENS1_30default_config_static_selectorELNS0_4arch9wavefront6targetE0EEEvSQ_ ; -- Begin function _ZN7rocprim17ROCPRIM_400000_NS6detail17trampoline_kernelINS0_14default_configENS1_22reduce_config_selectorIbEEZNS1_11reduce_implILb1ES3_N6hipcub16HIPCUB_304000_NS22TransformInputIteratorIbN2at6native12_GLOBAL__N_19NonZeroOpIhEEPKhlEEPiiNS8_6detail34convert_binary_result_type_wrapperINS8_3SumESH_iEEEE10hipError_tPvRmT1_T2_T3_mT4_P12ihipStream_tbEUlT_E0_NS1_11comp_targetILNS1_3genE2ELNS1_11target_archE906ELNS1_3gpuE6ELNS1_3repE0EEENS1_30default_config_static_selectorELNS0_4arch9wavefront6targetE0EEEvSQ_
	.p2align	8
	.type	_ZN7rocprim17ROCPRIM_400000_NS6detail17trampoline_kernelINS0_14default_configENS1_22reduce_config_selectorIbEEZNS1_11reduce_implILb1ES3_N6hipcub16HIPCUB_304000_NS22TransformInputIteratorIbN2at6native12_GLOBAL__N_19NonZeroOpIhEEPKhlEEPiiNS8_6detail34convert_binary_result_type_wrapperINS8_3SumESH_iEEEE10hipError_tPvRmT1_T2_T3_mT4_P12ihipStream_tbEUlT_E0_NS1_11comp_targetILNS1_3genE2ELNS1_11target_archE906ELNS1_3gpuE6ELNS1_3repE0EEENS1_30default_config_static_selectorELNS0_4arch9wavefront6targetE0EEEvSQ_,@function
_ZN7rocprim17ROCPRIM_400000_NS6detail17trampoline_kernelINS0_14default_configENS1_22reduce_config_selectorIbEEZNS1_11reduce_implILb1ES3_N6hipcub16HIPCUB_304000_NS22TransformInputIteratorIbN2at6native12_GLOBAL__N_19NonZeroOpIhEEPKhlEEPiiNS8_6detail34convert_binary_result_type_wrapperINS8_3SumESH_iEEEE10hipError_tPvRmT1_T2_T3_mT4_P12ihipStream_tbEUlT_E0_NS1_11comp_targetILNS1_3genE2ELNS1_11target_archE906ELNS1_3gpuE6ELNS1_3repE0EEENS1_30default_config_static_selectorELNS0_4arch9wavefront6targetE0EEEvSQ_: ; @_ZN7rocprim17ROCPRIM_400000_NS6detail17trampoline_kernelINS0_14default_configENS1_22reduce_config_selectorIbEEZNS1_11reduce_implILb1ES3_N6hipcub16HIPCUB_304000_NS22TransformInputIteratorIbN2at6native12_GLOBAL__N_19NonZeroOpIhEEPKhlEEPiiNS8_6detail34convert_binary_result_type_wrapperINS8_3SumESH_iEEEE10hipError_tPvRmT1_T2_T3_mT4_P12ihipStream_tbEUlT_E0_NS1_11comp_targetILNS1_3genE2ELNS1_11target_archE906ELNS1_3gpuE6ELNS1_3repE0EEENS1_30default_config_static_selectorELNS0_4arch9wavefront6targetE0EEEvSQ_
; %bb.0:
	.section	.rodata,"a",@progbits
	.p2align	6, 0x0
	.amdhsa_kernel _ZN7rocprim17ROCPRIM_400000_NS6detail17trampoline_kernelINS0_14default_configENS1_22reduce_config_selectorIbEEZNS1_11reduce_implILb1ES3_N6hipcub16HIPCUB_304000_NS22TransformInputIteratorIbN2at6native12_GLOBAL__N_19NonZeroOpIhEEPKhlEEPiiNS8_6detail34convert_binary_result_type_wrapperINS8_3SumESH_iEEEE10hipError_tPvRmT1_T2_T3_mT4_P12ihipStream_tbEUlT_E0_NS1_11comp_targetILNS1_3genE2ELNS1_11target_archE906ELNS1_3gpuE6ELNS1_3repE0EEENS1_30default_config_static_selectorELNS0_4arch9wavefront6targetE0EEEvSQ_
		.amdhsa_group_segment_fixed_size 0
		.amdhsa_private_segment_fixed_size 0
		.amdhsa_kernarg_size 64
		.amdhsa_user_sgpr_count 15
		.amdhsa_user_sgpr_dispatch_ptr 0
		.amdhsa_user_sgpr_queue_ptr 0
		.amdhsa_user_sgpr_kernarg_segment_ptr 1
		.amdhsa_user_sgpr_dispatch_id 0
		.amdhsa_user_sgpr_private_segment_size 0
		.amdhsa_wavefront_size32 1
		.amdhsa_uses_dynamic_stack 0
		.amdhsa_enable_private_segment 0
		.amdhsa_system_sgpr_workgroup_id_x 1
		.amdhsa_system_sgpr_workgroup_id_y 0
		.amdhsa_system_sgpr_workgroup_id_z 0
		.amdhsa_system_sgpr_workgroup_info 0
		.amdhsa_system_vgpr_workitem_id 0
		.amdhsa_next_free_vgpr 1
		.amdhsa_next_free_sgpr 1
		.amdhsa_reserve_vcc 0
		.amdhsa_float_round_mode_32 0
		.amdhsa_float_round_mode_16_64 0
		.amdhsa_float_denorm_mode_32 3
		.amdhsa_float_denorm_mode_16_64 3
		.amdhsa_dx10_clamp 1
		.amdhsa_ieee_mode 1
		.amdhsa_fp16_overflow 0
		.amdhsa_workgroup_processor_mode 1
		.amdhsa_memory_ordered 1
		.amdhsa_forward_progress 0
		.amdhsa_shared_vgpr_count 0
		.amdhsa_exception_fp_ieee_invalid_op 0
		.amdhsa_exception_fp_denorm_src 0
		.amdhsa_exception_fp_ieee_div_zero 0
		.amdhsa_exception_fp_ieee_overflow 0
		.amdhsa_exception_fp_ieee_underflow 0
		.amdhsa_exception_fp_ieee_inexact 0
		.amdhsa_exception_int_div_zero 0
	.end_amdhsa_kernel
	.section	.text._ZN7rocprim17ROCPRIM_400000_NS6detail17trampoline_kernelINS0_14default_configENS1_22reduce_config_selectorIbEEZNS1_11reduce_implILb1ES3_N6hipcub16HIPCUB_304000_NS22TransformInputIteratorIbN2at6native12_GLOBAL__N_19NonZeroOpIhEEPKhlEEPiiNS8_6detail34convert_binary_result_type_wrapperINS8_3SumESH_iEEEE10hipError_tPvRmT1_T2_T3_mT4_P12ihipStream_tbEUlT_E0_NS1_11comp_targetILNS1_3genE2ELNS1_11target_archE906ELNS1_3gpuE6ELNS1_3repE0EEENS1_30default_config_static_selectorELNS0_4arch9wavefront6targetE0EEEvSQ_,"axG",@progbits,_ZN7rocprim17ROCPRIM_400000_NS6detail17trampoline_kernelINS0_14default_configENS1_22reduce_config_selectorIbEEZNS1_11reduce_implILb1ES3_N6hipcub16HIPCUB_304000_NS22TransformInputIteratorIbN2at6native12_GLOBAL__N_19NonZeroOpIhEEPKhlEEPiiNS8_6detail34convert_binary_result_type_wrapperINS8_3SumESH_iEEEE10hipError_tPvRmT1_T2_T3_mT4_P12ihipStream_tbEUlT_E0_NS1_11comp_targetILNS1_3genE2ELNS1_11target_archE906ELNS1_3gpuE6ELNS1_3repE0EEENS1_30default_config_static_selectorELNS0_4arch9wavefront6targetE0EEEvSQ_,comdat
.Lfunc_end23:
	.size	_ZN7rocprim17ROCPRIM_400000_NS6detail17trampoline_kernelINS0_14default_configENS1_22reduce_config_selectorIbEEZNS1_11reduce_implILb1ES3_N6hipcub16HIPCUB_304000_NS22TransformInputIteratorIbN2at6native12_GLOBAL__N_19NonZeroOpIhEEPKhlEEPiiNS8_6detail34convert_binary_result_type_wrapperINS8_3SumESH_iEEEE10hipError_tPvRmT1_T2_T3_mT4_P12ihipStream_tbEUlT_E0_NS1_11comp_targetILNS1_3genE2ELNS1_11target_archE906ELNS1_3gpuE6ELNS1_3repE0EEENS1_30default_config_static_selectorELNS0_4arch9wavefront6targetE0EEEvSQ_, .Lfunc_end23-_ZN7rocprim17ROCPRIM_400000_NS6detail17trampoline_kernelINS0_14default_configENS1_22reduce_config_selectorIbEEZNS1_11reduce_implILb1ES3_N6hipcub16HIPCUB_304000_NS22TransformInputIteratorIbN2at6native12_GLOBAL__N_19NonZeroOpIhEEPKhlEEPiiNS8_6detail34convert_binary_result_type_wrapperINS8_3SumESH_iEEEE10hipError_tPvRmT1_T2_T3_mT4_P12ihipStream_tbEUlT_E0_NS1_11comp_targetILNS1_3genE2ELNS1_11target_archE906ELNS1_3gpuE6ELNS1_3repE0EEENS1_30default_config_static_selectorELNS0_4arch9wavefront6targetE0EEEvSQ_
                                        ; -- End function
	.section	.AMDGPU.csdata,"",@progbits
; Kernel info:
; codeLenInByte = 0
; NumSgprs: 0
; NumVgprs: 0
; ScratchSize: 0
; MemoryBound: 0
; FloatMode: 240
; IeeeMode: 1
; LDSByteSize: 0 bytes/workgroup (compile time only)
; SGPRBlocks: 0
; VGPRBlocks: 0
; NumSGPRsForWavesPerEU: 1
; NumVGPRsForWavesPerEU: 1
; Occupancy: 16
; WaveLimiterHint : 0
; COMPUTE_PGM_RSRC2:SCRATCH_EN: 0
; COMPUTE_PGM_RSRC2:USER_SGPR: 15
; COMPUTE_PGM_RSRC2:TRAP_HANDLER: 0
; COMPUTE_PGM_RSRC2:TGID_X_EN: 1
; COMPUTE_PGM_RSRC2:TGID_Y_EN: 0
; COMPUTE_PGM_RSRC2:TGID_Z_EN: 0
; COMPUTE_PGM_RSRC2:TIDIG_COMP_CNT: 0
	.section	.text._ZN7rocprim17ROCPRIM_400000_NS6detail17trampoline_kernelINS0_14default_configENS1_22reduce_config_selectorIbEEZNS1_11reduce_implILb1ES3_N6hipcub16HIPCUB_304000_NS22TransformInputIteratorIbN2at6native12_GLOBAL__N_19NonZeroOpIhEEPKhlEEPiiNS8_6detail34convert_binary_result_type_wrapperINS8_3SumESH_iEEEE10hipError_tPvRmT1_T2_T3_mT4_P12ihipStream_tbEUlT_E0_NS1_11comp_targetILNS1_3genE10ELNS1_11target_archE1201ELNS1_3gpuE5ELNS1_3repE0EEENS1_30default_config_static_selectorELNS0_4arch9wavefront6targetE0EEEvSQ_,"axG",@progbits,_ZN7rocprim17ROCPRIM_400000_NS6detail17trampoline_kernelINS0_14default_configENS1_22reduce_config_selectorIbEEZNS1_11reduce_implILb1ES3_N6hipcub16HIPCUB_304000_NS22TransformInputIteratorIbN2at6native12_GLOBAL__N_19NonZeroOpIhEEPKhlEEPiiNS8_6detail34convert_binary_result_type_wrapperINS8_3SumESH_iEEEE10hipError_tPvRmT1_T2_T3_mT4_P12ihipStream_tbEUlT_E0_NS1_11comp_targetILNS1_3genE10ELNS1_11target_archE1201ELNS1_3gpuE5ELNS1_3repE0EEENS1_30default_config_static_selectorELNS0_4arch9wavefront6targetE0EEEvSQ_,comdat
	.globl	_ZN7rocprim17ROCPRIM_400000_NS6detail17trampoline_kernelINS0_14default_configENS1_22reduce_config_selectorIbEEZNS1_11reduce_implILb1ES3_N6hipcub16HIPCUB_304000_NS22TransformInputIteratorIbN2at6native12_GLOBAL__N_19NonZeroOpIhEEPKhlEEPiiNS8_6detail34convert_binary_result_type_wrapperINS8_3SumESH_iEEEE10hipError_tPvRmT1_T2_T3_mT4_P12ihipStream_tbEUlT_E0_NS1_11comp_targetILNS1_3genE10ELNS1_11target_archE1201ELNS1_3gpuE5ELNS1_3repE0EEENS1_30default_config_static_selectorELNS0_4arch9wavefront6targetE0EEEvSQ_ ; -- Begin function _ZN7rocprim17ROCPRIM_400000_NS6detail17trampoline_kernelINS0_14default_configENS1_22reduce_config_selectorIbEEZNS1_11reduce_implILb1ES3_N6hipcub16HIPCUB_304000_NS22TransformInputIteratorIbN2at6native12_GLOBAL__N_19NonZeroOpIhEEPKhlEEPiiNS8_6detail34convert_binary_result_type_wrapperINS8_3SumESH_iEEEE10hipError_tPvRmT1_T2_T3_mT4_P12ihipStream_tbEUlT_E0_NS1_11comp_targetILNS1_3genE10ELNS1_11target_archE1201ELNS1_3gpuE5ELNS1_3repE0EEENS1_30default_config_static_selectorELNS0_4arch9wavefront6targetE0EEEvSQ_
	.p2align	8
	.type	_ZN7rocprim17ROCPRIM_400000_NS6detail17trampoline_kernelINS0_14default_configENS1_22reduce_config_selectorIbEEZNS1_11reduce_implILb1ES3_N6hipcub16HIPCUB_304000_NS22TransformInputIteratorIbN2at6native12_GLOBAL__N_19NonZeroOpIhEEPKhlEEPiiNS8_6detail34convert_binary_result_type_wrapperINS8_3SumESH_iEEEE10hipError_tPvRmT1_T2_T3_mT4_P12ihipStream_tbEUlT_E0_NS1_11comp_targetILNS1_3genE10ELNS1_11target_archE1201ELNS1_3gpuE5ELNS1_3repE0EEENS1_30default_config_static_selectorELNS0_4arch9wavefront6targetE0EEEvSQ_,@function
_ZN7rocprim17ROCPRIM_400000_NS6detail17trampoline_kernelINS0_14default_configENS1_22reduce_config_selectorIbEEZNS1_11reduce_implILb1ES3_N6hipcub16HIPCUB_304000_NS22TransformInputIteratorIbN2at6native12_GLOBAL__N_19NonZeroOpIhEEPKhlEEPiiNS8_6detail34convert_binary_result_type_wrapperINS8_3SumESH_iEEEE10hipError_tPvRmT1_T2_T3_mT4_P12ihipStream_tbEUlT_E0_NS1_11comp_targetILNS1_3genE10ELNS1_11target_archE1201ELNS1_3gpuE5ELNS1_3repE0EEENS1_30default_config_static_selectorELNS0_4arch9wavefront6targetE0EEEvSQ_: ; @_ZN7rocprim17ROCPRIM_400000_NS6detail17trampoline_kernelINS0_14default_configENS1_22reduce_config_selectorIbEEZNS1_11reduce_implILb1ES3_N6hipcub16HIPCUB_304000_NS22TransformInputIteratorIbN2at6native12_GLOBAL__N_19NonZeroOpIhEEPKhlEEPiiNS8_6detail34convert_binary_result_type_wrapperINS8_3SumESH_iEEEE10hipError_tPvRmT1_T2_T3_mT4_P12ihipStream_tbEUlT_E0_NS1_11comp_targetILNS1_3genE10ELNS1_11target_archE1201ELNS1_3gpuE5ELNS1_3repE0EEENS1_30default_config_static_selectorELNS0_4arch9wavefront6targetE0EEEvSQ_
; %bb.0:
	.section	.rodata,"a",@progbits
	.p2align	6, 0x0
	.amdhsa_kernel _ZN7rocprim17ROCPRIM_400000_NS6detail17trampoline_kernelINS0_14default_configENS1_22reduce_config_selectorIbEEZNS1_11reduce_implILb1ES3_N6hipcub16HIPCUB_304000_NS22TransformInputIteratorIbN2at6native12_GLOBAL__N_19NonZeroOpIhEEPKhlEEPiiNS8_6detail34convert_binary_result_type_wrapperINS8_3SumESH_iEEEE10hipError_tPvRmT1_T2_T3_mT4_P12ihipStream_tbEUlT_E0_NS1_11comp_targetILNS1_3genE10ELNS1_11target_archE1201ELNS1_3gpuE5ELNS1_3repE0EEENS1_30default_config_static_selectorELNS0_4arch9wavefront6targetE0EEEvSQ_
		.amdhsa_group_segment_fixed_size 0
		.amdhsa_private_segment_fixed_size 0
		.amdhsa_kernarg_size 64
		.amdhsa_user_sgpr_count 15
		.amdhsa_user_sgpr_dispatch_ptr 0
		.amdhsa_user_sgpr_queue_ptr 0
		.amdhsa_user_sgpr_kernarg_segment_ptr 1
		.amdhsa_user_sgpr_dispatch_id 0
		.amdhsa_user_sgpr_private_segment_size 0
		.amdhsa_wavefront_size32 1
		.amdhsa_uses_dynamic_stack 0
		.amdhsa_enable_private_segment 0
		.amdhsa_system_sgpr_workgroup_id_x 1
		.amdhsa_system_sgpr_workgroup_id_y 0
		.amdhsa_system_sgpr_workgroup_id_z 0
		.amdhsa_system_sgpr_workgroup_info 0
		.amdhsa_system_vgpr_workitem_id 0
		.amdhsa_next_free_vgpr 1
		.amdhsa_next_free_sgpr 1
		.amdhsa_reserve_vcc 0
		.amdhsa_float_round_mode_32 0
		.amdhsa_float_round_mode_16_64 0
		.amdhsa_float_denorm_mode_32 3
		.amdhsa_float_denorm_mode_16_64 3
		.amdhsa_dx10_clamp 1
		.amdhsa_ieee_mode 1
		.amdhsa_fp16_overflow 0
		.amdhsa_workgroup_processor_mode 1
		.amdhsa_memory_ordered 1
		.amdhsa_forward_progress 0
		.amdhsa_shared_vgpr_count 0
		.amdhsa_exception_fp_ieee_invalid_op 0
		.amdhsa_exception_fp_denorm_src 0
		.amdhsa_exception_fp_ieee_div_zero 0
		.amdhsa_exception_fp_ieee_overflow 0
		.amdhsa_exception_fp_ieee_underflow 0
		.amdhsa_exception_fp_ieee_inexact 0
		.amdhsa_exception_int_div_zero 0
	.end_amdhsa_kernel
	.section	.text._ZN7rocprim17ROCPRIM_400000_NS6detail17trampoline_kernelINS0_14default_configENS1_22reduce_config_selectorIbEEZNS1_11reduce_implILb1ES3_N6hipcub16HIPCUB_304000_NS22TransformInputIteratorIbN2at6native12_GLOBAL__N_19NonZeroOpIhEEPKhlEEPiiNS8_6detail34convert_binary_result_type_wrapperINS8_3SumESH_iEEEE10hipError_tPvRmT1_T2_T3_mT4_P12ihipStream_tbEUlT_E0_NS1_11comp_targetILNS1_3genE10ELNS1_11target_archE1201ELNS1_3gpuE5ELNS1_3repE0EEENS1_30default_config_static_selectorELNS0_4arch9wavefront6targetE0EEEvSQ_,"axG",@progbits,_ZN7rocprim17ROCPRIM_400000_NS6detail17trampoline_kernelINS0_14default_configENS1_22reduce_config_selectorIbEEZNS1_11reduce_implILb1ES3_N6hipcub16HIPCUB_304000_NS22TransformInputIteratorIbN2at6native12_GLOBAL__N_19NonZeroOpIhEEPKhlEEPiiNS8_6detail34convert_binary_result_type_wrapperINS8_3SumESH_iEEEE10hipError_tPvRmT1_T2_T3_mT4_P12ihipStream_tbEUlT_E0_NS1_11comp_targetILNS1_3genE10ELNS1_11target_archE1201ELNS1_3gpuE5ELNS1_3repE0EEENS1_30default_config_static_selectorELNS0_4arch9wavefront6targetE0EEEvSQ_,comdat
.Lfunc_end24:
	.size	_ZN7rocprim17ROCPRIM_400000_NS6detail17trampoline_kernelINS0_14default_configENS1_22reduce_config_selectorIbEEZNS1_11reduce_implILb1ES3_N6hipcub16HIPCUB_304000_NS22TransformInputIteratorIbN2at6native12_GLOBAL__N_19NonZeroOpIhEEPKhlEEPiiNS8_6detail34convert_binary_result_type_wrapperINS8_3SumESH_iEEEE10hipError_tPvRmT1_T2_T3_mT4_P12ihipStream_tbEUlT_E0_NS1_11comp_targetILNS1_3genE10ELNS1_11target_archE1201ELNS1_3gpuE5ELNS1_3repE0EEENS1_30default_config_static_selectorELNS0_4arch9wavefront6targetE0EEEvSQ_, .Lfunc_end24-_ZN7rocprim17ROCPRIM_400000_NS6detail17trampoline_kernelINS0_14default_configENS1_22reduce_config_selectorIbEEZNS1_11reduce_implILb1ES3_N6hipcub16HIPCUB_304000_NS22TransformInputIteratorIbN2at6native12_GLOBAL__N_19NonZeroOpIhEEPKhlEEPiiNS8_6detail34convert_binary_result_type_wrapperINS8_3SumESH_iEEEE10hipError_tPvRmT1_T2_T3_mT4_P12ihipStream_tbEUlT_E0_NS1_11comp_targetILNS1_3genE10ELNS1_11target_archE1201ELNS1_3gpuE5ELNS1_3repE0EEENS1_30default_config_static_selectorELNS0_4arch9wavefront6targetE0EEEvSQ_
                                        ; -- End function
	.section	.AMDGPU.csdata,"",@progbits
; Kernel info:
; codeLenInByte = 0
; NumSgprs: 0
; NumVgprs: 0
; ScratchSize: 0
; MemoryBound: 0
; FloatMode: 240
; IeeeMode: 1
; LDSByteSize: 0 bytes/workgroup (compile time only)
; SGPRBlocks: 0
; VGPRBlocks: 0
; NumSGPRsForWavesPerEU: 1
; NumVGPRsForWavesPerEU: 1
; Occupancy: 16
; WaveLimiterHint : 0
; COMPUTE_PGM_RSRC2:SCRATCH_EN: 0
; COMPUTE_PGM_RSRC2:USER_SGPR: 15
; COMPUTE_PGM_RSRC2:TRAP_HANDLER: 0
; COMPUTE_PGM_RSRC2:TGID_X_EN: 1
; COMPUTE_PGM_RSRC2:TGID_Y_EN: 0
; COMPUTE_PGM_RSRC2:TGID_Z_EN: 0
; COMPUTE_PGM_RSRC2:TIDIG_COMP_CNT: 0
	.section	.text._ZN7rocprim17ROCPRIM_400000_NS6detail17trampoline_kernelINS0_14default_configENS1_22reduce_config_selectorIbEEZNS1_11reduce_implILb1ES3_N6hipcub16HIPCUB_304000_NS22TransformInputIteratorIbN2at6native12_GLOBAL__N_19NonZeroOpIhEEPKhlEEPiiNS8_6detail34convert_binary_result_type_wrapperINS8_3SumESH_iEEEE10hipError_tPvRmT1_T2_T3_mT4_P12ihipStream_tbEUlT_E0_NS1_11comp_targetILNS1_3genE10ELNS1_11target_archE1200ELNS1_3gpuE4ELNS1_3repE0EEENS1_30default_config_static_selectorELNS0_4arch9wavefront6targetE0EEEvSQ_,"axG",@progbits,_ZN7rocprim17ROCPRIM_400000_NS6detail17trampoline_kernelINS0_14default_configENS1_22reduce_config_selectorIbEEZNS1_11reduce_implILb1ES3_N6hipcub16HIPCUB_304000_NS22TransformInputIteratorIbN2at6native12_GLOBAL__N_19NonZeroOpIhEEPKhlEEPiiNS8_6detail34convert_binary_result_type_wrapperINS8_3SumESH_iEEEE10hipError_tPvRmT1_T2_T3_mT4_P12ihipStream_tbEUlT_E0_NS1_11comp_targetILNS1_3genE10ELNS1_11target_archE1200ELNS1_3gpuE4ELNS1_3repE0EEENS1_30default_config_static_selectorELNS0_4arch9wavefront6targetE0EEEvSQ_,comdat
	.globl	_ZN7rocprim17ROCPRIM_400000_NS6detail17trampoline_kernelINS0_14default_configENS1_22reduce_config_selectorIbEEZNS1_11reduce_implILb1ES3_N6hipcub16HIPCUB_304000_NS22TransformInputIteratorIbN2at6native12_GLOBAL__N_19NonZeroOpIhEEPKhlEEPiiNS8_6detail34convert_binary_result_type_wrapperINS8_3SumESH_iEEEE10hipError_tPvRmT1_T2_T3_mT4_P12ihipStream_tbEUlT_E0_NS1_11comp_targetILNS1_3genE10ELNS1_11target_archE1200ELNS1_3gpuE4ELNS1_3repE0EEENS1_30default_config_static_selectorELNS0_4arch9wavefront6targetE0EEEvSQ_ ; -- Begin function _ZN7rocprim17ROCPRIM_400000_NS6detail17trampoline_kernelINS0_14default_configENS1_22reduce_config_selectorIbEEZNS1_11reduce_implILb1ES3_N6hipcub16HIPCUB_304000_NS22TransformInputIteratorIbN2at6native12_GLOBAL__N_19NonZeroOpIhEEPKhlEEPiiNS8_6detail34convert_binary_result_type_wrapperINS8_3SumESH_iEEEE10hipError_tPvRmT1_T2_T3_mT4_P12ihipStream_tbEUlT_E0_NS1_11comp_targetILNS1_3genE10ELNS1_11target_archE1200ELNS1_3gpuE4ELNS1_3repE0EEENS1_30default_config_static_selectorELNS0_4arch9wavefront6targetE0EEEvSQ_
	.p2align	8
	.type	_ZN7rocprim17ROCPRIM_400000_NS6detail17trampoline_kernelINS0_14default_configENS1_22reduce_config_selectorIbEEZNS1_11reduce_implILb1ES3_N6hipcub16HIPCUB_304000_NS22TransformInputIteratorIbN2at6native12_GLOBAL__N_19NonZeroOpIhEEPKhlEEPiiNS8_6detail34convert_binary_result_type_wrapperINS8_3SumESH_iEEEE10hipError_tPvRmT1_T2_T3_mT4_P12ihipStream_tbEUlT_E0_NS1_11comp_targetILNS1_3genE10ELNS1_11target_archE1200ELNS1_3gpuE4ELNS1_3repE0EEENS1_30default_config_static_selectorELNS0_4arch9wavefront6targetE0EEEvSQ_,@function
_ZN7rocprim17ROCPRIM_400000_NS6detail17trampoline_kernelINS0_14default_configENS1_22reduce_config_selectorIbEEZNS1_11reduce_implILb1ES3_N6hipcub16HIPCUB_304000_NS22TransformInputIteratorIbN2at6native12_GLOBAL__N_19NonZeroOpIhEEPKhlEEPiiNS8_6detail34convert_binary_result_type_wrapperINS8_3SumESH_iEEEE10hipError_tPvRmT1_T2_T3_mT4_P12ihipStream_tbEUlT_E0_NS1_11comp_targetILNS1_3genE10ELNS1_11target_archE1200ELNS1_3gpuE4ELNS1_3repE0EEENS1_30default_config_static_selectorELNS0_4arch9wavefront6targetE0EEEvSQ_: ; @_ZN7rocprim17ROCPRIM_400000_NS6detail17trampoline_kernelINS0_14default_configENS1_22reduce_config_selectorIbEEZNS1_11reduce_implILb1ES3_N6hipcub16HIPCUB_304000_NS22TransformInputIteratorIbN2at6native12_GLOBAL__N_19NonZeroOpIhEEPKhlEEPiiNS8_6detail34convert_binary_result_type_wrapperINS8_3SumESH_iEEEE10hipError_tPvRmT1_T2_T3_mT4_P12ihipStream_tbEUlT_E0_NS1_11comp_targetILNS1_3genE10ELNS1_11target_archE1200ELNS1_3gpuE4ELNS1_3repE0EEENS1_30default_config_static_selectorELNS0_4arch9wavefront6targetE0EEEvSQ_
; %bb.0:
	.section	.rodata,"a",@progbits
	.p2align	6, 0x0
	.amdhsa_kernel _ZN7rocprim17ROCPRIM_400000_NS6detail17trampoline_kernelINS0_14default_configENS1_22reduce_config_selectorIbEEZNS1_11reduce_implILb1ES3_N6hipcub16HIPCUB_304000_NS22TransformInputIteratorIbN2at6native12_GLOBAL__N_19NonZeroOpIhEEPKhlEEPiiNS8_6detail34convert_binary_result_type_wrapperINS8_3SumESH_iEEEE10hipError_tPvRmT1_T2_T3_mT4_P12ihipStream_tbEUlT_E0_NS1_11comp_targetILNS1_3genE10ELNS1_11target_archE1200ELNS1_3gpuE4ELNS1_3repE0EEENS1_30default_config_static_selectorELNS0_4arch9wavefront6targetE0EEEvSQ_
		.amdhsa_group_segment_fixed_size 0
		.amdhsa_private_segment_fixed_size 0
		.amdhsa_kernarg_size 64
		.amdhsa_user_sgpr_count 15
		.amdhsa_user_sgpr_dispatch_ptr 0
		.amdhsa_user_sgpr_queue_ptr 0
		.amdhsa_user_sgpr_kernarg_segment_ptr 1
		.amdhsa_user_sgpr_dispatch_id 0
		.amdhsa_user_sgpr_private_segment_size 0
		.amdhsa_wavefront_size32 1
		.amdhsa_uses_dynamic_stack 0
		.amdhsa_enable_private_segment 0
		.amdhsa_system_sgpr_workgroup_id_x 1
		.amdhsa_system_sgpr_workgroup_id_y 0
		.amdhsa_system_sgpr_workgroup_id_z 0
		.amdhsa_system_sgpr_workgroup_info 0
		.amdhsa_system_vgpr_workitem_id 0
		.amdhsa_next_free_vgpr 1
		.amdhsa_next_free_sgpr 1
		.amdhsa_reserve_vcc 0
		.amdhsa_float_round_mode_32 0
		.amdhsa_float_round_mode_16_64 0
		.amdhsa_float_denorm_mode_32 3
		.amdhsa_float_denorm_mode_16_64 3
		.amdhsa_dx10_clamp 1
		.amdhsa_ieee_mode 1
		.amdhsa_fp16_overflow 0
		.amdhsa_workgroup_processor_mode 1
		.amdhsa_memory_ordered 1
		.amdhsa_forward_progress 0
		.amdhsa_shared_vgpr_count 0
		.amdhsa_exception_fp_ieee_invalid_op 0
		.amdhsa_exception_fp_denorm_src 0
		.amdhsa_exception_fp_ieee_div_zero 0
		.amdhsa_exception_fp_ieee_overflow 0
		.amdhsa_exception_fp_ieee_underflow 0
		.amdhsa_exception_fp_ieee_inexact 0
		.amdhsa_exception_int_div_zero 0
	.end_amdhsa_kernel
	.section	.text._ZN7rocprim17ROCPRIM_400000_NS6detail17trampoline_kernelINS0_14default_configENS1_22reduce_config_selectorIbEEZNS1_11reduce_implILb1ES3_N6hipcub16HIPCUB_304000_NS22TransformInputIteratorIbN2at6native12_GLOBAL__N_19NonZeroOpIhEEPKhlEEPiiNS8_6detail34convert_binary_result_type_wrapperINS8_3SumESH_iEEEE10hipError_tPvRmT1_T2_T3_mT4_P12ihipStream_tbEUlT_E0_NS1_11comp_targetILNS1_3genE10ELNS1_11target_archE1200ELNS1_3gpuE4ELNS1_3repE0EEENS1_30default_config_static_selectorELNS0_4arch9wavefront6targetE0EEEvSQ_,"axG",@progbits,_ZN7rocprim17ROCPRIM_400000_NS6detail17trampoline_kernelINS0_14default_configENS1_22reduce_config_selectorIbEEZNS1_11reduce_implILb1ES3_N6hipcub16HIPCUB_304000_NS22TransformInputIteratorIbN2at6native12_GLOBAL__N_19NonZeroOpIhEEPKhlEEPiiNS8_6detail34convert_binary_result_type_wrapperINS8_3SumESH_iEEEE10hipError_tPvRmT1_T2_T3_mT4_P12ihipStream_tbEUlT_E0_NS1_11comp_targetILNS1_3genE10ELNS1_11target_archE1200ELNS1_3gpuE4ELNS1_3repE0EEENS1_30default_config_static_selectorELNS0_4arch9wavefront6targetE0EEEvSQ_,comdat
.Lfunc_end25:
	.size	_ZN7rocprim17ROCPRIM_400000_NS6detail17trampoline_kernelINS0_14default_configENS1_22reduce_config_selectorIbEEZNS1_11reduce_implILb1ES3_N6hipcub16HIPCUB_304000_NS22TransformInputIteratorIbN2at6native12_GLOBAL__N_19NonZeroOpIhEEPKhlEEPiiNS8_6detail34convert_binary_result_type_wrapperINS8_3SumESH_iEEEE10hipError_tPvRmT1_T2_T3_mT4_P12ihipStream_tbEUlT_E0_NS1_11comp_targetILNS1_3genE10ELNS1_11target_archE1200ELNS1_3gpuE4ELNS1_3repE0EEENS1_30default_config_static_selectorELNS0_4arch9wavefront6targetE0EEEvSQ_, .Lfunc_end25-_ZN7rocprim17ROCPRIM_400000_NS6detail17trampoline_kernelINS0_14default_configENS1_22reduce_config_selectorIbEEZNS1_11reduce_implILb1ES3_N6hipcub16HIPCUB_304000_NS22TransformInputIteratorIbN2at6native12_GLOBAL__N_19NonZeroOpIhEEPKhlEEPiiNS8_6detail34convert_binary_result_type_wrapperINS8_3SumESH_iEEEE10hipError_tPvRmT1_T2_T3_mT4_P12ihipStream_tbEUlT_E0_NS1_11comp_targetILNS1_3genE10ELNS1_11target_archE1200ELNS1_3gpuE4ELNS1_3repE0EEENS1_30default_config_static_selectorELNS0_4arch9wavefront6targetE0EEEvSQ_
                                        ; -- End function
	.section	.AMDGPU.csdata,"",@progbits
; Kernel info:
; codeLenInByte = 0
; NumSgprs: 0
; NumVgprs: 0
; ScratchSize: 0
; MemoryBound: 0
; FloatMode: 240
; IeeeMode: 1
; LDSByteSize: 0 bytes/workgroup (compile time only)
; SGPRBlocks: 0
; VGPRBlocks: 0
; NumSGPRsForWavesPerEU: 1
; NumVGPRsForWavesPerEU: 1
; Occupancy: 16
; WaveLimiterHint : 0
; COMPUTE_PGM_RSRC2:SCRATCH_EN: 0
; COMPUTE_PGM_RSRC2:USER_SGPR: 15
; COMPUTE_PGM_RSRC2:TRAP_HANDLER: 0
; COMPUTE_PGM_RSRC2:TGID_X_EN: 1
; COMPUTE_PGM_RSRC2:TGID_Y_EN: 0
; COMPUTE_PGM_RSRC2:TGID_Z_EN: 0
; COMPUTE_PGM_RSRC2:TIDIG_COMP_CNT: 0
	.section	.text._ZN7rocprim17ROCPRIM_400000_NS6detail17trampoline_kernelINS0_14default_configENS1_22reduce_config_selectorIbEEZNS1_11reduce_implILb1ES3_N6hipcub16HIPCUB_304000_NS22TransformInputIteratorIbN2at6native12_GLOBAL__N_19NonZeroOpIhEEPKhlEEPiiNS8_6detail34convert_binary_result_type_wrapperINS8_3SumESH_iEEEE10hipError_tPvRmT1_T2_T3_mT4_P12ihipStream_tbEUlT_E0_NS1_11comp_targetILNS1_3genE9ELNS1_11target_archE1100ELNS1_3gpuE3ELNS1_3repE0EEENS1_30default_config_static_selectorELNS0_4arch9wavefront6targetE0EEEvSQ_,"axG",@progbits,_ZN7rocprim17ROCPRIM_400000_NS6detail17trampoline_kernelINS0_14default_configENS1_22reduce_config_selectorIbEEZNS1_11reduce_implILb1ES3_N6hipcub16HIPCUB_304000_NS22TransformInputIteratorIbN2at6native12_GLOBAL__N_19NonZeroOpIhEEPKhlEEPiiNS8_6detail34convert_binary_result_type_wrapperINS8_3SumESH_iEEEE10hipError_tPvRmT1_T2_T3_mT4_P12ihipStream_tbEUlT_E0_NS1_11comp_targetILNS1_3genE9ELNS1_11target_archE1100ELNS1_3gpuE3ELNS1_3repE0EEENS1_30default_config_static_selectorELNS0_4arch9wavefront6targetE0EEEvSQ_,comdat
	.globl	_ZN7rocprim17ROCPRIM_400000_NS6detail17trampoline_kernelINS0_14default_configENS1_22reduce_config_selectorIbEEZNS1_11reduce_implILb1ES3_N6hipcub16HIPCUB_304000_NS22TransformInputIteratorIbN2at6native12_GLOBAL__N_19NonZeroOpIhEEPKhlEEPiiNS8_6detail34convert_binary_result_type_wrapperINS8_3SumESH_iEEEE10hipError_tPvRmT1_T2_T3_mT4_P12ihipStream_tbEUlT_E0_NS1_11comp_targetILNS1_3genE9ELNS1_11target_archE1100ELNS1_3gpuE3ELNS1_3repE0EEENS1_30default_config_static_selectorELNS0_4arch9wavefront6targetE0EEEvSQ_ ; -- Begin function _ZN7rocprim17ROCPRIM_400000_NS6detail17trampoline_kernelINS0_14default_configENS1_22reduce_config_selectorIbEEZNS1_11reduce_implILb1ES3_N6hipcub16HIPCUB_304000_NS22TransformInputIteratorIbN2at6native12_GLOBAL__N_19NonZeroOpIhEEPKhlEEPiiNS8_6detail34convert_binary_result_type_wrapperINS8_3SumESH_iEEEE10hipError_tPvRmT1_T2_T3_mT4_P12ihipStream_tbEUlT_E0_NS1_11comp_targetILNS1_3genE9ELNS1_11target_archE1100ELNS1_3gpuE3ELNS1_3repE0EEENS1_30default_config_static_selectorELNS0_4arch9wavefront6targetE0EEEvSQ_
	.p2align	8
	.type	_ZN7rocprim17ROCPRIM_400000_NS6detail17trampoline_kernelINS0_14default_configENS1_22reduce_config_selectorIbEEZNS1_11reduce_implILb1ES3_N6hipcub16HIPCUB_304000_NS22TransformInputIteratorIbN2at6native12_GLOBAL__N_19NonZeroOpIhEEPKhlEEPiiNS8_6detail34convert_binary_result_type_wrapperINS8_3SumESH_iEEEE10hipError_tPvRmT1_T2_T3_mT4_P12ihipStream_tbEUlT_E0_NS1_11comp_targetILNS1_3genE9ELNS1_11target_archE1100ELNS1_3gpuE3ELNS1_3repE0EEENS1_30default_config_static_selectorELNS0_4arch9wavefront6targetE0EEEvSQ_,@function
_ZN7rocprim17ROCPRIM_400000_NS6detail17trampoline_kernelINS0_14default_configENS1_22reduce_config_selectorIbEEZNS1_11reduce_implILb1ES3_N6hipcub16HIPCUB_304000_NS22TransformInputIteratorIbN2at6native12_GLOBAL__N_19NonZeroOpIhEEPKhlEEPiiNS8_6detail34convert_binary_result_type_wrapperINS8_3SumESH_iEEEE10hipError_tPvRmT1_T2_T3_mT4_P12ihipStream_tbEUlT_E0_NS1_11comp_targetILNS1_3genE9ELNS1_11target_archE1100ELNS1_3gpuE3ELNS1_3repE0EEENS1_30default_config_static_selectorELNS0_4arch9wavefront6targetE0EEEvSQ_: ; @_ZN7rocprim17ROCPRIM_400000_NS6detail17trampoline_kernelINS0_14default_configENS1_22reduce_config_selectorIbEEZNS1_11reduce_implILb1ES3_N6hipcub16HIPCUB_304000_NS22TransformInputIteratorIbN2at6native12_GLOBAL__N_19NonZeroOpIhEEPKhlEEPiiNS8_6detail34convert_binary_result_type_wrapperINS8_3SumESH_iEEEE10hipError_tPvRmT1_T2_T3_mT4_P12ihipStream_tbEUlT_E0_NS1_11comp_targetILNS1_3genE9ELNS1_11target_archE1100ELNS1_3gpuE3ELNS1_3repE0EEENS1_30default_config_static_selectorELNS0_4arch9wavefront6targetE0EEEvSQ_
; %bb.0:
	s_clause 0x2
	s_load_b64 s[2:3], s[0:1], 0x0
	s_load_b256 s[16:23], s[0:1], 0x10
	s_load_b64 s[26:27], s[0:1], 0x30
	v_mbcnt_lo_u32_b32 v17, -1, 0
	s_mov_b32 s24, s15
	s_mov_b32 s25, 0
	s_waitcnt lgkmcnt(0)
	s_add_u32 s6, s2, s16
	s_addc_u32 s3, s3, s17
	s_lshl_b32 s2, s15, 11
	s_lshr_b64 s[4:5], s[18:19], 11
	s_add_u32 s16, s6, s2
	s_addc_u32 s17, s3, 0
	s_cmp_lg_u64 s[4:5], s[24:25]
	s_cbranch_scc0 .LBB26_6
; %bb.1:
	s_clause 0xf
	global_load_u8 v1, v0, s[16:17]
	global_load_u8 v2, v0, s[16:17] offset:256
	global_load_u8 v3, v0, s[16:17] offset:128
	;; [unrolled: 1-line block ×15, first 2 shown]
	s_mov_b32 s3, exec_lo
	s_waitcnt vmcnt(15)
	v_cmp_ne_u16_e32 vcc_lo, 0, v1
	v_cndmask_b32_e64 v1, 0, 1, vcc_lo
	s_waitcnt vmcnt(14)
	v_cmp_ne_u16_e32 vcc_lo, 0, v2
	v_cndmask_b32_e64 v2, 0, 1, vcc_lo
	s_waitcnt vmcnt(13)
	v_cmp_ne_u16_e32 vcc_lo, 0, v3
	v_add_co_ci_u32_e32 v1, vcc_lo, 0, v1, vcc_lo
	s_waitcnt vmcnt(12)
	v_cmp_ne_u16_e32 vcc_lo, 0, v4
	v_cndmask_b32_e64 v3, 0, 1, vcc_lo
	s_waitcnt vmcnt(11)
	v_cmp_ne_u16_e32 vcc_lo, 0, v5
	v_add_co_ci_u32_e32 v1, vcc_lo, v1, v2, vcc_lo
	;; [unrolled: 6-line block ×7, first 2 shown]
	s_waitcnt vmcnt(0)
	v_cmp_ne_u16_e32 vcc_lo, 0, v16
	s_delay_alu instid0(VALU_DEP_2) | instskip(NEXT) | instid1(VALU_DEP_1)
	v_add_co_ci_u32_e32 v1, vcc_lo, v1, v2, vcc_lo
	v_mov_b32_dpp v2, v1 quad_perm:[1,0,3,2] row_mask:0xf bank_mask:0xf
	s_delay_alu instid0(VALU_DEP_1) | instskip(NEXT) | instid1(VALU_DEP_1)
	v_add_nc_u32_e32 v1, v1, v2
	v_mov_b32_dpp v2, v1 quad_perm:[2,3,0,1] row_mask:0xf bank_mask:0xf
	s_delay_alu instid0(VALU_DEP_1) | instskip(NEXT) | instid1(VALU_DEP_1)
	v_add_nc_u32_e32 v1, v1, v2
	v_mov_b32_dpp v2, v1 row_ror:4 row_mask:0xf bank_mask:0xf
	s_delay_alu instid0(VALU_DEP_1) | instskip(NEXT) | instid1(VALU_DEP_1)
	v_add_nc_u32_e32 v1, v1, v2
	v_mov_b32_dpp v2, v1 row_ror:8 row_mask:0xf bank_mask:0xf
	s_delay_alu instid0(VALU_DEP_1)
	v_add_nc_u32_e32 v1, v1, v2
	ds_swizzle_b32 v2, v1 offset:swizzle(BROADCAST,32,15)
	s_waitcnt lgkmcnt(0)
	v_dual_mov_b32 v2, 0 :: v_dual_add_nc_u32 v1, v1, v2
	ds_bpermute_b32 v1, v2, v1 offset:124
	v_cmpx_eq_u32_e32 0, v17
	s_cbranch_execz .LBB26_3
; %bb.2:
	v_lshrrev_b32_e32 v2, 3, v0
	s_delay_alu instid0(VALU_DEP_1)
	v_and_b32_e32 v2, 12, v2
	s_waitcnt lgkmcnt(0)
	ds_store_b32 v2, v1
.LBB26_3:
	s_or_b32 exec_lo, exec_lo, s3
	s_delay_alu instid0(SALU_CYCLE_1)
	s_mov_b32 s3, exec_lo
	s_waitcnt lgkmcnt(0)
	s_barrier
	buffer_gl0_inv
	v_cmpx_gt_u32_e32 32, v0
	s_cbranch_execz .LBB26_5
; %bb.4:
	v_and_b32_e32 v1, 3, v17
	s_delay_alu instid0(VALU_DEP_1) | instskip(SKIP_4) | instid1(VALU_DEP_2)
	v_lshlrev_b32_e32 v2, 2, v1
	v_cmp_ne_u32_e32 vcc_lo, 3, v1
	ds_load_b32 v2, v2
	v_add_co_ci_u32_e32 v3, vcc_lo, 0, v17, vcc_lo
	v_cmp_gt_u32_e32 vcc_lo, 2, v1
	v_lshlrev_b32_e32 v3, 2, v3
	v_cndmask_b32_e64 v1, 0, 1, vcc_lo
	s_delay_alu instid0(VALU_DEP_1) | instskip(NEXT) | instid1(VALU_DEP_1)
	v_lshlrev_b32_e32 v1, 1, v1
	v_add_lshl_u32 v1, v1, v17, 2
	s_waitcnt lgkmcnt(0)
	ds_bpermute_b32 v3, v3, v2
	s_waitcnt lgkmcnt(0)
	v_add_nc_u32_e32 v2, v3, v2
	ds_bpermute_b32 v1, v1, v2
	s_waitcnt lgkmcnt(0)
	v_add_nc_u32_e32 v1, v1, v2
.LBB26_5:
	s_or_b32 exec_lo, exec_lo, s3
	s_branch .LBB26_44
.LBB26_6:
                                        ; implicit-def: $vgpr1
	s_cbranch_execz .LBB26_44
; %bb.7:
	s_sub_i32 s28, s18, s2
	s_mov_b32 s2, exec_lo
                                        ; implicit-def: $vgpr1_vgpr2_vgpr3_vgpr4_vgpr5_vgpr6_vgpr7_vgpr8_vgpr9_vgpr10_vgpr11_vgpr12_vgpr13_vgpr14_vgpr15_vgpr16
	v_cmpx_gt_u32_e64 s28, v0
	s_cbranch_execz .LBB26_9
; %bb.8:
	global_load_u8 v1, v0, s[16:17]
	s_waitcnt vmcnt(0)
	v_cmp_ne_u16_e32 vcc_lo, 0, v1
	v_cndmask_b32_e64 v1, 0, 1, vcc_lo
.LBB26_9:
	s_or_b32 exec_lo, exec_lo, s2
	v_or_b32_e32 v18, 0x80, v0
	s_delay_alu instid0(VALU_DEP_1)
	v_cmp_gt_u32_e32 vcc_lo, s28, v18
	s_and_saveexec_b32 s3, vcc_lo
	s_cbranch_execz .LBB26_11
; %bb.10:
	global_load_u8 v2, v0, s[16:17] offset:128
	s_waitcnt vmcnt(0)
	v_cmp_ne_u16_e64 s2, 0, v2
	s_delay_alu instid0(VALU_DEP_1)
	v_cndmask_b32_e64 v2, 0, 1, s2
.LBB26_11:
	s_or_b32 exec_lo, exec_lo, s3
	v_or_b32_e32 v18, 0x100, v0
	s_delay_alu instid0(VALU_DEP_1) | instskip(NEXT) | instid1(VALU_DEP_1)
	v_cmp_gt_u32_e64 s2, s28, v18
	s_and_saveexec_b32 s4, s2
	s_cbranch_execz .LBB26_13
; %bb.12:
	global_load_u8 v3, v0, s[16:17] offset:256
	s_waitcnt vmcnt(0)
	v_cmp_ne_u16_e64 s3, 0, v3
	s_delay_alu instid0(VALU_DEP_1)
	v_cndmask_b32_e64 v3, 0, 1, s3
.LBB26_13:
	s_or_b32 exec_lo, exec_lo, s4
	v_or_b32_e32 v18, 0x180, v0
	s_delay_alu instid0(VALU_DEP_1) | instskip(NEXT) | instid1(VALU_DEP_1)
	v_cmp_gt_u32_e64 s3, s28, v18
	s_and_saveexec_b32 s5, s3
	;; [unrolled: 13-line block ×14, first 2 shown]
	s_cbranch_execz .LBB26_39
; %bb.38:
	global_load_u8 v16, v0, s[16:17] offset:1920
	s_waitcnt vmcnt(0)
	v_cmp_ne_u16_e64 s16, 0, v16
	s_delay_alu instid0(VALU_DEP_1)
	v_cndmask_b32_e64 v16, 0, 1, s16
.LBB26_39:
	s_or_b32 exec_lo, exec_lo, s29
	v_cndmask_b32_e32 v2, 0, v2, vcc_lo
	v_cndmask_b32_e64 v3, 0, v3, s2
	v_cndmask_b32_e64 v4, 0, v4, s3
	v_cmp_ne_u32_e32 vcc_lo, 31, v17
	s_min_u32 s2, s28, 0x80
	v_add_nc_u32_e32 v1, v2, v1
	v_cndmask_b32_e64 v2, 0, v5, s4
	v_cndmask_b32_e64 v5, 0, v6, s5
	;; [unrolled: 1-line block ×3, first 2 shown]
	s_mov_b32 s3, exec_lo
	v_add3_u32 v1, v1, v3, v4
	v_cndmask_b32_e64 v3, 0, v7, s6
	v_cndmask_b32_e64 v4, 0, v8, s7
	s_delay_alu instid0(VALU_DEP_3) | instskip(SKIP_2) | instid1(VALU_DEP_3)
	v_add3_u32 v1, v1, v2, v5
	v_cndmask_b32_e64 v2, 0, v9, s8
	v_cndmask_b32_e64 v5, 0, v10, s9
	v_add3_u32 v1, v1, v3, v4
	v_cndmask_b32_e64 v3, 0, v11, s10
	v_cndmask_b32_e64 v4, 0, v12, s11
	s_delay_alu instid0(VALU_DEP_3) | instskip(SKIP_2) | instid1(VALU_DEP_3)
	v_add3_u32 v1, v1, v2, v5
	v_cndmask_b32_e64 v2, 0, v13, s12
	v_cndmask_b32_e64 v5, 0, v14, s13
	v_add3_u32 v1, v1, v3, v4
	v_cndmask_b32_e64 v3, 0, v16, s15
	v_add_co_ci_u32_e32 v4, vcc_lo, 0, v17, vcc_lo
	v_cmp_gt_u32_e32 vcc_lo, 30, v17
	s_delay_alu instid0(VALU_DEP_4) | instskip(NEXT) | instid1(VALU_DEP_3)
	v_add3_u32 v1, v1, v2, v5
	v_lshlrev_b32_e32 v2, 2, v4
	v_add_nc_u32_e32 v4, 1, v17
	v_cndmask_b32_e64 v5, 0, 1, vcc_lo
	s_delay_alu instid0(VALU_DEP_4) | instskip(SKIP_1) | instid1(VALU_DEP_3)
	v_add3_u32 v1, v1, v6, v3
	v_and_b32_e32 v3, 0x60, v0
	v_lshlrev_b32_e32 v5, 1, v5
	ds_bpermute_b32 v2, v2, v1
	v_sub_nc_u32_e64 v3, s2, v3 clamp
	s_delay_alu instid0(VALU_DEP_1) | instskip(SKIP_4) | instid1(VALU_DEP_2)
	v_cmp_lt_u32_e32 vcc_lo, v4, v3
	v_add_lshl_u32 v4, v5, v17, 2
	s_waitcnt lgkmcnt(0)
	v_dual_cndmask_b32 v2, 0, v2 :: v_dual_add_nc_u32 v5, 2, v17
	v_cmp_gt_u32_e32 vcc_lo, 28, v17
	v_add_nc_u32_e32 v1, v1, v2
	ds_bpermute_b32 v2, v4, v1
	v_cndmask_b32_e64 v4, 0, 1, vcc_lo
	v_cmp_lt_u32_e32 vcc_lo, v5, v3
	v_add_nc_u32_e32 v5, 4, v17
	s_delay_alu instid0(VALU_DEP_3) | instskip(NEXT) | instid1(VALU_DEP_1)
	v_lshlrev_b32_e32 v4, 2, v4
	v_add_lshl_u32 v4, v4, v17, 2
	s_waitcnt lgkmcnt(0)
	v_cndmask_b32_e32 v2, 0, v2, vcc_lo
	v_cmp_gt_u32_e32 vcc_lo, 24, v17
	s_delay_alu instid0(VALU_DEP_2) | instskip(SKIP_4) | instid1(VALU_DEP_3)
	v_add_nc_u32_e32 v1, v1, v2
	ds_bpermute_b32 v2, v4, v1
	v_cndmask_b32_e64 v4, 0, 1, vcc_lo
	v_cmp_lt_u32_e32 vcc_lo, v5, v3
	v_add_nc_u32_e32 v5, 8, v17
	v_lshlrev_b32_e32 v4, 3, v4
	s_delay_alu instid0(VALU_DEP_1) | instskip(SKIP_3) | instid1(VALU_DEP_2)
	v_add_lshl_u32 v4, v4, v17, 2
	s_waitcnt lgkmcnt(0)
	v_cndmask_b32_e32 v2, 0, v2, vcc_lo
	v_cmp_gt_u32_e32 vcc_lo, 16, v17
	v_add_nc_u32_e32 v1, v1, v2
	ds_bpermute_b32 v2, v4, v1
	v_cndmask_b32_e64 v4, 0, 1, vcc_lo
	v_cmp_lt_u32_e32 vcc_lo, v5, v3
	s_delay_alu instid0(VALU_DEP_2) | instskip(NEXT) | instid1(VALU_DEP_1)
	v_lshlrev_b32_e32 v4, 4, v4
	v_add_lshl_u32 v4, v4, v17, 2
	s_waitcnt lgkmcnt(0)
	v_cndmask_b32_e32 v2, 0, v2, vcc_lo
	s_delay_alu instid0(VALU_DEP_1) | instskip(SKIP_2) | instid1(VALU_DEP_1)
	v_add_nc_u32_e32 v1, v1, v2
	ds_bpermute_b32 v2, v4, v1
	v_add_nc_u32_e32 v4, 16, v17
	v_cmp_lt_u32_e32 vcc_lo, v4, v3
	s_waitcnt lgkmcnt(0)
	v_cndmask_b32_e32 v2, 0, v2, vcc_lo
	s_delay_alu instid0(VALU_DEP_1)
	v_add_nc_u32_e32 v1, v1, v2
	v_cmpx_eq_u32_e32 0, v17
	s_cbranch_execz .LBB26_41
; %bb.40:
	v_lshrrev_b32_e32 v2, 3, v0
	s_delay_alu instid0(VALU_DEP_1)
	v_and_b32_e32 v2, 12, v2
	ds_store_b32 v2, v1 offset:16
.LBB26_41:
	s_or_b32 exec_lo, exec_lo, s3
	s_delay_alu instid0(SALU_CYCLE_1)
	s_mov_b32 s3, exec_lo
	s_waitcnt lgkmcnt(0)
	s_barrier
	buffer_gl0_inv
	v_cmpx_gt_u32_e32 4, v0
	s_cbranch_execz .LBB26_43
; %bb.42:
	v_lshlrev_b32_e32 v1, 2, v17
	v_and_b32_e32 v2, 3, v17
	s_add_i32 s2, s2, 31
	s_delay_alu instid0(SALU_CYCLE_1)
	s_lshr_b32 s2, s2, 5
	ds_load_b32 v1, v1 offset:16
	v_cmp_ne_u32_e32 vcc_lo, 3, v2
	v_add_nc_u32_e32 v4, 1, v2
	v_add_co_ci_u32_e32 v3, vcc_lo, 0, v17, vcc_lo
	v_cmp_gt_u32_e32 vcc_lo, 2, v2
	s_delay_alu instid0(VALU_DEP_2) | instskip(SKIP_2) | instid1(VALU_DEP_2)
	v_lshlrev_b32_e32 v3, 2, v3
	v_cndmask_b32_e64 v5, 0, 1, vcc_lo
	v_cmp_gt_u32_e32 vcc_lo, s2, v4
	v_lshlrev_b32_e32 v4, 1, v5
	s_waitcnt lgkmcnt(0)
	ds_bpermute_b32 v3, v3, v1
	s_waitcnt lgkmcnt(0)
	v_dual_cndmask_b32 v3, 0, v3 :: v_dual_add_nc_u32 v2, 2, v2
	s_delay_alu instid0(VALU_DEP_1) | instskip(SKIP_1) | instid1(VALU_DEP_3)
	v_add_nc_u32_e32 v1, v3, v1
	v_add_lshl_u32 v3, v4, v17, 2
	v_cmp_gt_u32_e32 vcc_lo, s2, v2
	ds_bpermute_b32 v3, v3, v1
	s_waitcnt lgkmcnt(0)
	v_cndmask_b32_e32 v2, 0, v3, vcc_lo
	s_delay_alu instid0(VALU_DEP_1)
	v_add_nc_u32_e32 v1, v1, v2
.LBB26_43:
	s_or_b32 exec_lo, exec_lo, s3
.LBB26_44:
	s_load_b32 s0, s[0:1], 0x38
	s_mov_b32 s1, exec_lo
	v_cmpx_eq_u32_e32 0, v0
	s_cbranch_execz .LBB26_46
; %bb.45:
	s_mul_i32 s1, s26, s23
	s_mul_hi_u32 s2, s26, s22
	s_mul_i32 s3, s27, s22
	s_add_i32 s1, s2, s1
	s_mul_i32 s2, s26, s22
	s_add_i32 s3, s1, s3
	s_delay_alu instid0(SALU_CYCLE_1) | instskip(NEXT) | instid1(SALU_CYCLE_1)
	s_lshl_b64 s[2:3], s[2:3], 2
	s_add_u32 s2, s20, s2
	s_addc_u32 s3, s21, s3
	s_cmp_eq_u64 s[18:19], 0
	s_cselect_b32 s1, -1, 0
	s_waitcnt lgkmcnt(0)
	v_cndmask_b32_e64 v0, v1, s0, s1
	s_lshl_b64 s[0:1], s[24:25], 2
	v_mov_b32_e32 v1, 0
	s_add_u32 s0, s2, s0
	s_addc_u32 s1, s3, s1
	global_store_b32 v1, v0, s[0:1]
.LBB26_46:
	s_nop 0
	s_sendmsg sendmsg(MSG_DEALLOC_VGPRS)
	s_endpgm
	.section	.rodata,"a",@progbits
	.p2align	6, 0x0
	.amdhsa_kernel _ZN7rocprim17ROCPRIM_400000_NS6detail17trampoline_kernelINS0_14default_configENS1_22reduce_config_selectorIbEEZNS1_11reduce_implILb1ES3_N6hipcub16HIPCUB_304000_NS22TransformInputIteratorIbN2at6native12_GLOBAL__N_19NonZeroOpIhEEPKhlEEPiiNS8_6detail34convert_binary_result_type_wrapperINS8_3SumESH_iEEEE10hipError_tPvRmT1_T2_T3_mT4_P12ihipStream_tbEUlT_E0_NS1_11comp_targetILNS1_3genE9ELNS1_11target_archE1100ELNS1_3gpuE3ELNS1_3repE0EEENS1_30default_config_static_selectorELNS0_4arch9wavefront6targetE0EEEvSQ_
		.amdhsa_group_segment_fixed_size 32
		.amdhsa_private_segment_fixed_size 0
		.amdhsa_kernarg_size 64
		.amdhsa_user_sgpr_count 15
		.amdhsa_user_sgpr_dispatch_ptr 0
		.amdhsa_user_sgpr_queue_ptr 0
		.amdhsa_user_sgpr_kernarg_segment_ptr 1
		.amdhsa_user_sgpr_dispatch_id 0
		.amdhsa_user_sgpr_private_segment_size 0
		.amdhsa_wavefront_size32 1
		.amdhsa_uses_dynamic_stack 0
		.amdhsa_enable_private_segment 0
		.amdhsa_system_sgpr_workgroup_id_x 1
		.amdhsa_system_sgpr_workgroup_id_y 0
		.amdhsa_system_sgpr_workgroup_id_z 0
		.amdhsa_system_sgpr_workgroup_info 0
		.amdhsa_system_vgpr_workitem_id 0
		.amdhsa_next_free_vgpr 19
		.amdhsa_next_free_sgpr 30
		.amdhsa_reserve_vcc 1
		.amdhsa_float_round_mode_32 0
		.amdhsa_float_round_mode_16_64 0
		.amdhsa_float_denorm_mode_32 3
		.amdhsa_float_denorm_mode_16_64 3
		.amdhsa_dx10_clamp 1
		.amdhsa_ieee_mode 1
		.amdhsa_fp16_overflow 0
		.amdhsa_workgroup_processor_mode 1
		.amdhsa_memory_ordered 1
		.amdhsa_forward_progress 0
		.amdhsa_shared_vgpr_count 0
		.amdhsa_exception_fp_ieee_invalid_op 0
		.amdhsa_exception_fp_denorm_src 0
		.amdhsa_exception_fp_ieee_div_zero 0
		.amdhsa_exception_fp_ieee_overflow 0
		.amdhsa_exception_fp_ieee_underflow 0
		.amdhsa_exception_fp_ieee_inexact 0
		.amdhsa_exception_int_div_zero 0
	.end_amdhsa_kernel
	.section	.text._ZN7rocprim17ROCPRIM_400000_NS6detail17trampoline_kernelINS0_14default_configENS1_22reduce_config_selectorIbEEZNS1_11reduce_implILb1ES3_N6hipcub16HIPCUB_304000_NS22TransformInputIteratorIbN2at6native12_GLOBAL__N_19NonZeroOpIhEEPKhlEEPiiNS8_6detail34convert_binary_result_type_wrapperINS8_3SumESH_iEEEE10hipError_tPvRmT1_T2_T3_mT4_P12ihipStream_tbEUlT_E0_NS1_11comp_targetILNS1_3genE9ELNS1_11target_archE1100ELNS1_3gpuE3ELNS1_3repE0EEENS1_30default_config_static_selectorELNS0_4arch9wavefront6targetE0EEEvSQ_,"axG",@progbits,_ZN7rocprim17ROCPRIM_400000_NS6detail17trampoline_kernelINS0_14default_configENS1_22reduce_config_selectorIbEEZNS1_11reduce_implILb1ES3_N6hipcub16HIPCUB_304000_NS22TransformInputIteratorIbN2at6native12_GLOBAL__N_19NonZeroOpIhEEPKhlEEPiiNS8_6detail34convert_binary_result_type_wrapperINS8_3SumESH_iEEEE10hipError_tPvRmT1_T2_T3_mT4_P12ihipStream_tbEUlT_E0_NS1_11comp_targetILNS1_3genE9ELNS1_11target_archE1100ELNS1_3gpuE3ELNS1_3repE0EEENS1_30default_config_static_selectorELNS0_4arch9wavefront6targetE0EEEvSQ_,comdat
.Lfunc_end26:
	.size	_ZN7rocprim17ROCPRIM_400000_NS6detail17trampoline_kernelINS0_14default_configENS1_22reduce_config_selectorIbEEZNS1_11reduce_implILb1ES3_N6hipcub16HIPCUB_304000_NS22TransformInputIteratorIbN2at6native12_GLOBAL__N_19NonZeroOpIhEEPKhlEEPiiNS8_6detail34convert_binary_result_type_wrapperINS8_3SumESH_iEEEE10hipError_tPvRmT1_T2_T3_mT4_P12ihipStream_tbEUlT_E0_NS1_11comp_targetILNS1_3genE9ELNS1_11target_archE1100ELNS1_3gpuE3ELNS1_3repE0EEENS1_30default_config_static_selectorELNS0_4arch9wavefront6targetE0EEEvSQ_, .Lfunc_end26-_ZN7rocprim17ROCPRIM_400000_NS6detail17trampoline_kernelINS0_14default_configENS1_22reduce_config_selectorIbEEZNS1_11reduce_implILb1ES3_N6hipcub16HIPCUB_304000_NS22TransformInputIteratorIbN2at6native12_GLOBAL__N_19NonZeroOpIhEEPKhlEEPiiNS8_6detail34convert_binary_result_type_wrapperINS8_3SumESH_iEEEE10hipError_tPvRmT1_T2_T3_mT4_P12ihipStream_tbEUlT_E0_NS1_11comp_targetILNS1_3genE9ELNS1_11target_archE1100ELNS1_3gpuE3ELNS1_3repE0EEENS1_30default_config_static_selectorELNS0_4arch9wavefront6targetE0EEEvSQ_
                                        ; -- End function
	.section	.AMDGPU.csdata,"",@progbits
; Kernel info:
; codeLenInByte = 2532
; NumSgprs: 32
; NumVgprs: 19
; ScratchSize: 0
; MemoryBound: 0
; FloatMode: 240
; IeeeMode: 1
; LDSByteSize: 32 bytes/workgroup (compile time only)
; SGPRBlocks: 3
; VGPRBlocks: 2
; NumSGPRsForWavesPerEU: 32
; NumVGPRsForWavesPerEU: 19
; Occupancy: 16
; WaveLimiterHint : 1
; COMPUTE_PGM_RSRC2:SCRATCH_EN: 0
; COMPUTE_PGM_RSRC2:USER_SGPR: 15
; COMPUTE_PGM_RSRC2:TRAP_HANDLER: 0
; COMPUTE_PGM_RSRC2:TGID_X_EN: 1
; COMPUTE_PGM_RSRC2:TGID_Y_EN: 0
; COMPUTE_PGM_RSRC2:TGID_Z_EN: 0
; COMPUTE_PGM_RSRC2:TIDIG_COMP_CNT: 0
	.section	.text._ZN7rocprim17ROCPRIM_400000_NS6detail17trampoline_kernelINS0_14default_configENS1_22reduce_config_selectorIbEEZNS1_11reduce_implILb1ES3_N6hipcub16HIPCUB_304000_NS22TransformInputIteratorIbN2at6native12_GLOBAL__N_19NonZeroOpIhEEPKhlEEPiiNS8_6detail34convert_binary_result_type_wrapperINS8_3SumESH_iEEEE10hipError_tPvRmT1_T2_T3_mT4_P12ihipStream_tbEUlT_E0_NS1_11comp_targetILNS1_3genE8ELNS1_11target_archE1030ELNS1_3gpuE2ELNS1_3repE0EEENS1_30default_config_static_selectorELNS0_4arch9wavefront6targetE0EEEvSQ_,"axG",@progbits,_ZN7rocprim17ROCPRIM_400000_NS6detail17trampoline_kernelINS0_14default_configENS1_22reduce_config_selectorIbEEZNS1_11reduce_implILb1ES3_N6hipcub16HIPCUB_304000_NS22TransformInputIteratorIbN2at6native12_GLOBAL__N_19NonZeroOpIhEEPKhlEEPiiNS8_6detail34convert_binary_result_type_wrapperINS8_3SumESH_iEEEE10hipError_tPvRmT1_T2_T3_mT4_P12ihipStream_tbEUlT_E0_NS1_11comp_targetILNS1_3genE8ELNS1_11target_archE1030ELNS1_3gpuE2ELNS1_3repE0EEENS1_30default_config_static_selectorELNS0_4arch9wavefront6targetE0EEEvSQ_,comdat
	.globl	_ZN7rocprim17ROCPRIM_400000_NS6detail17trampoline_kernelINS0_14default_configENS1_22reduce_config_selectorIbEEZNS1_11reduce_implILb1ES3_N6hipcub16HIPCUB_304000_NS22TransformInputIteratorIbN2at6native12_GLOBAL__N_19NonZeroOpIhEEPKhlEEPiiNS8_6detail34convert_binary_result_type_wrapperINS8_3SumESH_iEEEE10hipError_tPvRmT1_T2_T3_mT4_P12ihipStream_tbEUlT_E0_NS1_11comp_targetILNS1_3genE8ELNS1_11target_archE1030ELNS1_3gpuE2ELNS1_3repE0EEENS1_30default_config_static_selectorELNS0_4arch9wavefront6targetE0EEEvSQ_ ; -- Begin function _ZN7rocprim17ROCPRIM_400000_NS6detail17trampoline_kernelINS0_14default_configENS1_22reduce_config_selectorIbEEZNS1_11reduce_implILb1ES3_N6hipcub16HIPCUB_304000_NS22TransformInputIteratorIbN2at6native12_GLOBAL__N_19NonZeroOpIhEEPKhlEEPiiNS8_6detail34convert_binary_result_type_wrapperINS8_3SumESH_iEEEE10hipError_tPvRmT1_T2_T3_mT4_P12ihipStream_tbEUlT_E0_NS1_11comp_targetILNS1_3genE8ELNS1_11target_archE1030ELNS1_3gpuE2ELNS1_3repE0EEENS1_30default_config_static_selectorELNS0_4arch9wavefront6targetE0EEEvSQ_
	.p2align	8
	.type	_ZN7rocprim17ROCPRIM_400000_NS6detail17trampoline_kernelINS0_14default_configENS1_22reduce_config_selectorIbEEZNS1_11reduce_implILb1ES3_N6hipcub16HIPCUB_304000_NS22TransformInputIteratorIbN2at6native12_GLOBAL__N_19NonZeroOpIhEEPKhlEEPiiNS8_6detail34convert_binary_result_type_wrapperINS8_3SumESH_iEEEE10hipError_tPvRmT1_T2_T3_mT4_P12ihipStream_tbEUlT_E0_NS1_11comp_targetILNS1_3genE8ELNS1_11target_archE1030ELNS1_3gpuE2ELNS1_3repE0EEENS1_30default_config_static_selectorELNS0_4arch9wavefront6targetE0EEEvSQ_,@function
_ZN7rocprim17ROCPRIM_400000_NS6detail17trampoline_kernelINS0_14default_configENS1_22reduce_config_selectorIbEEZNS1_11reduce_implILb1ES3_N6hipcub16HIPCUB_304000_NS22TransformInputIteratorIbN2at6native12_GLOBAL__N_19NonZeroOpIhEEPKhlEEPiiNS8_6detail34convert_binary_result_type_wrapperINS8_3SumESH_iEEEE10hipError_tPvRmT1_T2_T3_mT4_P12ihipStream_tbEUlT_E0_NS1_11comp_targetILNS1_3genE8ELNS1_11target_archE1030ELNS1_3gpuE2ELNS1_3repE0EEENS1_30default_config_static_selectorELNS0_4arch9wavefront6targetE0EEEvSQ_: ; @_ZN7rocprim17ROCPRIM_400000_NS6detail17trampoline_kernelINS0_14default_configENS1_22reduce_config_selectorIbEEZNS1_11reduce_implILb1ES3_N6hipcub16HIPCUB_304000_NS22TransformInputIteratorIbN2at6native12_GLOBAL__N_19NonZeroOpIhEEPKhlEEPiiNS8_6detail34convert_binary_result_type_wrapperINS8_3SumESH_iEEEE10hipError_tPvRmT1_T2_T3_mT4_P12ihipStream_tbEUlT_E0_NS1_11comp_targetILNS1_3genE8ELNS1_11target_archE1030ELNS1_3gpuE2ELNS1_3repE0EEENS1_30default_config_static_selectorELNS0_4arch9wavefront6targetE0EEEvSQ_
; %bb.0:
	.section	.rodata,"a",@progbits
	.p2align	6, 0x0
	.amdhsa_kernel _ZN7rocprim17ROCPRIM_400000_NS6detail17trampoline_kernelINS0_14default_configENS1_22reduce_config_selectorIbEEZNS1_11reduce_implILb1ES3_N6hipcub16HIPCUB_304000_NS22TransformInputIteratorIbN2at6native12_GLOBAL__N_19NonZeroOpIhEEPKhlEEPiiNS8_6detail34convert_binary_result_type_wrapperINS8_3SumESH_iEEEE10hipError_tPvRmT1_T2_T3_mT4_P12ihipStream_tbEUlT_E0_NS1_11comp_targetILNS1_3genE8ELNS1_11target_archE1030ELNS1_3gpuE2ELNS1_3repE0EEENS1_30default_config_static_selectorELNS0_4arch9wavefront6targetE0EEEvSQ_
		.amdhsa_group_segment_fixed_size 0
		.amdhsa_private_segment_fixed_size 0
		.amdhsa_kernarg_size 64
		.amdhsa_user_sgpr_count 15
		.amdhsa_user_sgpr_dispatch_ptr 0
		.amdhsa_user_sgpr_queue_ptr 0
		.amdhsa_user_sgpr_kernarg_segment_ptr 1
		.amdhsa_user_sgpr_dispatch_id 0
		.amdhsa_user_sgpr_private_segment_size 0
		.amdhsa_wavefront_size32 1
		.amdhsa_uses_dynamic_stack 0
		.amdhsa_enable_private_segment 0
		.amdhsa_system_sgpr_workgroup_id_x 1
		.amdhsa_system_sgpr_workgroup_id_y 0
		.amdhsa_system_sgpr_workgroup_id_z 0
		.amdhsa_system_sgpr_workgroup_info 0
		.amdhsa_system_vgpr_workitem_id 0
		.amdhsa_next_free_vgpr 1
		.amdhsa_next_free_sgpr 1
		.amdhsa_reserve_vcc 0
		.amdhsa_float_round_mode_32 0
		.amdhsa_float_round_mode_16_64 0
		.amdhsa_float_denorm_mode_32 3
		.amdhsa_float_denorm_mode_16_64 3
		.amdhsa_dx10_clamp 1
		.amdhsa_ieee_mode 1
		.amdhsa_fp16_overflow 0
		.amdhsa_workgroup_processor_mode 1
		.amdhsa_memory_ordered 1
		.amdhsa_forward_progress 0
		.amdhsa_shared_vgpr_count 0
		.amdhsa_exception_fp_ieee_invalid_op 0
		.amdhsa_exception_fp_denorm_src 0
		.amdhsa_exception_fp_ieee_div_zero 0
		.amdhsa_exception_fp_ieee_overflow 0
		.amdhsa_exception_fp_ieee_underflow 0
		.amdhsa_exception_fp_ieee_inexact 0
		.amdhsa_exception_int_div_zero 0
	.end_amdhsa_kernel
	.section	.text._ZN7rocprim17ROCPRIM_400000_NS6detail17trampoline_kernelINS0_14default_configENS1_22reduce_config_selectorIbEEZNS1_11reduce_implILb1ES3_N6hipcub16HIPCUB_304000_NS22TransformInputIteratorIbN2at6native12_GLOBAL__N_19NonZeroOpIhEEPKhlEEPiiNS8_6detail34convert_binary_result_type_wrapperINS8_3SumESH_iEEEE10hipError_tPvRmT1_T2_T3_mT4_P12ihipStream_tbEUlT_E0_NS1_11comp_targetILNS1_3genE8ELNS1_11target_archE1030ELNS1_3gpuE2ELNS1_3repE0EEENS1_30default_config_static_selectorELNS0_4arch9wavefront6targetE0EEEvSQ_,"axG",@progbits,_ZN7rocprim17ROCPRIM_400000_NS6detail17trampoline_kernelINS0_14default_configENS1_22reduce_config_selectorIbEEZNS1_11reduce_implILb1ES3_N6hipcub16HIPCUB_304000_NS22TransformInputIteratorIbN2at6native12_GLOBAL__N_19NonZeroOpIhEEPKhlEEPiiNS8_6detail34convert_binary_result_type_wrapperINS8_3SumESH_iEEEE10hipError_tPvRmT1_T2_T3_mT4_P12ihipStream_tbEUlT_E0_NS1_11comp_targetILNS1_3genE8ELNS1_11target_archE1030ELNS1_3gpuE2ELNS1_3repE0EEENS1_30default_config_static_selectorELNS0_4arch9wavefront6targetE0EEEvSQ_,comdat
.Lfunc_end27:
	.size	_ZN7rocprim17ROCPRIM_400000_NS6detail17trampoline_kernelINS0_14default_configENS1_22reduce_config_selectorIbEEZNS1_11reduce_implILb1ES3_N6hipcub16HIPCUB_304000_NS22TransformInputIteratorIbN2at6native12_GLOBAL__N_19NonZeroOpIhEEPKhlEEPiiNS8_6detail34convert_binary_result_type_wrapperINS8_3SumESH_iEEEE10hipError_tPvRmT1_T2_T3_mT4_P12ihipStream_tbEUlT_E0_NS1_11comp_targetILNS1_3genE8ELNS1_11target_archE1030ELNS1_3gpuE2ELNS1_3repE0EEENS1_30default_config_static_selectorELNS0_4arch9wavefront6targetE0EEEvSQ_, .Lfunc_end27-_ZN7rocprim17ROCPRIM_400000_NS6detail17trampoline_kernelINS0_14default_configENS1_22reduce_config_selectorIbEEZNS1_11reduce_implILb1ES3_N6hipcub16HIPCUB_304000_NS22TransformInputIteratorIbN2at6native12_GLOBAL__N_19NonZeroOpIhEEPKhlEEPiiNS8_6detail34convert_binary_result_type_wrapperINS8_3SumESH_iEEEE10hipError_tPvRmT1_T2_T3_mT4_P12ihipStream_tbEUlT_E0_NS1_11comp_targetILNS1_3genE8ELNS1_11target_archE1030ELNS1_3gpuE2ELNS1_3repE0EEENS1_30default_config_static_selectorELNS0_4arch9wavefront6targetE0EEEvSQ_
                                        ; -- End function
	.section	.AMDGPU.csdata,"",@progbits
; Kernel info:
; codeLenInByte = 0
; NumSgprs: 0
; NumVgprs: 0
; ScratchSize: 0
; MemoryBound: 0
; FloatMode: 240
; IeeeMode: 1
; LDSByteSize: 0 bytes/workgroup (compile time only)
; SGPRBlocks: 0
; VGPRBlocks: 0
; NumSGPRsForWavesPerEU: 1
; NumVGPRsForWavesPerEU: 1
; Occupancy: 16
; WaveLimiterHint : 0
; COMPUTE_PGM_RSRC2:SCRATCH_EN: 0
; COMPUTE_PGM_RSRC2:USER_SGPR: 15
; COMPUTE_PGM_RSRC2:TRAP_HANDLER: 0
; COMPUTE_PGM_RSRC2:TGID_X_EN: 1
; COMPUTE_PGM_RSRC2:TGID_Y_EN: 0
; COMPUTE_PGM_RSRC2:TGID_Z_EN: 0
; COMPUTE_PGM_RSRC2:TIDIG_COMP_CNT: 0
	.section	.text._ZN7rocprim17ROCPRIM_400000_NS6detail17trampoline_kernelINS0_14default_configENS1_22reduce_config_selectorIbEEZNS1_11reduce_implILb1ES3_N6hipcub16HIPCUB_304000_NS22TransformInputIteratorIbN2at6native12_GLOBAL__N_19NonZeroOpIhEEPKhlEEPiiNS8_6detail34convert_binary_result_type_wrapperINS8_3SumESH_iEEEE10hipError_tPvRmT1_T2_T3_mT4_P12ihipStream_tbEUlT_E1_NS1_11comp_targetILNS1_3genE0ELNS1_11target_archE4294967295ELNS1_3gpuE0ELNS1_3repE0EEENS1_30default_config_static_selectorELNS0_4arch9wavefront6targetE0EEEvSQ_,"axG",@progbits,_ZN7rocprim17ROCPRIM_400000_NS6detail17trampoline_kernelINS0_14default_configENS1_22reduce_config_selectorIbEEZNS1_11reduce_implILb1ES3_N6hipcub16HIPCUB_304000_NS22TransformInputIteratorIbN2at6native12_GLOBAL__N_19NonZeroOpIhEEPKhlEEPiiNS8_6detail34convert_binary_result_type_wrapperINS8_3SumESH_iEEEE10hipError_tPvRmT1_T2_T3_mT4_P12ihipStream_tbEUlT_E1_NS1_11comp_targetILNS1_3genE0ELNS1_11target_archE4294967295ELNS1_3gpuE0ELNS1_3repE0EEENS1_30default_config_static_selectorELNS0_4arch9wavefront6targetE0EEEvSQ_,comdat
	.globl	_ZN7rocprim17ROCPRIM_400000_NS6detail17trampoline_kernelINS0_14default_configENS1_22reduce_config_selectorIbEEZNS1_11reduce_implILb1ES3_N6hipcub16HIPCUB_304000_NS22TransformInputIteratorIbN2at6native12_GLOBAL__N_19NonZeroOpIhEEPKhlEEPiiNS8_6detail34convert_binary_result_type_wrapperINS8_3SumESH_iEEEE10hipError_tPvRmT1_T2_T3_mT4_P12ihipStream_tbEUlT_E1_NS1_11comp_targetILNS1_3genE0ELNS1_11target_archE4294967295ELNS1_3gpuE0ELNS1_3repE0EEENS1_30default_config_static_selectorELNS0_4arch9wavefront6targetE0EEEvSQ_ ; -- Begin function _ZN7rocprim17ROCPRIM_400000_NS6detail17trampoline_kernelINS0_14default_configENS1_22reduce_config_selectorIbEEZNS1_11reduce_implILb1ES3_N6hipcub16HIPCUB_304000_NS22TransformInputIteratorIbN2at6native12_GLOBAL__N_19NonZeroOpIhEEPKhlEEPiiNS8_6detail34convert_binary_result_type_wrapperINS8_3SumESH_iEEEE10hipError_tPvRmT1_T2_T3_mT4_P12ihipStream_tbEUlT_E1_NS1_11comp_targetILNS1_3genE0ELNS1_11target_archE4294967295ELNS1_3gpuE0ELNS1_3repE0EEENS1_30default_config_static_selectorELNS0_4arch9wavefront6targetE0EEEvSQ_
	.p2align	8
	.type	_ZN7rocprim17ROCPRIM_400000_NS6detail17trampoline_kernelINS0_14default_configENS1_22reduce_config_selectorIbEEZNS1_11reduce_implILb1ES3_N6hipcub16HIPCUB_304000_NS22TransformInputIteratorIbN2at6native12_GLOBAL__N_19NonZeroOpIhEEPKhlEEPiiNS8_6detail34convert_binary_result_type_wrapperINS8_3SumESH_iEEEE10hipError_tPvRmT1_T2_T3_mT4_P12ihipStream_tbEUlT_E1_NS1_11comp_targetILNS1_3genE0ELNS1_11target_archE4294967295ELNS1_3gpuE0ELNS1_3repE0EEENS1_30default_config_static_selectorELNS0_4arch9wavefront6targetE0EEEvSQ_,@function
_ZN7rocprim17ROCPRIM_400000_NS6detail17trampoline_kernelINS0_14default_configENS1_22reduce_config_selectorIbEEZNS1_11reduce_implILb1ES3_N6hipcub16HIPCUB_304000_NS22TransformInputIteratorIbN2at6native12_GLOBAL__N_19NonZeroOpIhEEPKhlEEPiiNS8_6detail34convert_binary_result_type_wrapperINS8_3SumESH_iEEEE10hipError_tPvRmT1_T2_T3_mT4_P12ihipStream_tbEUlT_E1_NS1_11comp_targetILNS1_3genE0ELNS1_11target_archE4294967295ELNS1_3gpuE0ELNS1_3repE0EEENS1_30default_config_static_selectorELNS0_4arch9wavefront6targetE0EEEvSQ_: ; @_ZN7rocprim17ROCPRIM_400000_NS6detail17trampoline_kernelINS0_14default_configENS1_22reduce_config_selectorIbEEZNS1_11reduce_implILb1ES3_N6hipcub16HIPCUB_304000_NS22TransformInputIteratorIbN2at6native12_GLOBAL__N_19NonZeroOpIhEEPKhlEEPiiNS8_6detail34convert_binary_result_type_wrapperINS8_3SumESH_iEEEE10hipError_tPvRmT1_T2_T3_mT4_P12ihipStream_tbEUlT_E1_NS1_11comp_targetILNS1_3genE0ELNS1_11target_archE4294967295ELNS1_3gpuE0ELNS1_3repE0EEENS1_30default_config_static_selectorELNS0_4arch9wavefront6targetE0EEEvSQ_
; %bb.0:
	.section	.rodata,"a",@progbits
	.p2align	6, 0x0
	.amdhsa_kernel _ZN7rocprim17ROCPRIM_400000_NS6detail17trampoline_kernelINS0_14default_configENS1_22reduce_config_selectorIbEEZNS1_11reduce_implILb1ES3_N6hipcub16HIPCUB_304000_NS22TransformInputIteratorIbN2at6native12_GLOBAL__N_19NonZeroOpIhEEPKhlEEPiiNS8_6detail34convert_binary_result_type_wrapperINS8_3SumESH_iEEEE10hipError_tPvRmT1_T2_T3_mT4_P12ihipStream_tbEUlT_E1_NS1_11comp_targetILNS1_3genE0ELNS1_11target_archE4294967295ELNS1_3gpuE0ELNS1_3repE0EEENS1_30default_config_static_selectorELNS0_4arch9wavefront6targetE0EEEvSQ_
		.amdhsa_group_segment_fixed_size 0
		.amdhsa_private_segment_fixed_size 0
		.amdhsa_kernarg_size 48
		.amdhsa_user_sgpr_count 15
		.amdhsa_user_sgpr_dispatch_ptr 0
		.amdhsa_user_sgpr_queue_ptr 0
		.amdhsa_user_sgpr_kernarg_segment_ptr 1
		.amdhsa_user_sgpr_dispatch_id 0
		.amdhsa_user_sgpr_private_segment_size 0
		.amdhsa_wavefront_size32 1
		.amdhsa_uses_dynamic_stack 0
		.amdhsa_enable_private_segment 0
		.amdhsa_system_sgpr_workgroup_id_x 1
		.amdhsa_system_sgpr_workgroup_id_y 0
		.amdhsa_system_sgpr_workgroup_id_z 0
		.amdhsa_system_sgpr_workgroup_info 0
		.amdhsa_system_vgpr_workitem_id 0
		.amdhsa_next_free_vgpr 1
		.amdhsa_next_free_sgpr 1
		.amdhsa_reserve_vcc 0
		.amdhsa_float_round_mode_32 0
		.amdhsa_float_round_mode_16_64 0
		.amdhsa_float_denorm_mode_32 3
		.amdhsa_float_denorm_mode_16_64 3
		.amdhsa_dx10_clamp 1
		.amdhsa_ieee_mode 1
		.amdhsa_fp16_overflow 0
		.amdhsa_workgroup_processor_mode 1
		.amdhsa_memory_ordered 1
		.amdhsa_forward_progress 0
		.amdhsa_shared_vgpr_count 0
		.amdhsa_exception_fp_ieee_invalid_op 0
		.amdhsa_exception_fp_denorm_src 0
		.amdhsa_exception_fp_ieee_div_zero 0
		.amdhsa_exception_fp_ieee_overflow 0
		.amdhsa_exception_fp_ieee_underflow 0
		.amdhsa_exception_fp_ieee_inexact 0
		.amdhsa_exception_int_div_zero 0
	.end_amdhsa_kernel
	.section	.text._ZN7rocprim17ROCPRIM_400000_NS6detail17trampoline_kernelINS0_14default_configENS1_22reduce_config_selectorIbEEZNS1_11reduce_implILb1ES3_N6hipcub16HIPCUB_304000_NS22TransformInputIteratorIbN2at6native12_GLOBAL__N_19NonZeroOpIhEEPKhlEEPiiNS8_6detail34convert_binary_result_type_wrapperINS8_3SumESH_iEEEE10hipError_tPvRmT1_T2_T3_mT4_P12ihipStream_tbEUlT_E1_NS1_11comp_targetILNS1_3genE0ELNS1_11target_archE4294967295ELNS1_3gpuE0ELNS1_3repE0EEENS1_30default_config_static_selectorELNS0_4arch9wavefront6targetE0EEEvSQ_,"axG",@progbits,_ZN7rocprim17ROCPRIM_400000_NS6detail17trampoline_kernelINS0_14default_configENS1_22reduce_config_selectorIbEEZNS1_11reduce_implILb1ES3_N6hipcub16HIPCUB_304000_NS22TransformInputIteratorIbN2at6native12_GLOBAL__N_19NonZeroOpIhEEPKhlEEPiiNS8_6detail34convert_binary_result_type_wrapperINS8_3SumESH_iEEEE10hipError_tPvRmT1_T2_T3_mT4_P12ihipStream_tbEUlT_E1_NS1_11comp_targetILNS1_3genE0ELNS1_11target_archE4294967295ELNS1_3gpuE0ELNS1_3repE0EEENS1_30default_config_static_selectorELNS0_4arch9wavefront6targetE0EEEvSQ_,comdat
.Lfunc_end28:
	.size	_ZN7rocprim17ROCPRIM_400000_NS6detail17trampoline_kernelINS0_14default_configENS1_22reduce_config_selectorIbEEZNS1_11reduce_implILb1ES3_N6hipcub16HIPCUB_304000_NS22TransformInputIteratorIbN2at6native12_GLOBAL__N_19NonZeroOpIhEEPKhlEEPiiNS8_6detail34convert_binary_result_type_wrapperINS8_3SumESH_iEEEE10hipError_tPvRmT1_T2_T3_mT4_P12ihipStream_tbEUlT_E1_NS1_11comp_targetILNS1_3genE0ELNS1_11target_archE4294967295ELNS1_3gpuE0ELNS1_3repE0EEENS1_30default_config_static_selectorELNS0_4arch9wavefront6targetE0EEEvSQ_, .Lfunc_end28-_ZN7rocprim17ROCPRIM_400000_NS6detail17trampoline_kernelINS0_14default_configENS1_22reduce_config_selectorIbEEZNS1_11reduce_implILb1ES3_N6hipcub16HIPCUB_304000_NS22TransformInputIteratorIbN2at6native12_GLOBAL__N_19NonZeroOpIhEEPKhlEEPiiNS8_6detail34convert_binary_result_type_wrapperINS8_3SumESH_iEEEE10hipError_tPvRmT1_T2_T3_mT4_P12ihipStream_tbEUlT_E1_NS1_11comp_targetILNS1_3genE0ELNS1_11target_archE4294967295ELNS1_3gpuE0ELNS1_3repE0EEENS1_30default_config_static_selectorELNS0_4arch9wavefront6targetE0EEEvSQ_
                                        ; -- End function
	.section	.AMDGPU.csdata,"",@progbits
; Kernel info:
; codeLenInByte = 0
; NumSgprs: 0
; NumVgprs: 0
; ScratchSize: 0
; MemoryBound: 0
; FloatMode: 240
; IeeeMode: 1
; LDSByteSize: 0 bytes/workgroup (compile time only)
; SGPRBlocks: 0
; VGPRBlocks: 0
; NumSGPRsForWavesPerEU: 1
; NumVGPRsForWavesPerEU: 1
; Occupancy: 16
; WaveLimiterHint : 0
; COMPUTE_PGM_RSRC2:SCRATCH_EN: 0
; COMPUTE_PGM_RSRC2:USER_SGPR: 15
; COMPUTE_PGM_RSRC2:TRAP_HANDLER: 0
; COMPUTE_PGM_RSRC2:TGID_X_EN: 1
; COMPUTE_PGM_RSRC2:TGID_Y_EN: 0
; COMPUTE_PGM_RSRC2:TGID_Z_EN: 0
; COMPUTE_PGM_RSRC2:TIDIG_COMP_CNT: 0
	.section	.text._ZN7rocprim17ROCPRIM_400000_NS6detail17trampoline_kernelINS0_14default_configENS1_22reduce_config_selectorIbEEZNS1_11reduce_implILb1ES3_N6hipcub16HIPCUB_304000_NS22TransformInputIteratorIbN2at6native12_GLOBAL__N_19NonZeroOpIhEEPKhlEEPiiNS8_6detail34convert_binary_result_type_wrapperINS8_3SumESH_iEEEE10hipError_tPvRmT1_T2_T3_mT4_P12ihipStream_tbEUlT_E1_NS1_11comp_targetILNS1_3genE5ELNS1_11target_archE942ELNS1_3gpuE9ELNS1_3repE0EEENS1_30default_config_static_selectorELNS0_4arch9wavefront6targetE0EEEvSQ_,"axG",@progbits,_ZN7rocprim17ROCPRIM_400000_NS6detail17trampoline_kernelINS0_14default_configENS1_22reduce_config_selectorIbEEZNS1_11reduce_implILb1ES3_N6hipcub16HIPCUB_304000_NS22TransformInputIteratorIbN2at6native12_GLOBAL__N_19NonZeroOpIhEEPKhlEEPiiNS8_6detail34convert_binary_result_type_wrapperINS8_3SumESH_iEEEE10hipError_tPvRmT1_T2_T3_mT4_P12ihipStream_tbEUlT_E1_NS1_11comp_targetILNS1_3genE5ELNS1_11target_archE942ELNS1_3gpuE9ELNS1_3repE0EEENS1_30default_config_static_selectorELNS0_4arch9wavefront6targetE0EEEvSQ_,comdat
	.globl	_ZN7rocprim17ROCPRIM_400000_NS6detail17trampoline_kernelINS0_14default_configENS1_22reduce_config_selectorIbEEZNS1_11reduce_implILb1ES3_N6hipcub16HIPCUB_304000_NS22TransformInputIteratorIbN2at6native12_GLOBAL__N_19NonZeroOpIhEEPKhlEEPiiNS8_6detail34convert_binary_result_type_wrapperINS8_3SumESH_iEEEE10hipError_tPvRmT1_T2_T3_mT4_P12ihipStream_tbEUlT_E1_NS1_11comp_targetILNS1_3genE5ELNS1_11target_archE942ELNS1_3gpuE9ELNS1_3repE0EEENS1_30default_config_static_selectorELNS0_4arch9wavefront6targetE0EEEvSQ_ ; -- Begin function _ZN7rocprim17ROCPRIM_400000_NS6detail17trampoline_kernelINS0_14default_configENS1_22reduce_config_selectorIbEEZNS1_11reduce_implILb1ES3_N6hipcub16HIPCUB_304000_NS22TransformInputIteratorIbN2at6native12_GLOBAL__N_19NonZeroOpIhEEPKhlEEPiiNS8_6detail34convert_binary_result_type_wrapperINS8_3SumESH_iEEEE10hipError_tPvRmT1_T2_T3_mT4_P12ihipStream_tbEUlT_E1_NS1_11comp_targetILNS1_3genE5ELNS1_11target_archE942ELNS1_3gpuE9ELNS1_3repE0EEENS1_30default_config_static_selectorELNS0_4arch9wavefront6targetE0EEEvSQ_
	.p2align	8
	.type	_ZN7rocprim17ROCPRIM_400000_NS6detail17trampoline_kernelINS0_14default_configENS1_22reduce_config_selectorIbEEZNS1_11reduce_implILb1ES3_N6hipcub16HIPCUB_304000_NS22TransformInputIteratorIbN2at6native12_GLOBAL__N_19NonZeroOpIhEEPKhlEEPiiNS8_6detail34convert_binary_result_type_wrapperINS8_3SumESH_iEEEE10hipError_tPvRmT1_T2_T3_mT4_P12ihipStream_tbEUlT_E1_NS1_11comp_targetILNS1_3genE5ELNS1_11target_archE942ELNS1_3gpuE9ELNS1_3repE0EEENS1_30default_config_static_selectorELNS0_4arch9wavefront6targetE0EEEvSQ_,@function
_ZN7rocprim17ROCPRIM_400000_NS6detail17trampoline_kernelINS0_14default_configENS1_22reduce_config_selectorIbEEZNS1_11reduce_implILb1ES3_N6hipcub16HIPCUB_304000_NS22TransformInputIteratorIbN2at6native12_GLOBAL__N_19NonZeroOpIhEEPKhlEEPiiNS8_6detail34convert_binary_result_type_wrapperINS8_3SumESH_iEEEE10hipError_tPvRmT1_T2_T3_mT4_P12ihipStream_tbEUlT_E1_NS1_11comp_targetILNS1_3genE5ELNS1_11target_archE942ELNS1_3gpuE9ELNS1_3repE0EEENS1_30default_config_static_selectorELNS0_4arch9wavefront6targetE0EEEvSQ_: ; @_ZN7rocprim17ROCPRIM_400000_NS6detail17trampoline_kernelINS0_14default_configENS1_22reduce_config_selectorIbEEZNS1_11reduce_implILb1ES3_N6hipcub16HIPCUB_304000_NS22TransformInputIteratorIbN2at6native12_GLOBAL__N_19NonZeroOpIhEEPKhlEEPiiNS8_6detail34convert_binary_result_type_wrapperINS8_3SumESH_iEEEE10hipError_tPvRmT1_T2_T3_mT4_P12ihipStream_tbEUlT_E1_NS1_11comp_targetILNS1_3genE5ELNS1_11target_archE942ELNS1_3gpuE9ELNS1_3repE0EEENS1_30default_config_static_selectorELNS0_4arch9wavefront6targetE0EEEvSQ_
; %bb.0:
	.section	.rodata,"a",@progbits
	.p2align	6, 0x0
	.amdhsa_kernel _ZN7rocprim17ROCPRIM_400000_NS6detail17trampoline_kernelINS0_14default_configENS1_22reduce_config_selectorIbEEZNS1_11reduce_implILb1ES3_N6hipcub16HIPCUB_304000_NS22TransformInputIteratorIbN2at6native12_GLOBAL__N_19NonZeroOpIhEEPKhlEEPiiNS8_6detail34convert_binary_result_type_wrapperINS8_3SumESH_iEEEE10hipError_tPvRmT1_T2_T3_mT4_P12ihipStream_tbEUlT_E1_NS1_11comp_targetILNS1_3genE5ELNS1_11target_archE942ELNS1_3gpuE9ELNS1_3repE0EEENS1_30default_config_static_selectorELNS0_4arch9wavefront6targetE0EEEvSQ_
		.amdhsa_group_segment_fixed_size 0
		.amdhsa_private_segment_fixed_size 0
		.amdhsa_kernarg_size 48
		.amdhsa_user_sgpr_count 15
		.amdhsa_user_sgpr_dispatch_ptr 0
		.amdhsa_user_sgpr_queue_ptr 0
		.amdhsa_user_sgpr_kernarg_segment_ptr 1
		.amdhsa_user_sgpr_dispatch_id 0
		.amdhsa_user_sgpr_private_segment_size 0
		.amdhsa_wavefront_size32 1
		.amdhsa_uses_dynamic_stack 0
		.amdhsa_enable_private_segment 0
		.amdhsa_system_sgpr_workgroup_id_x 1
		.amdhsa_system_sgpr_workgroup_id_y 0
		.amdhsa_system_sgpr_workgroup_id_z 0
		.amdhsa_system_sgpr_workgroup_info 0
		.amdhsa_system_vgpr_workitem_id 0
		.amdhsa_next_free_vgpr 1
		.amdhsa_next_free_sgpr 1
		.amdhsa_reserve_vcc 0
		.amdhsa_float_round_mode_32 0
		.amdhsa_float_round_mode_16_64 0
		.amdhsa_float_denorm_mode_32 3
		.amdhsa_float_denorm_mode_16_64 3
		.amdhsa_dx10_clamp 1
		.amdhsa_ieee_mode 1
		.amdhsa_fp16_overflow 0
		.amdhsa_workgroup_processor_mode 1
		.amdhsa_memory_ordered 1
		.amdhsa_forward_progress 0
		.amdhsa_shared_vgpr_count 0
		.amdhsa_exception_fp_ieee_invalid_op 0
		.amdhsa_exception_fp_denorm_src 0
		.amdhsa_exception_fp_ieee_div_zero 0
		.amdhsa_exception_fp_ieee_overflow 0
		.amdhsa_exception_fp_ieee_underflow 0
		.amdhsa_exception_fp_ieee_inexact 0
		.amdhsa_exception_int_div_zero 0
	.end_amdhsa_kernel
	.section	.text._ZN7rocprim17ROCPRIM_400000_NS6detail17trampoline_kernelINS0_14default_configENS1_22reduce_config_selectorIbEEZNS1_11reduce_implILb1ES3_N6hipcub16HIPCUB_304000_NS22TransformInputIteratorIbN2at6native12_GLOBAL__N_19NonZeroOpIhEEPKhlEEPiiNS8_6detail34convert_binary_result_type_wrapperINS8_3SumESH_iEEEE10hipError_tPvRmT1_T2_T3_mT4_P12ihipStream_tbEUlT_E1_NS1_11comp_targetILNS1_3genE5ELNS1_11target_archE942ELNS1_3gpuE9ELNS1_3repE0EEENS1_30default_config_static_selectorELNS0_4arch9wavefront6targetE0EEEvSQ_,"axG",@progbits,_ZN7rocprim17ROCPRIM_400000_NS6detail17trampoline_kernelINS0_14default_configENS1_22reduce_config_selectorIbEEZNS1_11reduce_implILb1ES3_N6hipcub16HIPCUB_304000_NS22TransformInputIteratorIbN2at6native12_GLOBAL__N_19NonZeroOpIhEEPKhlEEPiiNS8_6detail34convert_binary_result_type_wrapperINS8_3SumESH_iEEEE10hipError_tPvRmT1_T2_T3_mT4_P12ihipStream_tbEUlT_E1_NS1_11comp_targetILNS1_3genE5ELNS1_11target_archE942ELNS1_3gpuE9ELNS1_3repE0EEENS1_30default_config_static_selectorELNS0_4arch9wavefront6targetE0EEEvSQ_,comdat
.Lfunc_end29:
	.size	_ZN7rocprim17ROCPRIM_400000_NS6detail17trampoline_kernelINS0_14default_configENS1_22reduce_config_selectorIbEEZNS1_11reduce_implILb1ES3_N6hipcub16HIPCUB_304000_NS22TransformInputIteratorIbN2at6native12_GLOBAL__N_19NonZeroOpIhEEPKhlEEPiiNS8_6detail34convert_binary_result_type_wrapperINS8_3SumESH_iEEEE10hipError_tPvRmT1_T2_T3_mT4_P12ihipStream_tbEUlT_E1_NS1_11comp_targetILNS1_3genE5ELNS1_11target_archE942ELNS1_3gpuE9ELNS1_3repE0EEENS1_30default_config_static_selectorELNS0_4arch9wavefront6targetE0EEEvSQ_, .Lfunc_end29-_ZN7rocprim17ROCPRIM_400000_NS6detail17trampoline_kernelINS0_14default_configENS1_22reduce_config_selectorIbEEZNS1_11reduce_implILb1ES3_N6hipcub16HIPCUB_304000_NS22TransformInputIteratorIbN2at6native12_GLOBAL__N_19NonZeroOpIhEEPKhlEEPiiNS8_6detail34convert_binary_result_type_wrapperINS8_3SumESH_iEEEE10hipError_tPvRmT1_T2_T3_mT4_P12ihipStream_tbEUlT_E1_NS1_11comp_targetILNS1_3genE5ELNS1_11target_archE942ELNS1_3gpuE9ELNS1_3repE0EEENS1_30default_config_static_selectorELNS0_4arch9wavefront6targetE0EEEvSQ_
                                        ; -- End function
	.section	.AMDGPU.csdata,"",@progbits
; Kernel info:
; codeLenInByte = 0
; NumSgprs: 0
; NumVgprs: 0
; ScratchSize: 0
; MemoryBound: 0
; FloatMode: 240
; IeeeMode: 1
; LDSByteSize: 0 bytes/workgroup (compile time only)
; SGPRBlocks: 0
; VGPRBlocks: 0
; NumSGPRsForWavesPerEU: 1
; NumVGPRsForWavesPerEU: 1
; Occupancy: 16
; WaveLimiterHint : 0
; COMPUTE_PGM_RSRC2:SCRATCH_EN: 0
; COMPUTE_PGM_RSRC2:USER_SGPR: 15
; COMPUTE_PGM_RSRC2:TRAP_HANDLER: 0
; COMPUTE_PGM_RSRC2:TGID_X_EN: 1
; COMPUTE_PGM_RSRC2:TGID_Y_EN: 0
; COMPUTE_PGM_RSRC2:TGID_Z_EN: 0
; COMPUTE_PGM_RSRC2:TIDIG_COMP_CNT: 0
	.section	.text._ZN7rocprim17ROCPRIM_400000_NS6detail17trampoline_kernelINS0_14default_configENS1_22reduce_config_selectorIbEEZNS1_11reduce_implILb1ES3_N6hipcub16HIPCUB_304000_NS22TransformInputIteratorIbN2at6native12_GLOBAL__N_19NonZeroOpIhEEPKhlEEPiiNS8_6detail34convert_binary_result_type_wrapperINS8_3SumESH_iEEEE10hipError_tPvRmT1_T2_T3_mT4_P12ihipStream_tbEUlT_E1_NS1_11comp_targetILNS1_3genE4ELNS1_11target_archE910ELNS1_3gpuE8ELNS1_3repE0EEENS1_30default_config_static_selectorELNS0_4arch9wavefront6targetE0EEEvSQ_,"axG",@progbits,_ZN7rocprim17ROCPRIM_400000_NS6detail17trampoline_kernelINS0_14default_configENS1_22reduce_config_selectorIbEEZNS1_11reduce_implILb1ES3_N6hipcub16HIPCUB_304000_NS22TransformInputIteratorIbN2at6native12_GLOBAL__N_19NonZeroOpIhEEPKhlEEPiiNS8_6detail34convert_binary_result_type_wrapperINS8_3SumESH_iEEEE10hipError_tPvRmT1_T2_T3_mT4_P12ihipStream_tbEUlT_E1_NS1_11comp_targetILNS1_3genE4ELNS1_11target_archE910ELNS1_3gpuE8ELNS1_3repE0EEENS1_30default_config_static_selectorELNS0_4arch9wavefront6targetE0EEEvSQ_,comdat
	.globl	_ZN7rocprim17ROCPRIM_400000_NS6detail17trampoline_kernelINS0_14default_configENS1_22reduce_config_selectorIbEEZNS1_11reduce_implILb1ES3_N6hipcub16HIPCUB_304000_NS22TransformInputIteratorIbN2at6native12_GLOBAL__N_19NonZeroOpIhEEPKhlEEPiiNS8_6detail34convert_binary_result_type_wrapperINS8_3SumESH_iEEEE10hipError_tPvRmT1_T2_T3_mT4_P12ihipStream_tbEUlT_E1_NS1_11comp_targetILNS1_3genE4ELNS1_11target_archE910ELNS1_3gpuE8ELNS1_3repE0EEENS1_30default_config_static_selectorELNS0_4arch9wavefront6targetE0EEEvSQ_ ; -- Begin function _ZN7rocprim17ROCPRIM_400000_NS6detail17trampoline_kernelINS0_14default_configENS1_22reduce_config_selectorIbEEZNS1_11reduce_implILb1ES3_N6hipcub16HIPCUB_304000_NS22TransformInputIteratorIbN2at6native12_GLOBAL__N_19NonZeroOpIhEEPKhlEEPiiNS8_6detail34convert_binary_result_type_wrapperINS8_3SumESH_iEEEE10hipError_tPvRmT1_T2_T3_mT4_P12ihipStream_tbEUlT_E1_NS1_11comp_targetILNS1_3genE4ELNS1_11target_archE910ELNS1_3gpuE8ELNS1_3repE0EEENS1_30default_config_static_selectorELNS0_4arch9wavefront6targetE0EEEvSQ_
	.p2align	8
	.type	_ZN7rocprim17ROCPRIM_400000_NS6detail17trampoline_kernelINS0_14default_configENS1_22reduce_config_selectorIbEEZNS1_11reduce_implILb1ES3_N6hipcub16HIPCUB_304000_NS22TransformInputIteratorIbN2at6native12_GLOBAL__N_19NonZeroOpIhEEPKhlEEPiiNS8_6detail34convert_binary_result_type_wrapperINS8_3SumESH_iEEEE10hipError_tPvRmT1_T2_T3_mT4_P12ihipStream_tbEUlT_E1_NS1_11comp_targetILNS1_3genE4ELNS1_11target_archE910ELNS1_3gpuE8ELNS1_3repE0EEENS1_30default_config_static_selectorELNS0_4arch9wavefront6targetE0EEEvSQ_,@function
_ZN7rocprim17ROCPRIM_400000_NS6detail17trampoline_kernelINS0_14default_configENS1_22reduce_config_selectorIbEEZNS1_11reduce_implILb1ES3_N6hipcub16HIPCUB_304000_NS22TransformInputIteratorIbN2at6native12_GLOBAL__N_19NonZeroOpIhEEPKhlEEPiiNS8_6detail34convert_binary_result_type_wrapperINS8_3SumESH_iEEEE10hipError_tPvRmT1_T2_T3_mT4_P12ihipStream_tbEUlT_E1_NS1_11comp_targetILNS1_3genE4ELNS1_11target_archE910ELNS1_3gpuE8ELNS1_3repE0EEENS1_30default_config_static_selectorELNS0_4arch9wavefront6targetE0EEEvSQ_: ; @_ZN7rocprim17ROCPRIM_400000_NS6detail17trampoline_kernelINS0_14default_configENS1_22reduce_config_selectorIbEEZNS1_11reduce_implILb1ES3_N6hipcub16HIPCUB_304000_NS22TransformInputIteratorIbN2at6native12_GLOBAL__N_19NonZeroOpIhEEPKhlEEPiiNS8_6detail34convert_binary_result_type_wrapperINS8_3SumESH_iEEEE10hipError_tPvRmT1_T2_T3_mT4_P12ihipStream_tbEUlT_E1_NS1_11comp_targetILNS1_3genE4ELNS1_11target_archE910ELNS1_3gpuE8ELNS1_3repE0EEENS1_30default_config_static_selectorELNS0_4arch9wavefront6targetE0EEEvSQ_
; %bb.0:
	.section	.rodata,"a",@progbits
	.p2align	6, 0x0
	.amdhsa_kernel _ZN7rocprim17ROCPRIM_400000_NS6detail17trampoline_kernelINS0_14default_configENS1_22reduce_config_selectorIbEEZNS1_11reduce_implILb1ES3_N6hipcub16HIPCUB_304000_NS22TransformInputIteratorIbN2at6native12_GLOBAL__N_19NonZeroOpIhEEPKhlEEPiiNS8_6detail34convert_binary_result_type_wrapperINS8_3SumESH_iEEEE10hipError_tPvRmT1_T2_T3_mT4_P12ihipStream_tbEUlT_E1_NS1_11comp_targetILNS1_3genE4ELNS1_11target_archE910ELNS1_3gpuE8ELNS1_3repE0EEENS1_30default_config_static_selectorELNS0_4arch9wavefront6targetE0EEEvSQ_
		.amdhsa_group_segment_fixed_size 0
		.amdhsa_private_segment_fixed_size 0
		.amdhsa_kernarg_size 48
		.amdhsa_user_sgpr_count 15
		.amdhsa_user_sgpr_dispatch_ptr 0
		.amdhsa_user_sgpr_queue_ptr 0
		.amdhsa_user_sgpr_kernarg_segment_ptr 1
		.amdhsa_user_sgpr_dispatch_id 0
		.amdhsa_user_sgpr_private_segment_size 0
		.amdhsa_wavefront_size32 1
		.amdhsa_uses_dynamic_stack 0
		.amdhsa_enable_private_segment 0
		.amdhsa_system_sgpr_workgroup_id_x 1
		.amdhsa_system_sgpr_workgroup_id_y 0
		.amdhsa_system_sgpr_workgroup_id_z 0
		.amdhsa_system_sgpr_workgroup_info 0
		.amdhsa_system_vgpr_workitem_id 0
		.amdhsa_next_free_vgpr 1
		.amdhsa_next_free_sgpr 1
		.amdhsa_reserve_vcc 0
		.amdhsa_float_round_mode_32 0
		.amdhsa_float_round_mode_16_64 0
		.amdhsa_float_denorm_mode_32 3
		.amdhsa_float_denorm_mode_16_64 3
		.amdhsa_dx10_clamp 1
		.amdhsa_ieee_mode 1
		.amdhsa_fp16_overflow 0
		.amdhsa_workgroup_processor_mode 1
		.amdhsa_memory_ordered 1
		.amdhsa_forward_progress 0
		.amdhsa_shared_vgpr_count 0
		.amdhsa_exception_fp_ieee_invalid_op 0
		.amdhsa_exception_fp_denorm_src 0
		.amdhsa_exception_fp_ieee_div_zero 0
		.amdhsa_exception_fp_ieee_overflow 0
		.amdhsa_exception_fp_ieee_underflow 0
		.amdhsa_exception_fp_ieee_inexact 0
		.amdhsa_exception_int_div_zero 0
	.end_amdhsa_kernel
	.section	.text._ZN7rocprim17ROCPRIM_400000_NS6detail17trampoline_kernelINS0_14default_configENS1_22reduce_config_selectorIbEEZNS1_11reduce_implILb1ES3_N6hipcub16HIPCUB_304000_NS22TransformInputIteratorIbN2at6native12_GLOBAL__N_19NonZeroOpIhEEPKhlEEPiiNS8_6detail34convert_binary_result_type_wrapperINS8_3SumESH_iEEEE10hipError_tPvRmT1_T2_T3_mT4_P12ihipStream_tbEUlT_E1_NS1_11comp_targetILNS1_3genE4ELNS1_11target_archE910ELNS1_3gpuE8ELNS1_3repE0EEENS1_30default_config_static_selectorELNS0_4arch9wavefront6targetE0EEEvSQ_,"axG",@progbits,_ZN7rocprim17ROCPRIM_400000_NS6detail17trampoline_kernelINS0_14default_configENS1_22reduce_config_selectorIbEEZNS1_11reduce_implILb1ES3_N6hipcub16HIPCUB_304000_NS22TransformInputIteratorIbN2at6native12_GLOBAL__N_19NonZeroOpIhEEPKhlEEPiiNS8_6detail34convert_binary_result_type_wrapperINS8_3SumESH_iEEEE10hipError_tPvRmT1_T2_T3_mT4_P12ihipStream_tbEUlT_E1_NS1_11comp_targetILNS1_3genE4ELNS1_11target_archE910ELNS1_3gpuE8ELNS1_3repE0EEENS1_30default_config_static_selectorELNS0_4arch9wavefront6targetE0EEEvSQ_,comdat
.Lfunc_end30:
	.size	_ZN7rocprim17ROCPRIM_400000_NS6detail17trampoline_kernelINS0_14default_configENS1_22reduce_config_selectorIbEEZNS1_11reduce_implILb1ES3_N6hipcub16HIPCUB_304000_NS22TransformInputIteratorIbN2at6native12_GLOBAL__N_19NonZeroOpIhEEPKhlEEPiiNS8_6detail34convert_binary_result_type_wrapperINS8_3SumESH_iEEEE10hipError_tPvRmT1_T2_T3_mT4_P12ihipStream_tbEUlT_E1_NS1_11comp_targetILNS1_3genE4ELNS1_11target_archE910ELNS1_3gpuE8ELNS1_3repE0EEENS1_30default_config_static_selectorELNS0_4arch9wavefront6targetE0EEEvSQ_, .Lfunc_end30-_ZN7rocprim17ROCPRIM_400000_NS6detail17trampoline_kernelINS0_14default_configENS1_22reduce_config_selectorIbEEZNS1_11reduce_implILb1ES3_N6hipcub16HIPCUB_304000_NS22TransformInputIteratorIbN2at6native12_GLOBAL__N_19NonZeroOpIhEEPKhlEEPiiNS8_6detail34convert_binary_result_type_wrapperINS8_3SumESH_iEEEE10hipError_tPvRmT1_T2_T3_mT4_P12ihipStream_tbEUlT_E1_NS1_11comp_targetILNS1_3genE4ELNS1_11target_archE910ELNS1_3gpuE8ELNS1_3repE0EEENS1_30default_config_static_selectorELNS0_4arch9wavefront6targetE0EEEvSQ_
                                        ; -- End function
	.section	.AMDGPU.csdata,"",@progbits
; Kernel info:
; codeLenInByte = 0
; NumSgprs: 0
; NumVgprs: 0
; ScratchSize: 0
; MemoryBound: 0
; FloatMode: 240
; IeeeMode: 1
; LDSByteSize: 0 bytes/workgroup (compile time only)
; SGPRBlocks: 0
; VGPRBlocks: 0
; NumSGPRsForWavesPerEU: 1
; NumVGPRsForWavesPerEU: 1
; Occupancy: 16
; WaveLimiterHint : 0
; COMPUTE_PGM_RSRC2:SCRATCH_EN: 0
; COMPUTE_PGM_RSRC2:USER_SGPR: 15
; COMPUTE_PGM_RSRC2:TRAP_HANDLER: 0
; COMPUTE_PGM_RSRC2:TGID_X_EN: 1
; COMPUTE_PGM_RSRC2:TGID_Y_EN: 0
; COMPUTE_PGM_RSRC2:TGID_Z_EN: 0
; COMPUTE_PGM_RSRC2:TIDIG_COMP_CNT: 0
	.section	.text._ZN7rocprim17ROCPRIM_400000_NS6detail17trampoline_kernelINS0_14default_configENS1_22reduce_config_selectorIbEEZNS1_11reduce_implILb1ES3_N6hipcub16HIPCUB_304000_NS22TransformInputIteratorIbN2at6native12_GLOBAL__N_19NonZeroOpIhEEPKhlEEPiiNS8_6detail34convert_binary_result_type_wrapperINS8_3SumESH_iEEEE10hipError_tPvRmT1_T2_T3_mT4_P12ihipStream_tbEUlT_E1_NS1_11comp_targetILNS1_3genE3ELNS1_11target_archE908ELNS1_3gpuE7ELNS1_3repE0EEENS1_30default_config_static_selectorELNS0_4arch9wavefront6targetE0EEEvSQ_,"axG",@progbits,_ZN7rocprim17ROCPRIM_400000_NS6detail17trampoline_kernelINS0_14default_configENS1_22reduce_config_selectorIbEEZNS1_11reduce_implILb1ES3_N6hipcub16HIPCUB_304000_NS22TransformInputIteratorIbN2at6native12_GLOBAL__N_19NonZeroOpIhEEPKhlEEPiiNS8_6detail34convert_binary_result_type_wrapperINS8_3SumESH_iEEEE10hipError_tPvRmT1_T2_T3_mT4_P12ihipStream_tbEUlT_E1_NS1_11comp_targetILNS1_3genE3ELNS1_11target_archE908ELNS1_3gpuE7ELNS1_3repE0EEENS1_30default_config_static_selectorELNS0_4arch9wavefront6targetE0EEEvSQ_,comdat
	.globl	_ZN7rocprim17ROCPRIM_400000_NS6detail17trampoline_kernelINS0_14default_configENS1_22reduce_config_selectorIbEEZNS1_11reduce_implILb1ES3_N6hipcub16HIPCUB_304000_NS22TransformInputIteratorIbN2at6native12_GLOBAL__N_19NonZeroOpIhEEPKhlEEPiiNS8_6detail34convert_binary_result_type_wrapperINS8_3SumESH_iEEEE10hipError_tPvRmT1_T2_T3_mT4_P12ihipStream_tbEUlT_E1_NS1_11comp_targetILNS1_3genE3ELNS1_11target_archE908ELNS1_3gpuE7ELNS1_3repE0EEENS1_30default_config_static_selectorELNS0_4arch9wavefront6targetE0EEEvSQ_ ; -- Begin function _ZN7rocprim17ROCPRIM_400000_NS6detail17trampoline_kernelINS0_14default_configENS1_22reduce_config_selectorIbEEZNS1_11reduce_implILb1ES3_N6hipcub16HIPCUB_304000_NS22TransformInputIteratorIbN2at6native12_GLOBAL__N_19NonZeroOpIhEEPKhlEEPiiNS8_6detail34convert_binary_result_type_wrapperINS8_3SumESH_iEEEE10hipError_tPvRmT1_T2_T3_mT4_P12ihipStream_tbEUlT_E1_NS1_11comp_targetILNS1_3genE3ELNS1_11target_archE908ELNS1_3gpuE7ELNS1_3repE0EEENS1_30default_config_static_selectorELNS0_4arch9wavefront6targetE0EEEvSQ_
	.p2align	8
	.type	_ZN7rocprim17ROCPRIM_400000_NS6detail17trampoline_kernelINS0_14default_configENS1_22reduce_config_selectorIbEEZNS1_11reduce_implILb1ES3_N6hipcub16HIPCUB_304000_NS22TransformInputIteratorIbN2at6native12_GLOBAL__N_19NonZeroOpIhEEPKhlEEPiiNS8_6detail34convert_binary_result_type_wrapperINS8_3SumESH_iEEEE10hipError_tPvRmT1_T2_T3_mT4_P12ihipStream_tbEUlT_E1_NS1_11comp_targetILNS1_3genE3ELNS1_11target_archE908ELNS1_3gpuE7ELNS1_3repE0EEENS1_30default_config_static_selectorELNS0_4arch9wavefront6targetE0EEEvSQ_,@function
_ZN7rocprim17ROCPRIM_400000_NS6detail17trampoline_kernelINS0_14default_configENS1_22reduce_config_selectorIbEEZNS1_11reduce_implILb1ES3_N6hipcub16HIPCUB_304000_NS22TransformInputIteratorIbN2at6native12_GLOBAL__N_19NonZeroOpIhEEPKhlEEPiiNS8_6detail34convert_binary_result_type_wrapperINS8_3SumESH_iEEEE10hipError_tPvRmT1_T2_T3_mT4_P12ihipStream_tbEUlT_E1_NS1_11comp_targetILNS1_3genE3ELNS1_11target_archE908ELNS1_3gpuE7ELNS1_3repE0EEENS1_30default_config_static_selectorELNS0_4arch9wavefront6targetE0EEEvSQ_: ; @_ZN7rocprim17ROCPRIM_400000_NS6detail17trampoline_kernelINS0_14default_configENS1_22reduce_config_selectorIbEEZNS1_11reduce_implILb1ES3_N6hipcub16HIPCUB_304000_NS22TransformInputIteratorIbN2at6native12_GLOBAL__N_19NonZeroOpIhEEPKhlEEPiiNS8_6detail34convert_binary_result_type_wrapperINS8_3SumESH_iEEEE10hipError_tPvRmT1_T2_T3_mT4_P12ihipStream_tbEUlT_E1_NS1_11comp_targetILNS1_3genE3ELNS1_11target_archE908ELNS1_3gpuE7ELNS1_3repE0EEENS1_30default_config_static_selectorELNS0_4arch9wavefront6targetE0EEEvSQ_
; %bb.0:
	.section	.rodata,"a",@progbits
	.p2align	6, 0x0
	.amdhsa_kernel _ZN7rocprim17ROCPRIM_400000_NS6detail17trampoline_kernelINS0_14default_configENS1_22reduce_config_selectorIbEEZNS1_11reduce_implILb1ES3_N6hipcub16HIPCUB_304000_NS22TransformInputIteratorIbN2at6native12_GLOBAL__N_19NonZeroOpIhEEPKhlEEPiiNS8_6detail34convert_binary_result_type_wrapperINS8_3SumESH_iEEEE10hipError_tPvRmT1_T2_T3_mT4_P12ihipStream_tbEUlT_E1_NS1_11comp_targetILNS1_3genE3ELNS1_11target_archE908ELNS1_3gpuE7ELNS1_3repE0EEENS1_30default_config_static_selectorELNS0_4arch9wavefront6targetE0EEEvSQ_
		.amdhsa_group_segment_fixed_size 0
		.amdhsa_private_segment_fixed_size 0
		.amdhsa_kernarg_size 48
		.amdhsa_user_sgpr_count 15
		.amdhsa_user_sgpr_dispatch_ptr 0
		.amdhsa_user_sgpr_queue_ptr 0
		.amdhsa_user_sgpr_kernarg_segment_ptr 1
		.amdhsa_user_sgpr_dispatch_id 0
		.amdhsa_user_sgpr_private_segment_size 0
		.amdhsa_wavefront_size32 1
		.amdhsa_uses_dynamic_stack 0
		.amdhsa_enable_private_segment 0
		.amdhsa_system_sgpr_workgroup_id_x 1
		.amdhsa_system_sgpr_workgroup_id_y 0
		.amdhsa_system_sgpr_workgroup_id_z 0
		.amdhsa_system_sgpr_workgroup_info 0
		.amdhsa_system_vgpr_workitem_id 0
		.amdhsa_next_free_vgpr 1
		.amdhsa_next_free_sgpr 1
		.amdhsa_reserve_vcc 0
		.amdhsa_float_round_mode_32 0
		.amdhsa_float_round_mode_16_64 0
		.amdhsa_float_denorm_mode_32 3
		.amdhsa_float_denorm_mode_16_64 3
		.amdhsa_dx10_clamp 1
		.amdhsa_ieee_mode 1
		.amdhsa_fp16_overflow 0
		.amdhsa_workgroup_processor_mode 1
		.amdhsa_memory_ordered 1
		.amdhsa_forward_progress 0
		.amdhsa_shared_vgpr_count 0
		.amdhsa_exception_fp_ieee_invalid_op 0
		.amdhsa_exception_fp_denorm_src 0
		.amdhsa_exception_fp_ieee_div_zero 0
		.amdhsa_exception_fp_ieee_overflow 0
		.amdhsa_exception_fp_ieee_underflow 0
		.amdhsa_exception_fp_ieee_inexact 0
		.amdhsa_exception_int_div_zero 0
	.end_amdhsa_kernel
	.section	.text._ZN7rocprim17ROCPRIM_400000_NS6detail17trampoline_kernelINS0_14default_configENS1_22reduce_config_selectorIbEEZNS1_11reduce_implILb1ES3_N6hipcub16HIPCUB_304000_NS22TransformInputIteratorIbN2at6native12_GLOBAL__N_19NonZeroOpIhEEPKhlEEPiiNS8_6detail34convert_binary_result_type_wrapperINS8_3SumESH_iEEEE10hipError_tPvRmT1_T2_T3_mT4_P12ihipStream_tbEUlT_E1_NS1_11comp_targetILNS1_3genE3ELNS1_11target_archE908ELNS1_3gpuE7ELNS1_3repE0EEENS1_30default_config_static_selectorELNS0_4arch9wavefront6targetE0EEEvSQ_,"axG",@progbits,_ZN7rocprim17ROCPRIM_400000_NS6detail17trampoline_kernelINS0_14default_configENS1_22reduce_config_selectorIbEEZNS1_11reduce_implILb1ES3_N6hipcub16HIPCUB_304000_NS22TransformInputIteratorIbN2at6native12_GLOBAL__N_19NonZeroOpIhEEPKhlEEPiiNS8_6detail34convert_binary_result_type_wrapperINS8_3SumESH_iEEEE10hipError_tPvRmT1_T2_T3_mT4_P12ihipStream_tbEUlT_E1_NS1_11comp_targetILNS1_3genE3ELNS1_11target_archE908ELNS1_3gpuE7ELNS1_3repE0EEENS1_30default_config_static_selectorELNS0_4arch9wavefront6targetE0EEEvSQ_,comdat
.Lfunc_end31:
	.size	_ZN7rocprim17ROCPRIM_400000_NS6detail17trampoline_kernelINS0_14default_configENS1_22reduce_config_selectorIbEEZNS1_11reduce_implILb1ES3_N6hipcub16HIPCUB_304000_NS22TransformInputIteratorIbN2at6native12_GLOBAL__N_19NonZeroOpIhEEPKhlEEPiiNS8_6detail34convert_binary_result_type_wrapperINS8_3SumESH_iEEEE10hipError_tPvRmT1_T2_T3_mT4_P12ihipStream_tbEUlT_E1_NS1_11comp_targetILNS1_3genE3ELNS1_11target_archE908ELNS1_3gpuE7ELNS1_3repE0EEENS1_30default_config_static_selectorELNS0_4arch9wavefront6targetE0EEEvSQ_, .Lfunc_end31-_ZN7rocprim17ROCPRIM_400000_NS6detail17trampoline_kernelINS0_14default_configENS1_22reduce_config_selectorIbEEZNS1_11reduce_implILb1ES3_N6hipcub16HIPCUB_304000_NS22TransformInputIteratorIbN2at6native12_GLOBAL__N_19NonZeroOpIhEEPKhlEEPiiNS8_6detail34convert_binary_result_type_wrapperINS8_3SumESH_iEEEE10hipError_tPvRmT1_T2_T3_mT4_P12ihipStream_tbEUlT_E1_NS1_11comp_targetILNS1_3genE3ELNS1_11target_archE908ELNS1_3gpuE7ELNS1_3repE0EEENS1_30default_config_static_selectorELNS0_4arch9wavefront6targetE0EEEvSQ_
                                        ; -- End function
	.section	.AMDGPU.csdata,"",@progbits
; Kernel info:
; codeLenInByte = 0
; NumSgprs: 0
; NumVgprs: 0
; ScratchSize: 0
; MemoryBound: 0
; FloatMode: 240
; IeeeMode: 1
; LDSByteSize: 0 bytes/workgroup (compile time only)
; SGPRBlocks: 0
; VGPRBlocks: 0
; NumSGPRsForWavesPerEU: 1
; NumVGPRsForWavesPerEU: 1
; Occupancy: 16
; WaveLimiterHint : 0
; COMPUTE_PGM_RSRC2:SCRATCH_EN: 0
; COMPUTE_PGM_RSRC2:USER_SGPR: 15
; COMPUTE_PGM_RSRC2:TRAP_HANDLER: 0
; COMPUTE_PGM_RSRC2:TGID_X_EN: 1
; COMPUTE_PGM_RSRC2:TGID_Y_EN: 0
; COMPUTE_PGM_RSRC2:TGID_Z_EN: 0
; COMPUTE_PGM_RSRC2:TIDIG_COMP_CNT: 0
	.section	.text._ZN7rocprim17ROCPRIM_400000_NS6detail17trampoline_kernelINS0_14default_configENS1_22reduce_config_selectorIbEEZNS1_11reduce_implILb1ES3_N6hipcub16HIPCUB_304000_NS22TransformInputIteratorIbN2at6native12_GLOBAL__N_19NonZeroOpIhEEPKhlEEPiiNS8_6detail34convert_binary_result_type_wrapperINS8_3SumESH_iEEEE10hipError_tPvRmT1_T2_T3_mT4_P12ihipStream_tbEUlT_E1_NS1_11comp_targetILNS1_3genE2ELNS1_11target_archE906ELNS1_3gpuE6ELNS1_3repE0EEENS1_30default_config_static_selectorELNS0_4arch9wavefront6targetE0EEEvSQ_,"axG",@progbits,_ZN7rocprim17ROCPRIM_400000_NS6detail17trampoline_kernelINS0_14default_configENS1_22reduce_config_selectorIbEEZNS1_11reduce_implILb1ES3_N6hipcub16HIPCUB_304000_NS22TransformInputIteratorIbN2at6native12_GLOBAL__N_19NonZeroOpIhEEPKhlEEPiiNS8_6detail34convert_binary_result_type_wrapperINS8_3SumESH_iEEEE10hipError_tPvRmT1_T2_T3_mT4_P12ihipStream_tbEUlT_E1_NS1_11comp_targetILNS1_3genE2ELNS1_11target_archE906ELNS1_3gpuE6ELNS1_3repE0EEENS1_30default_config_static_selectorELNS0_4arch9wavefront6targetE0EEEvSQ_,comdat
	.globl	_ZN7rocprim17ROCPRIM_400000_NS6detail17trampoline_kernelINS0_14default_configENS1_22reduce_config_selectorIbEEZNS1_11reduce_implILb1ES3_N6hipcub16HIPCUB_304000_NS22TransformInputIteratorIbN2at6native12_GLOBAL__N_19NonZeroOpIhEEPKhlEEPiiNS8_6detail34convert_binary_result_type_wrapperINS8_3SumESH_iEEEE10hipError_tPvRmT1_T2_T3_mT4_P12ihipStream_tbEUlT_E1_NS1_11comp_targetILNS1_3genE2ELNS1_11target_archE906ELNS1_3gpuE6ELNS1_3repE0EEENS1_30default_config_static_selectorELNS0_4arch9wavefront6targetE0EEEvSQ_ ; -- Begin function _ZN7rocprim17ROCPRIM_400000_NS6detail17trampoline_kernelINS0_14default_configENS1_22reduce_config_selectorIbEEZNS1_11reduce_implILb1ES3_N6hipcub16HIPCUB_304000_NS22TransformInputIteratorIbN2at6native12_GLOBAL__N_19NonZeroOpIhEEPKhlEEPiiNS8_6detail34convert_binary_result_type_wrapperINS8_3SumESH_iEEEE10hipError_tPvRmT1_T2_T3_mT4_P12ihipStream_tbEUlT_E1_NS1_11comp_targetILNS1_3genE2ELNS1_11target_archE906ELNS1_3gpuE6ELNS1_3repE0EEENS1_30default_config_static_selectorELNS0_4arch9wavefront6targetE0EEEvSQ_
	.p2align	8
	.type	_ZN7rocprim17ROCPRIM_400000_NS6detail17trampoline_kernelINS0_14default_configENS1_22reduce_config_selectorIbEEZNS1_11reduce_implILb1ES3_N6hipcub16HIPCUB_304000_NS22TransformInputIteratorIbN2at6native12_GLOBAL__N_19NonZeroOpIhEEPKhlEEPiiNS8_6detail34convert_binary_result_type_wrapperINS8_3SumESH_iEEEE10hipError_tPvRmT1_T2_T3_mT4_P12ihipStream_tbEUlT_E1_NS1_11comp_targetILNS1_3genE2ELNS1_11target_archE906ELNS1_3gpuE6ELNS1_3repE0EEENS1_30default_config_static_selectorELNS0_4arch9wavefront6targetE0EEEvSQ_,@function
_ZN7rocprim17ROCPRIM_400000_NS6detail17trampoline_kernelINS0_14default_configENS1_22reduce_config_selectorIbEEZNS1_11reduce_implILb1ES3_N6hipcub16HIPCUB_304000_NS22TransformInputIteratorIbN2at6native12_GLOBAL__N_19NonZeroOpIhEEPKhlEEPiiNS8_6detail34convert_binary_result_type_wrapperINS8_3SumESH_iEEEE10hipError_tPvRmT1_T2_T3_mT4_P12ihipStream_tbEUlT_E1_NS1_11comp_targetILNS1_3genE2ELNS1_11target_archE906ELNS1_3gpuE6ELNS1_3repE0EEENS1_30default_config_static_selectorELNS0_4arch9wavefront6targetE0EEEvSQ_: ; @_ZN7rocprim17ROCPRIM_400000_NS6detail17trampoline_kernelINS0_14default_configENS1_22reduce_config_selectorIbEEZNS1_11reduce_implILb1ES3_N6hipcub16HIPCUB_304000_NS22TransformInputIteratorIbN2at6native12_GLOBAL__N_19NonZeroOpIhEEPKhlEEPiiNS8_6detail34convert_binary_result_type_wrapperINS8_3SumESH_iEEEE10hipError_tPvRmT1_T2_T3_mT4_P12ihipStream_tbEUlT_E1_NS1_11comp_targetILNS1_3genE2ELNS1_11target_archE906ELNS1_3gpuE6ELNS1_3repE0EEENS1_30default_config_static_selectorELNS0_4arch9wavefront6targetE0EEEvSQ_
; %bb.0:
	.section	.rodata,"a",@progbits
	.p2align	6, 0x0
	.amdhsa_kernel _ZN7rocprim17ROCPRIM_400000_NS6detail17trampoline_kernelINS0_14default_configENS1_22reduce_config_selectorIbEEZNS1_11reduce_implILb1ES3_N6hipcub16HIPCUB_304000_NS22TransformInputIteratorIbN2at6native12_GLOBAL__N_19NonZeroOpIhEEPKhlEEPiiNS8_6detail34convert_binary_result_type_wrapperINS8_3SumESH_iEEEE10hipError_tPvRmT1_T2_T3_mT4_P12ihipStream_tbEUlT_E1_NS1_11comp_targetILNS1_3genE2ELNS1_11target_archE906ELNS1_3gpuE6ELNS1_3repE0EEENS1_30default_config_static_selectorELNS0_4arch9wavefront6targetE0EEEvSQ_
		.amdhsa_group_segment_fixed_size 0
		.amdhsa_private_segment_fixed_size 0
		.amdhsa_kernarg_size 48
		.amdhsa_user_sgpr_count 15
		.amdhsa_user_sgpr_dispatch_ptr 0
		.amdhsa_user_sgpr_queue_ptr 0
		.amdhsa_user_sgpr_kernarg_segment_ptr 1
		.amdhsa_user_sgpr_dispatch_id 0
		.amdhsa_user_sgpr_private_segment_size 0
		.amdhsa_wavefront_size32 1
		.amdhsa_uses_dynamic_stack 0
		.amdhsa_enable_private_segment 0
		.amdhsa_system_sgpr_workgroup_id_x 1
		.amdhsa_system_sgpr_workgroup_id_y 0
		.amdhsa_system_sgpr_workgroup_id_z 0
		.amdhsa_system_sgpr_workgroup_info 0
		.amdhsa_system_vgpr_workitem_id 0
		.amdhsa_next_free_vgpr 1
		.amdhsa_next_free_sgpr 1
		.amdhsa_reserve_vcc 0
		.amdhsa_float_round_mode_32 0
		.amdhsa_float_round_mode_16_64 0
		.amdhsa_float_denorm_mode_32 3
		.amdhsa_float_denorm_mode_16_64 3
		.amdhsa_dx10_clamp 1
		.amdhsa_ieee_mode 1
		.amdhsa_fp16_overflow 0
		.amdhsa_workgroup_processor_mode 1
		.amdhsa_memory_ordered 1
		.amdhsa_forward_progress 0
		.amdhsa_shared_vgpr_count 0
		.amdhsa_exception_fp_ieee_invalid_op 0
		.amdhsa_exception_fp_denorm_src 0
		.amdhsa_exception_fp_ieee_div_zero 0
		.amdhsa_exception_fp_ieee_overflow 0
		.amdhsa_exception_fp_ieee_underflow 0
		.amdhsa_exception_fp_ieee_inexact 0
		.amdhsa_exception_int_div_zero 0
	.end_amdhsa_kernel
	.section	.text._ZN7rocprim17ROCPRIM_400000_NS6detail17trampoline_kernelINS0_14default_configENS1_22reduce_config_selectorIbEEZNS1_11reduce_implILb1ES3_N6hipcub16HIPCUB_304000_NS22TransformInputIteratorIbN2at6native12_GLOBAL__N_19NonZeroOpIhEEPKhlEEPiiNS8_6detail34convert_binary_result_type_wrapperINS8_3SumESH_iEEEE10hipError_tPvRmT1_T2_T3_mT4_P12ihipStream_tbEUlT_E1_NS1_11comp_targetILNS1_3genE2ELNS1_11target_archE906ELNS1_3gpuE6ELNS1_3repE0EEENS1_30default_config_static_selectorELNS0_4arch9wavefront6targetE0EEEvSQ_,"axG",@progbits,_ZN7rocprim17ROCPRIM_400000_NS6detail17trampoline_kernelINS0_14default_configENS1_22reduce_config_selectorIbEEZNS1_11reduce_implILb1ES3_N6hipcub16HIPCUB_304000_NS22TransformInputIteratorIbN2at6native12_GLOBAL__N_19NonZeroOpIhEEPKhlEEPiiNS8_6detail34convert_binary_result_type_wrapperINS8_3SumESH_iEEEE10hipError_tPvRmT1_T2_T3_mT4_P12ihipStream_tbEUlT_E1_NS1_11comp_targetILNS1_3genE2ELNS1_11target_archE906ELNS1_3gpuE6ELNS1_3repE0EEENS1_30default_config_static_selectorELNS0_4arch9wavefront6targetE0EEEvSQ_,comdat
.Lfunc_end32:
	.size	_ZN7rocprim17ROCPRIM_400000_NS6detail17trampoline_kernelINS0_14default_configENS1_22reduce_config_selectorIbEEZNS1_11reduce_implILb1ES3_N6hipcub16HIPCUB_304000_NS22TransformInputIteratorIbN2at6native12_GLOBAL__N_19NonZeroOpIhEEPKhlEEPiiNS8_6detail34convert_binary_result_type_wrapperINS8_3SumESH_iEEEE10hipError_tPvRmT1_T2_T3_mT4_P12ihipStream_tbEUlT_E1_NS1_11comp_targetILNS1_3genE2ELNS1_11target_archE906ELNS1_3gpuE6ELNS1_3repE0EEENS1_30default_config_static_selectorELNS0_4arch9wavefront6targetE0EEEvSQ_, .Lfunc_end32-_ZN7rocprim17ROCPRIM_400000_NS6detail17trampoline_kernelINS0_14default_configENS1_22reduce_config_selectorIbEEZNS1_11reduce_implILb1ES3_N6hipcub16HIPCUB_304000_NS22TransformInputIteratorIbN2at6native12_GLOBAL__N_19NonZeroOpIhEEPKhlEEPiiNS8_6detail34convert_binary_result_type_wrapperINS8_3SumESH_iEEEE10hipError_tPvRmT1_T2_T3_mT4_P12ihipStream_tbEUlT_E1_NS1_11comp_targetILNS1_3genE2ELNS1_11target_archE906ELNS1_3gpuE6ELNS1_3repE0EEENS1_30default_config_static_selectorELNS0_4arch9wavefront6targetE0EEEvSQ_
                                        ; -- End function
	.section	.AMDGPU.csdata,"",@progbits
; Kernel info:
; codeLenInByte = 0
; NumSgprs: 0
; NumVgprs: 0
; ScratchSize: 0
; MemoryBound: 0
; FloatMode: 240
; IeeeMode: 1
; LDSByteSize: 0 bytes/workgroup (compile time only)
; SGPRBlocks: 0
; VGPRBlocks: 0
; NumSGPRsForWavesPerEU: 1
; NumVGPRsForWavesPerEU: 1
; Occupancy: 16
; WaveLimiterHint : 0
; COMPUTE_PGM_RSRC2:SCRATCH_EN: 0
; COMPUTE_PGM_RSRC2:USER_SGPR: 15
; COMPUTE_PGM_RSRC2:TRAP_HANDLER: 0
; COMPUTE_PGM_RSRC2:TGID_X_EN: 1
; COMPUTE_PGM_RSRC2:TGID_Y_EN: 0
; COMPUTE_PGM_RSRC2:TGID_Z_EN: 0
; COMPUTE_PGM_RSRC2:TIDIG_COMP_CNT: 0
	.section	.text._ZN7rocprim17ROCPRIM_400000_NS6detail17trampoline_kernelINS0_14default_configENS1_22reduce_config_selectorIbEEZNS1_11reduce_implILb1ES3_N6hipcub16HIPCUB_304000_NS22TransformInputIteratorIbN2at6native12_GLOBAL__N_19NonZeroOpIhEEPKhlEEPiiNS8_6detail34convert_binary_result_type_wrapperINS8_3SumESH_iEEEE10hipError_tPvRmT1_T2_T3_mT4_P12ihipStream_tbEUlT_E1_NS1_11comp_targetILNS1_3genE10ELNS1_11target_archE1201ELNS1_3gpuE5ELNS1_3repE0EEENS1_30default_config_static_selectorELNS0_4arch9wavefront6targetE0EEEvSQ_,"axG",@progbits,_ZN7rocprim17ROCPRIM_400000_NS6detail17trampoline_kernelINS0_14default_configENS1_22reduce_config_selectorIbEEZNS1_11reduce_implILb1ES3_N6hipcub16HIPCUB_304000_NS22TransformInputIteratorIbN2at6native12_GLOBAL__N_19NonZeroOpIhEEPKhlEEPiiNS8_6detail34convert_binary_result_type_wrapperINS8_3SumESH_iEEEE10hipError_tPvRmT1_T2_T3_mT4_P12ihipStream_tbEUlT_E1_NS1_11comp_targetILNS1_3genE10ELNS1_11target_archE1201ELNS1_3gpuE5ELNS1_3repE0EEENS1_30default_config_static_selectorELNS0_4arch9wavefront6targetE0EEEvSQ_,comdat
	.globl	_ZN7rocprim17ROCPRIM_400000_NS6detail17trampoline_kernelINS0_14default_configENS1_22reduce_config_selectorIbEEZNS1_11reduce_implILb1ES3_N6hipcub16HIPCUB_304000_NS22TransformInputIteratorIbN2at6native12_GLOBAL__N_19NonZeroOpIhEEPKhlEEPiiNS8_6detail34convert_binary_result_type_wrapperINS8_3SumESH_iEEEE10hipError_tPvRmT1_T2_T3_mT4_P12ihipStream_tbEUlT_E1_NS1_11comp_targetILNS1_3genE10ELNS1_11target_archE1201ELNS1_3gpuE5ELNS1_3repE0EEENS1_30default_config_static_selectorELNS0_4arch9wavefront6targetE0EEEvSQ_ ; -- Begin function _ZN7rocprim17ROCPRIM_400000_NS6detail17trampoline_kernelINS0_14default_configENS1_22reduce_config_selectorIbEEZNS1_11reduce_implILb1ES3_N6hipcub16HIPCUB_304000_NS22TransformInputIteratorIbN2at6native12_GLOBAL__N_19NonZeroOpIhEEPKhlEEPiiNS8_6detail34convert_binary_result_type_wrapperINS8_3SumESH_iEEEE10hipError_tPvRmT1_T2_T3_mT4_P12ihipStream_tbEUlT_E1_NS1_11comp_targetILNS1_3genE10ELNS1_11target_archE1201ELNS1_3gpuE5ELNS1_3repE0EEENS1_30default_config_static_selectorELNS0_4arch9wavefront6targetE0EEEvSQ_
	.p2align	8
	.type	_ZN7rocprim17ROCPRIM_400000_NS6detail17trampoline_kernelINS0_14default_configENS1_22reduce_config_selectorIbEEZNS1_11reduce_implILb1ES3_N6hipcub16HIPCUB_304000_NS22TransformInputIteratorIbN2at6native12_GLOBAL__N_19NonZeroOpIhEEPKhlEEPiiNS8_6detail34convert_binary_result_type_wrapperINS8_3SumESH_iEEEE10hipError_tPvRmT1_T2_T3_mT4_P12ihipStream_tbEUlT_E1_NS1_11comp_targetILNS1_3genE10ELNS1_11target_archE1201ELNS1_3gpuE5ELNS1_3repE0EEENS1_30default_config_static_selectorELNS0_4arch9wavefront6targetE0EEEvSQ_,@function
_ZN7rocprim17ROCPRIM_400000_NS6detail17trampoline_kernelINS0_14default_configENS1_22reduce_config_selectorIbEEZNS1_11reduce_implILb1ES3_N6hipcub16HIPCUB_304000_NS22TransformInputIteratorIbN2at6native12_GLOBAL__N_19NonZeroOpIhEEPKhlEEPiiNS8_6detail34convert_binary_result_type_wrapperINS8_3SumESH_iEEEE10hipError_tPvRmT1_T2_T3_mT4_P12ihipStream_tbEUlT_E1_NS1_11comp_targetILNS1_3genE10ELNS1_11target_archE1201ELNS1_3gpuE5ELNS1_3repE0EEENS1_30default_config_static_selectorELNS0_4arch9wavefront6targetE0EEEvSQ_: ; @_ZN7rocprim17ROCPRIM_400000_NS6detail17trampoline_kernelINS0_14default_configENS1_22reduce_config_selectorIbEEZNS1_11reduce_implILb1ES3_N6hipcub16HIPCUB_304000_NS22TransformInputIteratorIbN2at6native12_GLOBAL__N_19NonZeroOpIhEEPKhlEEPiiNS8_6detail34convert_binary_result_type_wrapperINS8_3SumESH_iEEEE10hipError_tPvRmT1_T2_T3_mT4_P12ihipStream_tbEUlT_E1_NS1_11comp_targetILNS1_3genE10ELNS1_11target_archE1201ELNS1_3gpuE5ELNS1_3repE0EEENS1_30default_config_static_selectorELNS0_4arch9wavefront6targetE0EEEvSQ_
; %bb.0:
	.section	.rodata,"a",@progbits
	.p2align	6, 0x0
	.amdhsa_kernel _ZN7rocprim17ROCPRIM_400000_NS6detail17trampoline_kernelINS0_14default_configENS1_22reduce_config_selectorIbEEZNS1_11reduce_implILb1ES3_N6hipcub16HIPCUB_304000_NS22TransformInputIteratorIbN2at6native12_GLOBAL__N_19NonZeroOpIhEEPKhlEEPiiNS8_6detail34convert_binary_result_type_wrapperINS8_3SumESH_iEEEE10hipError_tPvRmT1_T2_T3_mT4_P12ihipStream_tbEUlT_E1_NS1_11comp_targetILNS1_3genE10ELNS1_11target_archE1201ELNS1_3gpuE5ELNS1_3repE0EEENS1_30default_config_static_selectorELNS0_4arch9wavefront6targetE0EEEvSQ_
		.amdhsa_group_segment_fixed_size 0
		.amdhsa_private_segment_fixed_size 0
		.amdhsa_kernarg_size 48
		.amdhsa_user_sgpr_count 15
		.amdhsa_user_sgpr_dispatch_ptr 0
		.amdhsa_user_sgpr_queue_ptr 0
		.amdhsa_user_sgpr_kernarg_segment_ptr 1
		.amdhsa_user_sgpr_dispatch_id 0
		.amdhsa_user_sgpr_private_segment_size 0
		.amdhsa_wavefront_size32 1
		.amdhsa_uses_dynamic_stack 0
		.amdhsa_enable_private_segment 0
		.amdhsa_system_sgpr_workgroup_id_x 1
		.amdhsa_system_sgpr_workgroup_id_y 0
		.amdhsa_system_sgpr_workgroup_id_z 0
		.amdhsa_system_sgpr_workgroup_info 0
		.amdhsa_system_vgpr_workitem_id 0
		.amdhsa_next_free_vgpr 1
		.amdhsa_next_free_sgpr 1
		.amdhsa_reserve_vcc 0
		.amdhsa_float_round_mode_32 0
		.amdhsa_float_round_mode_16_64 0
		.amdhsa_float_denorm_mode_32 3
		.amdhsa_float_denorm_mode_16_64 3
		.amdhsa_dx10_clamp 1
		.amdhsa_ieee_mode 1
		.amdhsa_fp16_overflow 0
		.amdhsa_workgroup_processor_mode 1
		.amdhsa_memory_ordered 1
		.amdhsa_forward_progress 0
		.amdhsa_shared_vgpr_count 0
		.amdhsa_exception_fp_ieee_invalid_op 0
		.amdhsa_exception_fp_denorm_src 0
		.amdhsa_exception_fp_ieee_div_zero 0
		.amdhsa_exception_fp_ieee_overflow 0
		.amdhsa_exception_fp_ieee_underflow 0
		.amdhsa_exception_fp_ieee_inexact 0
		.amdhsa_exception_int_div_zero 0
	.end_amdhsa_kernel
	.section	.text._ZN7rocprim17ROCPRIM_400000_NS6detail17trampoline_kernelINS0_14default_configENS1_22reduce_config_selectorIbEEZNS1_11reduce_implILb1ES3_N6hipcub16HIPCUB_304000_NS22TransformInputIteratorIbN2at6native12_GLOBAL__N_19NonZeroOpIhEEPKhlEEPiiNS8_6detail34convert_binary_result_type_wrapperINS8_3SumESH_iEEEE10hipError_tPvRmT1_T2_T3_mT4_P12ihipStream_tbEUlT_E1_NS1_11comp_targetILNS1_3genE10ELNS1_11target_archE1201ELNS1_3gpuE5ELNS1_3repE0EEENS1_30default_config_static_selectorELNS0_4arch9wavefront6targetE0EEEvSQ_,"axG",@progbits,_ZN7rocprim17ROCPRIM_400000_NS6detail17trampoline_kernelINS0_14default_configENS1_22reduce_config_selectorIbEEZNS1_11reduce_implILb1ES3_N6hipcub16HIPCUB_304000_NS22TransformInputIteratorIbN2at6native12_GLOBAL__N_19NonZeroOpIhEEPKhlEEPiiNS8_6detail34convert_binary_result_type_wrapperINS8_3SumESH_iEEEE10hipError_tPvRmT1_T2_T3_mT4_P12ihipStream_tbEUlT_E1_NS1_11comp_targetILNS1_3genE10ELNS1_11target_archE1201ELNS1_3gpuE5ELNS1_3repE0EEENS1_30default_config_static_selectorELNS0_4arch9wavefront6targetE0EEEvSQ_,comdat
.Lfunc_end33:
	.size	_ZN7rocprim17ROCPRIM_400000_NS6detail17trampoline_kernelINS0_14default_configENS1_22reduce_config_selectorIbEEZNS1_11reduce_implILb1ES3_N6hipcub16HIPCUB_304000_NS22TransformInputIteratorIbN2at6native12_GLOBAL__N_19NonZeroOpIhEEPKhlEEPiiNS8_6detail34convert_binary_result_type_wrapperINS8_3SumESH_iEEEE10hipError_tPvRmT1_T2_T3_mT4_P12ihipStream_tbEUlT_E1_NS1_11comp_targetILNS1_3genE10ELNS1_11target_archE1201ELNS1_3gpuE5ELNS1_3repE0EEENS1_30default_config_static_selectorELNS0_4arch9wavefront6targetE0EEEvSQ_, .Lfunc_end33-_ZN7rocprim17ROCPRIM_400000_NS6detail17trampoline_kernelINS0_14default_configENS1_22reduce_config_selectorIbEEZNS1_11reduce_implILb1ES3_N6hipcub16HIPCUB_304000_NS22TransformInputIteratorIbN2at6native12_GLOBAL__N_19NonZeroOpIhEEPKhlEEPiiNS8_6detail34convert_binary_result_type_wrapperINS8_3SumESH_iEEEE10hipError_tPvRmT1_T2_T3_mT4_P12ihipStream_tbEUlT_E1_NS1_11comp_targetILNS1_3genE10ELNS1_11target_archE1201ELNS1_3gpuE5ELNS1_3repE0EEENS1_30default_config_static_selectorELNS0_4arch9wavefront6targetE0EEEvSQ_
                                        ; -- End function
	.section	.AMDGPU.csdata,"",@progbits
; Kernel info:
; codeLenInByte = 0
; NumSgprs: 0
; NumVgprs: 0
; ScratchSize: 0
; MemoryBound: 0
; FloatMode: 240
; IeeeMode: 1
; LDSByteSize: 0 bytes/workgroup (compile time only)
; SGPRBlocks: 0
; VGPRBlocks: 0
; NumSGPRsForWavesPerEU: 1
; NumVGPRsForWavesPerEU: 1
; Occupancy: 16
; WaveLimiterHint : 0
; COMPUTE_PGM_RSRC2:SCRATCH_EN: 0
; COMPUTE_PGM_RSRC2:USER_SGPR: 15
; COMPUTE_PGM_RSRC2:TRAP_HANDLER: 0
; COMPUTE_PGM_RSRC2:TGID_X_EN: 1
; COMPUTE_PGM_RSRC2:TGID_Y_EN: 0
; COMPUTE_PGM_RSRC2:TGID_Z_EN: 0
; COMPUTE_PGM_RSRC2:TIDIG_COMP_CNT: 0
	.section	.text._ZN7rocprim17ROCPRIM_400000_NS6detail17trampoline_kernelINS0_14default_configENS1_22reduce_config_selectorIbEEZNS1_11reduce_implILb1ES3_N6hipcub16HIPCUB_304000_NS22TransformInputIteratorIbN2at6native12_GLOBAL__N_19NonZeroOpIhEEPKhlEEPiiNS8_6detail34convert_binary_result_type_wrapperINS8_3SumESH_iEEEE10hipError_tPvRmT1_T2_T3_mT4_P12ihipStream_tbEUlT_E1_NS1_11comp_targetILNS1_3genE10ELNS1_11target_archE1200ELNS1_3gpuE4ELNS1_3repE0EEENS1_30default_config_static_selectorELNS0_4arch9wavefront6targetE0EEEvSQ_,"axG",@progbits,_ZN7rocprim17ROCPRIM_400000_NS6detail17trampoline_kernelINS0_14default_configENS1_22reduce_config_selectorIbEEZNS1_11reduce_implILb1ES3_N6hipcub16HIPCUB_304000_NS22TransformInputIteratorIbN2at6native12_GLOBAL__N_19NonZeroOpIhEEPKhlEEPiiNS8_6detail34convert_binary_result_type_wrapperINS8_3SumESH_iEEEE10hipError_tPvRmT1_T2_T3_mT4_P12ihipStream_tbEUlT_E1_NS1_11comp_targetILNS1_3genE10ELNS1_11target_archE1200ELNS1_3gpuE4ELNS1_3repE0EEENS1_30default_config_static_selectorELNS0_4arch9wavefront6targetE0EEEvSQ_,comdat
	.globl	_ZN7rocprim17ROCPRIM_400000_NS6detail17trampoline_kernelINS0_14default_configENS1_22reduce_config_selectorIbEEZNS1_11reduce_implILb1ES3_N6hipcub16HIPCUB_304000_NS22TransformInputIteratorIbN2at6native12_GLOBAL__N_19NonZeroOpIhEEPKhlEEPiiNS8_6detail34convert_binary_result_type_wrapperINS8_3SumESH_iEEEE10hipError_tPvRmT1_T2_T3_mT4_P12ihipStream_tbEUlT_E1_NS1_11comp_targetILNS1_3genE10ELNS1_11target_archE1200ELNS1_3gpuE4ELNS1_3repE0EEENS1_30default_config_static_selectorELNS0_4arch9wavefront6targetE0EEEvSQ_ ; -- Begin function _ZN7rocprim17ROCPRIM_400000_NS6detail17trampoline_kernelINS0_14default_configENS1_22reduce_config_selectorIbEEZNS1_11reduce_implILb1ES3_N6hipcub16HIPCUB_304000_NS22TransformInputIteratorIbN2at6native12_GLOBAL__N_19NonZeroOpIhEEPKhlEEPiiNS8_6detail34convert_binary_result_type_wrapperINS8_3SumESH_iEEEE10hipError_tPvRmT1_T2_T3_mT4_P12ihipStream_tbEUlT_E1_NS1_11comp_targetILNS1_3genE10ELNS1_11target_archE1200ELNS1_3gpuE4ELNS1_3repE0EEENS1_30default_config_static_selectorELNS0_4arch9wavefront6targetE0EEEvSQ_
	.p2align	8
	.type	_ZN7rocprim17ROCPRIM_400000_NS6detail17trampoline_kernelINS0_14default_configENS1_22reduce_config_selectorIbEEZNS1_11reduce_implILb1ES3_N6hipcub16HIPCUB_304000_NS22TransformInputIteratorIbN2at6native12_GLOBAL__N_19NonZeroOpIhEEPKhlEEPiiNS8_6detail34convert_binary_result_type_wrapperINS8_3SumESH_iEEEE10hipError_tPvRmT1_T2_T3_mT4_P12ihipStream_tbEUlT_E1_NS1_11comp_targetILNS1_3genE10ELNS1_11target_archE1200ELNS1_3gpuE4ELNS1_3repE0EEENS1_30default_config_static_selectorELNS0_4arch9wavefront6targetE0EEEvSQ_,@function
_ZN7rocprim17ROCPRIM_400000_NS6detail17trampoline_kernelINS0_14default_configENS1_22reduce_config_selectorIbEEZNS1_11reduce_implILb1ES3_N6hipcub16HIPCUB_304000_NS22TransformInputIteratorIbN2at6native12_GLOBAL__N_19NonZeroOpIhEEPKhlEEPiiNS8_6detail34convert_binary_result_type_wrapperINS8_3SumESH_iEEEE10hipError_tPvRmT1_T2_T3_mT4_P12ihipStream_tbEUlT_E1_NS1_11comp_targetILNS1_3genE10ELNS1_11target_archE1200ELNS1_3gpuE4ELNS1_3repE0EEENS1_30default_config_static_selectorELNS0_4arch9wavefront6targetE0EEEvSQ_: ; @_ZN7rocprim17ROCPRIM_400000_NS6detail17trampoline_kernelINS0_14default_configENS1_22reduce_config_selectorIbEEZNS1_11reduce_implILb1ES3_N6hipcub16HIPCUB_304000_NS22TransformInputIteratorIbN2at6native12_GLOBAL__N_19NonZeroOpIhEEPKhlEEPiiNS8_6detail34convert_binary_result_type_wrapperINS8_3SumESH_iEEEE10hipError_tPvRmT1_T2_T3_mT4_P12ihipStream_tbEUlT_E1_NS1_11comp_targetILNS1_3genE10ELNS1_11target_archE1200ELNS1_3gpuE4ELNS1_3repE0EEENS1_30default_config_static_selectorELNS0_4arch9wavefront6targetE0EEEvSQ_
; %bb.0:
	.section	.rodata,"a",@progbits
	.p2align	6, 0x0
	.amdhsa_kernel _ZN7rocprim17ROCPRIM_400000_NS6detail17trampoline_kernelINS0_14default_configENS1_22reduce_config_selectorIbEEZNS1_11reduce_implILb1ES3_N6hipcub16HIPCUB_304000_NS22TransformInputIteratorIbN2at6native12_GLOBAL__N_19NonZeroOpIhEEPKhlEEPiiNS8_6detail34convert_binary_result_type_wrapperINS8_3SumESH_iEEEE10hipError_tPvRmT1_T2_T3_mT4_P12ihipStream_tbEUlT_E1_NS1_11comp_targetILNS1_3genE10ELNS1_11target_archE1200ELNS1_3gpuE4ELNS1_3repE0EEENS1_30default_config_static_selectorELNS0_4arch9wavefront6targetE0EEEvSQ_
		.amdhsa_group_segment_fixed_size 0
		.amdhsa_private_segment_fixed_size 0
		.amdhsa_kernarg_size 48
		.amdhsa_user_sgpr_count 15
		.amdhsa_user_sgpr_dispatch_ptr 0
		.amdhsa_user_sgpr_queue_ptr 0
		.amdhsa_user_sgpr_kernarg_segment_ptr 1
		.amdhsa_user_sgpr_dispatch_id 0
		.amdhsa_user_sgpr_private_segment_size 0
		.amdhsa_wavefront_size32 1
		.amdhsa_uses_dynamic_stack 0
		.amdhsa_enable_private_segment 0
		.amdhsa_system_sgpr_workgroup_id_x 1
		.amdhsa_system_sgpr_workgroup_id_y 0
		.amdhsa_system_sgpr_workgroup_id_z 0
		.amdhsa_system_sgpr_workgroup_info 0
		.amdhsa_system_vgpr_workitem_id 0
		.amdhsa_next_free_vgpr 1
		.amdhsa_next_free_sgpr 1
		.amdhsa_reserve_vcc 0
		.amdhsa_float_round_mode_32 0
		.amdhsa_float_round_mode_16_64 0
		.amdhsa_float_denorm_mode_32 3
		.amdhsa_float_denorm_mode_16_64 3
		.amdhsa_dx10_clamp 1
		.amdhsa_ieee_mode 1
		.amdhsa_fp16_overflow 0
		.amdhsa_workgroup_processor_mode 1
		.amdhsa_memory_ordered 1
		.amdhsa_forward_progress 0
		.amdhsa_shared_vgpr_count 0
		.amdhsa_exception_fp_ieee_invalid_op 0
		.amdhsa_exception_fp_denorm_src 0
		.amdhsa_exception_fp_ieee_div_zero 0
		.amdhsa_exception_fp_ieee_overflow 0
		.amdhsa_exception_fp_ieee_underflow 0
		.amdhsa_exception_fp_ieee_inexact 0
		.amdhsa_exception_int_div_zero 0
	.end_amdhsa_kernel
	.section	.text._ZN7rocprim17ROCPRIM_400000_NS6detail17trampoline_kernelINS0_14default_configENS1_22reduce_config_selectorIbEEZNS1_11reduce_implILb1ES3_N6hipcub16HIPCUB_304000_NS22TransformInputIteratorIbN2at6native12_GLOBAL__N_19NonZeroOpIhEEPKhlEEPiiNS8_6detail34convert_binary_result_type_wrapperINS8_3SumESH_iEEEE10hipError_tPvRmT1_T2_T3_mT4_P12ihipStream_tbEUlT_E1_NS1_11comp_targetILNS1_3genE10ELNS1_11target_archE1200ELNS1_3gpuE4ELNS1_3repE0EEENS1_30default_config_static_selectorELNS0_4arch9wavefront6targetE0EEEvSQ_,"axG",@progbits,_ZN7rocprim17ROCPRIM_400000_NS6detail17trampoline_kernelINS0_14default_configENS1_22reduce_config_selectorIbEEZNS1_11reduce_implILb1ES3_N6hipcub16HIPCUB_304000_NS22TransformInputIteratorIbN2at6native12_GLOBAL__N_19NonZeroOpIhEEPKhlEEPiiNS8_6detail34convert_binary_result_type_wrapperINS8_3SumESH_iEEEE10hipError_tPvRmT1_T2_T3_mT4_P12ihipStream_tbEUlT_E1_NS1_11comp_targetILNS1_3genE10ELNS1_11target_archE1200ELNS1_3gpuE4ELNS1_3repE0EEENS1_30default_config_static_selectorELNS0_4arch9wavefront6targetE0EEEvSQ_,comdat
.Lfunc_end34:
	.size	_ZN7rocprim17ROCPRIM_400000_NS6detail17trampoline_kernelINS0_14default_configENS1_22reduce_config_selectorIbEEZNS1_11reduce_implILb1ES3_N6hipcub16HIPCUB_304000_NS22TransformInputIteratorIbN2at6native12_GLOBAL__N_19NonZeroOpIhEEPKhlEEPiiNS8_6detail34convert_binary_result_type_wrapperINS8_3SumESH_iEEEE10hipError_tPvRmT1_T2_T3_mT4_P12ihipStream_tbEUlT_E1_NS1_11comp_targetILNS1_3genE10ELNS1_11target_archE1200ELNS1_3gpuE4ELNS1_3repE0EEENS1_30default_config_static_selectorELNS0_4arch9wavefront6targetE0EEEvSQ_, .Lfunc_end34-_ZN7rocprim17ROCPRIM_400000_NS6detail17trampoline_kernelINS0_14default_configENS1_22reduce_config_selectorIbEEZNS1_11reduce_implILb1ES3_N6hipcub16HIPCUB_304000_NS22TransformInputIteratorIbN2at6native12_GLOBAL__N_19NonZeroOpIhEEPKhlEEPiiNS8_6detail34convert_binary_result_type_wrapperINS8_3SumESH_iEEEE10hipError_tPvRmT1_T2_T3_mT4_P12ihipStream_tbEUlT_E1_NS1_11comp_targetILNS1_3genE10ELNS1_11target_archE1200ELNS1_3gpuE4ELNS1_3repE0EEENS1_30default_config_static_selectorELNS0_4arch9wavefront6targetE0EEEvSQ_
                                        ; -- End function
	.section	.AMDGPU.csdata,"",@progbits
; Kernel info:
; codeLenInByte = 0
; NumSgprs: 0
; NumVgprs: 0
; ScratchSize: 0
; MemoryBound: 0
; FloatMode: 240
; IeeeMode: 1
; LDSByteSize: 0 bytes/workgroup (compile time only)
; SGPRBlocks: 0
; VGPRBlocks: 0
; NumSGPRsForWavesPerEU: 1
; NumVGPRsForWavesPerEU: 1
; Occupancy: 16
; WaveLimiterHint : 0
; COMPUTE_PGM_RSRC2:SCRATCH_EN: 0
; COMPUTE_PGM_RSRC2:USER_SGPR: 15
; COMPUTE_PGM_RSRC2:TRAP_HANDLER: 0
; COMPUTE_PGM_RSRC2:TGID_X_EN: 1
; COMPUTE_PGM_RSRC2:TGID_Y_EN: 0
; COMPUTE_PGM_RSRC2:TGID_Z_EN: 0
; COMPUTE_PGM_RSRC2:TIDIG_COMP_CNT: 0
	.section	.text._ZN7rocprim17ROCPRIM_400000_NS6detail17trampoline_kernelINS0_14default_configENS1_22reduce_config_selectorIbEEZNS1_11reduce_implILb1ES3_N6hipcub16HIPCUB_304000_NS22TransformInputIteratorIbN2at6native12_GLOBAL__N_19NonZeroOpIhEEPKhlEEPiiNS8_6detail34convert_binary_result_type_wrapperINS8_3SumESH_iEEEE10hipError_tPvRmT1_T2_T3_mT4_P12ihipStream_tbEUlT_E1_NS1_11comp_targetILNS1_3genE9ELNS1_11target_archE1100ELNS1_3gpuE3ELNS1_3repE0EEENS1_30default_config_static_selectorELNS0_4arch9wavefront6targetE0EEEvSQ_,"axG",@progbits,_ZN7rocprim17ROCPRIM_400000_NS6detail17trampoline_kernelINS0_14default_configENS1_22reduce_config_selectorIbEEZNS1_11reduce_implILb1ES3_N6hipcub16HIPCUB_304000_NS22TransformInputIteratorIbN2at6native12_GLOBAL__N_19NonZeroOpIhEEPKhlEEPiiNS8_6detail34convert_binary_result_type_wrapperINS8_3SumESH_iEEEE10hipError_tPvRmT1_T2_T3_mT4_P12ihipStream_tbEUlT_E1_NS1_11comp_targetILNS1_3genE9ELNS1_11target_archE1100ELNS1_3gpuE3ELNS1_3repE0EEENS1_30default_config_static_selectorELNS0_4arch9wavefront6targetE0EEEvSQ_,comdat
	.globl	_ZN7rocprim17ROCPRIM_400000_NS6detail17trampoline_kernelINS0_14default_configENS1_22reduce_config_selectorIbEEZNS1_11reduce_implILb1ES3_N6hipcub16HIPCUB_304000_NS22TransformInputIteratorIbN2at6native12_GLOBAL__N_19NonZeroOpIhEEPKhlEEPiiNS8_6detail34convert_binary_result_type_wrapperINS8_3SumESH_iEEEE10hipError_tPvRmT1_T2_T3_mT4_P12ihipStream_tbEUlT_E1_NS1_11comp_targetILNS1_3genE9ELNS1_11target_archE1100ELNS1_3gpuE3ELNS1_3repE0EEENS1_30default_config_static_selectorELNS0_4arch9wavefront6targetE0EEEvSQ_ ; -- Begin function _ZN7rocprim17ROCPRIM_400000_NS6detail17trampoline_kernelINS0_14default_configENS1_22reduce_config_selectorIbEEZNS1_11reduce_implILb1ES3_N6hipcub16HIPCUB_304000_NS22TransformInputIteratorIbN2at6native12_GLOBAL__N_19NonZeroOpIhEEPKhlEEPiiNS8_6detail34convert_binary_result_type_wrapperINS8_3SumESH_iEEEE10hipError_tPvRmT1_T2_T3_mT4_P12ihipStream_tbEUlT_E1_NS1_11comp_targetILNS1_3genE9ELNS1_11target_archE1100ELNS1_3gpuE3ELNS1_3repE0EEENS1_30default_config_static_selectorELNS0_4arch9wavefront6targetE0EEEvSQ_
	.p2align	8
	.type	_ZN7rocprim17ROCPRIM_400000_NS6detail17trampoline_kernelINS0_14default_configENS1_22reduce_config_selectorIbEEZNS1_11reduce_implILb1ES3_N6hipcub16HIPCUB_304000_NS22TransformInputIteratorIbN2at6native12_GLOBAL__N_19NonZeroOpIhEEPKhlEEPiiNS8_6detail34convert_binary_result_type_wrapperINS8_3SumESH_iEEEE10hipError_tPvRmT1_T2_T3_mT4_P12ihipStream_tbEUlT_E1_NS1_11comp_targetILNS1_3genE9ELNS1_11target_archE1100ELNS1_3gpuE3ELNS1_3repE0EEENS1_30default_config_static_selectorELNS0_4arch9wavefront6targetE0EEEvSQ_,@function
_ZN7rocprim17ROCPRIM_400000_NS6detail17trampoline_kernelINS0_14default_configENS1_22reduce_config_selectorIbEEZNS1_11reduce_implILb1ES3_N6hipcub16HIPCUB_304000_NS22TransformInputIteratorIbN2at6native12_GLOBAL__N_19NonZeroOpIhEEPKhlEEPiiNS8_6detail34convert_binary_result_type_wrapperINS8_3SumESH_iEEEE10hipError_tPvRmT1_T2_T3_mT4_P12ihipStream_tbEUlT_E1_NS1_11comp_targetILNS1_3genE9ELNS1_11target_archE1100ELNS1_3gpuE3ELNS1_3repE0EEENS1_30default_config_static_selectorELNS0_4arch9wavefront6targetE0EEEvSQ_: ; @_ZN7rocprim17ROCPRIM_400000_NS6detail17trampoline_kernelINS0_14default_configENS1_22reduce_config_selectorIbEEZNS1_11reduce_implILb1ES3_N6hipcub16HIPCUB_304000_NS22TransformInputIteratorIbN2at6native12_GLOBAL__N_19NonZeroOpIhEEPKhlEEPiiNS8_6detail34convert_binary_result_type_wrapperINS8_3SumESH_iEEEE10hipError_tPvRmT1_T2_T3_mT4_P12ihipStream_tbEUlT_E1_NS1_11comp_targetILNS1_3genE9ELNS1_11target_archE1100ELNS1_3gpuE3ELNS1_3repE0EEENS1_30default_config_static_selectorELNS0_4arch9wavefront6targetE0EEEvSQ_
; %bb.0:
	s_clause 0x2
	s_load_b32 s26, s[0:1], 0x4
	s_load_b64 s[24:25], s[0:1], 0x8
	s_load_b128 s[20:23], s[0:1], 0x18
	s_mov_b32 s18, s15
	s_waitcnt lgkmcnt(0)
	s_cmp_lt_i32 s26, 16
	s_cbranch_scc1 .LBB35_12
; %bb.1:
	s_cmp_gt_i32 s26, 63
	s_cbranch_scc0 .LBB35_13
; %bb.2:
	s_cmpk_gt_i32 s26, 0x7f
	s_cbranch_scc0 .LBB35_22
; %bb.3:
	s_cmpk_eq_i32 s26, 0x80
	s_mov_b32 s4, 0
	s_cbranch_scc0 .LBB35_23
; %bb.4:
	s_lshl_b32 s5, s18, 14
	s_lshr_b64 s[6:7], s[20:21], 14
	s_mov_b32 s19, 0
	s_add_u32 s2, s24, s5
	s_addc_u32 s3, s25, 0
	s_cmp_lg_u64 s[6:7], s[18:19]
	s_cbranch_scc0 .LBB35_34
; %bb.5:
	s_clause 0x1e
	global_load_u8 v7, v0, s[2:3]
	global_load_u8 v8, v0, s[2:3] offset:256
	global_load_u8 v9, v0, s[2:3] offset:128
	;; [unrolled: 1-line block ×30, first 2 shown]
	v_add_co_u32 v34, s6, s2, v0
	s_delay_alu instid0(VALU_DEP_1) | instskip(SKIP_1) | instid1(VALU_DEP_2)
	v_add_co_ci_u32_e64 v35, null, s3, 0, s6
	s_mov_b32 s6, exec_lo
	v_add_co_u32 v1, vcc_lo, v34, 0x2000
	s_delay_alu instid0(VALU_DEP_2)
	v_add_co_ci_u32_e32 v2, vcc_lo, 0, v35, vcc_lo
	v_add_co_u32 v3, vcc_lo, 0x1000, v34
	v_add_co_ci_u32_e32 v4, vcc_lo, 0, v35, vcc_lo
	s_clause 0x1f
	global_load_u8 v40, v[1:2], off offset:-4096
	global_load_u8 v41, v0, s[2:3] offset:3968
	global_load_u8 v42, v[3:4], off offset:256
	global_load_u8 v43, v[3:4], off offset:128
	;; [unrolled: 1-line block ×30, first 2 shown]
	v_add_co_u32 v5, vcc_lo, 0x2000, v34
	v_add_co_ci_u32_e32 v6, vcc_lo, 0, v35, vcc_lo
	s_clause 0x1d
	global_load_u8 v72, v[1:2], off
	global_load_u8 v3, v[3:4], off offset:3968
	global_load_u8 v4, v[5:6], off offset:256
	;; [unrolled: 1-line block ×29, first 2 shown]
	v_add_co_u32 v1, vcc_lo, 0x3000, v34
	v_add_co_ci_u32_e32 v2, vcc_lo, 0, v35, vcc_lo
	s_clause 0x1f
	global_load_u8 v34, v[5:6], off offset:3840
	global_load_u8 v35, v[5:6], off offset:3712
	global_load_u8 v100, v[1:2], off
	global_load_u8 v5, v[5:6], off offset:3968
	global_load_u8 v6, v[1:2], off offset:256
	;; [unrolled: 1-line block ×29, first 2 shown]
	s_clause 0x2
	global_load_u8 v128, v[1:2], off offset:3840
	global_load_u8 v129, v[1:2], off offset:3712
	;; [unrolled: 1-line block ×3, first 2 shown]
	s_waitcnt vmcnt(62)
	v_cmp_ne_u16_e32 vcc_lo, 0, v7
	v_cndmask_b32_e64 v2, 0, 1, vcc_lo
	v_cmp_ne_u16_e32 vcc_lo, 0, v8
	v_cndmask_b32_e64 v7, 0, 1, vcc_lo
	v_cmp_ne_u16_e32 vcc_lo, 0, v9
	s_delay_alu instid0(VALU_DEP_4) | instskip(SKIP_3) | instid1(VALU_DEP_4)
	v_add_co_ci_u32_e32 v2, vcc_lo, 0, v2, vcc_lo
	v_cmp_ne_u16_e32 vcc_lo, 0, v10
	v_cndmask_b32_e64 v8, 0, 1, vcc_lo
	v_cmp_ne_u16_e32 vcc_lo, 0, v11
	v_add_co_ci_u32_e32 v2, vcc_lo, v2, v7, vcc_lo
	v_cmp_ne_u16_e32 vcc_lo, 0, v12
	v_cndmask_b32_e64 v7, 0, 1, vcc_lo
	v_cmp_ne_u16_e32 vcc_lo, 0, v13
	s_delay_alu instid0(VALU_DEP_4) | instskip(SKIP_3) | instid1(VALU_DEP_4)
	v_add_co_ci_u32_e32 v2, vcc_lo, v2, v8, vcc_lo
	v_cmp_ne_u16_e32 vcc_lo, 0, v14
	v_cndmask_b32_e64 v8, 0, 1, vcc_lo
	v_cmp_ne_u16_e32 vcc_lo, 0, v15
	v_add_co_ci_u32_e32 v2, vcc_lo, v2, v7, vcc_lo
	v_cmp_ne_u16_e32 vcc_lo, 0, v16
	v_cndmask_b32_e64 v7, 0, 1, vcc_lo
	v_cmp_ne_u16_e32 vcc_lo, 0, v17
	s_delay_alu instid0(VALU_DEP_4) | instskip(SKIP_3) | instid1(VALU_DEP_4)
	v_add_co_ci_u32_e32 v2, vcc_lo, v2, v8, vcc_lo
	v_cmp_ne_u16_e32 vcc_lo, 0, v18
	v_cndmask_b32_e64 v8, 0, 1, vcc_lo
	v_cmp_ne_u16_e32 vcc_lo, 0, v19
	v_add_co_ci_u32_e32 v2, vcc_lo, v2, v7, vcc_lo
	v_cmp_ne_u16_e32 vcc_lo, 0, v20
	v_cndmask_b32_e64 v7, 0, 1, vcc_lo
	v_cmp_ne_u16_e32 vcc_lo, 0, v21
	s_delay_alu instid0(VALU_DEP_4) | instskip(SKIP_3) | instid1(VALU_DEP_4)
	v_add_co_ci_u32_e32 v2, vcc_lo, v2, v8, vcc_lo
	v_cmp_ne_u16_e32 vcc_lo, 0, v22
	v_cndmask_b32_e64 v8, 0, 1, vcc_lo
	v_cmp_ne_u16_e32 vcc_lo, 0, v23
	v_add_co_ci_u32_e32 v2, vcc_lo, v2, v7, vcc_lo
	v_cmp_ne_u16_e32 vcc_lo, 0, v24
	v_cndmask_b32_e64 v7, 0, 1, vcc_lo
	v_cmp_ne_u16_e32 vcc_lo, 0, v25
	s_delay_alu instid0(VALU_DEP_4) | instskip(SKIP_3) | instid1(VALU_DEP_4)
	v_add_co_ci_u32_e32 v2, vcc_lo, v2, v8, vcc_lo
	v_cmp_ne_u16_e32 vcc_lo, 0, v26
	v_cndmask_b32_e64 v8, 0, 1, vcc_lo
	v_cmp_ne_u16_e32 vcc_lo, 0, v27
	v_add_co_ci_u32_e32 v2, vcc_lo, v2, v7, vcc_lo
	v_cmp_ne_u16_e32 vcc_lo, 0, v28
	v_cndmask_b32_e64 v7, 0, 1, vcc_lo
	v_cmp_ne_u16_e32 vcc_lo, 0, v29
	s_delay_alu instid0(VALU_DEP_4) | instskip(SKIP_3) | instid1(VALU_DEP_4)
	v_add_co_ci_u32_e32 v2, vcc_lo, v2, v8, vcc_lo
	v_cmp_ne_u16_e32 vcc_lo, 0, v30
	v_cndmask_b32_e64 v8, 0, 1, vcc_lo
	v_cmp_ne_u16_e32 vcc_lo, 0, v31
	v_add_co_ci_u32_e32 v2, vcc_lo, v2, v7, vcc_lo
	v_cmp_ne_u16_e32 vcc_lo, 0, v33
	v_cndmask_b32_e64 v7, 0, 1, vcc_lo
	v_cmp_ne_u16_e32 vcc_lo, 0, v32
	s_delay_alu instid0(VALU_DEP_4) | instskip(SKIP_3) | instid1(VALU_DEP_4)
	v_add_co_ci_u32_e32 v2, vcc_lo, v2, v8, vcc_lo
	v_cmp_ne_u16_e32 vcc_lo, 0, v37
	v_cndmask_b32_e64 v8, 0, 1, vcc_lo
	v_cmp_ne_u16_e32 vcc_lo, 0, v36
	v_add_co_ci_u32_e32 v2, vcc_lo, v2, v7, vcc_lo
	v_cmp_ne_u16_e32 vcc_lo, 0, v39
	v_cndmask_b32_e64 v7, 0, 1, vcc_lo
	v_cmp_ne_u16_e32 vcc_lo, 0, v38
	s_delay_alu instid0(VALU_DEP_4) | instskip(SKIP_3) | instid1(VALU_DEP_4)
	v_add_co_ci_u32_e32 v2, vcc_lo, v2, v8, vcc_lo
	v_cmp_ne_u16_e32 vcc_lo, 0, v40
	v_cndmask_b32_e64 v8, 0, 1, vcc_lo
	v_cmp_ne_u16_e32 vcc_lo, 0, v41
	v_add_co_ci_u32_e32 v2, vcc_lo, v2, v7, vcc_lo
	v_cmp_ne_u16_e32 vcc_lo, 0, v42
	v_cndmask_b32_e64 v7, 0, 1, vcc_lo
	v_cmp_ne_u16_e32 vcc_lo, 0, v43
	s_delay_alu instid0(VALU_DEP_4) | instskip(SKIP_3) | instid1(VALU_DEP_4)
	v_add_co_ci_u32_e32 v2, vcc_lo, v2, v8, vcc_lo
	v_cmp_ne_u16_e32 vcc_lo, 0, v44
	v_cndmask_b32_e64 v8, 0, 1, vcc_lo
	v_cmp_ne_u16_e32 vcc_lo, 0, v45
	v_add_co_ci_u32_e32 v2, vcc_lo, v2, v7, vcc_lo
	v_cmp_ne_u16_e32 vcc_lo, 0, v46
	v_cndmask_b32_e64 v7, 0, 1, vcc_lo
	v_cmp_ne_u16_e32 vcc_lo, 0, v47
	s_delay_alu instid0(VALU_DEP_4) | instskip(SKIP_3) | instid1(VALU_DEP_4)
	v_add_co_ci_u32_e32 v2, vcc_lo, v2, v8, vcc_lo
	v_cmp_ne_u16_e32 vcc_lo, 0, v48
	v_cndmask_b32_e64 v8, 0, 1, vcc_lo
	v_cmp_ne_u16_e32 vcc_lo, 0, v49
	v_add_co_ci_u32_e32 v2, vcc_lo, v2, v7, vcc_lo
	v_cmp_ne_u16_e32 vcc_lo, 0, v50
	v_cndmask_b32_e64 v7, 0, 1, vcc_lo
	v_cmp_ne_u16_e32 vcc_lo, 0, v51
	s_delay_alu instid0(VALU_DEP_4) | instskip(SKIP_3) | instid1(VALU_DEP_4)
	v_add_co_ci_u32_e32 v2, vcc_lo, v2, v8, vcc_lo
	v_cmp_ne_u16_e32 vcc_lo, 0, v52
	v_cndmask_b32_e64 v8, 0, 1, vcc_lo
	v_cmp_ne_u16_e32 vcc_lo, 0, v53
	v_add_co_ci_u32_e32 v2, vcc_lo, v2, v7, vcc_lo
	v_cmp_ne_u16_e32 vcc_lo, 0, v54
	v_cndmask_b32_e64 v7, 0, 1, vcc_lo
	v_cmp_ne_u16_e32 vcc_lo, 0, v55
	s_delay_alu instid0(VALU_DEP_4) | instskip(SKIP_3) | instid1(VALU_DEP_4)
	v_add_co_ci_u32_e32 v2, vcc_lo, v2, v8, vcc_lo
	v_cmp_ne_u16_e32 vcc_lo, 0, v56
	v_cndmask_b32_e64 v8, 0, 1, vcc_lo
	v_cmp_ne_u16_e32 vcc_lo, 0, v57
	v_add_co_ci_u32_e32 v2, vcc_lo, v2, v7, vcc_lo
	v_cmp_ne_u16_e32 vcc_lo, 0, v58
	v_cndmask_b32_e64 v7, 0, 1, vcc_lo
	v_cmp_ne_u16_e32 vcc_lo, 0, v59
	s_delay_alu instid0(VALU_DEP_4) | instskip(SKIP_3) | instid1(VALU_DEP_4)
	v_add_co_ci_u32_e32 v2, vcc_lo, v2, v8, vcc_lo
	v_cmp_ne_u16_e32 vcc_lo, 0, v60
	v_cndmask_b32_e64 v8, 0, 1, vcc_lo
	v_cmp_ne_u16_e32 vcc_lo, 0, v61
	v_add_co_ci_u32_e32 v2, vcc_lo, v2, v7, vcc_lo
	v_cmp_ne_u16_e32 vcc_lo, 0, v62
	v_cndmask_b32_e64 v7, 0, 1, vcc_lo
	v_cmp_ne_u16_e32 vcc_lo, 0, v63
	s_delay_alu instid0(VALU_DEP_4) | instskip(SKIP_3) | instid1(VALU_DEP_4)
	v_add_co_ci_u32_e32 v2, vcc_lo, v2, v8, vcc_lo
	v_cmp_ne_u16_e32 vcc_lo, 0, v64
	v_cndmask_b32_e64 v8, 0, 1, vcc_lo
	v_cmp_ne_u16_e32 vcc_lo, 0, v65
	v_add_co_ci_u32_e32 v2, vcc_lo, v2, v7, vcc_lo
	v_cmp_ne_u16_e32 vcc_lo, 0, v66
	v_cndmask_b32_e64 v7, 0, 1, vcc_lo
	v_cmp_ne_u16_e32 vcc_lo, 0, v67
	s_delay_alu instid0(VALU_DEP_4) | instskip(SKIP_3) | instid1(VALU_DEP_4)
	v_add_co_ci_u32_e32 v2, vcc_lo, v2, v8, vcc_lo
	v_cmp_ne_u16_e32 vcc_lo, 0, v68
	v_cndmask_b32_e64 v8, 0, 1, vcc_lo
	v_cmp_ne_u16_e32 vcc_lo, 0, v69
	v_add_co_ci_u32_e32 v2, vcc_lo, v2, v7, vcc_lo
	v_cmp_ne_u16_e32 vcc_lo, 0, v71
	v_cndmask_b32_e64 v7, 0, 1, vcc_lo
	v_cmp_ne_u16_e32 vcc_lo, 0, v70
	s_delay_alu instid0(VALU_DEP_4) | instskip(SKIP_3) | instid1(VALU_DEP_4)
	v_add_co_ci_u32_e32 v2, vcc_lo, v2, v8, vcc_lo
	v_cmp_ne_u16_e32 vcc_lo, 0, v72
	v_cndmask_b32_e64 v8, 0, 1, vcc_lo
	v_cmp_ne_u16_e32 vcc_lo, 0, v3
	v_add_co_ci_u32_e32 v2, vcc_lo, v2, v7, vcc_lo
	v_cmp_ne_u16_e32 vcc_lo, 0, v4
	v_cndmask_b32_e64 v3, 0, 1, vcc_lo
	s_waitcnt vmcnt(61)
	v_cmp_ne_u16_e32 vcc_lo, 0, v73
	v_add_co_ci_u32_e32 v2, vcc_lo, v2, v8, vcc_lo
	s_waitcnt vmcnt(60)
	v_cmp_ne_u16_e32 vcc_lo, 0, v74
	v_cndmask_b32_e64 v4, 0, 1, vcc_lo
	s_waitcnt vmcnt(59)
	v_cmp_ne_u16_e32 vcc_lo, 0, v75
	v_add_co_ci_u32_e32 v2, vcc_lo, v2, v3, vcc_lo
	s_waitcnt vmcnt(58)
	;; [unrolled: 6-line block ×13, first 2 shown]
	v_cmp_ne_u16_e32 vcc_lo, 0, v99
	v_cndmask_b32_e64 v4, 0, 1, vcc_lo
	v_cmp_ne_u16_e32 vcc_lo, 0, v98
	v_add_co_ci_u32_e32 v2, vcc_lo, v2, v3, vcc_lo
	s_waitcnt vmcnt(34)
	v_cmp_ne_u16_e32 vcc_lo, 0, v34
	v_cndmask_b32_e64 v3, 0, 1, vcc_lo
	s_waitcnt vmcnt(33)
	v_cmp_ne_u16_e32 vcc_lo, 0, v35
	v_add_co_ci_u32_e32 v2, vcc_lo, v2, v4, vcc_lo
	s_waitcnt vmcnt(32)
	v_cmp_ne_u16_e32 vcc_lo, 0, v100
	v_cndmask_b32_e64 v4, 0, 1, vcc_lo
	s_waitcnt vmcnt(31)
	;; [unrolled: 6-line block ×16, first 2 shown]
	v_cmp_ne_u16_e32 vcc_lo, 0, v127
	v_add_co_ci_u32_e32 v2, vcc_lo, v2, v3, vcc_lo
	s_waitcnt vmcnt(2)
	v_cmp_ne_u16_e64 vcc_lo, 0, v128
	s_delay_alu instid0(VALU_DEP_1)
	v_cndmask_b32_e64 v3, 0, 1, vcc_lo
	s_waitcnt vmcnt(1)
	v_cmp_ne_u16_e64 vcc_lo, 0, v129
	v_add_co_ci_u32_e32 v2, vcc_lo, v2, v4, vcc_lo
	s_waitcnt vmcnt(0)
	v_cmp_ne_u16_e32 vcc_lo, 0, v1
	s_delay_alu instid0(VALU_DEP_2) | instskip(SKIP_1) | instid1(VALU_DEP_2)
	v_add_co_ci_u32_e32 v1, vcc_lo, v2, v3, vcc_lo
	v_mov_b32_e32 v3, 0
	v_mov_b32_dpp v2, v1 quad_perm:[1,0,3,2] row_mask:0xf bank_mask:0xf
	s_delay_alu instid0(VALU_DEP_1) | instskip(NEXT) | instid1(VALU_DEP_1)
	v_add_nc_u32_e32 v1, v1, v2
	v_mov_b32_dpp v2, v1 quad_perm:[2,3,0,1] row_mask:0xf bank_mask:0xf
	s_delay_alu instid0(VALU_DEP_1) | instskip(NEXT) | instid1(VALU_DEP_1)
	v_add_nc_u32_e32 v1, v1, v2
	v_mov_b32_dpp v2, v1 row_ror:4 row_mask:0xf bank_mask:0xf
	s_delay_alu instid0(VALU_DEP_1) | instskip(NEXT) | instid1(VALU_DEP_1)
	v_add_nc_u32_e32 v1, v1, v2
	v_mov_b32_dpp v2, v1 row_ror:8 row_mask:0xf bank_mask:0xf
	s_delay_alu instid0(VALU_DEP_1)
	v_add_nc_u32_e32 v1, v1, v2
	ds_swizzle_b32 v2, v1 offset:swizzle(BROADCAST,32,15)
	s_waitcnt lgkmcnt(0)
	v_add_nc_u32_e32 v1, v1, v2
	v_mbcnt_lo_u32_b32 v2, -1, 0
	ds_bpermute_b32 v1, v3, v1 offset:124
	v_cmpx_eq_u32_e32 0, v2
	s_cbranch_execz .LBB35_7
; %bb.6:
	v_lshrrev_b32_e32 v3, 3, v0
	s_delay_alu instid0(VALU_DEP_1)
	v_and_b32_e32 v3, 12, v3
	s_waitcnt lgkmcnt(0)
	ds_store_b32 v3, v1
.LBB35_7:
	s_or_b32 exec_lo, exec_lo, s6
	s_delay_alu instid0(SALU_CYCLE_1)
	s_mov_b32 s6, exec_lo
	s_waitcnt lgkmcnt(0)
	s_barrier
	buffer_gl0_inv
	v_cmpx_gt_u32_e32 32, v0
	s_cbranch_execz .LBB35_9
; %bb.8:
	v_and_b32_e32 v1, 3, v2
	s_delay_alu instid0(VALU_DEP_1) | instskip(SKIP_4) | instid1(VALU_DEP_2)
	v_lshlrev_b32_e32 v3, 2, v1
	v_cmp_ne_u32_e32 vcc_lo, 3, v1
	ds_load_b32 v3, v3
	v_add_co_ci_u32_e32 v4, vcc_lo, 0, v2, vcc_lo
	v_cmp_gt_u32_e32 vcc_lo, 2, v1
	v_lshlrev_b32_e32 v4, 2, v4
	v_cndmask_b32_e64 v1, 0, 1, vcc_lo
	s_delay_alu instid0(VALU_DEP_1) | instskip(NEXT) | instid1(VALU_DEP_1)
	v_lshlrev_b32_e32 v1, 1, v1
	v_add_lshl_u32 v1, v1, v2, 2
	s_waitcnt lgkmcnt(0)
	ds_bpermute_b32 v4, v4, v3
	s_waitcnt lgkmcnt(0)
	v_add_nc_u32_e32 v3, v4, v3
	ds_bpermute_b32 v1, v1, v3
	s_waitcnt lgkmcnt(0)
	v_add_nc_u32_e32 v1, v1, v3
.LBB35_9:
	s_or_b32 exec_lo, exec_lo, s6
.LBB35_10:
	v_cmp_eq_u32_e64 s2, 0, v0
	s_and_b32 vcc_lo, exec_lo, s4
	s_cbranch_vccnz .LBB35_24
.LBB35_11:
	s_branch .LBB35_512
.LBB35_12:
	s_mov_b32 s2, 0
                                        ; implicit-def: $vgpr1
	s_cbranch_execz .LBB35_623
	s_branch .LBB35_513
.LBB35_13:
	s_mov_b32 s2, 0
                                        ; implicit-def: $vgpr1
	s_cbranch_execz .LBB35_512
; %bb.14:
	s_cmp_gt_i32 s26, 31
	s_cbranch_scc0 .LBB35_31
; %bb.15:
	s_cmp_eq_u32 s26, 32
	s_cbranch_scc0 .LBB35_32
; %bb.16:
	s_lshl_b32 s4, s18, 12
	s_lshr_b64 s[6:7], s[20:21], 12
	s_mov_b32 s19, 0
	s_add_u32 s2, s24, s4
	s_addc_u32 s3, s25, 0
	s_cmp_lg_u64 s[6:7], s[18:19]
	s_cbranch_scc0 .LBB35_296
; %bb.17:
	s_clause 0x1f
	global_load_u8 v1, v0, s[2:3]
	global_load_u8 v2, v0, s[2:3] offset:256
	global_load_u8 v3, v0, s[2:3] offset:128
	;; [unrolled: 1-line block ×31, first 2 shown]
	s_mov_b32 s5, exec_lo
	s_waitcnt vmcnt(31)
	v_cmp_ne_u16_e32 vcc_lo, 0, v1
	v_cndmask_b32_e64 v1, 0, 1, vcc_lo
	s_waitcnt vmcnt(30)
	v_cmp_ne_u16_e32 vcc_lo, 0, v2
	v_cndmask_b32_e64 v2, 0, 1, vcc_lo
	s_waitcnt vmcnt(29)
	v_cmp_ne_u16_e32 vcc_lo, 0, v3
	v_add_co_ci_u32_e32 v1, vcc_lo, 0, v1, vcc_lo
	s_waitcnt vmcnt(28)
	v_cmp_ne_u16_e32 vcc_lo, 0, v4
	v_cndmask_b32_e64 v3, 0, 1, vcc_lo
	s_waitcnt vmcnt(27)
	v_cmp_ne_u16_e32 vcc_lo, 0, v5
	v_add_co_ci_u32_e32 v1, vcc_lo, v1, v2, vcc_lo
	;; [unrolled: 6-line block ×15, first 2 shown]
	s_waitcnt vmcnt(0)
	v_cmp_ne_u16_e32 vcc_lo, 0, v32
	s_delay_alu instid0(VALU_DEP_2) | instskip(NEXT) | instid1(VALU_DEP_1)
	v_add_co_ci_u32_e32 v1, vcc_lo, v1, v2, vcc_lo
	v_mov_b32_dpp v2, v1 quad_perm:[1,0,3,2] row_mask:0xf bank_mask:0xf
	s_delay_alu instid0(VALU_DEP_1) | instskip(NEXT) | instid1(VALU_DEP_1)
	v_add_nc_u32_e32 v1, v1, v2
	v_mov_b32_dpp v2, v1 quad_perm:[2,3,0,1] row_mask:0xf bank_mask:0xf
	s_delay_alu instid0(VALU_DEP_1) | instskip(NEXT) | instid1(VALU_DEP_1)
	v_add_nc_u32_e32 v1, v1, v2
	v_mov_b32_dpp v2, v1 row_ror:4 row_mask:0xf bank_mask:0xf
	s_delay_alu instid0(VALU_DEP_1) | instskip(NEXT) | instid1(VALU_DEP_1)
	v_add_nc_u32_e32 v1, v1, v2
	v_mov_b32_dpp v2, v1 row_ror:8 row_mask:0xf bank_mask:0xf
	s_delay_alu instid0(VALU_DEP_1)
	v_add_nc_u32_e32 v1, v1, v2
	ds_swizzle_b32 v2, v1 offset:swizzle(BROADCAST,32,15)
	s_waitcnt lgkmcnt(0)
	v_dual_mov_b32 v2, 0 :: v_dual_add_nc_u32 v1, v1, v2
	ds_bpermute_b32 v1, v2, v1 offset:124
	v_mbcnt_lo_u32_b32 v2, -1, 0
	s_delay_alu instid0(VALU_DEP_1)
	v_cmpx_eq_u32_e32 0, v2
	s_cbranch_execz .LBB35_19
; %bb.18:
	v_lshrrev_b32_e32 v3, 3, v0
	s_delay_alu instid0(VALU_DEP_1)
	v_and_b32_e32 v3, 12, v3
	s_waitcnt lgkmcnt(0)
	ds_store_b32 v3, v1 offset:64
.LBB35_19:
	s_or_b32 exec_lo, exec_lo, s5
	s_delay_alu instid0(SALU_CYCLE_1)
	s_mov_b32 s5, exec_lo
	s_waitcnt lgkmcnt(0)
	s_barrier
	buffer_gl0_inv
	v_cmpx_gt_u32_e32 32, v0
	s_cbranch_execz .LBB35_21
; %bb.20:
	v_and_b32_e32 v1, 3, v2
	s_delay_alu instid0(VALU_DEP_1) | instskip(SKIP_4) | instid1(VALU_DEP_2)
	v_lshlrev_b32_e32 v3, 2, v1
	v_cmp_ne_u32_e32 vcc_lo, 3, v1
	ds_load_b32 v3, v3 offset:64
	v_add_co_ci_u32_e32 v4, vcc_lo, 0, v2, vcc_lo
	v_cmp_gt_u32_e32 vcc_lo, 2, v1
	v_lshlrev_b32_e32 v4, 2, v4
	v_cndmask_b32_e64 v1, 0, 1, vcc_lo
	s_delay_alu instid0(VALU_DEP_1) | instskip(NEXT) | instid1(VALU_DEP_1)
	v_lshlrev_b32_e32 v1, 1, v1
	v_add_lshl_u32 v1, v1, v2, 2
	s_waitcnt lgkmcnt(0)
	ds_bpermute_b32 v4, v4, v3
	s_waitcnt lgkmcnt(0)
	v_add_nc_u32_e32 v3, v4, v3
	ds_bpermute_b32 v1, v1, v3
	s_waitcnt lgkmcnt(0)
	v_add_nc_u32_e32 v1, v1, v3
.LBB35_21:
	s_or_b32 exec_lo, exec_lo, s5
	s_mov_b32 s5, 0
	s_branch .LBB35_297
.LBB35_22:
	s_mov_b32 s4, -1
.LBB35_23:
	s_mov_b32 s2, 0
                                        ; implicit-def: $vgpr1
	s_and_b32 vcc_lo, exec_lo, s4
	s_cbranch_vccz .LBB35_11
.LBB35_24:
	s_cmp_eq_u32 s26, 64
	s_cbranch_scc0 .LBB35_33
; %bb.25:
	s_lshl_b32 s4, s18, 13
	s_lshr_b64 s[6:7], s[20:21], 13
	s_mov_b32 s19, 0
	s_add_u32 s2, s24, s4
	s_addc_u32 s3, s25, 0
	s_cmp_lg_u64 s[6:7], s[18:19]
	s_cbranch_scc0 .LBB35_376
; %bb.26:
	s_clause 0x1d
	global_load_u8 v3, v0, s[2:3]
	global_load_u8 v4, v0, s[2:3] offset:256
	global_load_u8 v5, v0, s[2:3] offset:128
	;; [unrolled: 1-line block ×29, first 2 shown]
	v_add_co_u32 v1, s5, s2, v0
	s_delay_alu instid0(VALU_DEP_1) | instskip(SKIP_1) | instid1(VALU_DEP_2)
	v_add_co_ci_u32_e64 v2, null, s3, 0, s5
	s_mov_b32 s5, exec_lo
	v_add_co_u32 v1, vcc_lo, 0x1000, v1
	s_delay_alu instid0(VALU_DEP_2)
	v_add_co_ci_u32_e32 v2, vcc_lo, 0, v2, vcc_lo
	s_clause 0x1f
	global_load_u8 v33, v0, s[2:3] offset:3712
	global_load_u8 v34, v[1:2], off
	global_load_u8 v35, v0, s[2:3] offset:3968
	global_load_u8 v36, v[1:2], off offset:256
	global_load_u8 v37, v[1:2], off offset:128
	;; [unrolled: 1-line block ×29, first 2 shown]
	s_clause 0x1
	global_load_u8 v65, v[1:2], off offset:3712
	global_load_u8 v1, v[1:2], off offset:3968
	s_waitcnt vmcnt(62)
	v_cmp_ne_u16_e32 vcc_lo, 0, v3
	v_cndmask_b32_e64 v2, 0, 1, vcc_lo
	v_cmp_ne_u16_e32 vcc_lo, 0, v4
	v_cndmask_b32_e64 v3, 0, 1, vcc_lo
	s_waitcnt vmcnt(61)
	v_cmp_ne_u16_e32 vcc_lo, 0, v5
	v_add_co_ci_u32_e32 v2, vcc_lo, 0, v2, vcc_lo
	s_waitcnt vmcnt(60)
	v_cmp_ne_u16_e32 vcc_lo, 0, v6
	v_cndmask_b32_e64 v4, 0, 1, vcc_lo
	s_waitcnt vmcnt(59)
	v_cmp_ne_u16_e32 vcc_lo, 0, v7
	v_add_co_ci_u32_e32 v2, vcc_lo, v2, v3, vcc_lo
	s_waitcnt vmcnt(58)
	v_cmp_ne_u16_e32 vcc_lo, 0, v8
	v_cndmask_b32_e64 v3, 0, 1, vcc_lo
	s_waitcnt vmcnt(57)
	v_cmp_ne_u16_e32 vcc_lo, 0, v9
	v_add_co_ci_u32_e32 v2, vcc_lo, v2, v4, vcc_lo
	s_waitcnt vmcnt(56)
	v_cmp_ne_u16_e32 vcc_lo, 0, v10
	v_cndmask_b32_e64 v4, 0, 1, vcc_lo
	s_waitcnt vmcnt(55)
	v_cmp_ne_u16_e32 vcc_lo, 0, v11
	v_add_co_ci_u32_e32 v2, vcc_lo, v2, v3, vcc_lo
	s_waitcnt vmcnt(54)
	v_cmp_ne_u16_e32 vcc_lo, 0, v12
	v_cndmask_b32_e64 v3, 0, 1, vcc_lo
	s_waitcnt vmcnt(53)
	v_cmp_ne_u16_e32 vcc_lo, 0, v13
	v_add_co_ci_u32_e32 v2, vcc_lo, v2, v4, vcc_lo
	s_waitcnt vmcnt(52)
	v_cmp_ne_u16_e32 vcc_lo, 0, v14
	v_cndmask_b32_e64 v4, 0, 1, vcc_lo
	s_waitcnt vmcnt(51)
	v_cmp_ne_u16_e32 vcc_lo, 0, v15
	v_add_co_ci_u32_e32 v2, vcc_lo, v2, v3, vcc_lo
	s_waitcnt vmcnt(50)
	v_cmp_ne_u16_e32 vcc_lo, 0, v16
	v_cndmask_b32_e64 v3, 0, 1, vcc_lo
	s_waitcnt vmcnt(49)
	v_cmp_ne_u16_e32 vcc_lo, 0, v17
	v_add_co_ci_u32_e32 v2, vcc_lo, v2, v4, vcc_lo
	s_waitcnt vmcnt(48)
	v_cmp_ne_u16_e32 vcc_lo, 0, v18
	v_cndmask_b32_e64 v4, 0, 1, vcc_lo
	s_waitcnt vmcnt(47)
	v_cmp_ne_u16_e32 vcc_lo, 0, v19
	v_add_co_ci_u32_e32 v2, vcc_lo, v2, v3, vcc_lo
	s_waitcnt vmcnt(46)
	v_cmp_ne_u16_e32 vcc_lo, 0, v20
	v_cndmask_b32_e64 v3, 0, 1, vcc_lo
	s_waitcnt vmcnt(45)
	v_cmp_ne_u16_e32 vcc_lo, 0, v21
	v_add_co_ci_u32_e32 v2, vcc_lo, v2, v4, vcc_lo
	s_waitcnt vmcnt(44)
	v_cmp_ne_u16_e32 vcc_lo, 0, v22
	v_cndmask_b32_e64 v4, 0, 1, vcc_lo
	s_waitcnt vmcnt(43)
	v_cmp_ne_u16_e32 vcc_lo, 0, v23
	v_add_co_ci_u32_e32 v2, vcc_lo, v2, v3, vcc_lo
	s_waitcnt vmcnt(42)
	v_cmp_ne_u16_e32 vcc_lo, 0, v24
	v_cndmask_b32_e64 v3, 0, 1, vcc_lo
	s_waitcnt vmcnt(41)
	v_cmp_ne_u16_e32 vcc_lo, 0, v25
	v_add_co_ci_u32_e32 v2, vcc_lo, v2, v4, vcc_lo
	s_waitcnt vmcnt(40)
	v_cmp_ne_u16_e32 vcc_lo, 0, v26
	v_cndmask_b32_e64 v4, 0, 1, vcc_lo
	s_waitcnt vmcnt(39)
	v_cmp_ne_u16_e32 vcc_lo, 0, v27
	v_add_co_ci_u32_e32 v2, vcc_lo, v2, v3, vcc_lo
	s_waitcnt vmcnt(37)
	v_cmp_ne_u16_e32 vcc_lo, 0, v29
	v_cndmask_b32_e64 v3, 0, 1, vcc_lo
	v_cmp_ne_u16_e32 vcc_lo, 0, v28
	v_add_co_ci_u32_e32 v2, vcc_lo, v2, v4, vcc_lo
	s_waitcnt vmcnt(35)
	v_cmp_ne_u16_e32 vcc_lo, 0, v31
	v_cndmask_b32_e64 v4, 0, 1, vcc_lo
	v_cmp_ne_u16_e32 vcc_lo, 0, v30
	v_add_co_ci_u32_e32 v2, vcc_lo, v2, v3, vcc_lo
	s_waitcnt vmcnt(34)
	v_cmp_ne_u16_e32 vcc_lo, 0, v32
	v_cndmask_b32_e64 v3, 0, 1, vcc_lo
	s_waitcnt vmcnt(33)
	v_cmp_ne_u16_e32 vcc_lo, 0, v33
	v_add_co_ci_u32_e32 v2, vcc_lo, v2, v4, vcc_lo
	s_waitcnt vmcnt(32)
	v_cmp_ne_u16_e32 vcc_lo, 0, v34
	v_cndmask_b32_e64 v4, 0, 1, vcc_lo
	s_waitcnt vmcnt(31)
	;; [unrolled: 6-line block ×17, first 2 shown]
	v_cmp_ne_u16_e32 vcc_lo, 0, v65
	v_add_co_ci_u32_e32 v2, vcc_lo, v2, v4, vcc_lo
	s_waitcnt vmcnt(0)
	v_cmp_ne_u16_e32 vcc_lo, 0, v1
	s_delay_alu instid0(VALU_DEP_2) | instskip(SKIP_1) | instid1(VALU_DEP_2)
	v_add_co_ci_u32_e32 v1, vcc_lo, v2, v3, vcc_lo
	v_mov_b32_e32 v3, 0
	v_mov_b32_dpp v2, v1 quad_perm:[1,0,3,2] row_mask:0xf bank_mask:0xf
	s_delay_alu instid0(VALU_DEP_1) | instskip(NEXT) | instid1(VALU_DEP_1)
	v_add_nc_u32_e32 v1, v1, v2
	v_mov_b32_dpp v2, v1 quad_perm:[2,3,0,1] row_mask:0xf bank_mask:0xf
	s_delay_alu instid0(VALU_DEP_1) | instskip(NEXT) | instid1(VALU_DEP_1)
	v_add_nc_u32_e32 v1, v1, v2
	v_mov_b32_dpp v2, v1 row_ror:4 row_mask:0xf bank_mask:0xf
	s_delay_alu instid0(VALU_DEP_1) | instskip(NEXT) | instid1(VALU_DEP_1)
	v_add_nc_u32_e32 v1, v1, v2
	v_mov_b32_dpp v2, v1 row_ror:8 row_mask:0xf bank_mask:0xf
	s_delay_alu instid0(VALU_DEP_1)
	v_add_nc_u32_e32 v1, v1, v2
	ds_swizzle_b32 v2, v1 offset:swizzle(BROADCAST,32,15)
	s_waitcnt lgkmcnt(0)
	v_add_nc_u32_e32 v1, v1, v2
	v_mbcnt_lo_u32_b32 v2, -1, 0
	ds_bpermute_b32 v1, v3, v1 offset:124
	v_cmpx_eq_u32_e32 0, v2
	s_cbranch_execz .LBB35_28
; %bb.27:
	v_lshrrev_b32_e32 v3, 3, v0
	s_delay_alu instid0(VALU_DEP_1)
	v_and_b32_e32 v3, 12, v3
	s_waitcnt lgkmcnt(0)
	ds_store_b32 v3, v1 offset:96
.LBB35_28:
	s_or_b32 exec_lo, exec_lo, s5
	s_delay_alu instid0(SALU_CYCLE_1)
	s_mov_b32 s5, exec_lo
	s_waitcnt lgkmcnt(0)
	s_barrier
	buffer_gl0_inv
	v_cmpx_gt_u32_e32 32, v0
	s_cbranch_execz .LBB35_30
; %bb.29:
	v_and_b32_e32 v1, 3, v2
	s_delay_alu instid0(VALU_DEP_1) | instskip(SKIP_4) | instid1(VALU_DEP_2)
	v_lshlrev_b32_e32 v3, 2, v1
	v_cmp_ne_u32_e32 vcc_lo, 3, v1
	ds_load_b32 v3, v3 offset:96
	v_add_co_ci_u32_e32 v4, vcc_lo, 0, v2, vcc_lo
	v_cmp_gt_u32_e32 vcc_lo, 2, v1
	v_lshlrev_b32_e32 v4, 2, v4
	v_cndmask_b32_e64 v1, 0, 1, vcc_lo
	s_delay_alu instid0(VALU_DEP_1) | instskip(NEXT) | instid1(VALU_DEP_1)
	v_lshlrev_b32_e32 v1, 1, v1
	v_add_lshl_u32 v1, v1, v2, 2
	s_waitcnt lgkmcnt(0)
	ds_bpermute_b32 v4, v4, v3
	s_waitcnt lgkmcnt(0)
	v_add_nc_u32_e32 v3, v4, v3
	ds_bpermute_b32 v1, v1, v3
	s_waitcnt lgkmcnt(0)
	v_add_nc_u32_e32 v1, v1, v3
.LBB35_30:
	s_or_b32 exec_lo, exec_lo, s5
	s_mov_b32 s5, 0
	s_branch .LBB35_377
.LBB35_31:
                                        ; implicit-def: $vgpr1
	s_cbranch_execz .LBB35_512
	s_branch .LBB35_368
.LBB35_32:
                                        ; implicit-def: $vgpr1
	s_branch .LBB35_512
.LBB35_33:
                                        ; implicit-def: $vgpr1
	s_branch .LBB35_512
.LBB35_34:
                                        ; implicit-def: $vgpr1
	s_cbranch_execz .LBB35_10
; %bb.35:
	s_sub_i32 s5, s20, s5
	s_mov_b32 s6, exec_lo
                                        ; implicit-def: $vgpr1
	v_cmpx_gt_u32_e64 s5, v0
	s_cbranch_execz .LBB35_37
; %bb.36:
	global_load_u8 v1, v0, s[2:3]
	s_waitcnt vmcnt(0)
	v_cmp_ne_u16_e32 vcc_lo, 0, v1
	v_cndmask_b32_e64 v1, 0, 1, vcc_lo
.LBB35_37:
	s_or_b32 exec_lo, exec_lo, s6
	v_or_b32_e32 v3, 0x80, v0
	v_mov_b32_e32 v2, 0
	s_delay_alu instid0(VALU_DEP_2)
	v_cmp_gt_u32_e32 vcc_lo, s5, v3
	v_mov_b32_e32 v3, 0
	s_and_saveexec_b32 s6, vcc_lo
	s_cbranch_execz .LBB35_39
; %bb.38:
	global_load_u8 v3, v0, s[2:3] offset:128
	s_waitcnt vmcnt(0)
	v_cmp_ne_u16_e32 vcc_lo, 0, v3
	v_cndmask_b32_e64 v3, 0, 1, vcc_lo
.LBB35_39:
	s_or_b32 exec_lo, exec_lo, s6
	v_or_b32_e32 v4, 0x100, v0
	s_mov_b32 s6, exec_lo
	s_delay_alu instid0(VALU_DEP_1)
	v_cmpx_gt_u32_e64 s5, v4
	s_cbranch_execz .LBB35_41
; %bb.40:
	global_load_u8 v2, v0, s[2:3] offset:256
	s_waitcnt vmcnt(0)
	v_cmp_ne_u16_e32 vcc_lo, 0, v2
	v_cndmask_b32_e64 v2, 0, 1, vcc_lo
.LBB35_41:
	s_or_b32 exec_lo, exec_lo, s6
	v_or_b32_e32 v5, 0x180, v0
	v_mov_b32_e32 v4, 0
	s_delay_alu instid0(VALU_DEP_2)
	v_cmp_gt_u32_e32 vcc_lo, s5, v5
	v_mov_b32_e32 v5, 0
	s_and_saveexec_b32 s6, vcc_lo
	s_cbranch_execz .LBB35_43
; %bb.42:
	global_load_u8 v5, v0, s[2:3] offset:384
	s_waitcnt vmcnt(0)
	v_cmp_ne_u16_e32 vcc_lo, 0, v5
	v_cndmask_b32_e64 v5, 0, 1, vcc_lo
.LBB35_43:
	s_or_b32 exec_lo, exec_lo, s6
	v_or_b32_e32 v6, 0x200, v0
	s_mov_b32 s6, exec_lo
	s_delay_alu instid0(VALU_DEP_1)
	v_cmpx_gt_u32_e64 s5, v6
	s_cbranch_execz .LBB35_45
; %bb.44:
	global_load_u8 v4, v0, s[2:3] offset:512
	s_waitcnt vmcnt(0)
	v_cmp_ne_u16_e32 vcc_lo, 0, v4
	v_cndmask_b32_e64 v4, 0, 1, vcc_lo
.LBB35_45:
	;; [unrolled: 26-line block ×15, first 2 shown]
	s_or_b32 exec_lo, exec_lo, s6
	v_or_b32_e32 v33, 0xf80, v0
	v_mov_b32_e32 v32, 0
	s_delay_alu instid0(VALU_DEP_2)
	v_cmp_gt_u32_e32 vcc_lo, s5, v33
	v_mov_b32_e32 v33, 0
	s_and_saveexec_b32 s6, vcc_lo
	s_cbranch_execz .LBB35_99
; %bb.98:
	global_load_u8 v33, v0, s[2:3] offset:3968
	s_waitcnt vmcnt(0)
	v_cmp_ne_u16_e32 vcc_lo, 0, v33
	v_cndmask_b32_e64 v33, 0, 1, vcc_lo
.LBB35_99:
	s_or_b32 exec_lo, exec_lo, s6
	v_or_b32_e32 v34, 0x1000, v0
	s_mov_b32 s6, exec_lo
	s_delay_alu instid0(VALU_DEP_1)
	v_cmpx_gt_u32_e64 s5, v34
	s_cbranch_execz .LBB35_101
; %bb.100:
	global_load_u8 v32, v34, s[2:3]
	s_waitcnt vmcnt(0)
	v_cmp_ne_u16_e32 vcc_lo, 0, v32
	v_cndmask_b32_e64 v32, 0, 1, vcc_lo
.LBB35_101:
	s_or_b32 exec_lo, exec_lo, s6
	v_or_b32_e32 v36, 0x1080, v0
	v_dual_mov_b32 v34, 0 :: v_dual_mov_b32 v35, 0
	s_mov_b32 s6, exec_lo
	s_delay_alu instid0(VALU_DEP_2)
	v_cmpx_gt_u32_e64 s5, v36
	s_cbranch_execz .LBB35_103
; %bb.102:
	global_load_u8 v35, v36, s[2:3]
	s_waitcnt vmcnt(0)
	v_cmp_ne_u16_e32 vcc_lo, 0, v35
	v_cndmask_b32_e64 v35, 0, 1, vcc_lo
.LBB35_103:
	s_or_b32 exec_lo, exec_lo, s6
	v_or_b32_e32 v36, 0x1100, v0
	s_mov_b32 s6, exec_lo
	s_delay_alu instid0(VALU_DEP_1)
	v_cmpx_gt_u32_e64 s5, v36
	s_cbranch_execz .LBB35_105
; %bb.104:
	global_load_u8 v34, v36, s[2:3]
	s_waitcnt vmcnt(0)
	v_cmp_ne_u16_e32 vcc_lo, 0, v34
	v_cndmask_b32_e64 v34, 0, 1, vcc_lo
.LBB35_105:
	s_or_b32 exec_lo, exec_lo, s6
	v_or_b32_e32 v38, 0x1180, v0
	v_dual_mov_b32 v36, 0 :: v_dual_mov_b32 v37, 0
	s_mov_b32 s6, exec_lo
	s_delay_alu instid0(VALU_DEP_2)
	v_cmpx_gt_u32_e64 s5, v38
	s_cbranch_execz .LBB35_107
; %bb.106:
	global_load_u8 v37, v38, s[2:3]
	s_waitcnt vmcnt(0)
	v_cmp_ne_u16_e32 vcc_lo, 0, v37
	v_cndmask_b32_e64 v37, 0, 1, vcc_lo
.LBB35_107:
	;; [unrolled: 25-line block ×47, first 2 shown]
	s_or_b32 exec_lo, exec_lo, s6
	v_or_b32_e32 v128, 0x3f00, v0
	s_mov_b32 s6, exec_lo
	s_delay_alu instid0(VALU_DEP_1)
	v_cmpx_gt_u32_e64 s5, v128
	s_cbranch_execz .LBB35_289
; %bb.288:
	global_load_u8 v126, v128, s[2:3]
	s_waitcnt vmcnt(0)
	v_cmp_ne_u16_e32 vcc_lo, 0, v126
	v_cndmask_b32_e64 v126, 0, 1, vcc_lo
.LBB35_289:
	s_or_b32 exec_lo, exec_lo, s6
	v_or_b32_e32 v129, 0x3f80, v0
	v_mov_b32_e32 v128, 0
	s_mov_b32 s6, exec_lo
	s_delay_alu instid0(VALU_DEP_2)
	v_cmpx_gt_u32_e64 s5, v129
	s_cbranch_execz .LBB35_291
; %bb.290:
	global_load_u8 v128, v129, s[2:3]
	s_waitcnt vmcnt(0)
	v_cmp_ne_u16_e64 vcc_lo, 0, v128
	s_delay_alu instid0(VALU_DEP_1)
	v_cndmask_b32_e64 v128, 0, 1, vcc_lo
.LBB35_291:
	s_or_b32 exec_lo, exec_lo, s6
	v_add_nc_u32_e32 v1, v3, v1
	s_min_u32 s2, s5, 0x80
	s_mov_b32 s3, exec_lo
	s_delay_alu instid0(VALU_DEP_1) | instskip(SKIP_1) | instid1(VALU_DEP_2)
	v_add3_u32 v1, v1, v2, v5
	v_mbcnt_lo_u32_b32 v2, -1, 0
	v_add3_u32 v1, v1, v4, v7
	s_delay_alu instid0(VALU_DEP_2) | instskip(NEXT) | instid1(VALU_DEP_2)
	v_cmp_ne_u32_e32 vcc_lo, 31, v2
	v_add3_u32 v1, v1, v6, v9
	v_add_co_ci_u32_e32 v3, vcc_lo, 0, v2, vcc_lo
	v_cmp_gt_u32_e32 vcc_lo, 30, v2
	v_add_nc_u32_e32 v6, 1, v2
	s_delay_alu instid0(VALU_DEP_4) | instskip(NEXT) | instid1(VALU_DEP_4)
	v_add3_u32 v1, v1, v8, v11
	v_lshlrev_b32_e32 v3, 2, v3
	v_cndmask_b32_e64 v5, 0, 1, vcc_lo
	s_delay_alu instid0(VALU_DEP_3) | instskip(NEXT) | instid1(VALU_DEP_2)
	v_add3_u32 v1, v1, v10, v13
	v_lshlrev_b32_e32 v5, 1, v5
	s_delay_alu instid0(VALU_DEP_2) | instskip(NEXT) | instid1(VALU_DEP_2)
	v_add3_u32 v1, v1, v12, v15
	v_add_lshl_u32 v5, v5, v2, 2
	s_delay_alu instid0(VALU_DEP_2) | instskip(NEXT) | instid1(VALU_DEP_1)
	v_add3_u32 v1, v1, v14, v17
	v_add3_u32 v1, v1, v16, v19
	s_delay_alu instid0(VALU_DEP_1) | instskip(NEXT) | instid1(VALU_DEP_1)
	v_add3_u32 v1, v1, v18, v21
	v_add3_u32 v1, v1, v20, v23
	s_delay_alu instid0(VALU_DEP_1) | instskip(NEXT) | instid1(VALU_DEP_1)
	;; [unrolled: 3-line block ×27, first 2 shown]
	v_add3_u32 v1, v1, v122, v125
	v_add3_u32 v1, v1, v124, v127
	s_delay_alu instid0(VALU_DEP_1) | instskip(SKIP_2) | instid1(VALU_DEP_1)
	v_add3_u32 v1, v1, v126, v128
	ds_bpermute_b32 v3, v3, v1
	v_and_b32_e32 v4, 0x60, v0
	v_sub_nc_u32_e64 v4, s2, v4 clamp
	s_delay_alu instid0(VALU_DEP_1) | instskip(SKIP_3) | instid1(VALU_DEP_2)
	v_cmp_lt_u32_e32 vcc_lo, v6, v4
	s_waitcnt lgkmcnt(0)
	v_dual_cndmask_b32 v3, 0, v3 :: v_dual_add_nc_u32 v6, 2, v2
	v_cmp_gt_u32_e32 vcc_lo, 28, v2
	v_add_nc_u32_e32 v1, v3, v1
	ds_bpermute_b32 v3, v5, v1
	v_cndmask_b32_e64 v5, 0, 1, vcc_lo
	v_cmp_lt_u32_e32 vcc_lo, v6, v4
	v_add_nc_u32_e32 v6, 4, v2
	s_delay_alu instid0(VALU_DEP_3) | instskip(NEXT) | instid1(VALU_DEP_1)
	v_lshlrev_b32_e32 v5, 2, v5
	v_add_lshl_u32 v5, v5, v2, 2
	s_waitcnt lgkmcnt(0)
	v_cndmask_b32_e32 v3, 0, v3, vcc_lo
	v_cmp_gt_u32_e32 vcc_lo, 24, v2
	s_delay_alu instid0(VALU_DEP_2) | instskip(SKIP_4) | instid1(VALU_DEP_3)
	v_add_nc_u32_e32 v1, v1, v3
	ds_bpermute_b32 v3, v5, v1
	v_cndmask_b32_e64 v5, 0, 1, vcc_lo
	v_cmp_lt_u32_e32 vcc_lo, v6, v4
	v_add_nc_u32_e32 v6, 8, v2
	v_lshlrev_b32_e32 v5, 3, v5
	s_delay_alu instid0(VALU_DEP_1) | instskip(SKIP_3) | instid1(VALU_DEP_2)
	v_add_lshl_u32 v5, v5, v2, 2
	s_waitcnt lgkmcnt(0)
	v_cndmask_b32_e32 v3, 0, v3, vcc_lo
	v_cmp_gt_u32_e32 vcc_lo, 16, v2
	v_add_nc_u32_e32 v1, v1, v3
	ds_bpermute_b32 v3, v5, v1
	v_cndmask_b32_e64 v5, 0, 1, vcc_lo
	v_cmp_lt_u32_e32 vcc_lo, v6, v4
	s_delay_alu instid0(VALU_DEP_2) | instskip(NEXT) | instid1(VALU_DEP_1)
	v_lshlrev_b32_e32 v5, 4, v5
	v_add_lshl_u32 v5, v5, v2, 2
	s_waitcnt lgkmcnt(0)
	v_cndmask_b32_e32 v3, 0, v3, vcc_lo
	s_delay_alu instid0(VALU_DEP_1) | instskip(SKIP_2) | instid1(VALU_DEP_1)
	v_add_nc_u32_e32 v1, v1, v3
	ds_bpermute_b32 v3, v5, v1
	v_add_nc_u32_e32 v5, 16, v2
	v_cmp_lt_u32_e32 vcc_lo, v5, v4
	s_waitcnt lgkmcnt(0)
	v_cndmask_b32_e32 v3, 0, v3, vcc_lo
	s_delay_alu instid0(VALU_DEP_1)
	v_add_nc_u32_e32 v1, v1, v3
	v_cmpx_eq_u32_e32 0, v2
	s_cbranch_execz .LBB35_293
; %bb.292:
	v_lshrrev_b32_e32 v3, 3, v0
	s_delay_alu instid0(VALU_DEP_1)
	v_and_b32_e32 v3, 12, v3
	ds_store_b32 v3, v1 offset:128
.LBB35_293:
	s_or_b32 exec_lo, exec_lo, s3
	s_delay_alu instid0(SALU_CYCLE_1)
	s_mov_b32 s3, exec_lo
	s_waitcnt lgkmcnt(0)
	s_barrier
	buffer_gl0_inv
	v_cmpx_gt_u32_e32 4, v0
	s_cbranch_execz .LBB35_295
; %bb.294:
	v_and_b32_e32 v3, 3, v2
	s_add_i32 s2, s2, 31
	s_delay_alu instid0(SALU_CYCLE_1) | instskip(NEXT) | instid1(VALU_DEP_1)
	s_lshr_b32 s2, s2, 5
	v_cmp_ne_u32_e32 vcc_lo, 3, v3
	v_add_nc_u32_e32 v5, 1, v3
	v_add_co_ci_u32_e32 v4, vcc_lo, 0, v2, vcc_lo
	v_cmp_gt_u32_e32 vcc_lo, 2, v3
	v_add_nc_u32_e32 v3, 2, v3
	s_delay_alu instid0(VALU_DEP_3) | instskip(SKIP_3) | instid1(VALU_DEP_3)
	v_lshlrev_b32_e32 v4, 2, v4
	v_cndmask_b32_e64 v6, 0, 1, vcc_lo
	v_cmp_gt_u32_e32 vcc_lo, s2, v5
	v_lshlrev_b32_e32 v1, 2, v2
	v_lshlrev_b32_e32 v5, 1, v6
	ds_load_b32 v1, v1 offset:128
	v_add_lshl_u32 v2, v5, v2, 2
	s_waitcnt lgkmcnt(0)
	ds_bpermute_b32 v4, v4, v1
	s_waitcnt lgkmcnt(0)
	v_cndmask_b32_e32 v4, 0, v4, vcc_lo
	v_cmp_gt_u32_e32 vcc_lo, s2, v3
	s_delay_alu instid0(VALU_DEP_2) | instskip(SKIP_3) | instid1(VALU_DEP_1)
	v_add_nc_u32_e32 v1, v4, v1
	ds_bpermute_b32 v2, v2, v1
	s_waitcnt lgkmcnt(0)
	v_cndmask_b32_e32 v2, 0, v2, vcc_lo
	v_add_nc_u32_e32 v1, v1, v2
.LBB35_295:
	s_or_b32 exec_lo, exec_lo, s3
	v_cmp_eq_u32_e64 s2, 0, v0
	s_and_b32 vcc_lo, exec_lo, s4
	s_cbranch_vccnz .LBB35_24
	s_branch .LBB35_11
.LBB35_296:
	s_mov_b32 s5, -1
                                        ; implicit-def: $vgpr1
.LBB35_297:
	s_delay_alu instid0(SALU_CYCLE_1)
	s_and_b32 vcc_lo, exec_lo, s5
	s_cbranch_vccz .LBB35_367
; %bb.298:
	s_sub_i32 s4, s20, s4
	s_mov_b32 s5, exec_lo
                                        ; implicit-def: $vgpr1
	v_cmpx_gt_u32_e64 s4, v0
	s_cbranch_execz .LBB35_300
; %bb.299:
	global_load_u8 v1, v0, s[2:3]
	s_waitcnt vmcnt(0)
	v_cmp_ne_u16_e32 vcc_lo, 0, v1
	v_cndmask_b32_e64 v1, 0, 1, vcc_lo
.LBB35_300:
	s_or_b32 exec_lo, exec_lo, s5
	v_or_b32_e32 v3, 0x80, v0
	v_mov_b32_e32 v2, 0
	s_delay_alu instid0(VALU_DEP_2)
	v_cmp_gt_u32_e32 vcc_lo, s4, v3
	v_mov_b32_e32 v3, 0
	s_and_saveexec_b32 s5, vcc_lo
	s_cbranch_execz .LBB35_302
; %bb.301:
	global_load_u8 v3, v0, s[2:3] offset:128
	s_waitcnt vmcnt(0)
	v_cmp_ne_u16_e32 vcc_lo, 0, v3
	v_cndmask_b32_e64 v3, 0, 1, vcc_lo
.LBB35_302:
	s_or_b32 exec_lo, exec_lo, s5
	v_or_b32_e32 v4, 0x100, v0
	s_mov_b32 s5, exec_lo
	s_delay_alu instid0(VALU_DEP_1)
	v_cmpx_gt_u32_e64 s4, v4
	s_cbranch_execz .LBB35_304
; %bb.303:
	global_load_u8 v2, v0, s[2:3] offset:256
	s_waitcnt vmcnt(0)
	v_cmp_ne_u16_e32 vcc_lo, 0, v2
	v_cndmask_b32_e64 v2, 0, 1, vcc_lo
.LBB35_304:
	s_or_b32 exec_lo, exec_lo, s5
	v_or_b32_e32 v5, 0x180, v0
	v_mov_b32_e32 v4, 0
	s_delay_alu instid0(VALU_DEP_2)
	v_cmp_gt_u32_e32 vcc_lo, s4, v5
	v_mov_b32_e32 v5, 0
	s_and_saveexec_b32 s5, vcc_lo
	s_cbranch_execz .LBB35_306
; %bb.305:
	global_load_u8 v5, v0, s[2:3] offset:384
	s_waitcnt vmcnt(0)
	v_cmp_ne_u16_e32 vcc_lo, 0, v5
	v_cndmask_b32_e64 v5, 0, 1, vcc_lo
.LBB35_306:
	s_or_b32 exec_lo, exec_lo, s5
	v_or_b32_e32 v6, 0x200, v0
	s_mov_b32 s5, exec_lo
	s_delay_alu instid0(VALU_DEP_1)
	v_cmpx_gt_u32_e64 s4, v6
	s_cbranch_execz .LBB35_308
; %bb.307:
	global_load_u8 v4, v0, s[2:3] offset:512
	s_waitcnt vmcnt(0)
	v_cmp_ne_u16_e32 vcc_lo, 0, v4
	v_cndmask_b32_e64 v4, 0, 1, vcc_lo
.LBB35_308:
	;; [unrolled: 26-line block ×15, first 2 shown]
	s_or_b32 exec_lo, exec_lo, s5
	v_or_b32_e32 v32, 0xf80, v0
	s_delay_alu instid0(VALU_DEP_1)
	v_cmp_gt_u32_e32 vcc_lo, s4, v32
	v_mov_b32_e32 v32, 0
	s_and_saveexec_b32 s5, vcc_lo
	s_cbranch_execz .LBB35_362
; %bb.361:
	global_load_u8 v32, v0, s[2:3] offset:3968
	s_waitcnt vmcnt(0)
	v_cmp_ne_u16_e32 vcc_lo, 0, v32
	v_cndmask_b32_e64 v32, 0, 1, vcc_lo
.LBB35_362:
	s_or_b32 exec_lo, exec_lo, s5
	v_add_nc_u32_e32 v1, v3, v1
	s_min_u32 s2, s4, 0x80
	s_mov_b32 s3, exec_lo
	s_delay_alu instid0(VALU_DEP_1) | instskip(SKIP_1) | instid1(VALU_DEP_2)
	v_add3_u32 v1, v1, v2, v5
	v_mbcnt_lo_u32_b32 v2, -1, 0
	v_add3_u32 v1, v1, v4, v7
	s_delay_alu instid0(VALU_DEP_2) | instskip(NEXT) | instid1(VALU_DEP_2)
	v_cmp_ne_u32_e32 vcc_lo, 31, v2
	v_add3_u32 v1, v1, v6, v9
	v_add_co_ci_u32_e32 v3, vcc_lo, 0, v2, vcc_lo
	v_cmp_gt_u32_e32 vcc_lo, 30, v2
	v_add_nc_u32_e32 v6, 1, v2
	s_delay_alu instid0(VALU_DEP_4) | instskip(NEXT) | instid1(VALU_DEP_4)
	v_add3_u32 v1, v1, v8, v11
	v_lshlrev_b32_e32 v3, 2, v3
	v_cndmask_b32_e64 v5, 0, 1, vcc_lo
	s_delay_alu instid0(VALU_DEP_3) | instskip(NEXT) | instid1(VALU_DEP_2)
	v_add3_u32 v1, v1, v10, v13
	v_lshlrev_b32_e32 v5, 1, v5
	s_delay_alu instid0(VALU_DEP_2) | instskip(NEXT) | instid1(VALU_DEP_2)
	v_add3_u32 v1, v1, v12, v15
	v_add_lshl_u32 v5, v5, v2, 2
	s_delay_alu instid0(VALU_DEP_2) | instskip(NEXT) | instid1(VALU_DEP_1)
	v_add3_u32 v1, v1, v14, v17
	v_add3_u32 v1, v1, v16, v19
	s_delay_alu instid0(VALU_DEP_1) | instskip(NEXT) | instid1(VALU_DEP_1)
	v_add3_u32 v1, v1, v18, v21
	v_add3_u32 v1, v1, v20, v23
	s_delay_alu instid0(VALU_DEP_1) | instskip(NEXT) | instid1(VALU_DEP_1)
	;; [unrolled: 3-line block ×3, first 2 shown]
	v_add3_u32 v1, v1, v26, v29
	v_add3_u32 v1, v1, v28, v31
	s_delay_alu instid0(VALU_DEP_1) | instskip(SKIP_2) | instid1(VALU_DEP_1)
	v_add3_u32 v1, v1, v30, v32
	ds_bpermute_b32 v3, v3, v1
	v_and_b32_e32 v4, 0x60, v0
	v_sub_nc_u32_e64 v4, s2, v4 clamp
	s_delay_alu instid0(VALU_DEP_1) | instskip(SKIP_3) | instid1(VALU_DEP_2)
	v_cmp_lt_u32_e32 vcc_lo, v6, v4
	s_waitcnt lgkmcnt(0)
	v_dual_cndmask_b32 v3, 0, v3 :: v_dual_add_nc_u32 v6, 2, v2
	v_cmp_gt_u32_e32 vcc_lo, 28, v2
	v_add_nc_u32_e32 v1, v3, v1
	ds_bpermute_b32 v3, v5, v1
	v_cndmask_b32_e64 v5, 0, 1, vcc_lo
	v_cmp_lt_u32_e32 vcc_lo, v6, v4
	v_add_nc_u32_e32 v6, 4, v2
	s_delay_alu instid0(VALU_DEP_3) | instskip(NEXT) | instid1(VALU_DEP_1)
	v_lshlrev_b32_e32 v5, 2, v5
	v_add_lshl_u32 v5, v5, v2, 2
	s_waitcnt lgkmcnt(0)
	v_cndmask_b32_e32 v3, 0, v3, vcc_lo
	v_cmp_gt_u32_e32 vcc_lo, 24, v2
	s_delay_alu instid0(VALU_DEP_2) | instskip(SKIP_4) | instid1(VALU_DEP_3)
	v_add_nc_u32_e32 v1, v1, v3
	ds_bpermute_b32 v3, v5, v1
	v_cndmask_b32_e64 v5, 0, 1, vcc_lo
	v_cmp_lt_u32_e32 vcc_lo, v6, v4
	v_add_nc_u32_e32 v6, 8, v2
	v_lshlrev_b32_e32 v5, 3, v5
	s_delay_alu instid0(VALU_DEP_1) | instskip(SKIP_3) | instid1(VALU_DEP_2)
	v_add_lshl_u32 v5, v5, v2, 2
	s_waitcnt lgkmcnt(0)
	v_cndmask_b32_e32 v3, 0, v3, vcc_lo
	v_cmp_gt_u32_e32 vcc_lo, 16, v2
	v_add_nc_u32_e32 v1, v1, v3
	ds_bpermute_b32 v3, v5, v1
	v_cndmask_b32_e64 v5, 0, 1, vcc_lo
	v_cmp_lt_u32_e32 vcc_lo, v6, v4
	s_delay_alu instid0(VALU_DEP_2) | instskip(NEXT) | instid1(VALU_DEP_1)
	v_lshlrev_b32_e32 v5, 4, v5
	v_add_lshl_u32 v5, v5, v2, 2
	s_waitcnt lgkmcnt(0)
	v_cndmask_b32_e32 v3, 0, v3, vcc_lo
	s_delay_alu instid0(VALU_DEP_1) | instskip(SKIP_2) | instid1(VALU_DEP_1)
	v_add_nc_u32_e32 v1, v1, v3
	ds_bpermute_b32 v3, v5, v1
	v_add_nc_u32_e32 v5, 16, v2
	v_cmp_lt_u32_e32 vcc_lo, v5, v4
	s_waitcnt lgkmcnt(0)
	v_cndmask_b32_e32 v3, 0, v3, vcc_lo
	s_delay_alu instid0(VALU_DEP_1)
	v_add_nc_u32_e32 v1, v1, v3
	v_cmpx_eq_u32_e32 0, v2
	s_cbranch_execz .LBB35_364
; %bb.363:
	v_lshrrev_b32_e32 v3, 3, v0
	s_delay_alu instid0(VALU_DEP_1)
	v_and_b32_e32 v3, 12, v3
	ds_store_b32 v3, v1 offset:128
.LBB35_364:
	s_or_b32 exec_lo, exec_lo, s3
	s_delay_alu instid0(SALU_CYCLE_1)
	s_mov_b32 s3, exec_lo
	s_waitcnt lgkmcnt(0)
	s_barrier
	buffer_gl0_inv
	v_cmpx_gt_u32_e32 4, v0
	s_cbranch_execz .LBB35_366
; %bb.365:
	v_and_b32_e32 v3, 3, v2
	s_add_i32 s2, s2, 31
	s_delay_alu instid0(SALU_CYCLE_1) | instskip(NEXT) | instid1(VALU_DEP_1)
	s_lshr_b32 s2, s2, 5
	v_cmp_ne_u32_e32 vcc_lo, 3, v3
	v_add_nc_u32_e32 v5, 1, v3
	v_add_co_ci_u32_e32 v4, vcc_lo, 0, v2, vcc_lo
	v_cmp_gt_u32_e32 vcc_lo, 2, v3
	v_add_nc_u32_e32 v3, 2, v3
	s_delay_alu instid0(VALU_DEP_3) | instskip(SKIP_3) | instid1(VALU_DEP_3)
	v_lshlrev_b32_e32 v4, 2, v4
	v_cndmask_b32_e64 v6, 0, 1, vcc_lo
	v_cmp_gt_u32_e32 vcc_lo, s2, v5
	v_lshlrev_b32_e32 v1, 2, v2
	v_lshlrev_b32_e32 v5, 1, v6
	ds_load_b32 v1, v1 offset:128
	v_add_lshl_u32 v2, v5, v2, 2
	s_waitcnt lgkmcnt(0)
	ds_bpermute_b32 v4, v4, v1
	s_waitcnt lgkmcnt(0)
	v_cndmask_b32_e32 v4, 0, v4, vcc_lo
	v_cmp_gt_u32_e32 vcc_lo, s2, v3
	s_delay_alu instid0(VALU_DEP_2) | instskip(SKIP_3) | instid1(VALU_DEP_1)
	v_add_nc_u32_e32 v1, v4, v1
	ds_bpermute_b32 v2, v2, v1
	s_waitcnt lgkmcnt(0)
	v_cndmask_b32_e32 v2, 0, v2, vcc_lo
	v_add_nc_u32_e32 v1, v1, v2
.LBB35_366:
	s_or_b32 exec_lo, exec_lo, s3
.LBB35_367:
	v_cmp_eq_u32_e64 s2, 0, v0
	s_branch .LBB35_512
.LBB35_368:
	s_cmp_eq_u32 s26, 16
	s_cbranch_scc0 .LBB35_375
; %bb.369:
	s_lshl_b32 s2, s18, 11
	s_lshr_b64 s[4:5], s[20:21], 11
	s_mov_b32 s19, 0
	s_add_u32 s16, s24, s2
	s_addc_u32 s17, s25, 0
	s_cmp_lg_u64 s[4:5], s[18:19]
	s_cbranch_scc0 .LBB35_533
; %bb.370:
	s_clause 0xf
	global_load_u8 v1, v0, s[16:17]
	global_load_u8 v2, v0, s[16:17] offset:256
	global_load_u8 v3, v0, s[16:17] offset:128
	;; [unrolled: 1-line block ×15, first 2 shown]
	s_mov_b32 s3, exec_lo
	s_waitcnt vmcnt(15)
	v_cmp_ne_u16_e32 vcc_lo, 0, v1
	v_cndmask_b32_e64 v1, 0, 1, vcc_lo
	s_waitcnt vmcnt(14)
	v_cmp_ne_u16_e32 vcc_lo, 0, v2
	v_cndmask_b32_e64 v2, 0, 1, vcc_lo
	s_waitcnt vmcnt(13)
	v_cmp_ne_u16_e32 vcc_lo, 0, v3
	v_add_co_ci_u32_e32 v1, vcc_lo, 0, v1, vcc_lo
	s_waitcnt vmcnt(12)
	v_cmp_ne_u16_e32 vcc_lo, 0, v4
	v_cndmask_b32_e64 v3, 0, 1, vcc_lo
	s_waitcnt vmcnt(11)
	v_cmp_ne_u16_e32 vcc_lo, 0, v5
	v_add_co_ci_u32_e32 v1, vcc_lo, v1, v2, vcc_lo
	;; [unrolled: 6-line block ×7, first 2 shown]
	s_waitcnt vmcnt(0)
	v_cmp_ne_u16_e32 vcc_lo, 0, v16
	s_delay_alu instid0(VALU_DEP_2) | instskip(NEXT) | instid1(VALU_DEP_1)
	v_add_co_ci_u32_e32 v1, vcc_lo, v1, v2, vcc_lo
	v_mov_b32_dpp v2, v1 quad_perm:[1,0,3,2] row_mask:0xf bank_mask:0xf
	s_delay_alu instid0(VALU_DEP_1) | instskip(NEXT) | instid1(VALU_DEP_1)
	v_add_nc_u32_e32 v1, v1, v2
	v_mov_b32_dpp v2, v1 quad_perm:[2,3,0,1] row_mask:0xf bank_mask:0xf
	s_delay_alu instid0(VALU_DEP_1) | instskip(NEXT) | instid1(VALU_DEP_1)
	v_add_nc_u32_e32 v1, v1, v2
	v_mov_b32_dpp v2, v1 row_ror:4 row_mask:0xf bank_mask:0xf
	s_delay_alu instid0(VALU_DEP_1) | instskip(NEXT) | instid1(VALU_DEP_1)
	v_add_nc_u32_e32 v1, v1, v2
	v_mov_b32_dpp v2, v1 row_ror:8 row_mask:0xf bank_mask:0xf
	s_delay_alu instid0(VALU_DEP_1)
	v_add_nc_u32_e32 v1, v1, v2
	ds_swizzle_b32 v2, v1 offset:swizzle(BROADCAST,32,15)
	s_waitcnt lgkmcnt(0)
	v_dual_mov_b32 v2, 0 :: v_dual_add_nc_u32 v1, v1, v2
	ds_bpermute_b32 v1, v2, v1 offset:124
	v_mbcnt_lo_u32_b32 v2, -1, 0
	s_delay_alu instid0(VALU_DEP_1)
	v_cmpx_eq_u32_e32 0, v2
	s_cbranch_execz .LBB35_372
; %bb.371:
	v_lshrrev_b32_e32 v3, 3, v0
	s_delay_alu instid0(VALU_DEP_1)
	v_and_b32_e32 v3, 12, v3
	s_waitcnt lgkmcnt(0)
	ds_store_b32 v3, v1 offset:16
.LBB35_372:
	s_or_b32 exec_lo, exec_lo, s3
	s_delay_alu instid0(SALU_CYCLE_1)
	s_mov_b32 s3, exec_lo
	s_waitcnt lgkmcnt(0)
	s_barrier
	buffer_gl0_inv
	v_cmpx_gt_u32_e32 32, v0
	s_cbranch_execz .LBB35_374
; %bb.373:
	v_and_b32_e32 v1, 3, v2
	s_delay_alu instid0(VALU_DEP_1) | instskip(SKIP_4) | instid1(VALU_DEP_2)
	v_lshlrev_b32_e32 v3, 2, v1
	v_cmp_ne_u32_e32 vcc_lo, 3, v1
	ds_load_b32 v3, v3 offset:16
	v_add_co_ci_u32_e32 v4, vcc_lo, 0, v2, vcc_lo
	v_cmp_gt_u32_e32 vcc_lo, 2, v1
	v_lshlrev_b32_e32 v4, 2, v4
	v_cndmask_b32_e64 v1, 0, 1, vcc_lo
	s_delay_alu instid0(VALU_DEP_1) | instskip(NEXT) | instid1(VALU_DEP_1)
	v_lshlrev_b32_e32 v1, 1, v1
	v_add_lshl_u32 v1, v1, v2, 2
	s_waitcnt lgkmcnt(0)
	ds_bpermute_b32 v4, v4, v3
	s_waitcnt lgkmcnt(0)
	v_add_nc_u32_e32 v3, v4, v3
	ds_bpermute_b32 v1, v1, v3
	s_waitcnt lgkmcnt(0)
	v_add_nc_u32_e32 v1, v1, v3
.LBB35_374:
	s_or_b32 exec_lo, exec_lo, s3
	s_mov_b32 s3, 0
	s_branch .LBB35_534
.LBB35_375:
                                        ; implicit-def: $vgpr1
	s_branch .LBB35_623
.LBB35_376:
	s_mov_b32 s5, -1
                                        ; implicit-def: $vgpr1
.LBB35_377:
	s_delay_alu instid0(SALU_CYCLE_1)
	s_and_b32 vcc_lo, exec_lo, s5
	s_cbranch_vccz .LBB35_511
; %bb.378:
	s_sub_i32 s4, s20, s4
	s_mov_b32 s5, exec_lo
                                        ; implicit-def: $vgpr1
	v_cmpx_gt_u32_e64 s4, v0
	s_cbranch_execz .LBB35_380
; %bb.379:
	global_load_u8 v1, v0, s[2:3]
	s_waitcnt vmcnt(0)
	v_cmp_ne_u16_e32 vcc_lo, 0, v1
	v_cndmask_b32_e64 v1, 0, 1, vcc_lo
.LBB35_380:
	s_or_b32 exec_lo, exec_lo, s5
	v_or_b32_e32 v3, 0x80, v0
	v_mov_b32_e32 v2, 0
	s_delay_alu instid0(VALU_DEP_2)
	v_cmp_gt_u32_e32 vcc_lo, s4, v3
	v_mov_b32_e32 v3, 0
	s_and_saveexec_b32 s5, vcc_lo
	s_cbranch_execz .LBB35_382
; %bb.381:
	global_load_u8 v3, v0, s[2:3] offset:128
	s_waitcnt vmcnt(0)
	v_cmp_ne_u16_e32 vcc_lo, 0, v3
	v_cndmask_b32_e64 v3, 0, 1, vcc_lo
.LBB35_382:
	s_or_b32 exec_lo, exec_lo, s5
	v_or_b32_e32 v4, 0x100, v0
	s_mov_b32 s5, exec_lo
	s_delay_alu instid0(VALU_DEP_1)
	v_cmpx_gt_u32_e64 s4, v4
	s_cbranch_execz .LBB35_384
; %bb.383:
	global_load_u8 v2, v0, s[2:3] offset:256
	s_waitcnt vmcnt(0)
	v_cmp_ne_u16_e32 vcc_lo, 0, v2
	v_cndmask_b32_e64 v2, 0, 1, vcc_lo
.LBB35_384:
	s_or_b32 exec_lo, exec_lo, s5
	v_or_b32_e32 v5, 0x180, v0
	v_mov_b32_e32 v4, 0
	s_delay_alu instid0(VALU_DEP_2)
	v_cmp_gt_u32_e32 vcc_lo, s4, v5
	v_mov_b32_e32 v5, 0
	s_and_saveexec_b32 s5, vcc_lo
	s_cbranch_execz .LBB35_386
; %bb.385:
	global_load_u8 v5, v0, s[2:3] offset:384
	s_waitcnt vmcnt(0)
	v_cmp_ne_u16_e32 vcc_lo, 0, v5
	v_cndmask_b32_e64 v5, 0, 1, vcc_lo
.LBB35_386:
	s_or_b32 exec_lo, exec_lo, s5
	v_or_b32_e32 v6, 0x200, v0
	s_mov_b32 s5, exec_lo
	s_delay_alu instid0(VALU_DEP_1)
	v_cmpx_gt_u32_e64 s4, v6
	s_cbranch_execz .LBB35_388
; %bb.387:
	global_load_u8 v4, v0, s[2:3] offset:512
	s_waitcnt vmcnt(0)
	v_cmp_ne_u16_e32 vcc_lo, 0, v4
	v_cndmask_b32_e64 v4, 0, 1, vcc_lo
.LBB35_388:
	;; [unrolled: 26-line block ×15, first 2 shown]
	s_or_b32 exec_lo, exec_lo, s5
	v_or_b32_e32 v33, 0xf80, v0
	v_mov_b32_e32 v32, 0
	s_delay_alu instid0(VALU_DEP_2)
	v_cmp_gt_u32_e32 vcc_lo, s4, v33
	v_mov_b32_e32 v33, 0
	s_and_saveexec_b32 s5, vcc_lo
	s_cbranch_execz .LBB35_442
; %bb.441:
	global_load_u8 v33, v0, s[2:3] offset:3968
	s_waitcnt vmcnt(0)
	v_cmp_ne_u16_e32 vcc_lo, 0, v33
	v_cndmask_b32_e64 v33, 0, 1, vcc_lo
.LBB35_442:
	s_or_b32 exec_lo, exec_lo, s5
	v_or_b32_e32 v34, 0x1000, v0
	s_mov_b32 s5, exec_lo
	s_delay_alu instid0(VALU_DEP_1)
	v_cmpx_gt_u32_e64 s4, v34
	s_cbranch_execz .LBB35_444
; %bb.443:
	global_load_u8 v32, v34, s[2:3]
	s_waitcnt vmcnt(0)
	v_cmp_ne_u16_e32 vcc_lo, 0, v32
	v_cndmask_b32_e64 v32, 0, 1, vcc_lo
.LBB35_444:
	s_or_b32 exec_lo, exec_lo, s5
	v_or_b32_e32 v36, 0x1080, v0
	v_dual_mov_b32 v34, 0 :: v_dual_mov_b32 v35, 0
	s_mov_b32 s5, exec_lo
	s_delay_alu instid0(VALU_DEP_2)
	v_cmpx_gt_u32_e64 s4, v36
	s_cbranch_execz .LBB35_446
; %bb.445:
	global_load_u8 v35, v36, s[2:3]
	s_waitcnt vmcnt(0)
	v_cmp_ne_u16_e32 vcc_lo, 0, v35
	v_cndmask_b32_e64 v35, 0, 1, vcc_lo
.LBB35_446:
	s_or_b32 exec_lo, exec_lo, s5
	v_or_b32_e32 v36, 0x1100, v0
	s_mov_b32 s5, exec_lo
	s_delay_alu instid0(VALU_DEP_1)
	v_cmpx_gt_u32_e64 s4, v36
	s_cbranch_execz .LBB35_448
; %bb.447:
	global_load_u8 v34, v36, s[2:3]
	s_waitcnt vmcnt(0)
	v_cmp_ne_u16_e32 vcc_lo, 0, v34
	v_cndmask_b32_e64 v34, 0, 1, vcc_lo
.LBB35_448:
	s_or_b32 exec_lo, exec_lo, s5
	v_or_b32_e32 v38, 0x1180, v0
	v_dual_mov_b32 v36, 0 :: v_dual_mov_b32 v37, 0
	s_mov_b32 s5, exec_lo
	s_delay_alu instid0(VALU_DEP_2)
	v_cmpx_gt_u32_e64 s4, v38
	s_cbranch_execz .LBB35_450
; %bb.449:
	global_load_u8 v37, v38, s[2:3]
	s_waitcnt vmcnt(0)
	v_cmp_ne_u16_e32 vcc_lo, 0, v37
	v_cndmask_b32_e64 v37, 0, 1, vcc_lo
.LBB35_450:
	s_or_b32 exec_lo, exec_lo, s5
	v_or_b32_e32 v38, 0x1200, v0
	s_mov_b32 s5, exec_lo
	s_delay_alu instid0(VALU_DEP_1)
	v_cmpx_gt_u32_e64 s4, v38
	s_cbranch_execz .LBB35_452
; %bb.451:
	global_load_u8 v36, v38, s[2:3]
	s_waitcnt vmcnt(0)
	v_cmp_ne_u16_e32 vcc_lo, 0, v36
	v_cndmask_b32_e64 v36, 0, 1, vcc_lo
.LBB35_452:
	s_or_b32 exec_lo, exec_lo, s5
	v_or_b32_e32 v40, 0x1280, v0
	v_dual_mov_b32 v38, 0 :: v_dual_mov_b32 v39, 0
	s_mov_b32 s5, exec_lo
	s_delay_alu instid0(VALU_DEP_2)
	v_cmpx_gt_u32_e64 s4, v40
	s_cbranch_execz .LBB35_454
; %bb.453:
	global_load_u8 v39, v40, s[2:3]
	s_waitcnt vmcnt(0)
	v_cmp_ne_u16_e32 vcc_lo, 0, v39
	v_cndmask_b32_e64 v39, 0, 1, vcc_lo
.LBB35_454:
	s_or_b32 exec_lo, exec_lo, s5
	v_or_b32_e32 v40, 0x1300, v0
	s_mov_b32 s5, exec_lo
	s_delay_alu instid0(VALU_DEP_1)
	v_cmpx_gt_u32_e64 s4, v40
	s_cbranch_execz .LBB35_456
; %bb.455:
	global_load_u8 v38, v40, s[2:3]
	s_waitcnt vmcnt(0)
	v_cmp_ne_u16_e32 vcc_lo, 0, v38
	v_cndmask_b32_e64 v38, 0, 1, vcc_lo
.LBB35_456:
	s_or_b32 exec_lo, exec_lo, s5
	v_or_b32_e32 v42, 0x1380, v0
	v_dual_mov_b32 v40, 0 :: v_dual_mov_b32 v41, 0
	s_mov_b32 s5, exec_lo
	s_delay_alu instid0(VALU_DEP_2)
	v_cmpx_gt_u32_e64 s4, v42
	s_cbranch_execz .LBB35_458
; %bb.457:
	global_load_u8 v41, v42, s[2:3]
	s_waitcnt vmcnt(0)
	v_cmp_ne_u16_e32 vcc_lo, 0, v41
	v_cndmask_b32_e64 v41, 0, 1, vcc_lo
.LBB35_458:
	s_or_b32 exec_lo, exec_lo, s5
	v_or_b32_e32 v42, 0x1400, v0
	s_mov_b32 s5, exec_lo
	s_delay_alu instid0(VALU_DEP_1)
	v_cmpx_gt_u32_e64 s4, v42
	s_cbranch_execz .LBB35_460
; %bb.459:
	global_load_u8 v40, v42, s[2:3]
	s_waitcnt vmcnt(0)
	v_cmp_ne_u16_e32 vcc_lo, 0, v40
	v_cndmask_b32_e64 v40, 0, 1, vcc_lo
.LBB35_460:
	s_or_b32 exec_lo, exec_lo, s5
	v_or_b32_e32 v44, 0x1480, v0
	v_dual_mov_b32 v42, 0 :: v_dual_mov_b32 v43, 0
	s_mov_b32 s5, exec_lo
	s_delay_alu instid0(VALU_DEP_2)
	v_cmpx_gt_u32_e64 s4, v44
	s_cbranch_execz .LBB35_462
; %bb.461:
	global_load_u8 v43, v44, s[2:3]
	s_waitcnt vmcnt(0)
	v_cmp_ne_u16_e32 vcc_lo, 0, v43
	v_cndmask_b32_e64 v43, 0, 1, vcc_lo
.LBB35_462:
	s_or_b32 exec_lo, exec_lo, s5
	v_or_b32_e32 v44, 0x1500, v0
	s_mov_b32 s5, exec_lo
	s_delay_alu instid0(VALU_DEP_1)
	v_cmpx_gt_u32_e64 s4, v44
	s_cbranch_execz .LBB35_464
; %bb.463:
	global_load_u8 v42, v44, s[2:3]
	s_waitcnt vmcnt(0)
	v_cmp_ne_u16_e32 vcc_lo, 0, v42
	v_cndmask_b32_e64 v42, 0, 1, vcc_lo
.LBB35_464:
	s_or_b32 exec_lo, exec_lo, s5
	v_or_b32_e32 v46, 0x1580, v0
	v_dual_mov_b32 v44, 0 :: v_dual_mov_b32 v45, 0
	s_mov_b32 s5, exec_lo
	s_delay_alu instid0(VALU_DEP_2)
	v_cmpx_gt_u32_e64 s4, v46
	s_cbranch_execz .LBB35_466
; %bb.465:
	global_load_u8 v45, v46, s[2:3]
	s_waitcnt vmcnt(0)
	v_cmp_ne_u16_e32 vcc_lo, 0, v45
	v_cndmask_b32_e64 v45, 0, 1, vcc_lo
.LBB35_466:
	s_or_b32 exec_lo, exec_lo, s5
	v_or_b32_e32 v46, 0x1600, v0
	s_mov_b32 s5, exec_lo
	s_delay_alu instid0(VALU_DEP_1)
	v_cmpx_gt_u32_e64 s4, v46
	s_cbranch_execz .LBB35_468
; %bb.467:
	global_load_u8 v44, v46, s[2:3]
	s_waitcnt vmcnt(0)
	v_cmp_ne_u16_e32 vcc_lo, 0, v44
	v_cndmask_b32_e64 v44, 0, 1, vcc_lo
.LBB35_468:
	s_or_b32 exec_lo, exec_lo, s5
	v_or_b32_e32 v48, 0x1680, v0
	v_dual_mov_b32 v46, 0 :: v_dual_mov_b32 v47, 0
	s_mov_b32 s5, exec_lo
	s_delay_alu instid0(VALU_DEP_2)
	v_cmpx_gt_u32_e64 s4, v48
	s_cbranch_execz .LBB35_470
; %bb.469:
	global_load_u8 v47, v48, s[2:3]
	s_waitcnt vmcnt(0)
	v_cmp_ne_u16_e32 vcc_lo, 0, v47
	v_cndmask_b32_e64 v47, 0, 1, vcc_lo
.LBB35_470:
	s_or_b32 exec_lo, exec_lo, s5
	v_or_b32_e32 v48, 0x1700, v0
	s_mov_b32 s5, exec_lo
	s_delay_alu instid0(VALU_DEP_1)
	v_cmpx_gt_u32_e64 s4, v48
	s_cbranch_execz .LBB35_472
; %bb.471:
	global_load_u8 v46, v48, s[2:3]
	s_waitcnt vmcnt(0)
	v_cmp_ne_u16_e32 vcc_lo, 0, v46
	v_cndmask_b32_e64 v46, 0, 1, vcc_lo
.LBB35_472:
	s_or_b32 exec_lo, exec_lo, s5
	v_or_b32_e32 v50, 0x1780, v0
	v_dual_mov_b32 v48, 0 :: v_dual_mov_b32 v49, 0
	s_mov_b32 s5, exec_lo
	s_delay_alu instid0(VALU_DEP_2)
	v_cmpx_gt_u32_e64 s4, v50
	s_cbranch_execz .LBB35_474
; %bb.473:
	global_load_u8 v49, v50, s[2:3]
	s_waitcnt vmcnt(0)
	v_cmp_ne_u16_e32 vcc_lo, 0, v49
	v_cndmask_b32_e64 v49, 0, 1, vcc_lo
.LBB35_474:
	s_or_b32 exec_lo, exec_lo, s5
	v_or_b32_e32 v50, 0x1800, v0
	s_mov_b32 s5, exec_lo
	s_delay_alu instid0(VALU_DEP_1)
	v_cmpx_gt_u32_e64 s4, v50
	s_cbranch_execz .LBB35_476
; %bb.475:
	global_load_u8 v48, v50, s[2:3]
	s_waitcnt vmcnt(0)
	v_cmp_ne_u16_e32 vcc_lo, 0, v48
	v_cndmask_b32_e64 v48, 0, 1, vcc_lo
.LBB35_476:
	s_or_b32 exec_lo, exec_lo, s5
	v_or_b32_e32 v52, 0x1880, v0
	v_dual_mov_b32 v50, 0 :: v_dual_mov_b32 v51, 0
	s_mov_b32 s5, exec_lo
	s_delay_alu instid0(VALU_DEP_2)
	v_cmpx_gt_u32_e64 s4, v52
	s_cbranch_execz .LBB35_478
; %bb.477:
	global_load_u8 v51, v52, s[2:3]
	s_waitcnt vmcnt(0)
	v_cmp_ne_u16_e32 vcc_lo, 0, v51
	v_cndmask_b32_e64 v51, 0, 1, vcc_lo
.LBB35_478:
	s_or_b32 exec_lo, exec_lo, s5
	v_or_b32_e32 v52, 0x1900, v0
	s_mov_b32 s5, exec_lo
	s_delay_alu instid0(VALU_DEP_1)
	v_cmpx_gt_u32_e64 s4, v52
	s_cbranch_execz .LBB35_480
; %bb.479:
	global_load_u8 v50, v52, s[2:3]
	s_waitcnt vmcnt(0)
	v_cmp_ne_u16_e32 vcc_lo, 0, v50
	v_cndmask_b32_e64 v50, 0, 1, vcc_lo
.LBB35_480:
	s_or_b32 exec_lo, exec_lo, s5
	v_or_b32_e32 v54, 0x1980, v0
	v_dual_mov_b32 v52, 0 :: v_dual_mov_b32 v53, 0
	s_mov_b32 s5, exec_lo
	s_delay_alu instid0(VALU_DEP_2)
	v_cmpx_gt_u32_e64 s4, v54
	s_cbranch_execz .LBB35_482
; %bb.481:
	global_load_u8 v53, v54, s[2:3]
	s_waitcnt vmcnt(0)
	v_cmp_ne_u16_e32 vcc_lo, 0, v53
	v_cndmask_b32_e64 v53, 0, 1, vcc_lo
.LBB35_482:
	s_or_b32 exec_lo, exec_lo, s5
	v_or_b32_e32 v54, 0x1a00, v0
	s_mov_b32 s5, exec_lo
	s_delay_alu instid0(VALU_DEP_1)
	v_cmpx_gt_u32_e64 s4, v54
	s_cbranch_execz .LBB35_484
; %bb.483:
	global_load_u8 v52, v54, s[2:3]
	s_waitcnt vmcnt(0)
	v_cmp_ne_u16_e32 vcc_lo, 0, v52
	v_cndmask_b32_e64 v52, 0, 1, vcc_lo
.LBB35_484:
	s_or_b32 exec_lo, exec_lo, s5
	v_or_b32_e32 v56, 0x1a80, v0
	v_dual_mov_b32 v54, 0 :: v_dual_mov_b32 v55, 0
	s_mov_b32 s5, exec_lo
	s_delay_alu instid0(VALU_DEP_2)
	v_cmpx_gt_u32_e64 s4, v56
	s_cbranch_execz .LBB35_486
; %bb.485:
	global_load_u8 v55, v56, s[2:3]
	s_waitcnt vmcnt(0)
	v_cmp_ne_u16_e32 vcc_lo, 0, v55
	v_cndmask_b32_e64 v55, 0, 1, vcc_lo
.LBB35_486:
	s_or_b32 exec_lo, exec_lo, s5
	v_or_b32_e32 v56, 0x1b00, v0
	s_mov_b32 s5, exec_lo
	s_delay_alu instid0(VALU_DEP_1)
	v_cmpx_gt_u32_e64 s4, v56
	s_cbranch_execz .LBB35_488
; %bb.487:
	global_load_u8 v54, v56, s[2:3]
	s_waitcnt vmcnt(0)
	v_cmp_ne_u16_e32 vcc_lo, 0, v54
	v_cndmask_b32_e64 v54, 0, 1, vcc_lo
.LBB35_488:
	s_or_b32 exec_lo, exec_lo, s5
	v_or_b32_e32 v58, 0x1b80, v0
	v_dual_mov_b32 v56, 0 :: v_dual_mov_b32 v57, 0
	s_mov_b32 s5, exec_lo
	s_delay_alu instid0(VALU_DEP_2)
	v_cmpx_gt_u32_e64 s4, v58
	s_cbranch_execz .LBB35_490
; %bb.489:
	global_load_u8 v57, v58, s[2:3]
	s_waitcnt vmcnt(0)
	v_cmp_ne_u16_e32 vcc_lo, 0, v57
	v_cndmask_b32_e64 v57, 0, 1, vcc_lo
.LBB35_490:
	s_or_b32 exec_lo, exec_lo, s5
	v_or_b32_e32 v58, 0x1c00, v0
	s_mov_b32 s5, exec_lo
	s_delay_alu instid0(VALU_DEP_1)
	v_cmpx_gt_u32_e64 s4, v58
	s_cbranch_execz .LBB35_492
; %bb.491:
	global_load_u8 v56, v58, s[2:3]
	s_waitcnt vmcnt(0)
	v_cmp_ne_u16_e32 vcc_lo, 0, v56
	v_cndmask_b32_e64 v56, 0, 1, vcc_lo
.LBB35_492:
	s_or_b32 exec_lo, exec_lo, s5
	v_or_b32_e32 v60, 0x1c80, v0
	v_dual_mov_b32 v58, 0 :: v_dual_mov_b32 v59, 0
	s_mov_b32 s5, exec_lo
	s_delay_alu instid0(VALU_DEP_2)
	v_cmpx_gt_u32_e64 s4, v60
	s_cbranch_execz .LBB35_494
; %bb.493:
	global_load_u8 v59, v60, s[2:3]
	s_waitcnt vmcnt(0)
	v_cmp_ne_u16_e32 vcc_lo, 0, v59
	v_cndmask_b32_e64 v59, 0, 1, vcc_lo
.LBB35_494:
	s_or_b32 exec_lo, exec_lo, s5
	v_or_b32_e32 v60, 0x1d00, v0
	s_mov_b32 s5, exec_lo
	s_delay_alu instid0(VALU_DEP_1)
	v_cmpx_gt_u32_e64 s4, v60
	s_cbranch_execz .LBB35_496
; %bb.495:
	global_load_u8 v58, v60, s[2:3]
	s_waitcnt vmcnt(0)
	v_cmp_ne_u16_e32 vcc_lo, 0, v58
	v_cndmask_b32_e64 v58, 0, 1, vcc_lo
.LBB35_496:
	s_or_b32 exec_lo, exec_lo, s5
	v_or_b32_e32 v62, 0x1d80, v0
	v_dual_mov_b32 v60, 0 :: v_dual_mov_b32 v61, 0
	s_mov_b32 s5, exec_lo
	s_delay_alu instid0(VALU_DEP_2)
	v_cmpx_gt_u32_e64 s4, v62
	s_cbranch_execz .LBB35_498
; %bb.497:
	global_load_u8 v61, v62, s[2:3]
	s_waitcnt vmcnt(0)
	v_cmp_ne_u16_e32 vcc_lo, 0, v61
	v_cndmask_b32_e64 v61, 0, 1, vcc_lo
.LBB35_498:
	s_or_b32 exec_lo, exec_lo, s5
	v_or_b32_e32 v62, 0x1e00, v0
	s_mov_b32 s5, exec_lo
	s_delay_alu instid0(VALU_DEP_1)
	v_cmpx_gt_u32_e64 s4, v62
	s_cbranch_execz .LBB35_500
; %bb.499:
	global_load_u8 v60, v62, s[2:3]
	s_waitcnt vmcnt(0)
	v_cmp_ne_u16_e32 vcc_lo, 0, v60
	v_cndmask_b32_e64 v60, 0, 1, vcc_lo
.LBB35_500:
	s_or_b32 exec_lo, exec_lo, s5
	v_or_b32_e32 v64, 0x1e80, v0
	v_dual_mov_b32 v62, 0 :: v_dual_mov_b32 v63, 0
	s_mov_b32 s5, exec_lo
	s_delay_alu instid0(VALU_DEP_2)
	v_cmpx_gt_u32_e64 s4, v64
	s_cbranch_execz .LBB35_502
; %bb.501:
	global_load_u8 v63, v64, s[2:3]
	s_waitcnt vmcnt(0)
	v_cmp_ne_u16_e32 vcc_lo, 0, v63
	v_cndmask_b32_e64 v63, 0, 1, vcc_lo
.LBB35_502:
	s_or_b32 exec_lo, exec_lo, s5
	v_or_b32_e32 v64, 0x1f00, v0
	s_mov_b32 s5, exec_lo
	s_delay_alu instid0(VALU_DEP_1)
	v_cmpx_gt_u32_e64 s4, v64
	s_cbranch_execz .LBB35_504
; %bb.503:
	global_load_u8 v62, v64, s[2:3]
	s_waitcnt vmcnt(0)
	v_cmp_ne_u16_e32 vcc_lo, 0, v62
	v_cndmask_b32_e64 v62, 0, 1, vcc_lo
.LBB35_504:
	s_or_b32 exec_lo, exec_lo, s5
	v_or_b32_e32 v65, 0x1f80, v0
	v_mov_b32_e32 v64, 0
	s_mov_b32 s5, exec_lo
	s_delay_alu instid0(VALU_DEP_2)
	v_cmpx_gt_u32_e64 s4, v65
	s_cbranch_execz .LBB35_506
; %bb.505:
	global_load_u8 v64, v65, s[2:3]
	s_waitcnt vmcnt(0)
	v_cmp_ne_u16_e32 vcc_lo, 0, v64
	v_cndmask_b32_e64 v64, 0, 1, vcc_lo
.LBB35_506:
	s_or_b32 exec_lo, exec_lo, s5
	v_add_nc_u32_e32 v1, v3, v1
	s_min_u32 s2, s4, 0x80
	s_mov_b32 s3, exec_lo
	s_delay_alu instid0(VALU_DEP_1) | instskip(SKIP_1) | instid1(VALU_DEP_2)
	v_add3_u32 v1, v1, v2, v5
	v_mbcnt_lo_u32_b32 v2, -1, 0
	v_add3_u32 v1, v1, v4, v7
	s_delay_alu instid0(VALU_DEP_2) | instskip(NEXT) | instid1(VALU_DEP_2)
	v_cmp_ne_u32_e32 vcc_lo, 31, v2
	v_add3_u32 v1, v1, v6, v9
	v_add_co_ci_u32_e32 v3, vcc_lo, 0, v2, vcc_lo
	v_cmp_gt_u32_e32 vcc_lo, 30, v2
	v_add_nc_u32_e32 v6, 1, v2
	s_delay_alu instid0(VALU_DEP_4) | instskip(NEXT) | instid1(VALU_DEP_4)
	v_add3_u32 v1, v1, v8, v11
	v_lshlrev_b32_e32 v3, 2, v3
	v_cndmask_b32_e64 v5, 0, 1, vcc_lo
	s_delay_alu instid0(VALU_DEP_3) | instskip(NEXT) | instid1(VALU_DEP_2)
	v_add3_u32 v1, v1, v10, v13
	v_lshlrev_b32_e32 v5, 1, v5
	s_delay_alu instid0(VALU_DEP_2) | instskip(NEXT) | instid1(VALU_DEP_2)
	v_add3_u32 v1, v1, v12, v15
	v_add_lshl_u32 v5, v5, v2, 2
	s_delay_alu instid0(VALU_DEP_2) | instskip(NEXT) | instid1(VALU_DEP_1)
	v_add3_u32 v1, v1, v14, v17
	v_add3_u32 v1, v1, v16, v19
	s_delay_alu instid0(VALU_DEP_1) | instskip(NEXT) | instid1(VALU_DEP_1)
	v_add3_u32 v1, v1, v18, v21
	v_add3_u32 v1, v1, v20, v23
	s_delay_alu instid0(VALU_DEP_1) | instskip(NEXT) | instid1(VALU_DEP_1)
	;; [unrolled: 3-line block ×11, first 2 shown]
	v_add3_u32 v1, v1, v58, v61
	v_add3_u32 v1, v1, v60, v63
	s_delay_alu instid0(VALU_DEP_1) | instskip(SKIP_2) | instid1(VALU_DEP_1)
	v_add3_u32 v1, v1, v62, v64
	ds_bpermute_b32 v3, v3, v1
	v_and_b32_e32 v4, 0x60, v0
	v_sub_nc_u32_e64 v4, s2, v4 clamp
	s_delay_alu instid0(VALU_DEP_1) | instskip(SKIP_3) | instid1(VALU_DEP_2)
	v_cmp_lt_u32_e32 vcc_lo, v6, v4
	s_waitcnt lgkmcnt(0)
	v_dual_cndmask_b32 v3, 0, v3 :: v_dual_add_nc_u32 v6, 2, v2
	v_cmp_gt_u32_e32 vcc_lo, 28, v2
	v_add_nc_u32_e32 v1, v3, v1
	ds_bpermute_b32 v3, v5, v1
	v_cndmask_b32_e64 v5, 0, 1, vcc_lo
	v_cmp_lt_u32_e32 vcc_lo, v6, v4
	v_add_nc_u32_e32 v6, 4, v2
	s_delay_alu instid0(VALU_DEP_3) | instskip(NEXT) | instid1(VALU_DEP_1)
	v_lshlrev_b32_e32 v5, 2, v5
	v_add_lshl_u32 v5, v5, v2, 2
	s_waitcnt lgkmcnt(0)
	v_cndmask_b32_e32 v3, 0, v3, vcc_lo
	v_cmp_gt_u32_e32 vcc_lo, 24, v2
	s_delay_alu instid0(VALU_DEP_2) | instskip(SKIP_4) | instid1(VALU_DEP_3)
	v_add_nc_u32_e32 v1, v1, v3
	ds_bpermute_b32 v3, v5, v1
	v_cndmask_b32_e64 v5, 0, 1, vcc_lo
	v_cmp_lt_u32_e32 vcc_lo, v6, v4
	v_add_nc_u32_e32 v6, 8, v2
	v_lshlrev_b32_e32 v5, 3, v5
	s_delay_alu instid0(VALU_DEP_1) | instskip(SKIP_3) | instid1(VALU_DEP_2)
	v_add_lshl_u32 v5, v5, v2, 2
	s_waitcnt lgkmcnt(0)
	v_cndmask_b32_e32 v3, 0, v3, vcc_lo
	v_cmp_gt_u32_e32 vcc_lo, 16, v2
	v_add_nc_u32_e32 v1, v1, v3
	ds_bpermute_b32 v3, v5, v1
	v_cndmask_b32_e64 v5, 0, 1, vcc_lo
	v_cmp_lt_u32_e32 vcc_lo, v6, v4
	s_delay_alu instid0(VALU_DEP_2) | instskip(NEXT) | instid1(VALU_DEP_1)
	v_lshlrev_b32_e32 v5, 4, v5
	v_add_lshl_u32 v5, v5, v2, 2
	s_waitcnt lgkmcnt(0)
	v_cndmask_b32_e32 v3, 0, v3, vcc_lo
	s_delay_alu instid0(VALU_DEP_1) | instskip(SKIP_2) | instid1(VALU_DEP_1)
	v_add_nc_u32_e32 v1, v1, v3
	ds_bpermute_b32 v3, v5, v1
	v_add_nc_u32_e32 v5, 16, v2
	v_cmp_lt_u32_e32 vcc_lo, v5, v4
	s_waitcnt lgkmcnt(0)
	v_cndmask_b32_e32 v3, 0, v3, vcc_lo
	s_delay_alu instid0(VALU_DEP_1)
	v_add_nc_u32_e32 v1, v1, v3
	v_cmpx_eq_u32_e32 0, v2
	s_cbranch_execz .LBB35_508
; %bb.507:
	v_lshrrev_b32_e32 v3, 3, v0
	s_delay_alu instid0(VALU_DEP_1)
	v_and_b32_e32 v3, 12, v3
	ds_store_b32 v3, v1 offset:128
.LBB35_508:
	s_or_b32 exec_lo, exec_lo, s3
	s_delay_alu instid0(SALU_CYCLE_1)
	s_mov_b32 s3, exec_lo
	s_waitcnt lgkmcnt(0)
	s_barrier
	buffer_gl0_inv
	v_cmpx_gt_u32_e32 4, v0
	s_cbranch_execz .LBB35_510
; %bb.509:
	v_and_b32_e32 v3, 3, v2
	s_add_i32 s2, s2, 31
	s_delay_alu instid0(SALU_CYCLE_1) | instskip(NEXT) | instid1(VALU_DEP_1)
	s_lshr_b32 s2, s2, 5
	v_cmp_ne_u32_e32 vcc_lo, 3, v3
	v_add_nc_u32_e32 v5, 1, v3
	v_add_co_ci_u32_e32 v4, vcc_lo, 0, v2, vcc_lo
	v_cmp_gt_u32_e32 vcc_lo, 2, v3
	v_add_nc_u32_e32 v3, 2, v3
	s_delay_alu instid0(VALU_DEP_3) | instskip(SKIP_3) | instid1(VALU_DEP_3)
	v_lshlrev_b32_e32 v4, 2, v4
	v_cndmask_b32_e64 v6, 0, 1, vcc_lo
	v_cmp_gt_u32_e32 vcc_lo, s2, v5
	v_lshlrev_b32_e32 v1, 2, v2
	v_lshlrev_b32_e32 v5, 1, v6
	ds_load_b32 v1, v1 offset:128
	v_add_lshl_u32 v2, v5, v2, 2
	s_waitcnt lgkmcnt(0)
	ds_bpermute_b32 v4, v4, v1
	s_waitcnt lgkmcnt(0)
	v_cndmask_b32_e32 v4, 0, v4, vcc_lo
	v_cmp_gt_u32_e32 vcc_lo, s2, v3
	s_delay_alu instid0(VALU_DEP_2) | instskip(SKIP_3) | instid1(VALU_DEP_1)
	v_add_nc_u32_e32 v1, v4, v1
	ds_bpermute_b32 v2, v2, v1
	s_waitcnt lgkmcnt(0)
	v_cndmask_b32_e32 v2, 0, v2, vcc_lo
	v_add_nc_u32_e32 v1, v1, v2
.LBB35_510:
	s_or_b32 exec_lo, exec_lo, s3
.LBB35_511:
	v_cmp_eq_u32_e64 s2, 0, v0
.LBB35_512:
	s_branch .LBB35_623
.LBB35_513:
	s_cmp_gt_i32 s26, 3
	s_cbranch_scc0 .LBB35_522
; %bb.514:
	s_cmp_gt_i32 s26, 7
	s_cbranch_scc0 .LBB35_523
; %bb.515:
	s_cmp_eq_u32 s26, 8
	s_cbranch_scc0 .LBB35_531
; %bb.516:
	s_lshl_b32 s2, s18, 10
	s_lshr_b64 s[4:5], s[20:21], 10
	s_mov_b32 s19, 0
	s_add_u32 s8, s24, s2
	s_addc_u32 s9, s25, 0
	s_cmp_lg_u64 s[4:5], s[18:19]
	s_cbranch_scc0 .LBB35_573
; %bb.517:
	s_clause 0x7
	global_load_u8 v1, v0, s[8:9]
	global_load_u8 v2, v0, s[8:9] offset:256
	global_load_u8 v3, v0, s[8:9] offset:128
	;; [unrolled: 1-line block ×7, first 2 shown]
	s_mov_b32 s3, exec_lo
	s_waitcnt vmcnt(7)
	v_cmp_ne_u16_e32 vcc_lo, 0, v1
	v_cndmask_b32_e64 v1, 0, 1, vcc_lo
	s_waitcnt vmcnt(6)
	v_cmp_ne_u16_e32 vcc_lo, 0, v2
	v_cndmask_b32_e64 v2, 0, 1, vcc_lo
	s_waitcnt vmcnt(5)
	v_cmp_ne_u16_e32 vcc_lo, 0, v3
	v_add_co_ci_u32_e32 v1, vcc_lo, 0, v1, vcc_lo
	s_waitcnt vmcnt(4)
	v_cmp_ne_u16_e32 vcc_lo, 0, v4
	v_cndmask_b32_e64 v3, 0, 1, vcc_lo
	s_waitcnt vmcnt(3)
	v_cmp_ne_u16_e32 vcc_lo, 0, v5
	v_add_co_ci_u32_e32 v1, vcc_lo, v1, v2, vcc_lo
	;; [unrolled: 6-line block ×3, first 2 shown]
	s_waitcnt vmcnt(0)
	v_cmp_ne_u16_e32 vcc_lo, 0, v8
	s_delay_alu instid0(VALU_DEP_2) | instskip(NEXT) | instid1(VALU_DEP_1)
	v_add_co_ci_u32_e32 v1, vcc_lo, v1, v2, vcc_lo
	v_mov_b32_dpp v2, v1 quad_perm:[1,0,3,2] row_mask:0xf bank_mask:0xf
	s_delay_alu instid0(VALU_DEP_1) | instskip(NEXT) | instid1(VALU_DEP_1)
	v_add_nc_u32_e32 v1, v1, v2
	v_mov_b32_dpp v2, v1 quad_perm:[2,3,0,1] row_mask:0xf bank_mask:0xf
	s_delay_alu instid0(VALU_DEP_1) | instskip(NEXT) | instid1(VALU_DEP_1)
	v_add_nc_u32_e32 v1, v1, v2
	v_mov_b32_dpp v2, v1 row_ror:4 row_mask:0xf bank_mask:0xf
	s_delay_alu instid0(VALU_DEP_1) | instskip(NEXT) | instid1(VALU_DEP_1)
	v_add_nc_u32_e32 v1, v1, v2
	v_mov_b32_dpp v2, v1 row_ror:8 row_mask:0xf bank_mask:0xf
	s_delay_alu instid0(VALU_DEP_1)
	v_add_nc_u32_e32 v1, v1, v2
	ds_swizzle_b32 v2, v1 offset:swizzle(BROADCAST,32,15)
	s_waitcnt lgkmcnt(0)
	v_dual_mov_b32 v2, 0 :: v_dual_add_nc_u32 v1, v1, v2
	ds_bpermute_b32 v1, v2, v1 offset:124
	v_mbcnt_lo_u32_b32 v2, -1, 0
	s_delay_alu instid0(VALU_DEP_1)
	v_cmpx_eq_u32_e32 0, v2
	s_cbranch_execz .LBB35_519
; %bb.518:
	v_lshrrev_b32_e32 v3, 3, v0
	s_delay_alu instid0(VALU_DEP_1)
	v_and_b32_e32 v3, 12, v3
	s_waitcnt lgkmcnt(0)
	ds_store_b32 v3, v1 offset:112
.LBB35_519:
	s_or_b32 exec_lo, exec_lo, s3
	s_delay_alu instid0(SALU_CYCLE_1)
	s_mov_b32 s3, exec_lo
	s_waitcnt lgkmcnt(0)
	s_barrier
	buffer_gl0_inv
	v_cmpx_gt_u32_e32 32, v0
	s_cbranch_execz .LBB35_521
; %bb.520:
	v_lshl_or_b32 v1, v2, 2, 0x70
	v_and_b32_e32 v3, 3, v2
	ds_load_b32 v1, v1
	v_cmp_ne_u32_e32 vcc_lo, 3, v3
	v_add_co_ci_u32_e32 v4, vcc_lo, 0, v2, vcc_lo
	v_cmp_gt_u32_e32 vcc_lo, 2, v3
	s_delay_alu instid0(VALU_DEP_2) | instskip(SKIP_1) | instid1(VALU_DEP_1)
	v_lshlrev_b32_e32 v4, 2, v4
	v_cndmask_b32_e64 v3, 0, 1, vcc_lo
	v_lshlrev_b32_e32 v3, 1, v3
	s_waitcnt lgkmcnt(0)
	ds_bpermute_b32 v4, v4, v1
	v_add_lshl_u32 v2, v3, v2, 2
	s_waitcnt lgkmcnt(0)
	v_add_nc_u32_e32 v1, v4, v1
	ds_bpermute_b32 v2, v2, v1
	s_waitcnt lgkmcnt(0)
	v_add_nc_u32_e32 v1, v2, v1
.LBB35_521:
	s_or_b32 exec_lo, exec_lo, s3
	s_mov_b32 s3, 0
	s_branch .LBB35_574
.LBB35_522:
                                        ; implicit-def: $vgpr1
	s_cbranch_execnz .LBB35_614
	s_branch .LBB35_623
.LBB35_523:
                                        ; implicit-def: $vgpr1
	s_cbranch_execz .LBB35_597
; %bb.524:
	s_cmp_eq_u32 s26, 4
	s_cbranch_scc0 .LBB35_532
; %bb.525:
	s_lshl_b32 s2, s18, 9
	s_lshr_b64 s[6:7], s[20:21], 9
	s_mov_b32 s19, 0
	s_add_u32 s4, s24, s2
	s_addc_u32 s5, s25, 0
	s_cmp_lg_u64 s[6:7], s[18:19]
	s_cbranch_scc0 .LBB35_598
; %bb.526:
	s_clause 0x3
	global_load_u8 v1, v0, s[4:5]
	global_load_u8 v2, v0, s[4:5] offset:256
	global_load_u8 v3, v0, s[4:5] offset:128
	;; [unrolled: 1-line block ×3, first 2 shown]
	s_mov_b32 s3, exec_lo
	s_waitcnt vmcnt(3)
	v_cmp_ne_u16_e32 vcc_lo, 0, v1
	v_cndmask_b32_e64 v1, 0, 1, vcc_lo
	s_waitcnt vmcnt(2)
	v_cmp_ne_u16_e32 vcc_lo, 0, v2
	v_cndmask_b32_e64 v2, 0, 1, vcc_lo
	s_waitcnt vmcnt(1)
	v_cmp_ne_u16_e32 vcc_lo, 0, v3
	v_add_co_ci_u32_e32 v1, vcc_lo, 0, v1, vcc_lo
	s_waitcnt vmcnt(0)
	v_cmp_ne_u16_e32 vcc_lo, 0, v4
	s_delay_alu instid0(VALU_DEP_2) | instskip(NEXT) | instid1(VALU_DEP_1)
	v_add_co_ci_u32_e32 v1, vcc_lo, v1, v2, vcc_lo
	v_mov_b32_dpp v2, v1 quad_perm:[1,0,3,2] row_mask:0xf bank_mask:0xf
	s_delay_alu instid0(VALU_DEP_1) | instskip(NEXT) | instid1(VALU_DEP_1)
	v_add_nc_u32_e32 v1, v1, v2
	v_mov_b32_dpp v2, v1 quad_perm:[2,3,0,1] row_mask:0xf bank_mask:0xf
	s_delay_alu instid0(VALU_DEP_1) | instskip(NEXT) | instid1(VALU_DEP_1)
	v_add_nc_u32_e32 v1, v1, v2
	v_mov_b32_dpp v2, v1 row_ror:4 row_mask:0xf bank_mask:0xf
	s_delay_alu instid0(VALU_DEP_1) | instskip(NEXT) | instid1(VALU_DEP_1)
	v_add_nc_u32_e32 v1, v1, v2
	v_mov_b32_dpp v2, v1 row_ror:8 row_mask:0xf bank_mask:0xf
	s_delay_alu instid0(VALU_DEP_1)
	v_add_nc_u32_e32 v1, v1, v2
	ds_swizzle_b32 v2, v1 offset:swizzle(BROADCAST,32,15)
	s_waitcnt lgkmcnt(0)
	v_dual_mov_b32 v2, 0 :: v_dual_add_nc_u32 v1, v1, v2
	ds_bpermute_b32 v1, v2, v1 offset:124
	v_mbcnt_lo_u32_b32 v2, -1, 0
	s_delay_alu instid0(VALU_DEP_1)
	v_cmpx_eq_u32_e32 0, v2
	s_cbranch_execz .LBB35_528
; %bb.527:
	v_lshrrev_b32_e32 v3, 3, v0
	s_delay_alu instid0(VALU_DEP_1)
	v_and_b32_e32 v3, 12, v3
	s_waitcnt lgkmcnt(0)
	ds_store_b32 v3, v1 offset:80
.LBB35_528:
	s_or_b32 exec_lo, exec_lo, s3
	s_delay_alu instid0(SALU_CYCLE_1)
	s_mov_b32 s3, exec_lo
	s_waitcnt lgkmcnt(0)
	s_barrier
	buffer_gl0_inv
	v_cmpx_gt_u32_e32 32, v0
	s_cbranch_execz .LBB35_530
; %bb.529:
	v_and_b32_e32 v1, 3, v2
	s_delay_alu instid0(VALU_DEP_1) | instskip(SKIP_4) | instid1(VALU_DEP_2)
	v_lshlrev_b32_e32 v3, 2, v1
	v_cmp_ne_u32_e32 vcc_lo, 3, v1
	ds_load_b32 v3, v3 offset:80
	v_add_co_ci_u32_e32 v4, vcc_lo, 0, v2, vcc_lo
	v_cmp_gt_u32_e32 vcc_lo, 2, v1
	v_lshlrev_b32_e32 v4, 2, v4
	v_cndmask_b32_e64 v1, 0, 1, vcc_lo
	s_delay_alu instid0(VALU_DEP_1) | instskip(NEXT) | instid1(VALU_DEP_1)
	v_lshlrev_b32_e32 v1, 1, v1
	v_add_lshl_u32 v1, v1, v2, 2
	s_waitcnt lgkmcnt(0)
	ds_bpermute_b32 v4, v4, v3
	s_waitcnt lgkmcnt(0)
	v_add_nc_u32_e32 v3, v4, v3
	ds_bpermute_b32 v1, v1, v3
	s_waitcnt lgkmcnt(0)
	v_add_nc_u32_e32 v1, v1, v3
.LBB35_530:
	s_or_b32 exec_lo, exec_lo, s3
	s_mov_b32 s3, 0
	s_branch .LBB35_599
.LBB35_531:
                                        ; implicit-def: $vgpr1
	s_branch .LBB35_597
.LBB35_532:
                                        ; implicit-def: $vgpr1
	s_branch .LBB35_623
.LBB35_533:
	s_mov_b32 s3, -1
                                        ; implicit-def: $vgpr1
.LBB35_534:
	s_delay_alu instid0(SALU_CYCLE_1)
	s_and_b32 vcc_lo, exec_lo, s3
	s_cbranch_vccz .LBB35_572
; %bb.535:
	s_sub_i32 s27, s20, s2
	s_mov_b32 s2, exec_lo
                                        ; implicit-def: $vgpr1_vgpr2_vgpr3_vgpr4_vgpr5_vgpr6_vgpr7_vgpr8_vgpr9_vgpr10_vgpr11_vgpr12_vgpr13_vgpr14_vgpr15_vgpr16
	v_cmpx_gt_u32_e64 s27, v0
	s_cbranch_execz .LBB35_537
; %bb.536:
	global_load_u8 v1, v0, s[16:17]
	s_waitcnt vmcnt(0)
	v_cmp_ne_u16_e32 vcc_lo, 0, v1
	v_cndmask_b32_e64 v1, 0, 1, vcc_lo
.LBB35_537:
	s_or_b32 exec_lo, exec_lo, s2
	v_or_b32_e32 v17, 0x80, v0
	s_delay_alu instid0(VALU_DEP_1)
	v_cmp_gt_u32_e32 vcc_lo, s27, v17
	s_and_saveexec_b32 s3, vcc_lo
	s_cbranch_execz .LBB35_539
; %bb.538:
	global_load_u8 v2, v0, s[16:17] offset:128
	s_waitcnt vmcnt(0)
	v_cmp_ne_u16_e64 s2, 0, v2
	s_delay_alu instid0(VALU_DEP_1)
	v_cndmask_b32_e64 v2, 0, 1, s2
.LBB35_539:
	s_or_b32 exec_lo, exec_lo, s3
	v_or_b32_e32 v17, 0x100, v0
	s_delay_alu instid0(VALU_DEP_1) | instskip(NEXT) | instid1(VALU_DEP_1)
	v_cmp_gt_u32_e64 s2, s27, v17
	s_and_saveexec_b32 s4, s2
	s_cbranch_execz .LBB35_541
; %bb.540:
	global_load_u8 v3, v0, s[16:17] offset:256
	s_waitcnt vmcnt(0)
	v_cmp_ne_u16_e64 s3, 0, v3
	s_delay_alu instid0(VALU_DEP_1)
	v_cndmask_b32_e64 v3, 0, 1, s3
.LBB35_541:
	s_or_b32 exec_lo, exec_lo, s4
	v_or_b32_e32 v17, 0x180, v0
	s_delay_alu instid0(VALU_DEP_1) | instskip(NEXT) | instid1(VALU_DEP_1)
	v_cmp_gt_u32_e64 s3, s27, v17
	s_and_saveexec_b32 s5, s3
	;; [unrolled: 13-line block ×14, first 2 shown]
	s_cbranch_execz .LBB35_567
; %bb.566:
	global_load_u8 v16, v0, s[16:17] offset:1920
	s_waitcnt vmcnt(0)
	v_cmp_ne_u16_e64 s16, 0, v16
	s_delay_alu instid0(VALU_DEP_1)
	v_cndmask_b32_e64 v16, 0, 1, s16
.LBB35_567:
	s_or_b32 exec_lo, exec_lo, s28
	v_cndmask_b32_e32 v2, 0, v2, vcc_lo
	v_cndmask_b32_e64 v3, 0, v3, s2
	v_cndmask_b32_e64 v4, 0, v4, s3
	s_min_u32 s2, s27, 0x80
	s_mov_b32 s3, exec_lo
	v_add_nc_u32_e32 v1, v2, v1
	v_cndmask_b32_e64 v2, 0, v5, s4
	v_cndmask_b32_e64 v5, 0, v6, s5
	;; [unrolled: 1-line block ×3, first 2 shown]
	s_delay_alu instid0(VALU_DEP_4) | instskip(SKIP_3) | instid1(VALU_DEP_4)
	v_add3_u32 v1, v1, v3, v4
	v_cndmask_b32_e64 v3, 0, v7, s6
	v_cndmask_b32_e64 v4, 0, v8, s7
	;; [unrolled: 1-line block ×3, first 2 shown]
	v_add3_u32 v1, v1, v2, v5
	v_cndmask_b32_e64 v2, 0, v9, s8
	v_cndmask_b32_e64 v5, 0, v10, s9
	s_delay_alu instid0(VALU_DEP_3) | instskip(SKIP_2) | instid1(VALU_DEP_3)
	v_add3_u32 v1, v1, v3, v4
	v_cndmask_b32_e64 v3, 0, v11, s10
	v_cndmask_b32_e64 v4, 0, v12, s11
	v_add3_u32 v1, v1, v2, v5
	v_mbcnt_lo_u32_b32 v2, -1, 0
	v_cndmask_b32_e64 v5, 0, v13, s12
	s_delay_alu instid0(VALU_DEP_3) | instskip(NEXT) | instid1(VALU_DEP_3)
	v_add3_u32 v1, v1, v3, v4
	v_cmp_ne_u32_e32 vcc_lo, 31, v2
	v_cndmask_b32_e64 v3, 0, v16, s15
	s_delay_alu instid0(VALU_DEP_3) | instskip(SKIP_3) | instid1(VALU_DEP_4)
	v_add3_u32 v1, v1, v5, v6
	v_add_co_ci_u32_e32 v4, vcc_lo, 0, v2, vcc_lo
	v_cmp_gt_u32_e32 vcc_lo, 30, v2
	v_add_nc_u32_e32 v6, 1, v2
	v_add3_u32 v1, v1, v7, v3
	s_delay_alu instid0(VALU_DEP_4) | instskip(SKIP_4) | instid1(VALU_DEP_2)
	v_lshlrev_b32_e32 v4, 2, v4
	v_cndmask_b32_e64 v5, 0, 1, vcc_lo
	ds_bpermute_b32 v3, v4, v1
	v_and_b32_e32 v4, 0x60, v0
	v_lshlrev_b32_e32 v5, 1, v5
	v_sub_nc_u32_e64 v4, s2, v4 clamp
	s_delay_alu instid0(VALU_DEP_2) | instskip(NEXT) | instid1(VALU_DEP_2)
	v_add_lshl_u32 v5, v5, v2, 2
	v_cmp_lt_u32_e32 vcc_lo, v6, v4
	s_waitcnt lgkmcnt(0)
	v_dual_cndmask_b32 v3, 0, v3 :: v_dual_add_nc_u32 v6, 2, v2
	v_cmp_gt_u32_e32 vcc_lo, 28, v2
	s_delay_alu instid0(VALU_DEP_2) | instskip(SKIP_4) | instid1(VALU_DEP_3)
	v_add_nc_u32_e32 v1, v1, v3
	ds_bpermute_b32 v3, v5, v1
	v_cndmask_b32_e64 v5, 0, 1, vcc_lo
	v_cmp_lt_u32_e32 vcc_lo, v6, v4
	v_add_nc_u32_e32 v6, 4, v2
	v_lshlrev_b32_e32 v5, 2, v5
	s_delay_alu instid0(VALU_DEP_1) | instskip(SKIP_3) | instid1(VALU_DEP_2)
	v_add_lshl_u32 v5, v5, v2, 2
	s_waitcnt lgkmcnt(0)
	v_cndmask_b32_e32 v3, 0, v3, vcc_lo
	v_cmp_gt_u32_e32 vcc_lo, 24, v2
	v_add_nc_u32_e32 v1, v1, v3
	ds_bpermute_b32 v3, v5, v1
	v_cndmask_b32_e64 v5, 0, 1, vcc_lo
	v_cmp_lt_u32_e32 vcc_lo, v6, v4
	v_add_nc_u32_e32 v6, 8, v2
	s_delay_alu instid0(VALU_DEP_3) | instskip(NEXT) | instid1(VALU_DEP_1)
	v_lshlrev_b32_e32 v5, 3, v5
	v_add_lshl_u32 v5, v5, v2, 2
	s_waitcnt lgkmcnt(0)
	v_cndmask_b32_e32 v3, 0, v3, vcc_lo
	v_cmp_gt_u32_e32 vcc_lo, 16, v2
	s_delay_alu instid0(VALU_DEP_2) | instskip(SKIP_3) | instid1(VALU_DEP_2)
	v_add_nc_u32_e32 v1, v1, v3
	ds_bpermute_b32 v3, v5, v1
	v_cndmask_b32_e64 v5, 0, 1, vcc_lo
	v_cmp_lt_u32_e32 vcc_lo, v6, v4
	v_lshlrev_b32_e32 v5, 4, v5
	s_delay_alu instid0(VALU_DEP_1) | instskip(SKIP_2) | instid1(VALU_DEP_1)
	v_add_lshl_u32 v5, v5, v2, 2
	s_waitcnt lgkmcnt(0)
	v_cndmask_b32_e32 v3, 0, v3, vcc_lo
	v_add_nc_u32_e32 v1, v1, v3
	ds_bpermute_b32 v3, v5, v1
	v_add_nc_u32_e32 v5, 16, v2
	s_delay_alu instid0(VALU_DEP_1) | instskip(SKIP_2) | instid1(VALU_DEP_1)
	v_cmp_lt_u32_e32 vcc_lo, v5, v4
	s_waitcnt lgkmcnt(0)
	v_cndmask_b32_e32 v3, 0, v3, vcc_lo
	v_add_nc_u32_e32 v1, v1, v3
	v_cmpx_eq_u32_e32 0, v2
	s_cbranch_execz .LBB35_569
; %bb.568:
	v_lshrrev_b32_e32 v3, 3, v0
	s_delay_alu instid0(VALU_DEP_1)
	v_and_b32_e32 v3, 12, v3
	ds_store_b32 v3, v1 offset:128
.LBB35_569:
	s_or_b32 exec_lo, exec_lo, s3
	s_delay_alu instid0(SALU_CYCLE_1)
	s_mov_b32 s3, exec_lo
	s_waitcnt lgkmcnt(0)
	s_barrier
	buffer_gl0_inv
	v_cmpx_gt_u32_e32 4, v0
	s_cbranch_execz .LBB35_571
; %bb.570:
	v_and_b32_e32 v3, 3, v2
	s_add_i32 s2, s2, 31
	s_delay_alu instid0(SALU_CYCLE_1) | instskip(NEXT) | instid1(VALU_DEP_1)
	s_lshr_b32 s2, s2, 5
	v_cmp_ne_u32_e32 vcc_lo, 3, v3
	v_add_nc_u32_e32 v5, 1, v3
	v_add_co_ci_u32_e32 v4, vcc_lo, 0, v2, vcc_lo
	v_cmp_gt_u32_e32 vcc_lo, 2, v3
	v_add_nc_u32_e32 v3, 2, v3
	s_delay_alu instid0(VALU_DEP_3) | instskip(SKIP_3) | instid1(VALU_DEP_3)
	v_lshlrev_b32_e32 v4, 2, v4
	v_cndmask_b32_e64 v6, 0, 1, vcc_lo
	v_cmp_gt_u32_e32 vcc_lo, s2, v5
	v_lshlrev_b32_e32 v1, 2, v2
	v_lshlrev_b32_e32 v5, 1, v6
	ds_load_b32 v1, v1 offset:128
	v_add_lshl_u32 v2, v5, v2, 2
	s_waitcnt lgkmcnt(0)
	ds_bpermute_b32 v4, v4, v1
	s_waitcnt lgkmcnt(0)
	v_cndmask_b32_e32 v4, 0, v4, vcc_lo
	v_cmp_gt_u32_e32 vcc_lo, s2, v3
	s_delay_alu instid0(VALU_DEP_2) | instskip(SKIP_3) | instid1(VALU_DEP_1)
	v_add_nc_u32_e32 v1, v4, v1
	ds_bpermute_b32 v2, v2, v1
	s_waitcnt lgkmcnt(0)
	v_cndmask_b32_e32 v2, 0, v2, vcc_lo
	v_add_nc_u32_e32 v1, v1, v2
.LBB35_571:
	s_or_b32 exec_lo, exec_lo, s3
.LBB35_572:
	v_cmp_eq_u32_e64 s2, 0, v0
	s_branch .LBB35_623
.LBB35_573:
	s_mov_b32 s3, -1
                                        ; implicit-def: $vgpr1
.LBB35_574:
	s_delay_alu instid0(SALU_CYCLE_1)
	s_and_b32 vcc_lo, exec_lo, s3
	s_cbranch_vccz .LBB35_596
; %bb.575:
	s_sub_i32 s10, s20, s2
	s_mov_b32 s2, exec_lo
                                        ; implicit-def: $vgpr1_vgpr2_vgpr3_vgpr4_vgpr5_vgpr6_vgpr7_vgpr8
	v_cmpx_gt_u32_e64 s10, v0
	s_cbranch_execz .LBB35_577
; %bb.576:
	global_load_u8 v1, v0, s[8:9]
	s_waitcnt vmcnt(0)
	v_cmp_ne_u16_e32 vcc_lo, 0, v1
	v_cndmask_b32_e64 v1, 0, 1, vcc_lo
.LBB35_577:
	s_or_b32 exec_lo, exec_lo, s2
	v_or_b32_e32 v9, 0x80, v0
	s_delay_alu instid0(VALU_DEP_1)
	v_cmp_gt_u32_e32 vcc_lo, s10, v9
	s_and_saveexec_b32 s3, vcc_lo
	s_cbranch_execz .LBB35_579
; %bb.578:
	global_load_u8 v2, v0, s[8:9] offset:128
	s_waitcnt vmcnt(0)
	v_cmp_ne_u16_e64 s2, 0, v2
	s_delay_alu instid0(VALU_DEP_1)
	v_cndmask_b32_e64 v2, 0, 1, s2
.LBB35_579:
	s_or_b32 exec_lo, exec_lo, s3
	v_or_b32_e32 v9, 0x100, v0
	s_delay_alu instid0(VALU_DEP_1) | instskip(NEXT) | instid1(VALU_DEP_1)
	v_cmp_gt_u32_e64 s2, s10, v9
	s_and_saveexec_b32 s4, s2
	s_cbranch_execz .LBB35_581
; %bb.580:
	global_load_u8 v3, v0, s[8:9] offset:256
	s_waitcnt vmcnt(0)
	v_cmp_ne_u16_e64 s3, 0, v3
	s_delay_alu instid0(VALU_DEP_1)
	v_cndmask_b32_e64 v3, 0, 1, s3
.LBB35_581:
	s_or_b32 exec_lo, exec_lo, s4
	v_or_b32_e32 v9, 0x180, v0
	s_delay_alu instid0(VALU_DEP_1) | instskip(NEXT) | instid1(VALU_DEP_1)
	v_cmp_gt_u32_e64 s3, s10, v9
	s_and_saveexec_b32 s5, s3
	;; [unrolled: 13-line block ×6, first 2 shown]
	s_cbranch_execz .LBB35_591
; %bb.590:
	global_load_u8 v8, v0, s[8:9] offset:896
	s_waitcnt vmcnt(0)
	v_cmp_ne_u16_e64 s8, 0, v8
	s_delay_alu instid0(VALU_DEP_1)
	v_cndmask_b32_e64 v8, 0, 1, s8
.LBB35_591:
	s_or_b32 exec_lo, exec_lo, s11
	v_cndmask_b32_e32 v2, 0, v2, vcc_lo
	v_cndmask_b32_e64 v3, 0, v3, s2
	v_cndmask_b32_e64 v4, 0, v4, s3
	v_cndmask_b32_e64 v5, 0, v5, s4
	v_cndmask_b32_e64 v6, 0, v6, s5
	v_add_nc_u32_e32 v1, v2, v1
	v_mbcnt_lo_u32_b32 v2, -1, 0
	v_cndmask_b32_e64 v7, 0, v7, s6
	s_min_u32 s2, s10, 0x80
	s_mov_b32 s3, exec_lo
	v_add3_u32 v1, v1, v3, v4
	v_cmp_ne_u32_e32 vcc_lo, 31, v2
	v_cndmask_b32_e64 v3, 0, v8, s7
	s_delay_alu instid0(VALU_DEP_3) | instskip(SKIP_3) | instid1(VALU_DEP_4)
	v_add3_u32 v1, v1, v5, v6
	v_add_co_ci_u32_e32 v4, vcc_lo, 0, v2, vcc_lo
	v_cmp_gt_u32_e32 vcc_lo, 30, v2
	v_add_nc_u32_e32 v6, 1, v2
	v_add3_u32 v1, v1, v7, v3
	s_delay_alu instid0(VALU_DEP_4) | instskip(SKIP_4) | instid1(VALU_DEP_2)
	v_lshlrev_b32_e32 v4, 2, v4
	v_cndmask_b32_e64 v5, 0, 1, vcc_lo
	ds_bpermute_b32 v3, v4, v1
	v_and_b32_e32 v4, 0x60, v0
	v_lshlrev_b32_e32 v5, 1, v5
	v_sub_nc_u32_e64 v4, s2, v4 clamp
	s_delay_alu instid0(VALU_DEP_2) | instskip(NEXT) | instid1(VALU_DEP_2)
	v_add_lshl_u32 v5, v5, v2, 2
	v_cmp_lt_u32_e32 vcc_lo, v6, v4
	s_waitcnt lgkmcnt(0)
	v_dual_cndmask_b32 v3, 0, v3 :: v_dual_add_nc_u32 v6, 2, v2
	v_cmp_gt_u32_e32 vcc_lo, 28, v2
	s_delay_alu instid0(VALU_DEP_2) | instskip(SKIP_4) | instid1(VALU_DEP_3)
	v_add_nc_u32_e32 v1, v1, v3
	ds_bpermute_b32 v3, v5, v1
	v_cndmask_b32_e64 v5, 0, 1, vcc_lo
	v_cmp_lt_u32_e32 vcc_lo, v6, v4
	v_add_nc_u32_e32 v6, 4, v2
	v_lshlrev_b32_e32 v5, 2, v5
	s_delay_alu instid0(VALU_DEP_1) | instskip(SKIP_3) | instid1(VALU_DEP_2)
	v_add_lshl_u32 v5, v5, v2, 2
	s_waitcnt lgkmcnt(0)
	v_cndmask_b32_e32 v3, 0, v3, vcc_lo
	v_cmp_gt_u32_e32 vcc_lo, 24, v2
	v_add_nc_u32_e32 v1, v1, v3
	ds_bpermute_b32 v3, v5, v1
	v_cndmask_b32_e64 v5, 0, 1, vcc_lo
	v_cmp_lt_u32_e32 vcc_lo, v6, v4
	v_add_nc_u32_e32 v6, 8, v2
	s_delay_alu instid0(VALU_DEP_3) | instskip(NEXT) | instid1(VALU_DEP_1)
	v_lshlrev_b32_e32 v5, 3, v5
	v_add_lshl_u32 v5, v5, v2, 2
	s_waitcnt lgkmcnt(0)
	v_cndmask_b32_e32 v3, 0, v3, vcc_lo
	v_cmp_gt_u32_e32 vcc_lo, 16, v2
	s_delay_alu instid0(VALU_DEP_2) | instskip(SKIP_3) | instid1(VALU_DEP_2)
	v_add_nc_u32_e32 v1, v1, v3
	ds_bpermute_b32 v3, v5, v1
	v_cndmask_b32_e64 v5, 0, 1, vcc_lo
	v_cmp_lt_u32_e32 vcc_lo, v6, v4
	v_lshlrev_b32_e32 v5, 4, v5
	s_delay_alu instid0(VALU_DEP_1) | instskip(SKIP_2) | instid1(VALU_DEP_1)
	v_add_lshl_u32 v5, v5, v2, 2
	s_waitcnt lgkmcnt(0)
	v_cndmask_b32_e32 v3, 0, v3, vcc_lo
	v_add_nc_u32_e32 v1, v1, v3
	ds_bpermute_b32 v3, v5, v1
	v_add_nc_u32_e32 v5, 16, v2
	s_delay_alu instid0(VALU_DEP_1) | instskip(SKIP_2) | instid1(VALU_DEP_1)
	v_cmp_lt_u32_e32 vcc_lo, v5, v4
	s_waitcnt lgkmcnt(0)
	v_cndmask_b32_e32 v3, 0, v3, vcc_lo
	v_add_nc_u32_e32 v1, v1, v3
	v_cmpx_eq_u32_e32 0, v2
	s_cbranch_execz .LBB35_593
; %bb.592:
	v_lshrrev_b32_e32 v3, 3, v0
	s_delay_alu instid0(VALU_DEP_1)
	v_and_b32_e32 v3, 12, v3
	ds_store_b32 v3, v1 offset:128
.LBB35_593:
	s_or_b32 exec_lo, exec_lo, s3
	s_delay_alu instid0(SALU_CYCLE_1)
	s_mov_b32 s3, exec_lo
	s_waitcnt lgkmcnt(0)
	s_barrier
	buffer_gl0_inv
	v_cmpx_gt_u32_e32 4, v0
	s_cbranch_execz .LBB35_595
; %bb.594:
	v_and_b32_e32 v3, 3, v2
	s_add_i32 s2, s2, 31
	s_delay_alu instid0(SALU_CYCLE_1) | instskip(NEXT) | instid1(VALU_DEP_1)
	s_lshr_b32 s2, s2, 5
	v_cmp_ne_u32_e32 vcc_lo, 3, v3
	v_add_nc_u32_e32 v5, 1, v3
	v_add_co_ci_u32_e32 v4, vcc_lo, 0, v2, vcc_lo
	v_cmp_gt_u32_e32 vcc_lo, 2, v3
	v_add_nc_u32_e32 v3, 2, v3
	s_delay_alu instid0(VALU_DEP_3) | instskip(SKIP_3) | instid1(VALU_DEP_3)
	v_lshlrev_b32_e32 v4, 2, v4
	v_cndmask_b32_e64 v6, 0, 1, vcc_lo
	v_cmp_gt_u32_e32 vcc_lo, s2, v5
	v_lshlrev_b32_e32 v1, 2, v2
	v_lshlrev_b32_e32 v5, 1, v6
	ds_load_b32 v1, v1 offset:128
	v_add_lshl_u32 v2, v5, v2, 2
	s_waitcnt lgkmcnt(0)
	ds_bpermute_b32 v4, v4, v1
	s_waitcnt lgkmcnt(0)
	v_cndmask_b32_e32 v4, 0, v4, vcc_lo
	v_cmp_gt_u32_e32 vcc_lo, s2, v3
	s_delay_alu instid0(VALU_DEP_2) | instskip(SKIP_3) | instid1(VALU_DEP_1)
	v_add_nc_u32_e32 v1, v4, v1
	ds_bpermute_b32 v2, v2, v1
	s_waitcnt lgkmcnt(0)
	v_cndmask_b32_e32 v2, 0, v2, vcc_lo
	v_add_nc_u32_e32 v1, v1, v2
.LBB35_595:
	s_or_b32 exec_lo, exec_lo, s3
.LBB35_596:
	v_cmp_eq_u32_e64 s2, 0, v0
.LBB35_597:
	s_branch .LBB35_623
.LBB35_598:
	s_mov_b32 s3, -1
                                        ; implicit-def: $vgpr1
.LBB35_599:
	s_delay_alu instid0(SALU_CYCLE_1)
	s_and_b32 vcc_lo, exec_lo, s3
	s_cbranch_vccz .LBB35_613
; %bb.600:
	s_sub_i32 s6, s20, s2
	s_mov_b32 s2, exec_lo
                                        ; implicit-def: $vgpr1_vgpr2_vgpr3_vgpr4
	v_cmpx_gt_u32_e64 s6, v0
	s_cbranch_execz .LBB35_602
; %bb.601:
	global_load_u8 v1, v0, s[4:5]
	s_waitcnt vmcnt(0)
	v_cmp_ne_u16_e32 vcc_lo, 0, v1
	v_cndmask_b32_e64 v1, 0, 1, vcc_lo
.LBB35_602:
	s_or_b32 exec_lo, exec_lo, s2
	v_or_b32_e32 v5, 0x80, v0
	s_delay_alu instid0(VALU_DEP_1)
	v_cmp_gt_u32_e32 vcc_lo, s6, v5
	s_and_saveexec_b32 s3, vcc_lo
	s_cbranch_execz .LBB35_604
; %bb.603:
	global_load_u8 v2, v0, s[4:5] offset:128
	s_waitcnt vmcnt(0)
	v_cmp_ne_u16_e64 s2, 0, v2
	s_delay_alu instid0(VALU_DEP_1)
	v_cndmask_b32_e64 v2, 0, 1, s2
.LBB35_604:
	s_or_b32 exec_lo, exec_lo, s3
	v_or_b32_e32 v5, 0x100, v0
	s_delay_alu instid0(VALU_DEP_1) | instskip(NEXT) | instid1(VALU_DEP_1)
	v_cmp_gt_u32_e64 s2, s6, v5
	s_and_saveexec_b32 s7, s2
	s_cbranch_execz .LBB35_606
; %bb.605:
	global_load_u8 v3, v0, s[4:5] offset:256
	s_waitcnt vmcnt(0)
	v_cmp_ne_u16_e64 s3, 0, v3
	s_delay_alu instid0(VALU_DEP_1)
	v_cndmask_b32_e64 v3, 0, 1, s3
.LBB35_606:
	s_or_b32 exec_lo, exec_lo, s7
	v_or_b32_e32 v5, 0x180, v0
	s_delay_alu instid0(VALU_DEP_1) | instskip(NEXT) | instid1(VALU_DEP_1)
	v_cmp_gt_u32_e64 s3, s6, v5
	s_and_saveexec_b32 s7, s3
	s_cbranch_execz .LBB35_608
; %bb.607:
	global_load_u8 v4, v0, s[4:5] offset:384
	s_waitcnt vmcnt(0)
	v_cmp_ne_u16_e64 s4, 0, v4
	s_delay_alu instid0(VALU_DEP_1)
	v_cndmask_b32_e64 v4, 0, 1, s4
.LBB35_608:
	s_or_b32 exec_lo, exec_lo, s7
	v_cndmask_b32_e32 v5, 0, v2, vcc_lo
	v_mbcnt_lo_u32_b32 v2, -1, 0
	v_cndmask_b32_e64 v3, 0, v3, s2
	v_cndmask_b32_e64 v4, 0, v4, s3
	s_min_u32 s2, s6, 0x80
	v_add_nc_u32_e32 v1, v5, v1
	v_cmp_ne_u32_e32 vcc_lo, 31, v2
	s_mov_b32 s3, exec_lo
	s_delay_alu instid0(VALU_DEP_2) | instskip(SKIP_3) | instid1(VALU_DEP_3)
	v_add3_u32 v1, v1, v3, v4
	v_and_b32_e32 v4, 0x60, v0
	v_add_co_ci_u32_e32 v5, vcc_lo, 0, v2, vcc_lo
	v_cmp_gt_u32_e32 vcc_lo, 30, v2
	v_sub_nc_u32_e64 v4, s2, v4 clamp
	s_delay_alu instid0(VALU_DEP_3) | instskip(SKIP_4) | instid1(VALU_DEP_2)
	v_lshlrev_b32_e32 v3, 2, v5
	v_cndmask_b32_e64 v5, 0, 1, vcc_lo
	ds_bpermute_b32 v3, v3, v1
	v_add_nc_u32_e32 v6, 1, v2
	v_lshlrev_b32_e32 v5, 1, v5
	v_cmp_lt_u32_e32 vcc_lo, v6, v4
	s_delay_alu instid0(VALU_DEP_2) | instskip(SKIP_3) | instid1(VALU_DEP_2)
	v_add_lshl_u32 v5, v5, v2, 2
	s_waitcnt lgkmcnt(0)
	v_cndmask_b32_e32 v3, 0, v3, vcc_lo
	v_cmp_gt_u32_e32 vcc_lo, 28, v2
	v_add_nc_u32_e32 v1, v3, v1
	ds_bpermute_b32 v3, v5, v1
	v_add_nc_u32_e32 v6, 2, v2
	v_cndmask_b32_e64 v5, 0, 1, vcc_lo
	s_delay_alu instid0(VALU_DEP_2) | instskip(NEXT) | instid1(VALU_DEP_2)
	v_cmp_lt_u32_e32 vcc_lo, v6, v4
	v_lshlrev_b32_e32 v5, 2, v5
	s_delay_alu instid0(VALU_DEP_1) | instskip(SKIP_3) | instid1(VALU_DEP_2)
	v_add_lshl_u32 v5, v5, v2, 2
	s_waitcnt lgkmcnt(0)
	v_cndmask_b32_e32 v3, 0, v3, vcc_lo
	v_cmp_gt_u32_e32 vcc_lo, 24, v2
	v_add_nc_u32_e32 v1, v1, v3
	ds_bpermute_b32 v3, v5, v1
	v_add_nc_u32_e32 v6, 4, v2
	v_cndmask_b32_e64 v5, 0, 1, vcc_lo
	s_delay_alu instid0(VALU_DEP_2) | instskip(NEXT) | instid1(VALU_DEP_2)
	v_cmp_lt_u32_e32 vcc_lo, v6, v4
	v_lshlrev_b32_e32 v5, 3, v5
	s_delay_alu instid0(VALU_DEP_1) | instskip(SKIP_3) | instid1(VALU_DEP_2)
	v_add_lshl_u32 v5, v5, v2, 2
	s_waitcnt lgkmcnt(0)
	v_cndmask_b32_e32 v3, 0, v3, vcc_lo
	v_cmp_gt_u32_e32 vcc_lo, 16, v2
	v_add_nc_u32_e32 v1, v1, v3
	ds_bpermute_b32 v3, v5, v1
	v_add_nc_u32_e32 v6, 8, v2
	v_cndmask_b32_e64 v5, 0, 1, vcc_lo
	s_delay_alu instid0(VALU_DEP_2) | instskip(NEXT) | instid1(VALU_DEP_2)
	v_cmp_lt_u32_e32 vcc_lo, v6, v4
	v_lshlrev_b32_e32 v5, 4, v5
	s_delay_alu instid0(VALU_DEP_1) | instskip(SKIP_2) | instid1(VALU_DEP_1)
	v_add_lshl_u32 v5, v5, v2, 2
	s_waitcnt lgkmcnt(0)
	v_cndmask_b32_e32 v3, 0, v3, vcc_lo
	v_add_nc_u32_e32 v1, v1, v3
	ds_bpermute_b32 v3, v5, v1
	v_add_nc_u32_e32 v5, 16, v2
	s_delay_alu instid0(VALU_DEP_1) | instskip(SKIP_2) | instid1(VALU_DEP_1)
	v_cmp_lt_u32_e32 vcc_lo, v5, v4
	s_waitcnt lgkmcnt(0)
	v_cndmask_b32_e32 v3, 0, v3, vcc_lo
	v_add_nc_u32_e32 v1, v1, v3
	v_cmpx_eq_u32_e32 0, v2
	s_cbranch_execz .LBB35_610
; %bb.609:
	v_lshrrev_b32_e32 v3, 3, v0
	s_delay_alu instid0(VALU_DEP_1)
	v_and_b32_e32 v3, 12, v3
	ds_store_b32 v3, v1 offset:128
.LBB35_610:
	s_or_b32 exec_lo, exec_lo, s3
	s_delay_alu instid0(SALU_CYCLE_1)
	s_mov_b32 s3, exec_lo
	s_waitcnt lgkmcnt(0)
	s_barrier
	buffer_gl0_inv
	v_cmpx_gt_u32_e32 4, v0
	s_cbranch_execz .LBB35_612
; %bb.611:
	v_and_b32_e32 v3, 3, v2
	s_add_i32 s2, s2, 31
	s_delay_alu instid0(SALU_CYCLE_1) | instskip(NEXT) | instid1(VALU_DEP_1)
	s_lshr_b32 s2, s2, 5
	v_cmp_ne_u32_e32 vcc_lo, 3, v3
	v_add_nc_u32_e32 v5, 1, v3
	v_add_co_ci_u32_e32 v4, vcc_lo, 0, v2, vcc_lo
	v_cmp_gt_u32_e32 vcc_lo, 2, v3
	v_add_nc_u32_e32 v3, 2, v3
	s_delay_alu instid0(VALU_DEP_3) | instskip(SKIP_3) | instid1(VALU_DEP_3)
	v_lshlrev_b32_e32 v4, 2, v4
	v_cndmask_b32_e64 v6, 0, 1, vcc_lo
	v_cmp_gt_u32_e32 vcc_lo, s2, v5
	v_lshlrev_b32_e32 v1, 2, v2
	v_lshlrev_b32_e32 v5, 1, v6
	ds_load_b32 v1, v1 offset:128
	v_add_lshl_u32 v2, v5, v2, 2
	s_waitcnt lgkmcnt(0)
	ds_bpermute_b32 v4, v4, v1
	s_waitcnt lgkmcnt(0)
	v_cndmask_b32_e32 v4, 0, v4, vcc_lo
	v_cmp_gt_u32_e32 vcc_lo, s2, v3
	s_delay_alu instid0(VALU_DEP_2) | instskip(SKIP_3) | instid1(VALU_DEP_1)
	v_add_nc_u32_e32 v1, v4, v1
	ds_bpermute_b32 v2, v2, v1
	s_waitcnt lgkmcnt(0)
	v_cndmask_b32_e32 v2, 0, v2, vcc_lo
	v_add_nc_u32_e32 v1, v1, v2
.LBB35_612:
	s_or_b32 exec_lo, exec_lo, s3
.LBB35_613:
	v_cmp_eq_u32_e64 s2, 0, v0
	s_branch .LBB35_623
.LBB35_614:
	s_cmp_gt_i32 s26, 1
	s_cbranch_scc0 .LBB35_622
; %bb.615:
	s_cmp_eq_u32 s26, 2
	s_cbranch_scc0 .LBB35_626
; %bb.616:
	s_lshl_b32 s3, s18, 8
	s_lshr_b64 s[6:7], s[20:21], 8
	s_mov_b32 s19, 0
	s_add_u32 s4, s24, s3
	s_addc_u32 s5, s25, 0
	s_cmp_lg_u64 s[6:7], s[18:19]
	s_cbranch_scc0 .LBB35_627
; %bb.617:
	s_clause 0x1
	global_load_u8 v1, v0, s[4:5]
	global_load_u8 v2, v0, s[4:5] offset:128
	s_waitcnt vmcnt(1)
	v_cmp_ne_u16_e32 vcc_lo, 0, v1
	v_cndmask_b32_e64 v1, 0, 1, vcc_lo
	s_waitcnt vmcnt(0)
	v_cmp_ne_u16_e32 vcc_lo, 0, v2
	s_delay_alu instid0(VALU_DEP_2) | instskip(SKIP_1) | instid1(VALU_DEP_1)
	v_add_co_ci_u32_e64 v2, s2, 0, v1, vcc_lo
	s_mov_b32 s2, exec_lo
	v_mov_b32_dpp v2, v2 quad_perm:[1,0,3,2] row_mask:0xf bank_mask:0xf
	s_delay_alu instid0(VALU_DEP_1) | instskip(NEXT) | instid1(VALU_DEP_1)
	v_add_co_ci_u32_e32 v1, vcc_lo, v2, v1, vcc_lo
	v_mov_b32_dpp v2, v1 quad_perm:[2,3,0,1] row_mask:0xf bank_mask:0xf
	s_delay_alu instid0(VALU_DEP_1) | instskip(NEXT) | instid1(VALU_DEP_1)
	v_add_nc_u32_e32 v1, v1, v2
	v_mov_b32_dpp v2, v1 row_ror:4 row_mask:0xf bank_mask:0xf
	s_delay_alu instid0(VALU_DEP_1) | instskip(NEXT) | instid1(VALU_DEP_1)
	v_add_nc_u32_e32 v1, v1, v2
	v_mov_b32_dpp v2, v1 row_ror:8 row_mask:0xf bank_mask:0xf
	s_delay_alu instid0(VALU_DEP_1)
	v_add_nc_u32_e32 v1, v1, v2
	ds_swizzle_b32 v2, v1 offset:swizzle(BROADCAST,32,15)
	s_waitcnt lgkmcnt(0)
	v_dual_mov_b32 v2, 0 :: v_dual_add_nc_u32 v1, v1, v2
	ds_bpermute_b32 v1, v2, v1 offset:124
	v_mbcnt_lo_u32_b32 v2, -1, 0
	s_delay_alu instid0(VALU_DEP_1)
	v_cmpx_eq_u32_e32 0, v2
	s_cbranch_execz .LBB35_619
; %bb.618:
	v_lshrrev_b32_e32 v3, 3, v0
	s_delay_alu instid0(VALU_DEP_1)
	v_and_b32_e32 v3, 12, v3
	s_waitcnt lgkmcnt(0)
	ds_store_b32 v3, v1 offset:48
.LBB35_619:
	s_or_b32 exec_lo, exec_lo, s2
	s_delay_alu instid0(SALU_CYCLE_1)
	s_mov_b32 s2, exec_lo
	s_waitcnt lgkmcnt(0)
	s_barrier
	buffer_gl0_inv
	v_cmpx_gt_u32_e32 32, v0
	s_cbranch_execz .LBB35_621
; %bb.620:
	v_and_b32_e32 v1, 3, v2
	s_delay_alu instid0(VALU_DEP_1) | instskip(SKIP_4) | instid1(VALU_DEP_2)
	v_lshlrev_b32_e32 v3, 2, v1
	v_cmp_ne_u32_e32 vcc_lo, 3, v1
	ds_load_b32 v3, v3 offset:48
	v_add_co_ci_u32_e32 v4, vcc_lo, 0, v2, vcc_lo
	v_cmp_gt_u32_e32 vcc_lo, 2, v1
	v_lshlrev_b32_e32 v4, 2, v4
	v_cndmask_b32_e64 v1, 0, 1, vcc_lo
	s_delay_alu instid0(VALU_DEP_1) | instskip(NEXT) | instid1(VALU_DEP_1)
	v_lshlrev_b32_e32 v1, 1, v1
	v_add_lshl_u32 v1, v1, v2, 2
	s_waitcnt lgkmcnt(0)
	ds_bpermute_b32 v4, v4, v3
	s_waitcnt lgkmcnt(0)
	v_add_nc_u32_e32 v3, v4, v3
	ds_bpermute_b32 v1, v1, v3
	s_waitcnt lgkmcnt(0)
	v_add_nc_u32_e32 v1, v1, v3
.LBB35_621:
	s_or_b32 exec_lo, exec_lo, s2
	s_mov_b32 s2, 0
	s_branch .LBB35_628
.LBB35_622:
                                        ; implicit-def: $vgpr1
	s_cbranch_execnz .LBB35_639
.LBB35_623:
	s_delay_alu instid0(VALU_DEP_1)
	s_and_saveexec_b32 s3, s2
	s_cbranch_execz .LBB35_625
.LBB35_624:
	s_load_b32 s2, s[0:1], 0x28
	s_cmp_lg_u64 s[20:21], 0
	s_cselect_b32 vcc_lo, -1, 0
	s_lshl_b64 s[0:1], s[18:19], 2
	v_dual_cndmask_b32 v0, 0, v1 :: v_dual_mov_b32 v1, 0
	s_add_u32 s0, s22, s0
	s_addc_u32 s1, s23, s1
	s_waitcnt lgkmcnt(0)
	s_delay_alu instid0(VALU_DEP_1)
	v_add_nc_u32_e32 v0, s2, v0
	global_store_b32 v1, v0, s[0:1]
.LBB35_625:
	s_nop 0
	s_sendmsg sendmsg(MSG_DEALLOC_VGPRS)
	s_endpgm
.LBB35_626:
                                        ; implicit-def: $vgpr1
	s_branch .LBB35_623
.LBB35_627:
	s_mov_b32 s2, -1
                                        ; implicit-def: $vgpr1
.LBB35_628:
	s_delay_alu instid0(SALU_CYCLE_1)
	s_and_b32 vcc_lo, exec_lo, s2
	s_cbranch_vccz .LBB35_638
; %bb.629:
	s_sub_i32 s3, s20, s3
	s_mov_b32 s2, exec_lo
                                        ; implicit-def: $vgpr1_vgpr2
	v_cmpx_gt_u32_e64 s3, v0
	s_cbranch_execz .LBB35_631
; %bb.630:
	global_load_u8 v1, v0, s[4:5]
	s_waitcnt vmcnt(0)
	v_cmp_ne_u16_e32 vcc_lo, 0, v1
	v_cndmask_b32_e64 v1, 0, 1, vcc_lo
.LBB35_631:
	s_or_b32 exec_lo, exec_lo, s2
	v_or_b32_e32 v3, 0x80, v0
	s_delay_alu instid0(VALU_DEP_1)
	v_cmp_gt_u32_e32 vcc_lo, s3, v3
	s_and_saveexec_b32 s6, vcc_lo
	s_cbranch_execz .LBB35_633
; %bb.632:
	global_load_u8 v2, v0, s[4:5] offset:128
	s_waitcnt vmcnt(0)
	v_cmp_ne_u16_e64 s2, 0, v2
	s_delay_alu instid0(VALU_DEP_1)
	v_cndmask_b32_e64 v2, 0, 1, s2
.LBB35_633:
	s_or_b32 exec_lo, exec_lo, s6
	v_mbcnt_lo_u32_b32 v3, -1, 0
	s_delay_alu instid0(VALU_DEP_2) | instskip(SKIP_2) | instid1(VALU_DEP_2)
	v_cndmask_b32_e32 v2, 0, v2, vcc_lo
	s_min_u32 s2, s3, 0x80
	s_mov_b32 s3, exec_lo
	v_cmp_ne_u32_e32 vcc_lo, 31, v3
	v_add_nc_u32_e32 v6, 1, v3
	v_add_co_ci_u32_e32 v4, vcc_lo, 0, v3, vcc_lo
	v_cmp_gt_u32_e32 vcc_lo, 30, v3
	v_cndmask_b32_e64 v5, 0, 1, vcc_lo
	s_delay_alu instid0(VALU_DEP_1) | instskip(SKIP_3) | instid1(VALU_DEP_4)
	v_lshlrev_b32_e32 v5, 1, v5
	v_add_nc_u32_e32 v1, v2, v1
	v_lshlrev_b32_e32 v2, 2, v4
	v_and_b32_e32 v4, 0x60, v0
	v_add_lshl_u32 v5, v5, v3, 2
	ds_bpermute_b32 v2, v2, v1
	v_sub_nc_u32_e64 v4, s2, v4 clamp
	s_delay_alu instid0(VALU_DEP_1) | instskip(SKIP_4) | instid1(VALU_DEP_2)
	v_cmp_lt_u32_e32 vcc_lo, v6, v4
	v_add_nc_u32_e32 v6, 2, v3
	s_waitcnt lgkmcnt(0)
	v_cndmask_b32_e32 v2, 0, v2, vcc_lo
	v_cmp_gt_u32_e32 vcc_lo, 28, v3
	v_add_nc_u32_e32 v1, v2, v1
	ds_bpermute_b32 v2, v5, v1
	v_cndmask_b32_e64 v5, 0, 1, vcc_lo
	v_cmp_lt_u32_e32 vcc_lo, v6, v4
	v_add_nc_u32_e32 v6, 4, v3
	s_delay_alu instid0(VALU_DEP_3) | instskip(NEXT) | instid1(VALU_DEP_1)
	v_lshlrev_b32_e32 v5, 2, v5
	v_add_lshl_u32 v5, v5, v3, 2
	s_waitcnt lgkmcnt(0)
	v_cndmask_b32_e32 v2, 0, v2, vcc_lo
	v_cmp_gt_u32_e32 vcc_lo, 24, v3
	s_delay_alu instid0(VALU_DEP_2) | instskip(SKIP_4) | instid1(VALU_DEP_3)
	v_add_nc_u32_e32 v1, v1, v2
	ds_bpermute_b32 v2, v5, v1
	v_cndmask_b32_e64 v5, 0, 1, vcc_lo
	v_cmp_lt_u32_e32 vcc_lo, v6, v4
	v_add_nc_u32_e32 v6, 8, v3
	v_lshlrev_b32_e32 v5, 3, v5
	s_delay_alu instid0(VALU_DEP_1) | instskip(SKIP_3) | instid1(VALU_DEP_2)
	v_add_lshl_u32 v5, v5, v3, 2
	s_waitcnt lgkmcnt(0)
	v_cndmask_b32_e32 v2, 0, v2, vcc_lo
	v_cmp_gt_u32_e32 vcc_lo, 16, v3
	v_add_nc_u32_e32 v1, v1, v2
	ds_bpermute_b32 v2, v5, v1
	v_cndmask_b32_e64 v5, 0, 1, vcc_lo
	v_cmp_lt_u32_e32 vcc_lo, v6, v4
	s_delay_alu instid0(VALU_DEP_2) | instskip(NEXT) | instid1(VALU_DEP_1)
	v_lshlrev_b32_e32 v5, 4, v5
	v_add_lshl_u32 v5, v5, v3, 2
	s_waitcnt lgkmcnt(0)
	v_cndmask_b32_e32 v2, 0, v2, vcc_lo
	s_delay_alu instid0(VALU_DEP_1) | instskip(SKIP_2) | instid1(VALU_DEP_1)
	v_add_nc_u32_e32 v1, v1, v2
	ds_bpermute_b32 v2, v5, v1
	v_add_nc_u32_e32 v5, 16, v3
	v_cmp_lt_u32_e32 vcc_lo, v5, v4
	s_waitcnt lgkmcnt(0)
	v_cndmask_b32_e32 v2, 0, v2, vcc_lo
	s_delay_alu instid0(VALU_DEP_1)
	v_add_nc_u32_e32 v1, v1, v2
	v_cmpx_eq_u32_e32 0, v3
	s_cbranch_execz .LBB35_635
; %bb.634:
	v_lshrrev_b32_e32 v2, 3, v0
	s_delay_alu instid0(VALU_DEP_1)
	v_and_b32_e32 v2, 12, v2
	ds_store_b32 v2, v1 offset:128
.LBB35_635:
	s_or_b32 exec_lo, exec_lo, s3
	s_delay_alu instid0(SALU_CYCLE_1)
	s_mov_b32 s3, exec_lo
	s_waitcnt lgkmcnt(0)
	s_barrier
	buffer_gl0_inv
	v_cmpx_gt_u32_e32 4, v0
	s_cbranch_execz .LBB35_637
; %bb.636:
	v_and_b32_e32 v2, 3, v3
	s_add_i32 s2, s2, 31
	s_delay_alu instid0(SALU_CYCLE_1) | instskip(NEXT) | instid1(VALU_DEP_1)
	s_lshr_b32 s2, s2, 5
	v_cmp_ne_u32_e32 vcc_lo, 3, v2
	v_add_nc_u32_e32 v5, 1, v2
	v_add_co_ci_u32_e32 v4, vcc_lo, 0, v3, vcc_lo
	v_cmp_gt_u32_e32 vcc_lo, 2, v2
	v_add_nc_u32_e32 v2, 2, v2
	s_delay_alu instid0(VALU_DEP_3) | instskip(SKIP_3) | instid1(VALU_DEP_3)
	v_lshlrev_b32_e32 v4, 2, v4
	v_cndmask_b32_e64 v6, 0, 1, vcc_lo
	v_cmp_gt_u32_e32 vcc_lo, s2, v5
	v_lshlrev_b32_e32 v1, 2, v3
	v_lshlrev_b32_e32 v5, 1, v6
	ds_load_b32 v1, v1 offset:128
	v_add_lshl_u32 v3, v5, v3, 2
	s_waitcnt lgkmcnt(0)
	ds_bpermute_b32 v4, v4, v1
	s_waitcnt lgkmcnt(0)
	v_cndmask_b32_e32 v4, 0, v4, vcc_lo
	v_cmp_gt_u32_e32 vcc_lo, s2, v2
	s_delay_alu instid0(VALU_DEP_2) | instskip(SKIP_3) | instid1(VALU_DEP_1)
	v_add_nc_u32_e32 v1, v4, v1
	ds_bpermute_b32 v3, v3, v1
	s_waitcnt lgkmcnt(0)
	v_cndmask_b32_e32 v2, 0, v3, vcc_lo
	v_add_nc_u32_e32 v1, v1, v2
.LBB35_637:
	s_or_b32 exec_lo, exec_lo, s3
.LBB35_638:
	v_cmp_eq_u32_e64 s2, 0, v0
	s_branch .LBB35_623
.LBB35_639:
	s_cmp_eq_u32 s26, 1
	s_cbranch_scc0 .LBB35_647
; %bb.640:
	v_mbcnt_lo_u32_b32 v2, -1, 0
	s_mov_b32 s19, 0
	s_lshr_b64 s[4:5], s[20:21], 7
	s_lshl_b32 s3, s18, 7
	s_cmp_lg_u64 s[4:5], s[18:19]
	s_cbranch_scc0 .LBB35_648
; %bb.641:
	s_add_u32 s4, s24, s3
	s_addc_u32 s5, s25, 0
	global_load_u8 v1, v0, s[4:5]
	s_waitcnt vmcnt(0)
	v_cmp_ne_u16_e32 vcc_lo, 0, v1
	v_cndmask_b32_e64 v1, 0, 1, vcc_lo
	s_delay_alu instid0(VALU_DEP_1) | instskip(NEXT) | instid1(VALU_DEP_1)
	v_mov_b32_dpp v1, v1 quad_perm:[1,0,3,2] row_mask:0xf bank_mask:0xf
	v_add_co_ci_u32_e64 v3, s2, 0, v1, vcc_lo
	s_mov_b32 s2, exec_lo
	s_delay_alu instid0(VALU_DEP_1) | instskip(NEXT) | instid1(VALU_DEP_1)
	v_mov_b32_dpp v3, v3 quad_perm:[2,3,0,1] row_mask:0xf bank_mask:0xf
	v_add_co_ci_u32_e32 v1, vcc_lo, v3, v1, vcc_lo
	s_delay_alu instid0(VALU_DEP_1) | instskip(NEXT) | instid1(VALU_DEP_1)
	v_mov_b32_dpp v3, v1 row_ror:4 row_mask:0xf bank_mask:0xf
	v_add_nc_u32_e32 v1, v1, v3
	s_delay_alu instid0(VALU_DEP_1) | instskip(NEXT) | instid1(VALU_DEP_1)
	v_mov_b32_dpp v3, v1 row_ror:8 row_mask:0xf bank_mask:0xf
	v_add_nc_u32_e32 v1, v1, v3
	ds_swizzle_b32 v3, v1 offset:swizzle(BROADCAST,32,15)
	s_waitcnt lgkmcnt(0)
	v_add_nc_u32_e32 v1, v1, v3
	v_mov_b32_e32 v3, 0
	ds_bpermute_b32 v1, v3, v1 offset:124
	v_cmpx_eq_u32_e32 0, v2
	s_cbranch_execz .LBB35_643
; %bb.642:
	v_lshrrev_b32_e32 v3, 3, v0
	s_delay_alu instid0(VALU_DEP_1)
	v_and_b32_e32 v3, 12, v3
	s_waitcnt lgkmcnt(0)
	ds_store_b32 v3, v1 offset:32
.LBB35_643:
	s_or_b32 exec_lo, exec_lo, s2
	s_delay_alu instid0(SALU_CYCLE_1)
	s_mov_b32 s2, exec_lo
	s_waitcnt lgkmcnt(0)
	s_barrier
	buffer_gl0_inv
	v_cmpx_gt_u32_e32 32, v0
	s_cbranch_execz .LBB35_645
; %bb.644:
	v_and_b32_e32 v1, 3, v2
	s_delay_alu instid0(VALU_DEP_1) | instskip(SKIP_4) | instid1(VALU_DEP_2)
	v_lshlrev_b32_e32 v3, 2, v1
	v_cmp_ne_u32_e32 vcc_lo, 3, v1
	ds_load_b32 v3, v3 offset:32
	v_add_co_ci_u32_e32 v4, vcc_lo, 0, v2, vcc_lo
	v_cmp_gt_u32_e32 vcc_lo, 2, v1
	v_lshlrev_b32_e32 v4, 2, v4
	v_cndmask_b32_e64 v1, 0, 1, vcc_lo
	s_delay_alu instid0(VALU_DEP_1) | instskip(NEXT) | instid1(VALU_DEP_1)
	v_lshlrev_b32_e32 v1, 1, v1
	v_add_lshl_u32 v1, v1, v2, 2
	s_waitcnt lgkmcnt(0)
	ds_bpermute_b32 v4, v4, v3
	s_waitcnt lgkmcnt(0)
	v_add_nc_u32_e32 v3, v4, v3
	ds_bpermute_b32 v1, v1, v3
	s_waitcnt lgkmcnt(0)
	v_add_nc_u32_e32 v1, v1, v3
.LBB35_645:
	s_or_b32 exec_lo, exec_lo, s2
.LBB35_646:
	v_cmp_eq_u32_e64 s2, 0, v0
	s_delay_alu instid0(VALU_DEP_1)
	s_and_saveexec_b32 s3, s2
	s_cbranch_execnz .LBB35_624
	s_branch .LBB35_625
.LBB35_647:
                                        ; implicit-def: $sgpr18_sgpr19
                                        ; implicit-def: $vgpr1
	s_and_saveexec_b32 s3, s2
	s_cbranch_execz .LBB35_625
	s_branch .LBB35_624
.LBB35_648:
                                        ; implicit-def: $vgpr1
	s_cbranch_execz .LBB35_646
; %bb.649:
	s_sub_i32 s2, s20, s3
	s_mov_b32 s4, exec_lo
                                        ; implicit-def: $vgpr1
	v_cmpx_gt_u32_e64 s2, v0
	s_cbranch_execz .LBB35_651
; %bb.650:
	s_add_u32 s6, s24, s3
	s_addc_u32 s7, s25, 0
	global_load_u8 v1, v0, s[6:7]
	s_waitcnt vmcnt(0)
	v_cmp_ne_u16_e32 vcc_lo, 0, v1
	v_cndmask_b32_e64 v1, 0, 1, vcc_lo
.LBB35_651:
	s_or_b32 exec_lo, exec_lo, s4
	v_cmp_ne_u32_e32 vcc_lo, 31, v2
	s_min_u32 s2, s2, 0x80
	v_add_nc_u32_e32 v5, 1, v2
	s_mov_b32 s3, exec_lo
	v_add_co_ci_u32_e32 v3, vcc_lo, 0, v2, vcc_lo
	v_cmp_gt_u32_e32 vcc_lo, 30, v2
	s_delay_alu instid0(VALU_DEP_2) | instskip(SKIP_4) | instid1(VALU_DEP_2)
	v_lshlrev_b32_e32 v3, 2, v3
	v_cndmask_b32_e64 v6, 0, 1, vcc_lo
	ds_bpermute_b32 v3, v3, v1
	v_and_b32_e32 v4, 0x60, v0
	v_lshlrev_b32_e32 v6, 1, v6
	v_sub_nc_u32_e64 v4, s2, v4 clamp
	s_delay_alu instid0(VALU_DEP_1) | instskip(NEXT) | instid1(VALU_DEP_3)
	v_cmp_lt_u32_e32 vcc_lo, v5, v4
	v_add_lshl_u32 v5, v6, v2, 2
	s_waitcnt lgkmcnt(0)
	v_dual_cndmask_b32 v3, 0, v3 :: v_dual_add_nc_u32 v6, 2, v2
	v_cmp_gt_u32_e32 vcc_lo, 28, v2
	s_delay_alu instid0(VALU_DEP_2) | instskip(SKIP_4) | instid1(VALU_DEP_3)
	v_add_nc_u32_e32 v1, v3, v1
	ds_bpermute_b32 v3, v5, v1
	v_cndmask_b32_e64 v5, 0, 1, vcc_lo
	v_cmp_lt_u32_e32 vcc_lo, v6, v4
	v_add_nc_u32_e32 v6, 4, v2
	v_lshlrev_b32_e32 v5, 2, v5
	s_delay_alu instid0(VALU_DEP_1) | instskip(SKIP_3) | instid1(VALU_DEP_2)
	v_add_lshl_u32 v5, v5, v2, 2
	s_waitcnt lgkmcnt(0)
	v_cndmask_b32_e32 v3, 0, v3, vcc_lo
	v_cmp_gt_u32_e32 vcc_lo, 24, v2
	v_add_nc_u32_e32 v1, v1, v3
	ds_bpermute_b32 v3, v5, v1
	v_cndmask_b32_e64 v5, 0, 1, vcc_lo
	v_cmp_lt_u32_e32 vcc_lo, v6, v4
	v_add_nc_u32_e32 v6, 8, v2
	s_delay_alu instid0(VALU_DEP_3) | instskip(NEXT) | instid1(VALU_DEP_1)
	v_lshlrev_b32_e32 v5, 3, v5
	v_add_lshl_u32 v5, v5, v2, 2
	s_waitcnt lgkmcnt(0)
	v_cndmask_b32_e32 v3, 0, v3, vcc_lo
	v_cmp_gt_u32_e32 vcc_lo, 16, v2
	s_delay_alu instid0(VALU_DEP_2) | instskip(SKIP_3) | instid1(VALU_DEP_2)
	v_add_nc_u32_e32 v1, v1, v3
	ds_bpermute_b32 v3, v5, v1
	v_cndmask_b32_e64 v5, 0, 1, vcc_lo
	v_cmp_lt_u32_e32 vcc_lo, v6, v4
	v_lshlrev_b32_e32 v5, 4, v5
	s_delay_alu instid0(VALU_DEP_1) | instskip(SKIP_2) | instid1(VALU_DEP_1)
	v_add_lshl_u32 v5, v5, v2, 2
	s_waitcnt lgkmcnt(0)
	v_cndmask_b32_e32 v3, 0, v3, vcc_lo
	v_add_nc_u32_e32 v1, v1, v3
	ds_bpermute_b32 v3, v5, v1
	v_add_nc_u32_e32 v5, 16, v2
	s_delay_alu instid0(VALU_DEP_1) | instskip(SKIP_2) | instid1(VALU_DEP_1)
	v_cmp_lt_u32_e32 vcc_lo, v5, v4
	s_waitcnt lgkmcnt(0)
	v_cndmask_b32_e32 v3, 0, v3, vcc_lo
	v_add_nc_u32_e32 v1, v1, v3
	v_cmpx_eq_u32_e32 0, v2
	s_cbranch_execz .LBB35_653
; %bb.652:
	v_lshrrev_b32_e32 v3, 3, v0
	s_delay_alu instid0(VALU_DEP_1)
	v_and_b32_e32 v3, 12, v3
	ds_store_b32 v3, v1 offset:128
.LBB35_653:
	s_or_b32 exec_lo, exec_lo, s3
	s_delay_alu instid0(SALU_CYCLE_1)
	s_mov_b32 s3, exec_lo
	s_waitcnt lgkmcnt(0)
	s_barrier
	buffer_gl0_inv
	v_cmpx_gt_u32_e32 4, v0
	s_cbranch_execz .LBB35_655
; %bb.654:
	v_and_b32_e32 v3, 3, v2
	s_add_i32 s2, s2, 31
	s_delay_alu instid0(SALU_CYCLE_1) | instskip(NEXT) | instid1(VALU_DEP_1)
	s_lshr_b32 s2, s2, 5
	v_cmp_ne_u32_e32 vcc_lo, 3, v3
	v_add_nc_u32_e32 v5, 1, v3
	v_add_co_ci_u32_e32 v4, vcc_lo, 0, v2, vcc_lo
	v_cmp_gt_u32_e32 vcc_lo, 2, v3
	v_add_nc_u32_e32 v3, 2, v3
	s_delay_alu instid0(VALU_DEP_3) | instskip(SKIP_3) | instid1(VALU_DEP_3)
	v_lshlrev_b32_e32 v4, 2, v4
	v_cndmask_b32_e64 v6, 0, 1, vcc_lo
	v_cmp_gt_u32_e32 vcc_lo, s2, v5
	v_lshlrev_b32_e32 v1, 2, v2
	v_lshlrev_b32_e32 v5, 1, v6
	ds_load_b32 v1, v1 offset:128
	v_add_lshl_u32 v2, v5, v2, 2
	s_waitcnt lgkmcnt(0)
	ds_bpermute_b32 v4, v4, v1
	s_waitcnt lgkmcnt(0)
	v_cndmask_b32_e32 v4, 0, v4, vcc_lo
	v_cmp_gt_u32_e32 vcc_lo, s2, v3
	s_delay_alu instid0(VALU_DEP_2) | instskip(SKIP_3) | instid1(VALU_DEP_1)
	v_add_nc_u32_e32 v1, v4, v1
	ds_bpermute_b32 v2, v2, v1
	s_waitcnt lgkmcnt(0)
	v_cndmask_b32_e32 v2, 0, v2, vcc_lo
	v_add_nc_u32_e32 v1, v1, v2
.LBB35_655:
	s_or_b32 exec_lo, exec_lo, s3
	v_cmp_eq_u32_e64 s2, 0, v0
	s_delay_alu instid0(VALU_DEP_1)
	s_and_saveexec_b32 s3, s2
	s_cbranch_execnz .LBB35_624
	s_branch .LBB35_625
	.section	.rodata,"a",@progbits
	.p2align	6, 0x0
	.amdhsa_kernel _ZN7rocprim17ROCPRIM_400000_NS6detail17trampoline_kernelINS0_14default_configENS1_22reduce_config_selectorIbEEZNS1_11reduce_implILb1ES3_N6hipcub16HIPCUB_304000_NS22TransformInputIteratorIbN2at6native12_GLOBAL__N_19NonZeroOpIhEEPKhlEEPiiNS8_6detail34convert_binary_result_type_wrapperINS8_3SumESH_iEEEE10hipError_tPvRmT1_T2_T3_mT4_P12ihipStream_tbEUlT_E1_NS1_11comp_targetILNS1_3genE9ELNS1_11target_archE1100ELNS1_3gpuE3ELNS1_3repE0EEENS1_30default_config_static_selectorELNS0_4arch9wavefront6targetE0EEEvSQ_
		.amdhsa_group_segment_fixed_size 144
		.amdhsa_private_segment_fixed_size 0
		.amdhsa_kernarg_size 48
		.amdhsa_user_sgpr_count 15
		.amdhsa_user_sgpr_dispatch_ptr 0
		.amdhsa_user_sgpr_queue_ptr 0
		.amdhsa_user_sgpr_kernarg_segment_ptr 1
		.amdhsa_user_sgpr_dispatch_id 0
		.amdhsa_user_sgpr_private_segment_size 0
		.amdhsa_wavefront_size32 1
		.amdhsa_uses_dynamic_stack 0
		.amdhsa_enable_private_segment 0
		.amdhsa_system_sgpr_workgroup_id_x 1
		.amdhsa_system_sgpr_workgroup_id_y 0
		.amdhsa_system_sgpr_workgroup_id_z 0
		.amdhsa_system_sgpr_workgroup_info 0
		.amdhsa_system_vgpr_workitem_id 0
		.amdhsa_next_free_vgpr 130
		.amdhsa_next_free_sgpr 29
		.amdhsa_reserve_vcc 1
		.amdhsa_float_round_mode_32 0
		.amdhsa_float_round_mode_16_64 0
		.amdhsa_float_denorm_mode_32 3
		.amdhsa_float_denorm_mode_16_64 3
		.amdhsa_dx10_clamp 1
		.amdhsa_ieee_mode 1
		.amdhsa_fp16_overflow 0
		.amdhsa_workgroup_processor_mode 1
		.amdhsa_memory_ordered 1
		.amdhsa_forward_progress 0
		.amdhsa_shared_vgpr_count 0
		.amdhsa_exception_fp_ieee_invalid_op 0
		.amdhsa_exception_fp_denorm_src 0
		.amdhsa_exception_fp_ieee_div_zero 0
		.amdhsa_exception_fp_ieee_overflow 0
		.amdhsa_exception_fp_ieee_underflow 0
		.amdhsa_exception_fp_ieee_inexact 0
		.amdhsa_exception_int_div_zero 0
	.end_amdhsa_kernel
	.section	.text._ZN7rocprim17ROCPRIM_400000_NS6detail17trampoline_kernelINS0_14default_configENS1_22reduce_config_selectorIbEEZNS1_11reduce_implILb1ES3_N6hipcub16HIPCUB_304000_NS22TransformInputIteratorIbN2at6native12_GLOBAL__N_19NonZeroOpIhEEPKhlEEPiiNS8_6detail34convert_binary_result_type_wrapperINS8_3SumESH_iEEEE10hipError_tPvRmT1_T2_T3_mT4_P12ihipStream_tbEUlT_E1_NS1_11comp_targetILNS1_3genE9ELNS1_11target_archE1100ELNS1_3gpuE3ELNS1_3repE0EEENS1_30default_config_static_selectorELNS0_4arch9wavefront6targetE0EEEvSQ_,"axG",@progbits,_ZN7rocprim17ROCPRIM_400000_NS6detail17trampoline_kernelINS0_14default_configENS1_22reduce_config_selectorIbEEZNS1_11reduce_implILb1ES3_N6hipcub16HIPCUB_304000_NS22TransformInputIteratorIbN2at6native12_GLOBAL__N_19NonZeroOpIhEEPKhlEEPiiNS8_6detail34convert_binary_result_type_wrapperINS8_3SumESH_iEEEE10hipError_tPvRmT1_T2_T3_mT4_P12ihipStream_tbEUlT_E1_NS1_11comp_targetILNS1_3genE9ELNS1_11target_archE1100ELNS1_3gpuE3ELNS1_3repE0EEENS1_30default_config_static_selectorELNS0_4arch9wavefront6targetE0EEEvSQ_,comdat
.Lfunc_end35:
	.size	_ZN7rocprim17ROCPRIM_400000_NS6detail17trampoline_kernelINS0_14default_configENS1_22reduce_config_selectorIbEEZNS1_11reduce_implILb1ES3_N6hipcub16HIPCUB_304000_NS22TransformInputIteratorIbN2at6native12_GLOBAL__N_19NonZeroOpIhEEPKhlEEPiiNS8_6detail34convert_binary_result_type_wrapperINS8_3SumESH_iEEEE10hipError_tPvRmT1_T2_T3_mT4_P12ihipStream_tbEUlT_E1_NS1_11comp_targetILNS1_3genE9ELNS1_11target_archE1100ELNS1_3gpuE3ELNS1_3repE0EEENS1_30default_config_static_selectorELNS0_4arch9wavefront6targetE0EEEvSQ_, .Lfunc_end35-_ZN7rocprim17ROCPRIM_400000_NS6detail17trampoline_kernelINS0_14default_configENS1_22reduce_config_selectorIbEEZNS1_11reduce_implILb1ES3_N6hipcub16HIPCUB_304000_NS22TransformInputIteratorIbN2at6native12_GLOBAL__N_19NonZeroOpIhEEPKhlEEPiiNS8_6detail34convert_binary_result_type_wrapperINS8_3SumESH_iEEEE10hipError_tPvRmT1_T2_T3_mT4_P12ihipStream_tbEUlT_E1_NS1_11comp_targetILNS1_3genE9ELNS1_11target_archE1100ELNS1_3gpuE3ELNS1_3repE0EEENS1_30default_config_static_selectorELNS0_4arch9wavefront6targetE0EEEvSQ_
                                        ; -- End function
	.section	.AMDGPU.csdata,"",@progbits
; Kernel info:
; codeLenInByte = 29384
; NumSgprs: 31
; NumVgprs: 130
; ScratchSize: 0
; MemoryBound: 0
; FloatMode: 240
; IeeeMode: 1
; LDSByteSize: 144 bytes/workgroup (compile time only)
; SGPRBlocks: 3
; VGPRBlocks: 16
; NumSGPRsForWavesPerEU: 31
; NumVGPRsForWavesPerEU: 130
; Occupancy: 10
; WaveLimiterHint : 1
; COMPUTE_PGM_RSRC2:SCRATCH_EN: 0
; COMPUTE_PGM_RSRC2:USER_SGPR: 15
; COMPUTE_PGM_RSRC2:TRAP_HANDLER: 0
; COMPUTE_PGM_RSRC2:TGID_X_EN: 1
; COMPUTE_PGM_RSRC2:TGID_Y_EN: 0
; COMPUTE_PGM_RSRC2:TGID_Z_EN: 0
; COMPUTE_PGM_RSRC2:TIDIG_COMP_CNT: 0
	.section	.text._ZN7rocprim17ROCPRIM_400000_NS6detail17trampoline_kernelINS0_14default_configENS1_22reduce_config_selectorIbEEZNS1_11reduce_implILb1ES3_N6hipcub16HIPCUB_304000_NS22TransformInputIteratorIbN2at6native12_GLOBAL__N_19NonZeroOpIhEEPKhlEEPiiNS8_6detail34convert_binary_result_type_wrapperINS8_3SumESH_iEEEE10hipError_tPvRmT1_T2_T3_mT4_P12ihipStream_tbEUlT_E1_NS1_11comp_targetILNS1_3genE8ELNS1_11target_archE1030ELNS1_3gpuE2ELNS1_3repE0EEENS1_30default_config_static_selectorELNS0_4arch9wavefront6targetE0EEEvSQ_,"axG",@progbits,_ZN7rocprim17ROCPRIM_400000_NS6detail17trampoline_kernelINS0_14default_configENS1_22reduce_config_selectorIbEEZNS1_11reduce_implILb1ES3_N6hipcub16HIPCUB_304000_NS22TransformInputIteratorIbN2at6native12_GLOBAL__N_19NonZeroOpIhEEPKhlEEPiiNS8_6detail34convert_binary_result_type_wrapperINS8_3SumESH_iEEEE10hipError_tPvRmT1_T2_T3_mT4_P12ihipStream_tbEUlT_E1_NS1_11comp_targetILNS1_3genE8ELNS1_11target_archE1030ELNS1_3gpuE2ELNS1_3repE0EEENS1_30default_config_static_selectorELNS0_4arch9wavefront6targetE0EEEvSQ_,comdat
	.globl	_ZN7rocprim17ROCPRIM_400000_NS6detail17trampoline_kernelINS0_14default_configENS1_22reduce_config_selectorIbEEZNS1_11reduce_implILb1ES3_N6hipcub16HIPCUB_304000_NS22TransformInputIteratorIbN2at6native12_GLOBAL__N_19NonZeroOpIhEEPKhlEEPiiNS8_6detail34convert_binary_result_type_wrapperINS8_3SumESH_iEEEE10hipError_tPvRmT1_T2_T3_mT4_P12ihipStream_tbEUlT_E1_NS1_11comp_targetILNS1_3genE8ELNS1_11target_archE1030ELNS1_3gpuE2ELNS1_3repE0EEENS1_30default_config_static_selectorELNS0_4arch9wavefront6targetE0EEEvSQ_ ; -- Begin function _ZN7rocprim17ROCPRIM_400000_NS6detail17trampoline_kernelINS0_14default_configENS1_22reduce_config_selectorIbEEZNS1_11reduce_implILb1ES3_N6hipcub16HIPCUB_304000_NS22TransformInputIteratorIbN2at6native12_GLOBAL__N_19NonZeroOpIhEEPKhlEEPiiNS8_6detail34convert_binary_result_type_wrapperINS8_3SumESH_iEEEE10hipError_tPvRmT1_T2_T3_mT4_P12ihipStream_tbEUlT_E1_NS1_11comp_targetILNS1_3genE8ELNS1_11target_archE1030ELNS1_3gpuE2ELNS1_3repE0EEENS1_30default_config_static_selectorELNS0_4arch9wavefront6targetE0EEEvSQ_
	.p2align	8
	.type	_ZN7rocprim17ROCPRIM_400000_NS6detail17trampoline_kernelINS0_14default_configENS1_22reduce_config_selectorIbEEZNS1_11reduce_implILb1ES3_N6hipcub16HIPCUB_304000_NS22TransformInputIteratorIbN2at6native12_GLOBAL__N_19NonZeroOpIhEEPKhlEEPiiNS8_6detail34convert_binary_result_type_wrapperINS8_3SumESH_iEEEE10hipError_tPvRmT1_T2_T3_mT4_P12ihipStream_tbEUlT_E1_NS1_11comp_targetILNS1_3genE8ELNS1_11target_archE1030ELNS1_3gpuE2ELNS1_3repE0EEENS1_30default_config_static_selectorELNS0_4arch9wavefront6targetE0EEEvSQ_,@function
_ZN7rocprim17ROCPRIM_400000_NS6detail17trampoline_kernelINS0_14default_configENS1_22reduce_config_selectorIbEEZNS1_11reduce_implILb1ES3_N6hipcub16HIPCUB_304000_NS22TransformInputIteratorIbN2at6native12_GLOBAL__N_19NonZeroOpIhEEPKhlEEPiiNS8_6detail34convert_binary_result_type_wrapperINS8_3SumESH_iEEEE10hipError_tPvRmT1_T2_T3_mT4_P12ihipStream_tbEUlT_E1_NS1_11comp_targetILNS1_3genE8ELNS1_11target_archE1030ELNS1_3gpuE2ELNS1_3repE0EEENS1_30default_config_static_selectorELNS0_4arch9wavefront6targetE0EEEvSQ_: ; @_ZN7rocprim17ROCPRIM_400000_NS6detail17trampoline_kernelINS0_14default_configENS1_22reduce_config_selectorIbEEZNS1_11reduce_implILb1ES3_N6hipcub16HIPCUB_304000_NS22TransformInputIteratorIbN2at6native12_GLOBAL__N_19NonZeroOpIhEEPKhlEEPiiNS8_6detail34convert_binary_result_type_wrapperINS8_3SumESH_iEEEE10hipError_tPvRmT1_T2_T3_mT4_P12ihipStream_tbEUlT_E1_NS1_11comp_targetILNS1_3genE8ELNS1_11target_archE1030ELNS1_3gpuE2ELNS1_3repE0EEENS1_30default_config_static_selectorELNS0_4arch9wavefront6targetE0EEEvSQ_
; %bb.0:
	.section	.rodata,"a",@progbits
	.p2align	6, 0x0
	.amdhsa_kernel _ZN7rocprim17ROCPRIM_400000_NS6detail17trampoline_kernelINS0_14default_configENS1_22reduce_config_selectorIbEEZNS1_11reduce_implILb1ES3_N6hipcub16HIPCUB_304000_NS22TransformInputIteratorIbN2at6native12_GLOBAL__N_19NonZeroOpIhEEPKhlEEPiiNS8_6detail34convert_binary_result_type_wrapperINS8_3SumESH_iEEEE10hipError_tPvRmT1_T2_T3_mT4_P12ihipStream_tbEUlT_E1_NS1_11comp_targetILNS1_3genE8ELNS1_11target_archE1030ELNS1_3gpuE2ELNS1_3repE0EEENS1_30default_config_static_selectorELNS0_4arch9wavefront6targetE0EEEvSQ_
		.amdhsa_group_segment_fixed_size 0
		.amdhsa_private_segment_fixed_size 0
		.amdhsa_kernarg_size 48
		.amdhsa_user_sgpr_count 15
		.amdhsa_user_sgpr_dispatch_ptr 0
		.amdhsa_user_sgpr_queue_ptr 0
		.amdhsa_user_sgpr_kernarg_segment_ptr 1
		.amdhsa_user_sgpr_dispatch_id 0
		.amdhsa_user_sgpr_private_segment_size 0
		.amdhsa_wavefront_size32 1
		.amdhsa_uses_dynamic_stack 0
		.amdhsa_enable_private_segment 0
		.amdhsa_system_sgpr_workgroup_id_x 1
		.amdhsa_system_sgpr_workgroup_id_y 0
		.amdhsa_system_sgpr_workgroup_id_z 0
		.amdhsa_system_sgpr_workgroup_info 0
		.amdhsa_system_vgpr_workitem_id 0
		.amdhsa_next_free_vgpr 1
		.amdhsa_next_free_sgpr 1
		.amdhsa_reserve_vcc 0
		.amdhsa_float_round_mode_32 0
		.amdhsa_float_round_mode_16_64 0
		.amdhsa_float_denorm_mode_32 3
		.amdhsa_float_denorm_mode_16_64 3
		.amdhsa_dx10_clamp 1
		.amdhsa_ieee_mode 1
		.amdhsa_fp16_overflow 0
		.amdhsa_workgroup_processor_mode 1
		.amdhsa_memory_ordered 1
		.amdhsa_forward_progress 0
		.amdhsa_shared_vgpr_count 0
		.amdhsa_exception_fp_ieee_invalid_op 0
		.amdhsa_exception_fp_denorm_src 0
		.amdhsa_exception_fp_ieee_div_zero 0
		.amdhsa_exception_fp_ieee_overflow 0
		.amdhsa_exception_fp_ieee_underflow 0
		.amdhsa_exception_fp_ieee_inexact 0
		.amdhsa_exception_int_div_zero 0
	.end_amdhsa_kernel
	.section	.text._ZN7rocprim17ROCPRIM_400000_NS6detail17trampoline_kernelINS0_14default_configENS1_22reduce_config_selectorIbEEZNS1_11reduce_implILb1ES3_N6hipcub16HIPCUB_304000_NS22TransformInputIteratorIbN2at6native12_GLOBAL__N_19NonZeroOpIhEEPKhlEEPiiNS8_6detail34convert_binary_result_type_wrapperINS8_3SumESH_iEEEE10hipError_tPvRmT1_T2_T3_mT4_P12ihipStream_tbEUlT_E1_NS1_11comp_targetILNS1_3genE8ELNS1_11target_archE1030ELNS1_3gpuE2ELNS1_3repE0EEENS1_30default_config_static_selectorELNS0_4arch9wavefront6targetE0EEEvSQ_,"axG",@progbits,_ZN7rocprim17ROCPRIM_400000_NS6detail17trampoline_kernelINS0_14default_configENS1_22reduce_config_selectorIbEEZNS1_11reduce_implILb1ES3_N6hipcub16HIPCUB_304000_NS22TransformInputIteratorIbN2at6native12_GLOBAL__N_19NonZeroOpIhEEPKhlEEPiiNS8_6detail34convert_binary_result_type_wrapperINS8_3SumESH_iEEEE10hipError_tPvRmT1_T2_T3_mT4_P12ihipStream_tbEUlT_E1_NS1_11comp_targetILNS1_3genE8ELNS1_11target_archE1030ELNS1_3gpuE2ELNS1_3repE0EEENS1_30default_config_static_selectorELNS0_4arch9wavefront6targetE0EEEvSQ_,comdat
.Lfunc_end36:
	.size	_ZN7rocprim17ROCPRIM_400000_NS6detail17trampoline_kernelINS0_14default_configENS1_22reduce_config_selectorIbEEZNS1_11reduce_implILb1ES3_N6hipcub16HIPCUB_304000_NS22TransformInputIteratorIbN2at6native12_GLOBAL__N_19NonZeroOpIhEEPKhlEEPiiNS8_6detail34convert_binary_result_type_wrapperINS8_3SumESH_iEEEE10hipError_tPvRmT1_T2_T3_mT4_P12ihipStream_tbEUlT_E1_NS1_11comp_targetILNS1_3genE8ELNS1_11target_archE1030ELNS1_3gpuE2ELNS1_3repE0EEENS1_30default_config_static_selectorELNS0_4arch9wavefront6targetE0EEEvSQ_, .Lfunc_end36-_ZN7rocprim17ROCPRIM_400000_NS6detail17trampoline_kernelINS0_14default_configENS1_22reduce_config_selectorIbEEZNS1_11reduce_implILb1ES3_N6hipcub16HIPCUB_304000_NS22TransformInputIteratorIbN2at6native12_GLOBAL__N_19NonZeroOpIhEEPKhlEEPiiNS8_6detail34convert_binary_result_type_wrapperINS8_3SumESH_iEEEE10hipError_tPvRmT1_T2_T3_mT4_P12ihipStream_tbEUlT_E1_NS1_11comp_targetILNS1_3genE8ELNS1_11target_archE1030ELNS1_3gpuE2ELNS1_3repE0EEENS1_30default_config_static_selectorELNS0_4arch9wavefront6targetE0EEEvSQ_
                                        ; -- End function
	.section	.AMDGPU.csdata,"",@progbits
; Kernel info:
; codeLenInByte = 0
; NumSgprs: 0
; NumVgprs: 0
; ScratchSize: 0
; MemoryBound: 0
; FloatMode: 240
; IeeeMode: 1
; LDSByteSize: 0 bytes/workgroup (compile time only)
; SGPRBlocks: 0
; VGPRBlocks: 0
; NumSGPRsForWavesPerEU: 1
; NumVGPRsForWavesPerEU: 1
; Occupancy: 16
; WaveLimiterHint : 0
; COMPUTE_PGM_RSRC2:SCRATCH_EN: 0
; COMPUTE_PGM_RSRC2:USER_SGPR: 15
; COMPUTE_PGM_RSRC2:TRAP_HANDLER: 0
; COMPUTE_PGM_RSRC2:TGID_X_EN: 1
; COMPUTE_PGM_RSRC2:TGID_Y_EN: 0
; COMPUTE_PGM_RSRC2:TGID_Z_EN: 0
; COMPUTE_PGM_RSRC2:TIDIG_COMP_CNT: 0
	.section	.text._ZN7rocprim17ROCPRIM_400000_NS6detail31init_lookback_scan_state_kernelINS1_19lookback_scan_stateImLb0ELb1EEENS1_16block_id_wrapperIjLb0EEEEEvT_jT0_jPNS7_10value_typeE,"axG",@progbits,_ZN7rocprim17ROCPRIM_400000_NS6detail31init_lookback_scan_state_kernelINS1_19lookback_scan_stateImLb0ELb1EEENS1_16block_id_wrapperIjLb0EEEEEvT_jT0_jPNS7_10value_typeE,comdat
	.protected	_ZN7rocprim17ROCPRIM_400000_NS6detail31init_lookback_scan_state_kernelINS1_19lookback_scan_stateImLb0ELb1EEENS1_16block_id_wrapperIjLb0EEEEEvT_jT0_jPNS7_10value_typeE ; -- Begin function _ZN7rocprim17ROCPRIM_400000_NS6detail31init_lookback_scan_state_kernelINS1_19lookback_scan_stateImLb0ELb1EEENS1_16block_id_wrapperIjLb0EEEEEvT_jT0_jPNS7_10value_typeE
	.globl	_ZN7rocprim17ROCPRIM_400000_NS6detail31init_lookback_scan_state_kernelINS1_19lookback_scan_stateImLb0ELb1EEENS1_16block_id_wrapperIjLb0EEEEEvT_jT0_jPNS7_10value_typeE
	.p2align	8
	.type	_ZN7rocprim17ROCPRIM_400000_NS6detail31init_lookback_scan_state_kernelINS1_19lookback_scan_stateImLb0ELb1EEENS1_16block_id_wrapperIjLb0EEEEEvT_jT0_jPNS7_10value_typeE,@function
_ZN7rocprim17ROCPRIM_400000_NS6detail31init_lookback_scan_state_kernelINS1_19lookback_scan_stateImLb0ELb1EEENS1_16block_id_wrapperIjLb0EEEEEvT_jT0_jPNS7_10value_typeE: ; @_ZN7rocprim17ROCPRIM_400000_NS6detail31init_lookback_scan_state_kernelINS1_19lookback_scan_stateImLb0ELb1EEENS1_16block_id_wrapperIjLb0EEEEEvT_jT0_jPNS7_10value_typeE
; %bb.0:
	s_clause 0x3
	s_load_b32 s7, s[0:1], 0x2c
	s_load_b64 s[4:5], s[0:1], 0x18
	s_load_b64 s[2:3], s[0:1], 0x0
	s_load_b32 s6, s[0:1], 0x8
	s_waitcnt lgkmcnt(0)
	s_and_b32 s7, s7, 0xffff
	s_cmp_eq_u64 s[4:5], 0
	v_mad_u64_u32 v[1:2], null, s15, s7, v[0:1]
	s_cbranch_scc1 .LBB37_8
; %bb.1:
	s_load_b32 s0, s[0:1], 0x10
	s_waitcnt lgkmcnt(0)
	s_cmp_lt_u32 s0, s6
	s_cselect_b32 s1, s0, 0
	s_delay_alu instid0(VALU_DEP_1) | instid1(SALU_CYCLE_1)
	v_cmp_eq_u32_e32 vcc_lo, s1, v1
	s_mov_b32 s1, 0
	s_and_saveexec_b32 s7, vcc_lo
	s_cbranch_execz .LBB37_7
; %bb.2:
	s_add_i32 s0, s0, 32
	s_mov_b32 s8, exec_lo
	s_lshl_b64 s[0:1], s[0:1], 4
	v_mov_b32_e32 v6, 0
	s_add_u32 s0, s2, s0
	s_addc_u32 s1, s3, s1
	s_delay_alu instid0(SALU_CYCLE_1) | instskip(SKIP_2) | instid1(VALU_DEP_1)
	v_dual_mov_b32 v3, s1 :: v_dual_mov_b32 v2, s0
	;;#ASMSTART
	global_load_dwordx4 v[2:5], v[2:3] off glc	
s_waitcnt vmcnt(0)
	;;#ASMEND
	v_and_b32_e32 v5, 0xff, v4
	v_cmpx_eq_u64_e32 0, v[5:6]
	s_cbranch_execz .LBB37_6
; %bb.3:
	v_dual_mov_b32 v8, s1 :: v_dual_mov_b32 v7, s0
	s_mov_b32 s0, 0
.LBB37_4:                               ; =>This Inner Loop Header: Depth=1
	;;#ASMSTART
	global_load_dwordx4 v[2:5], v[7:8] off glc	
s_waitcnt vmcnt(0)
	;;#ASMEND
	v_and_b32_e32 v5, 0xff, v4
	s_delay_alu instid0(VALU_DEP_1) | instskip(SKIP_1) | instid1(SALU_CYCLE_1)
	v_cmp_ne_u64_e32 vcc_lo, 0, v[5:6]
	s_or_b32 s0, vcc_lo, s0
	s_and_not1_b32 exec_lo, exec_lo, s0
	s_cbranch_execnz .LBB37_4
; %bb.5:
	s_or_b32 exec_lo, exec_lo, s0
.LBB37_6:
	s_delay_alu instid0(SALU_CYCLE_1)
	s_or_b32 exec_lo, exec_lo, s8
	v_mov_b32_e32 v0, 0
	global_store_b64 v0, v[2:3], s[4:5]
.LBB37_7:
	s_or_b32 exec_lo, exec_lo, s7
.LBB37_8:
	s_delay_alu instid0(SALU_CYCLE_1) | instskip(NEXT) | instid1(VALU_DEP_1)
	s_mov_b32 s0, exec_lo
	v_cmpx_gt_u32_e64 s6, v1
	s_cbranch_execz .LBB37_10
; %bb.9:
	v_dual_mov_b32 v3, 0 :: v_dual_add_nc_u32 v2, 32, v1
	s_delay_alu instid0(VALU_DEP_1) | instskip(SKIP_2) | instid1(VALU_DEP_3)
	v_lshlrev_b64 v[5:6], 4, v[2:3]
	v_mov_b32_e32 v2, v3
	v_mov_b32_e32 v4, v3
	v_add_co_u32 v7, vcc_lo, s2, v5
	s_delay_alu instid0(VALU_DEP_4)
	v_add_co_ci_u32_e32 v8, vcc_lo, s3, v6, vcc_lo
	v_mov_b32_e32 v5, v3
	global_store_b128 v[7:8], v[2:5], off
.LBB37_10:
	s_or_b32 exec_lo, exec_lo, s0
	s_delay_alu instid0(SALU_CYCLE_1)
	s_mov_b32 s0, exec_lo
	v_cmpx_gt_u32_e32 32, v1
	s_cbranch_execz .LBB37_12
; %bb.11:
	v_dual_mov_b32 v2, 0 :: v_dual_mov_b32 v3, 0xff
	s_delay_alu instid0(VALU_DEP_1) | instskip(SKIP_1) | instid1(VALU_DEP_2)
	v_lshlrev_b64 v[4:5], 4, v[1:2]
	v_mov_b32_e32 v1, v2
	v_add_co_u32 v6, vcc_lo, s2, v4
	s_delay_alu instid0(VALU_DEP_3)
	v_add_co_ci_u32_e32 v7, vcc_lo, s3, v5, vcc_lo
	v_mov_b32_e32 v4, v2
	global_store_b128 v[6:7], v[1:4], off
.LBB37_12:
	s_nop 0
	s_sendmsg sendmsg(MSG_DEALLOC_VGPRS)
	s_endpgm
	.section	.rodata,"a",@progbits
	.p2align	6, 0x0
	.amdhsa_kernel _ZN7rocprim17ROCPRIM_400000_NS6detail31init_lookback_scan_state_kernelINS1_19lookback_scan_stateImLb0ELb1EEENS1_16block_id_wrapperIjLb0EEEEEvT_jT0_jPNS7_10value_typeE
		.amdhsa_group_segment_fixed_size 0
		.amdhsa_private_segment_fixed_size 0
		.amdhsa_kernarg_size 288
		.amdhsa_user_sgpr_count 15
		.amdhsa_user_sgpr_dispatch_ptr 0
		.amdhsa_user_sgpr_queue_ptr 0
		.amdhsa_user_sgpr_kernarg_segment_ptr 1
		.amdhsa_user_sgpr_dispatch_id 0
		.amdhsa_user_sgpr_private_segment_size 0
		.amdhsa_wavefront_size32 1
		.amdhsa_uses_dynamic_stack 0
		.amdhsa_enable_private_segment 0
		.amdhsa_system_sgpr_workgroup_id_x 1
		.amdhsa_system_sgpr_workgroup_id_y 0
		.amdhsa_system_sgpr_workgroup_id_z 0
		.amdhsa_system_sgpr_workgroup_info 0
		.amdhsa_system_vgpr_workitem_id 0
		.amdhsa_next_free_vgpr 9
		.amdhsa_next_free_sgpr 16
		.amdhsa_reserve_vcc 1
		.amdhsa_float_round_mode_32 0
		.amdhsa_float_round_mode_16_64 0
		.amdhsa_float_denorm_mode_32 3
		.amdhsa_float_denorm_mode_16_64 3
		.amdhsa_dx10_clamp 1
		.amdhsa_ieee_mode 1
		.amdhsa_fp16_overflow 0
		.amdhsa_workgroup_processor_mode 1
		.amdhsa_memory_ordered 1
		.amdhsa_forward_progress 0
		.amdhsa_shared_vgpr_count 0
		.amdhsa_exception_fp_ieee_invalid_op 0
		.amdhsa_exception_fp_denorm_src 0
		.amdhsa_exception_fp_ieee_div_zero 0
		.amdhsa_exception_fp_ieee_overflow 0
		.amdhsa_exception_fp_ieee_underflow 0
		.amdhsa_exception_fp_ieee_inexact 0
		.amdhsa_exception_int_div_zero 0
	.end_amdhsa_kernel
	.section	.text._ZN7rocprim17ROCPRIM_400000_NS6detail31init_lookback_scan_state_kernelINS1_19lookback_scan_stateImLb0ELb1EEENS1_16block_id_wrapperIjLb0EEEEEvT_jT0_jPNS7_10value_typeE,"axG",@progbits,_ZN7rocprim17ROCPRIM_400000_NS6detail31init_lookback_scan_state_kernelINS1_19lookback_scan_stateImLb0ELb1EEENS1_16block_id_wrapperIjLb0EEEEEvT_jT0_jPNS7_10value_typeE,comdat
.Lfunc_end37:
	.size	_ZN7rocprim17ROCPRIM_400000_NS6detail31init_lookback_scan_state_kernelINS1_19lookback_scan_stateImLb0ELb1EEENS1_16block_id_wrapperIjLb0EEEEEvT_jT0_jPNS7_10value_typeE, .Lfunc_end37-_ZN7rocprim17ROCPRIM_400000_NS6detail31init_lookback_scan_state_kernelINS1_19lookback_scan_stateImLb0ELb1EEENS1_16block_id_wrapperIjLb0EEEEEvT_jT0_jPNS7_10value_typeE
                                        ; -- End function
	.section	.AMDGPU.csdata,"",@progbits
; Kernel info:
; codeLenInByte = 468
; NumSgprs: 18
; NumVgprs: 9
; ScratchSize: 0
; MemoryBound: 0
; FloatMode: 240
; IeeeMode: 1
; LDSByteSize: 0 bytes/workgroup (compile time only)
; SGPRBlocks: 2
; VGPRBlocks: 1
; NumSGPRsForWavesPerEU: 18
; NumVGPRsForWavesPerEU: 9
; Occupancy: 16
; WaveLimiterHint : 0
; COMPUTE_PGM_RSRC2:SCRATCH_EN: 0
; COMPUTE_PGM_RSRC2:USER_SGPR: 15
; COMPUTE_PGM_RSRC2:TRAP_HANDLER: 0
; COMPUTE_PGM_RSRC2:TGID_X_EN: 1
; COMPUTE_PGM_RSRC2:TGID_Y_EN: 0
; COMPUTE_PGM_RSRC2:TGID_Z_EN: 0
; COMPUTE_PGM_RSRC2:TIDIG_COMP_CNT: 0
	.section	.text._ZN7rocprim17ROCPRIM_400000_NS6detail17trampoline_kernelINS0_14default_configENS1_25partition_config_selectorILNS1_17partition_subalgoE5ElNS0_10empty_typeEbEEZZNS1_14partition_implILS5_5ELb0ES3_mN6hipcub16HIPCUB_304000_NS21CountingInputIteratorIllEEPS6_NSA_22TransformInputIteratorIbN2at6native12_GLOBAL__N_19NonZeroOpIhEEPKhlEENS0_5tupleIJPlS6_EEENSN_IJSD_SD_EEES6_PiJS6_EEE10hipError_tPvRmT3_T4_T5_T6_T7_T9_mT8_P12ihipStream_tbDpT10_ENKUlT_T0_E_clISt17integral_constantIbLb0EES1B_EEDaS16_S17_EUlS16_E_NS1_11comp_targetILNS1_3genE0ELNS1_11target_archE4294967295ELNS1_3gpuE0ELNS1_3repE0EEENS1_30default_config_static_selectorELNS0_4arch9wavefront6targetE0EEEvT1_,"axG",@progbits,_ZN7rocprim17ROCPRIM_400000_NS6detail17trampoline_kernelINS0_14default_configENS1_25partition_config_selectorILNS1_17partition_subalgoE5ElNS0_10empty_typeEbEEZZNS1_14partition_implILS5_5ELb0ES3_mN6hipcub16HIPCUB_304000_NS21CountingInputIteratorIllEEPS6_NSA_22TransformInputIteratorIbN2at6native12_GLOBAL__N_19NonZeroOpIhEEPKhlEENS0_5tupleIJPlS6_EEENSN_IJSD_SD_EEES6_PiJS6_EEE10hipError_tPvRmT3_T4_T5_T6_T7_T9_mT8_P12ihipStream_tbDpT10_ENKUlT_T0_E_clISt17integral_constantIbLb0EES1B_EEDaS16_S17_EUlS16_E_NS1_11comp_targetILNS1_3genE0ELNS1_11target_archE4294967295ELNS1_3gpuE0ELNS1_3repE0EEENS1_30default_config_static_selectorELNS0_4arch9wavefront6targetE0EEEvT1_,comdat
	.globl	_ZN7rocprim17ROCPRIM_400000_NS6detail17trampoline_kernelINS0_14default_configENS1_25partition_config_selectorILNS1_17partition_subalgoE5ElNS0_10empty_typeEbEEZZNS1_14partition_implILS5_5ELb0ES3_mN6hipcub16HIPCUB_304000_NS21CountingInputIteratorIllEEPS6_NSA_22TransformInputIteratorIbN2at6native12_GLOBAL__N_19NonZeroOpIhEEPKhlEENS0_5tupleIJPlS6_EEENSN_IJSD_SD_EEES6_PiJS6_EEE10hipError_tPvRmT3_T4_T5_T6_T7_T9_mT8_P12ihipStream_tbDpT10_ENKUlT_T0_E_clISt17integral_constantIbLb0EES1B_EEDaS16_S17_EUlS16_E_NS1_11comp_targetILNS1_3genE0ELNS1_11target_archE4294967295ELNS1_3gpuE0ELNS1_3repE0EEENS1_30default_config_static_selectorELNS0_4arch9wavefront6targetE0EEEvT1_ ; -- Begin function _ZN7rocprim17ROCPRIM_400000_NS6detail17trampoline_kernelINS0_14default_configENS1_25partition_config_selectorILNS1_17partition_subalgoE5ElNS0_10empty_typeEbEEZZNS1_14partition_implILS5_5ELb0ES3_mN6hipcub16HIPCUB_304000_NS21CountingInputIteratorIllEEPS6_NSA_22TransformInputIteratorIbN2at6native12_GLOBAL__N_19NonZeroOpIhEEPKhlEENS0_5tupleIJPlS6_EEENSN_IJSD_SD_EEES6_PiJS6_EEE10hipError_tPvRmT3_T4_T5_T6_T7_T9_mT8_P12ihipStream_tbDpT10_ENKUlT_T0_E_clISt17integral_constantIbLb0EES1B_EEDaS16_S17_EUlS16_E_NS1_11comp_targetILNS1_3genE0ELNS1_11target_archE4294967295ELNS1_3gpuE0ELNS1_3repE0EEENS1_30default_config_static_selectorELNS0_4arch9wavefront6targetE0EEEvT1_
	.p2align	8
	.type	_ZN7rocprim17ROCPRIM_400000_NS6detail17trampoline_kernelINS0_14default_configENS1_25partition_config_selectorILNS1_17partition_subalgoE5ElNS0_10empty_typeEbEEZZNS1_14partition_implILS5_5ELb0ES3_mN6hipcub16HIPCUB_304000_NS21CountingInputIteratorIllEEPS6_NSA_22TransformInputIteratorIbN2at6native12_GLOBAL__N_19NonZeroOpIhEEPKhlEENS0_5tupleIJPlS6_EEENSN_IJSD_SD_EEES6_PiJS6_EEE10hipError_tPvRmT3_T4_T5_T6_T7_T9_mT8_P12ihipStream_tbDpT10_ENKUlT_T0_E_clISt17integral_constantIbLb0EES1B_EEDaS16_S17_EUlS16_E_NS1_11comp_targetILNS1_3genE0ELNS1_11target_archE4294967295ELNS1_3gpuE0ELNS1_3repE0EEENS1_30default_config_static_selectorELNS0_4arch9wavefront6targetE0EEEvT1_,@function
_ZN7rocprim17ROCPRIM_400000_NS6detail17trampoline_kernelINS0_14default_configENS1_25partition_config_selectorILNS1_17partition_subalgoE5ElNS0_10empty_typeEbEEZZNS1_14partition_implILS5_5ELb0ES3_mN6hipcub16HIPCUB_304000_NS21CountingInputIteratorIllEEPS6_NSA_22TransformInputIteratorIbN2at6native12_GLOBAL__N_19NonZeroOpIhEEPKhlEENS0_5tupleIJPlS6_EEENSN_IJSD_SD_EEES6_PiJS6_EEE10hipError_tPvRmT3_T4_T5_T6_T7_T9_mT8_P12ihipStream_tbDpT10_ENKUlT_T0_E_clISt17integral_constantIbLb0EES1B_EEDaS16_S17_EUlS16_E_NS1_11comp_targetILNS1_3genE0ELNS1_11target_archE4294967295ELNS1_3gpuE0ELNS1_3repE0EEENS1_30default_config_static_selectorELNS0_4arch9wavefront6targetE0EEEvT1_: ; @_ZN7rocprim17ROCPRIM_400000_NS6detail17trampoline_kernelINS0_14default_configENS1_25partition_config_selectorILNS1_17partition_subalgoE5ElNS0_10empty_typeEbEEZZNS1_14partition_implILS5_5ELb0ES3_mN6hipcub16HIPCUB_304000_NS21CountingInputIteratorIllEEPS6_NSA_22TransformInputIteratorIbN2at6native12_GLOBAL__N_19NonZeroOpIhEEPKhlEENS0_5tupleIJPlS6_EEENSN_IJSD_SD_EEES6_PiJS6_EEE10hipError_tPvRmT3_T4_T5_T6_T7_T9_mT8_P12ihipStream_tbDpT10_ENKUlT_T0_E_clISt17integral_constantIbLb0EES1B_EEDaS16_S17_EUlS16_E_NS1_11comp_targetILNS1_3genE0ELNS1_11target_archE4294967295ELNS1_3gpuE0ELNS1_3repE0EEENS1_30default_config_static_selectorELNS0_4arch9wavefront6targetE0EEEvT1_
; %bb.0:
	.section	.rodata,"a",@progbits
	.p2align	6, 0x0
	.amdhsa_kernel _ZN7rocprim17ROCPRIM_400000_NS6detail17trampoline_kernelINS0_14default_configENS1_25partition_config_selectorILNS1_17partition_subalgoE5ElNS0_10empty_typeEbEEZZNS1_14partition_implILS5_5ELb0ES3_mN6hipcub16HIPCUB_304000_NS21CountingInputIteratorIllEEPS6_NSA_22TransformInputIteratorIbN2at6native12_GLOBAL__N_19NonZeroOpIhEEPKhlEENS0_5tupleIJPlS6_EEENSN_IJSD_SD_EEES6_PiJS6_EEE10hipError_tPvRmT3_T4_T5_T6_T7_T9_mT8_P12ihipStream_tbDpT10_ENKUlT_T0_E_clISt17integral_constantIbLb0EES1B_EEDaS16_S17_EUlS16_E_NS1_11comp_targetILNS1_3genE0ELNS1_11target_archE4294967295ELNS1_3gpuE0ELNS1_3repE0EEENS1_30default_config_static_selectorELNS0_4arch9wavefront6targetE0EEEvT1_
		.amdhsa_group_segment_fixed_size 0
		.amdhsa_private_segment_fixed_size 0
		.amdhsa_kernarg_size 120
		.amdhsa_user_sgpr_count 15
		.amdhsa_user_sgpr_dispatch_ptr 0
		.amdhsa_user_sgpr_queue_ptr 0
		.amdhsa_user_sgpr_kernarg_segment_ptr 1
		.amdhsa_user_sgpr_dispatch_id 0
		.amdhsa_user_sgpr_private_segment_size 0
		.amdhsa_wavefront_size32 1
		.amdhsa_uses_dynamic_stack 0
		.amdhsa_enable_private_segment 0
		.amdhsa_system_sgpr_workgroup_id_x 1
		.amdhsa_system_sgpr_workgroup_id_y 0
		.amdhsa_system_sgpr_workgroup_id_z 0
		.amdhsa_system_sgpr_workgroup_info 0
		.amdhsa_system_vgpr_workitem_id 0
		.amdhsa_next_free_vgpr 1
		.amdhsa_next_free_sgpr 1
		.amdhsa_reserve_vcc 0
		.amdhsa_float_round_mode_32 0
		.amdhsa_float_round_mode_16_64 0
		.amdhsa_float_denorm_mode_32 3
		.amdhsa_float_denorm_mode_16_64 3
		.amdhsa_dx10_clamp 1
		.amdhsa_ieee_mode 1
		.amdhsa_fp16_overflow 0
		.amdhsa_workgroup_processor_mode 1
		.amdhsa_memory_ordered 1
		.amdhsa_forward_progress 0
		.amdhsa_shared_vgpr_count 0
		.amdhsa_exception_fp_ieee_invalid_op 0
		.amdhsa_exception_fp_denorm_src 0
		.amdhsa_exception_fp_ieee_div_zero 0
		.amdhsa_exception_fp_ieee_overflow 0
		.amdhsa_exception_fp_ieee_underflow 0
		.amdhsa_exception_fp_ieee_inexact 0
		.amdhsa_exception_int_div_zero 0
	.end_amdhsa_kernel
	.section	.text._ZN7rocprim17ROCPRIM_400000_NS6detail17trampoline_kernelINS0_14default_configENS1_25partition_config_selectorILNS1_17partition_subalgoE5ElNS0_10empty_typeEbEEZZNS1_14partition_implILS5_5ELb0ES3_mN6hipcub16HIPCUB_304000_NS21CountingInputIteratorIllEEPS6_NSA_22TransformInputIteratorIbN2at6native12_GLOBAL__N_19NonZeroOpIhEEPKhlEENS0_5tupleIJPlS6_EEENSN_IJSD_SD_EEES6_PiJS6_EEE10hipError_tPvRmT3_T4_T5_T6_T7_T9_mT8_P12ihipStream_tbDpT10_ENKUlT_T0_E_clISt17integral_constantIbLb0EES1B_EEDaS16_S17_EUlS16_E_NS1_11comp_targetILNS1_3genE0ELNS1_11target_archE4294967295ELNS1_3gpuE0ELNS1_3repE0EEENS1_30default_config_static_selectorELNS0_4arch9wavefront6targetE0EEEvT1_,"axG",@progbits,_ZN7rocprim17ROCPRIM_400000_NS6detail17trampoline_kernelINS0_14default_configENS1_25partition_config_selectorILNS1_17partition_subalgoE5ElNS0_10empty_typeEbEEZZNS1_14partition_implILS5_5ELb0ES3_mN6hipcub16HIPCUB_304000_NS21CountingInputIteratorIllEEPS6_NSA_22TransformInputIteratorIbN2at6native12_GLOBAL__N_19NonZeroOpIhEEPKhlEENS0_5tupleIJPlS6_EEENSN_IJSD_SD_EEES6_PiJS6_EEE10hipError_tPvRmT3_T4_T5_T6_T7_T9_mT8_P12ihipStream_tbDpT10_ENKUlT_T0_E_clISt17integral_constantIbLb0EES1B_EEDaS16_S17_EUlS16_E_NS1_11comp_targetILNS1_3genE0ELNS1_11target_archE4294967295ELNS1_3gpuE0ELNS1_3repE0EEENS1_30default_config_static_selectorELNS0_4arch9wavefront6targetE0EEEvT1_,comdat
.Lfunc_end38:
	.size	_ZN7rocprim17ROCPRIM_400000_NS6detail17trampoline_kernelINS0_14default_configENS1_25partition_config_selectorILNS1_17partition_subalgoE5ElNS0_10empty_typeEbEEZZNS1_14partition_implILS5_5ELb0ES3_mN6hipcub16HIPCUB_304000_NS21CountingInputIteratorIllEEPS6_NSA_22TransformInputIteratorIbN2at6native12_GLOBAL__N_19NonZeroOpIhEEPKhlEENS0_5tupleIJPlS6_EEENSN_IJSD_SD_EEES6_PiJS6_EEE10hipError_tPvRmT3_T4_T5_T6_T7_T9_mT8_P12ihipStream_tbDpT10_ENKUlT_T0_E_clISt17integral_constantIbLb0EES1B_EEDaS16_S17_EUlS16_E_NS1_11comp_targetILNS1_3genE0ELNS1_11target_archE4294967295ELNS1_3gpuE0ELNS1_3repE0EEENS1_30default_config_static_selectorELNS0_4arch9wavefront6targetE0EEEvT1_, .Lfunc_end38-_ZN7rocprim17ROCPRIM_400000_NS6detail17trampoline_kernelINS0_14default_configENS1_25partition_config_selectorILNS1_17partition_subalgoE5ElNS0_10empty_typeEbEEZZNS1_14partition_implILS5_5ELb0ES3_mN6hipcub16HIPCUB_304000_NS21CountingInputIteratorIllEEPS6_NSA_22TransformInputIteratorIbN2at6native12_GLOBAL__N_19NonZeroOpIhEEPKhlEENS0_5tupleIJPlS6_EEENSN_IJSD_SD_EEES6_PiJS6_EEE10hipError_tPvRmT3_T4_T5_T6_T7_T9_mT8_P12ihipStream_tbDpT10_ENKUlT_T0_E_clISt17integral_constantIbLb0EES1B_EEDaS16_S17_EUlS16_E_NS1_11comp_targetILNS1_3genE0ELNS1_11target_archE4294967295ELNS1_3gpuE0ELNS1_3repE0EEENS1_30default_config_static_selectorELNS0_4arch9wavefront6targetE0EEEvT1_
                                        ; -- End function
	.section	.AMDGPU.csdata,"",@progbits
; Kernel info:
; codeLenInByte = 0
; NumSgprs: 0
; NumVgprs: 0
; ScratchSize: 0
; MemoryBound: 0
; FloatMode: 240
; IeeeMode: 1
; LDSByteSize: 0 bytes/workgroup (compile time only)
; SGPRBlocks: 0
; VGPRBlocks: 0
; NumSGPRsForWavesPerEU: 1
; NumVGPRsForWavesPerEU: 1
; Occupancy: 16
; WaveLimiterHint : 0
; COMPUTE_PGM_RSRC2:SCRATCH_EN: 0
; COMPUTE_PGM_RSRC2:USER_SGPR: 15
; COMPUTE_PGM_RSRC2:TRAP_HANDLER: 0
; COMPUTE_PGM_RSRC2:TGID_X_EN: 1
; COMPUTE_PGM_RSRC2:TGID_Y_EN: 0
; COMPUTE_PGM_RSRC2:TGID_Z_EN: 0
; COMPUTE_PGM_RSRC2:TIDIG_COMP_CNT: 0
	.section	.text._ZN7rocprim17ROCPRIM_400000_NS6detail17trampoline_kernelINS0_14default_configENS1_25partition_config_selectorILNS1_17partition_subalgoE5ElNS0_10empty_typeEbEEZZNS1_14partition_implILS5_5ELb0ES3_mN6hipcub16HIPCUB_304000_NS21CountingInputIteratorIllEEPS6_NSA_22TransformInputIteratorIbN2at6native12_GLOBAL__N_19NonZeroOpIhEEPKhlEENS0_5tupleIJPlS6_EEENSN_IJSD_SD_EEES6_PiJS6_EEE10hipError_tPvRmT3_T4_T5_T6_T7_T9_mT8_P12ihipStream_tbDpT10_ENKUlT_T0_E_clISt17integral_constantIbLb0EES1B_EEDaS16_S17_EUlS16_E_NS1_11comp_targetILNS1_3genE5ELNS1_11target_archE942ELNS1_3gpuE9ELNS1_3repE0EEENS1_30default_config_static_selectorELNS0_4arch9wavefront6targetE0EEEvT1_,"axG",@progbits,_ZN7rocprim17ROCPRIM_400000_NS6detail17trampoline_kernelINS0_14default_configENS1_25partition_config_selectorILNS1_17partition_subalgoE5ElNS0_10empty_typeEbEEZZNS1_14partition_implILS5_5ELb0ES3_mN6hipcub16HIPCUB_304000_NS21CountingInputIteratorIllEEPS6_NSA_22TransformInputIteratorIbN2at6native12_GLOBAL__N_19NonZeroOpIhEEPKhlEENS0_5tupleIJPlS6_EEENSN_IJSD_SD_EEES6_PiJS6_EEE10hipError_tPvRmT3_T4_T5_T6_T7_T9_mT8_P12ihipStream_tbDpT10_ENKUlT_T0_E_clISt17integral_constantIbLb0EES1B_EEDaS16_S17_EUlS16_E_NS1_11comp_targetILNS1_3genE5ELNS1_11target_archE942ELNS1_3gpuE9ELNS1_3repE0EEENS1_30default_config_static_selectorELNS0_4arch9wavefront6targetE0EEEvT1_,comdat
	.globl	_ZN7rocprim17ROCPRIM_400000_NS6detail17trampoline_kernelINS0_14default_configENS1_25partition_config_selectorILNS1_17partition_subalgoE5ElNS0_10empty_typeEbEEZZNS1_14partition_implILS5_5ELb0ES3_mN6hipcub16HIPCUB_304000_NS21CountingInputIteratorIllEEPS6_NSA_22TransformInputIteratorIbN2at6native12_GLOBAL__N_19NonZeroOpIhEEPKhlEENS0_5tupleIJPlS6_EEENSN_IJSD_SD_EEES6_PiJS6_EEE10hipError_tPvRmT3_T4_T5_T6_T7_T9_mT8_P12ihipStream_tbDpT10_ENKUlT_T0_E_clISt17integral_constantIbLb0EES1B_EEDaS16_S17_EUlS16_E_NS1_11comp_targetILNS1_3genE5ELNS1_11target_archE942ELNS1_3gpuE9ELNS1_3repE0EEENS1_30default_config_static_selectorELNS0_4arch9wavefront6targetE0EEEvT1_ ; -- Begin function _ZN7rocprim17ROCPRIM_400000_NS6detail17trampoline_kernelINS0_14default_configENS1_25partition_config_selectorILNS1_17partition_subalgoE5ElNS0_10empty_typeEbEEZZNS1_14partition_implILS5_5ELb0ES3_mN6hipcub16HIPCUB_304000_NS21CountingInputIteratorIllEEPS6_NSA_22TransformInputIteratorIbN2at6native12_GLOBAL__N_19NonZeroOpIhEEPKhlEENS0_5tupleIJPlS6_EEENSN_IJSD_SD_EEES6_PiJS6_EEE10hipError_tPvRmT3_T4_T5_T6_T7_T9_mT8_P12ihipStream_tbDpT10_ENKUlT_T0_E_clISt17integral_constantIbLb0EES1B_EEDaS16_S17_EUlS16_E_NS1_11comp_targetILNS1_3genE5ELNS1_11target_archE942ELNS1_3gpuE9ELNS1_3repE0EEENS1_30default_config_static_selectorELNS0_4arch9wavefront6targetE0EEEvT1_
	.p2align	8
	.type	_ZN7rocprim17ROCPRIM_400000_NS6detail17trampoline_kernelINS0_14default_configENS1_25partition_config_selectorILNS1_17partition_subalgoE5ElNS0_10empty_typeEbEEZZNS1_14partition_implILS5_5ELb0ES3_mN6hipcub16HIPCUB_304000_NS21CountingInputIteratorIllEEPS6_NSA_22TransformInputIteratorIbN2at6native12_GLOBAL__N_19NonZeroOpIhEEPKhlEENS0_5tupleIJPlS6_EEENSN_IJSD_SD_EEES6_PiJS6_EEE10hipError_tPvRmT3_T4_T5_T6_T7_T9_mT8_P12ihipStream_tbDpT10_ENKUlT_T0_E_clISt17integral_constantIbLb0EES1B_EEDaS16_S17_EUlS16_E_NS1_11comp_targetILNS1_3genE5ELNS1_11target_archE942ELNS1_3gpuE9ELNS1_3repE0EEENS1_30default_config_static_selectorELNS0_4arch9wavefront6targetE0EEEvT1_,@function
_ZN7rocprim17ROCPRIM_400000_NS6detail17trampoline_kernelINS0_14default_configENS1_25partition_config_selectorILNS1_17partition_subalgoE5ElNS0_10empty_typeEbEEZZNS1_14partition_implILS5_5ELb0ES3_mN6hipcub16HIPCUB_304000_NS21CountingInputIteratorIllEEPS6_NSA_22TransformInputIteratorIbN2at6native12_GLOBAL__N_19NonZeroOpIhEEPKhlEENS0_5tupleIJPlS6_EEENSN_IJSD_SD_EEES6_PiJS6_EEE10hipError_tPvRmT3_T4_T5_T6_T7_T9_mT8_P12ihipStream_tbDpT10_ENKUlT_T0_E_clISt17integral_constantIbLb0EES1B_EEDaS16_S17_EUlS16_E_NS1_11comp_targetILNS1_3genE5ELNS1_11target_archE942ELNS1_3gpuE9ELNS1_3repE0EEENS1_30default_config_static_selectorELNS0_4arch9wavefront6targetE0EEEvT1_: ; @_ZN7rocprim17ROCPRIM_400000_NS6detail17trampoline_kernelINS0_14default_configENS1_25partition_config_selectorILNS1_17partition_subalgoE5ElNS0_10empty_typeEbEEZZNS1_14partition_implILS5_5ELb0ES3_mN6hipcub16HIPCUB_304000_NS21CountingInputIteratorIllEEPS6_NSA_22TransformInputIteratorIbN2at6native12_GLOBAL__N_19NonZeroOpIhEEPKhlEENS0_5tupleIJPlS6_EEENSN_IJSD_SD_EEES6_PiJS6_EEE10hipError_tPvRmT3_T4_T5_T6_T7_T9_mT8_P12ihipStream_tbDpT10_ENKUlT_T0_E_clISt17integral_constantIbLb0EES1B_EEDaS16_S17_EUlS16_E_NS1_11comp_targetILNS1_3genE5ELNS1_11target_archE942ELNS1_3gpuE9ELNS1_3repE0EEENS1_30default_config_static_selectorELNS0_4arch9wavefront6targetE0EEEvT1_
; %bb.0:
	.section	.rodata,"a",@progbits
	.p2align	6, 0x0
	.amdhsa_kernel _ZN7rocprim17ROCPRIM_400000_NS6detail17trampoline_kernelINS0_14default_configENS1_25partition_config_selectorILNS1_17partition_subalgoE5ElNS0_10empty_typeEbEEZZNS1_14partition_implILS5_5ELb0ES3_mN6hipcub16HIPCUB_304000_NS21CountingInputIteratorIllEEPS6_NSA_22TransformInputIteratorIbN2at6native12_GLOBAL__N_19NonZeroOpIhEEPKhlEENS0_5tupleIJPlS6_EEENSN_IJSD_SD_EEES6_PiJS6_EEE10hipError_tPvRmT3_T4_T5_T6_T7_T9_mT8_P12ihipStream_tbDpT10_ENKUlT_T0_E_clISt17integral_constantIbLb0EES1B_EEDaS16_S17_EUlS16_E_NS1_11comp_targetILNS1_3genE5ELNS1_11target_archE942ELNS1_3gpuE9ELNS1_3repE0EEENS1_30default_config_static_selectorELNS0_4arch9wavefront6targetE0EEEvT1_
		.amdhsa_group_segment_fixed_size 0
		.amdhsa_private_segment_fixed_size 0
		.amdhsa_kernarg_size 120
		.amdhsa_user_sgpr_count 15
		.amdhsa_user_sgpr_dispatch_ptr 0
		.amdhsa_user_sgpr_queue_ptr 0
		.amdhsa_user_sgpr_kernarg_segment_ptr 1
		.amdhsa_user_sgpr_dispatch_id 0
		.amdhsa_user_sgpr_private_segment_size 0
		.amdhsa_wavefront_size32 1
		.amdhsa_uses_dynamic_stack 0
		.amdhsa_enable_private_segment 0
		.amdhsa_system_sgpr_workgroup_id_x 1
		.amdhsa_system_sgpr_workgroup_id_y 0
		.amdhsa_system_sgpr_workgroup_id_z 0
		.amdhsa_system_sgpr_workgroup_info 0
		.amdhsa_system_vgpr_workitem_id 0
		.amdhsa_next_free_vgpr 1
		.amdhsa_next_free_sgpr 1
		.amdhsa_reserve_vcc 0
		.amdhsa_float_round_mode_32 0
		.amdhsa_float_round_mode_16_64 0
		.amdhsa_float_denorm_mode_32 3
		.amdhsa_float_denorm_mode_16_64 3
		.amdhsa_dx10_clamp 1
		.amdhsa_ieee_mode 1
		.amdhsa_fp16_overflow 0
		.amdhsa_workgroup_processor_mode 1
		.amdhsa_memory_ordered 1
		.amdhsa_forward_progress 0
		.amdhsa_shared_vgpr_count 0
		.amdhsa_exception_fp_ieee_invalid_op 0
		.amdhsa_exception_fp_denorm_src 0
		.amdhsa_exception_fp_ieee_div_zero 0
		.amdhsa_exception_fp_ieee_overflow 0
		.amdhsa_exception_fp_ieee_underflow 0
		.amdhsa_exception_fp_ieee_inexact 0
		.amdhsa_exception_int_div_zero 0
	.end_amdhsa_kernel
	.section	.text._ZN7rocprim17ROCPRIM_400000_NS6detail17trampoline_kernelINS0_14default_configENS1_25partition_config_selectorILNS1_17partition_subalgoE5ElNS0_10empty_typeEbEEZZNS1_14partition_implILS5_5ELb0ES3_mN6hipcub16HIPCUB_304000_NS21CountingInputIteratorIllEEPS6_NSA_22TransformInputIteratorIbN2at6native12_GLOBAL__N_19NonZeroOpIhEEPKhlEENS0_5tupleIJPlS6_EEENSN_IJSD_SD_EEES6_PiJS6_EEE10hipError_tPvRmT3_T4_T5_T6_T7_T9_mT8_P12ihipStream_tbDpT10_ENKUlT_T0_E_clISt17integral_constantIbLb0EES1B_EEDaS16_S17_EUlS16_E_NS1_11comp_targetILNS1_3genE5ELNS1_11target_archE942ELNS1_3gpuE9ELNS1_3repE0EEENS1_30default_config_static_selectorELNS0_4arch9wavefront6targetE0EEEvT1_,"axG",@progbits,_ZN7rocprim17ROCPRIM_400000_NS6detail17trampoline_kernelINS0_14default_configENS1_25partition_config_selectorILNS1_17partition_subalgoE5ElNS0_10empty_typeEbEEZZNS1_14partition_implILS5_5ELb0ES3_mN6hipcub16HIPCUB_304000_NS21CountingInputIteratorIllEEPS6_NSA_22TransformInputIteratorIbN2at6native12_GLOBAL__N_19NonZeroOpIhEEPKhlEENS0_5tupleIJPlS6_EEENSN_IJSD_SD_EEES6_PiJS6_EEE10hipError_tPvRmT3_T4_T5_T6_T7_T9_mT8_P12ihipStream_tbDpT10_ENKUlT_T0_E_clISt17integral_constantIbLb0EES1B_EEDaS16_S17_EUlS16_E_NS1_11comp_targetILNS1_3genE5ELNS1_11target_archE942ELNS1_3gpuE9ELNS1_3repE0EEENS1_30default_config_static_selectorELNS0_4arch9wavefront6targetE0EEEvT1_,comdat
.Lfunc_end39:
	.size	_ZN7rocprim17ROCPRIM_400000_NS6detail17trampoline_kernelINS0_14default_configENS1_25partition_config_selectorILNS1_17partition_subalgoE5ElNS0_10empty_typeEbEEZZNS1_14partition_implILS5_5ELb0ES3_mN6hipcub16HIPCUB_304000_NS21CountingInputIteratorIllEEPS6_NSA_22TransformInputIteratorIbN2at6native12_GLOBAL__N_19NonZeroOpIhEEPKhlEENS0_5tupleIJPlS6_EEENSN_IJSD_SD_EEES6_PiJS6_EEE10hipError_tPvRmT3_T4_T5_T6_T7_T9_mT8_P12ihipStream_tbDpT10_ENKUlT_T0_E_clISt17integral_constantIbLb0EES1B_EEDaS16_S17_EUlS16_E_NS1_11comp_targetILNS1_3genE5ELNS1_11target_archE942ELNS1_3gpuE9ELNS1_3repE0EEENS1_30default_config_static_selectorELNS0_4arch9wavefront6targetE0EEEvT1_, .Lfunc_end39-_ZN7rocprim17ROCPRIM_400000_NS6detail17trampoline_kernelINS0_14default_configENS1_25partition_config_selectorILNS1_17partition_subalgoE5ElNS0_10empty_typeEbEEZZNS1_14partition_implILS5_5ELb0ES3_mN6hipcub16HIPCUB_304000_NS21CountingInputIteratorIllEEPS6_NSA_22TransformInputIteratorIbN2at6native12_GLOBAL__N_19NonZeroOpIhEEPKhlEENS0_5tupleIJPlS6_EEENSN_IJSD_SD_EEES6_PiJS6_EEE10hipError_tPvRmT3_T4_T5_T6_T7_T9_mT8_P12ihipStream_tbDpT10_ENKUlT_T0_E_clISt17integral_constantIbLb0EES1B_EEDaS16_S17_EUlS16_E_NS1_11comp_targetILNS1_3genE5ELNS1_11target_archE942ELNS1_3gpuE9ELNS1_3repE0EEENS1_30default_config_static_selectorELNS0_4arch9wavefront6targetE0EEEvT1_
                                        ; -- End function
	.section	.AMDGPU.csdata,"",@progbits
; Kernel info:
; codeLenInByte = 0
; NumSgprs: 0
; NumVgprs: 0
; ScratchSize: 0
; MemoryBound: 0
; FloatMode: 240
; IeeeMode: 1
; LDSByteSize: 0 bytes/workgroup (compile time only)
; SGPRBlocks: 0
; VGPRBlocks: 0
; NumSGPRsForWavesPerEU: 1
; NumVGPRsForWavesPerEU: 1
; Occupancy: 16
; WaveLimiterHint : 0
; COMPUTE_PGM_RSRC2:SCRATCH_EN: 0
; COMPUTE_PGM_RSRC2:USER_SGPR: 15
; COMPUTE_PGM_RSRC2:TRAP_HANDLER: 0
; COMPUTE_PGM_RSRC2:TGID_X_EN: 1
; COMPUTE_PGM_RSRC2:TGID_Y_EN: 0
; COMPUTE_PGM_RSRC2:TGID_Z_EN: 0
; COMPUTE_PGM_RSRC2:TIDIG_COMP_CNT: 0
	.section	.text._ZN7rocprim17ROCPRIM_400000_NS6detail17trampoline_kernelINS0_14default_configENS1_25partition_config_selectorILNS1_17partition_subalgoE5ElNS0_10empty_typeEbEEZZNS1_14partition_implILS5_5ELb0ES3_mN6hipcub16HIPCUB_304000_NS21CountingInputIteratorIllEEPS6_NSA_22TransformInputIteratorIbN2at6native12_GLOBAL__N_19NonZeroOpIhEEPKhlEENS0_5tupleIJPlS6_EEENSN_IJSD_SD_EEES6_PiJS6_EEE10hipError_tPvRmT3_T4_T5_T6_T7_T9_mT8_P12ihipStream_tbDpT10_ENKUlT_T0_E_clISt17integral_constantIbLb0EES1B_EEDaS16_S17_EUlS16_E_NS1_11comp_targetILNS1_3genE4ELNS1_11target_archE910ELNS1_3gpuE8ELNS1_3repE0EEENS1_30default_config_static_selectorELNS0_4arch9wavefront6targetE0EEEvT1_,"axG",@progbits,_ZN7rocprim17ROCPRIM_400000_NS6detail17trampoline_kernelINS0_14default_configENS1_25partition_config_selectorILNS1_17partition_subalgoE5ElNS0_10empty_typeEbEEZZNS1_14partition_implILS5_5ELb0ES3_mN6hipcub16HIPCUB_304000_NS21CountingInputIteratorIllEEPS6_NSA_22TransformInputIteratorIbN2at6native12_GLOBAL__N_19NonZeroOpIhEEPKhlEENS0_5tupleIJPlS6_EEENSN_IJSD_SD_EEES6_PiJS6_EEE10hipError_tPvRmT3_T4_T5_T6_T7_T9_mT8_P12ihipStream_tbDpT10_ENKUlT_T0_E_clISt17integral_constantIbLb0EES1B_EEDaS16_S17_EUlS16_E_NS1_11comp_targetILNS1_3genE4ELNS1_11target_archE910ELNS1_3gpuE8ELNS1_3repE0EEENS1_30default_config_static_selectorELNS0_4arch9wavefront6targetE0EEEvT1_,comdat
	.globl	_ZN7rocprim17ROCPRIM_400000_NS6detail17trampoline_kernelINS0_14default_configENS1_25partition_config_selectorILNS1_17partition_subalgoE5ElNS0_10empty_typeEbEEZZNS1_14partition_implILS5_5ELb0ES3_mN6hipcub16HIPCUB_304000_NS21CountingInputIteratorIllEEPS6_NSA_22TransformInputIteratorIbN2at6native12_GLOBAL__N_19NonZeroOpIhEEPKhlEENS0_5tupleIJPlS6_EEENSN_IJSD_SD_EEES6_PiJS6_EEE10hipError_tPvRmT3_T4_T5_T6_T7_T9_mT8_P12ihipStream_tbDpT10_ENKUlT_T0_E_clISt17integral_constantIbLb0EES1B_EEDaS16_S17_EUlS16_E_NS1_11comp_targetILNS1_3genE4ELNS1_11target_archE910ELNS1_3gpuE8ELNS1_3repE0EEENS1_30default_config_static_selectorELNS0_4arch9wavefront6targetE0EEEvT1_ ; -- Begin function _ZN7rocprim17ROCPRIM_400000_NS6detail17trampoline_kernelINS0_14default_configENS1_25partition_config_selectorILNS1_17partition_subalgoE5ElNS0_10empty_typeEbEEZZNS1_14partition_implILS5_5ELb0ES3_mN6hipcub16HIPCUB_304000_NS21CountingInputIteratorIllEEPS6_NSA_22TransformInputIteratorIbN2at6native12_GLOBAL__N_19NonZeroOpIhEEPKhlEENS0_5tupleIJPlS6_EEENSN_IJSD_SD_EEES6_PiJS6_EEE10hipError_tPvRmT3_T4_T5_T6_T7_T9_mT8_P12ihipStream_tbDpT10_ENKUlT_T0_E_clISt17integral_constantIbLb0EES1B_EEDaS16_S17_EUlS16_E_NS1_11comp_targetILNS1_3genE4ELNS1_11target_archE910ELNS1_3gpuE8ELNS1_3repE0EEENS1_30default_config_static_selectorELNS0_4arch9wavefront6targetE0EEEvT1_
	.p2align	8
	.type	_ZN7rocprim17ROCPRIM_400000_NS6detail17trampoline_kernelINS0_14default_configENS1_25partition_config_selectorILNS1_17partition_subalgoE5ElNS0_10empty_typeEbEEZZNS1_14partition_implILS5_5ELb0ES3_mN6hipcub16HIPCUB_304000_NS21CountingInputIteratorIllEEPS6_NSA_22TransformInputIteratorIbN2at6native12_GLOBAL__N_19NonZeroOpIhEEPKhlEENS0_5tupleIJPlS6_EEENSN_IJSD_SD_EEES6_PiJS6_EEE10hipError_tPvRmT3_T4_T5_T6_T7_T9_mT8_P12ihipStream_tbDpT10_ENKUlT_T0_E_clISt17integral_constantIbLb0EES1B_EEDaS16_S17_EUlS16_E_NS1_11comp_targetILNS1_3genE4ELNS1_11target_archE910ELNS1_3gpuE8ELNS1_3repE0EEENS1_30default_config_static_selectorELNS0_4arch9wavefront6targetE0EEEvT1_,@function
_ZN7rocprim17ROCPRIM_400000_NS6detail17trampoline_kernelINS0_14default_configENS1_25partition_config_selectorILNS1_17partition_subalgoE5ElNS0_10empty_typeEbEEZZNS1_14partition_implILS5_5ELb0ES3_mN6hipcub16HIPCUB_304000_NS21CountingInputIteratorIllEEPS6_NSA_22TransformInputIteratorIbN2at6native12_GLOBAL__N_19NonZeroOpIhEEPKhlEENS0_5tupleIJPlS6_EEENSN_IJSD_SD_EEES6_PiJS6_EEE10hipError_tPvRmT3_T4_T5_T6_T7_T9_mT8_P12ihipStream_tbDpT10_ENKUlT_T0_E_clISt17integral_constantIbLb0EES1B_EEDaS16_S17_EUlS16_E_NS1_11comp_targetILNS1_3genE4ELNS1_11target_archE910ELNS1_3gpuE8ELNS1_3repE0EEENS1_30default_config_static_selectorELNS0_4arch9wavefront6targetE0EEEvT1_: ; @_ZN7rocprim17ROCPRIM_400000_NS6detail17trampoline_kernelINS0_14default_configENS1_25partition_config_selectorILNS1_17partition_subalgoE5ElNS0_10empty_typeEbEEZZNS1_14partition_implILS5_5ELb0ES3_mN6hipcub16HIPCUB_304000_NS21CountingInputIteratorIllEEPS6_NSA_22TransformInputIteratorIbN2at6native12_GLOBAL__N_19NonZeroOpIhEEPKhlEENS0_5tupleIJPlS6_EEENSN_IJSD_SD_EEES6_PiJS6_EEE10hipError_tPvRmT3_T4_T5_T6_T7_T9_mT8_P12ihipStream_tbDpT10_ENKUlT_T0_E_clISt17integral_constantIbLb0EES1B_EEDaS16_S17_EUlS16_E_NS1_11comp_targetILNS1_3genE4ELNS1_11target_archE910ELNS1_3gpuE8ELNS1_3repE0EEENS1_30default_config_static_selectorELNS0_4arch9wavefront6targetE0EEEvT1_
; %bb.0:
	.section	.rodata,"a",@progbits
	.p2align	6, 0x0
	.amdhsa_kernel _ZN7rocprim17ROCPRIM_400000_NS6detail17trampoline_kernelINS0_14default_configENS1_25partition_config_selectorILNS1_17partition_subalgoE5ElNS0_10empty_typeEbEEZZNS1_14partition_implILS5_5ELb0ES3_mN6hipcub16HIPCUB_304000_NS21CountingInputIteratorIllEEPS6_NSA_22TransformInputIteratorIbN2at6native12_GLOBAL__N_19NonZeroOpIhEEPKhlEENS0_5tupleIJPlS6_EEENSN_IJSD_SD_EEES6_PiJS6_EEE10hipError_tPvRmT3_T4_T5_T6_T7_T9_mT8_P12ihipStream_tbDpT10_ENKUlT_T0_E_clISt17integral_constantIbLb0EES1B_EEDaS16_S17_EUlS16_E_NS1_11comp_targetILNS1_3genE4ELNS1_11target_archE910ELNS1_3gpuE8ELNS1_3repE0EEENS1_30default_config_static_selectorELNS0_4arch9wavefront6targetE0EEEvT1_
		.amdhsa_group_segment_fixed_size 0
		.amdhsa_private_segment_fixed_size 0
		.amdhsa_kernarg_size 120
		.amdhsa_user_sgpr_count 15
		.amdhsa_user_sgpr_dispatch_ptr 0
		.amdhsa_user_sgpr_queue_ptr 0
		.amdhsa_user_sgpr_kernarg_segment_ptr 1
		.amdhsa_user_sgpr_dispatch_id 0
		.amdhsa_user_sgpr_private_segment_size 0
		.amdhsa_wavefront_size32 1
		.amdhsa_uses_dynamic_stack 0
		.amdhsa_enable_private_segment 0
		.amdhsa_system_sgpr_workgroup_id_x 1
		.amdhsa_system_sgpr_workgroup_id_y 0
		.amdhsa_system_sgpr_workgroup_id_z 0
		.amdhsa_system_sgpr_workgroup_info 0
		.amdhsa_system_vgpr_workitem_id 0
		.amdhsa_next_free_vgpr 1
		.amdhsa_next_free_sgpr 1
		.amdhsa_reserve_vcc 0
		.amdhsa_float_round_mode_32 0
		.amdhsa_float_round_mode_16_64 0
		.amdhsa_float_denorm_mode_32 3
		.amdhsa_float_denorm_mode_16_64 3
		.amdhsa_dx10_clamp 1
		.amdhsa_ieee_mode 1
		.amdhsa_fp16_overflow 0
		.amdhsa_workgroup_processor_mode 1
		.amdhsa_memory_ordered 1
		.amdhsa_forward_progress 0
		.amdhsa_shared_vgpr_count 0
		.amdhsa_exception_fp_ieee_invalid_op 0
		.amdhsa_exception_fp_denorm_src 0
		.amdhsa_exception_fp_ieee_div_zero 0
		.amdhsa_exception_fp_ieee_overflow 0
		.amdhsa_exception_fp_ieee_underflow 0
		.amdhsa_exception_fp_ieee_inexact 0
		.amdhsa_exception_int_div_zero 0
	.end_amdhsa_kernel
	.section	.text._ZN7rocprim17ROCPRIM_400000_NS6detail17trampoline_kernelINS0_14default_configENS1_25partition_config_selectorILNS1_17partition_subalgoE5ElNS0_10empty_typeEbEEZZNS1_14partition_implILS5_5ELb0ES3_mN6hipcub16HIPCUB_304000_NS21CountingInputIteratorIllEEPS6_NSA_22TransformInputIteratorIbN2at6native12_GLOBAL__N_19NonZeroOpIhEEPKhlEENS0_5tupleIJPlS6_EEENSN_IJSD_SD_EEES6_PiJS6_EEE10hipError_tPvRmT3_T4_T5_T6_T7_T9_mT8_P12ihipStream_tbDpT10_ENKUlT_T0_E_clISt17integral_constantIbLb0EES1B_EEDaS16_S17_EUlS16_E_NS1_11comp_targetILNS1_3genE4ELNS1_11target_archE910ELNS1_3gpuE8ELNS1_3repE0EEENS1_30default_config_static_selectorELNS0_4arch9wavefront6targetE0EEEvT1_,"axG",@progbits,_ZN7rocprim17ROCPRIM_400000_NS6detail17trampoline_kernelINS0_14default_configENS1_25partition_config_selectorILNS1_17partition_subalgoE5ElNS0_10empty_typeEbEEZZNS1_14partition_implILS5_5ELb0ES3_mN6hipcub16HIPCUB_304000_NS21CountingInputIteratorIllEEPS6_NSA_22TransformInputIteratorIbN2at6native12_GLOBAL__N_19NonZeroOpIhEEPKhlEENS0_5tupleIJPlS6_EEENSN_IJSD_SD_EEES6_PiJS6_EEE10hipError_tPvRmT3_T4_T5_T6_T7_T9_mT8_P12ihipStream_tbDpT10_ENKUlT_T0_E_clISt17integral_constantIbLb0EES1B_EEDaS16_S17_EUlS16_E_NS1_11comp_targetILNS1_3genE4ELNS1_11target_archE910ELNS1_3gpuE8ELNS1_3repE0EEENS1_30default_config_static_selectorELNS0_4arch9wavefront6targetE0EEEvT1_,comdat
.Lfunc_end40:
	.size	_ZN7rocprim17ROCPRIM_400000_NS6detail17trampoline_kernelINS0_14default_configENS1_25partition_config_selectorILNS1_17partition_subalgoE5ElNS0_10empty_typeEbEEZZNS1_14partition_implILS5_5ELb0ES3_mN6hipcub16HIPCUB_304000_NS21CountingInputIteratorIllEEPS6_NSA_22TransformInputIteratorIbN2at6native12_GLOBAL__N_19NonZeroOpIhEEPKhlEENS0_5tupleIJPlS6_EEENSN_IJSD_SD_EEES6_PiJS6_EEE10hipError_tPvRmT3_T4_T5_T6_T7_T9_mT8_P12ihipStream_tbDpT10_ENKUlT_T0_E_clISt17integral_constantIbLb0EES1B_EEDaS16_S17_EUlS16_E_NS1_11comp_targetILNS1_3genE4ELNS1_11target_archE910ELNS1_3gpuE8ELNS1_3repE0EEENS1_30default_config_static_selectorELNS0_4arch9wavefront6targetE0EEEvT1_, .Lfunc_end40-_ZN7rocprim17ROCPRIM_400000_NS6detail17trampoline_kernelINS0_14default_configENS1_25partition_config_selectorILNS1_17partition_subalgoE5ElNS0_10empty_typeEbEEZZNS1_14partition_implILS5_5ELb0ES3_mN6hipcub16HIPCUB_304000_NS21CountingInputIteratorIllEEPS6_NSA_22TransformInputIteratorIbN2at6native12_GLOBAL__N_19NonZeroOpIhEEPKhlEENS0_5tupleIJPlS6_EEENSN_IJSD_SD_EEES6_PiJS6_EEE10hipError_tPvRmT3_T4_T5_T6_T7_T9_mT8_P12ihipStream_tbDpT10_ENKUlT_T0_E_clISt17integral_constantIbLb0EES1B_EEDaS16_S17_EUlS16_E_NS1_11comp_targetILNS1_3genE4ELNS1_11target_archE910ELNS1_3gpuE8ELNS1_3repE0EEENS1_30default_config_static_selectorELNS0_4arch9wavefront6targetE0EEEvT1_
                                        ; -- End function
	.section	.AMDGPU.csdata,"",@progbits
; Kernel info:
; codeLenInByte = 0
; NumSgprs: 0
; NumVgprs: 0
; ScratchSize: 0
; MemoryBound: 0
; FloatMode: 240
; IeeeMode: 1
; LDSByteSize: 0 bytes/workgroup (compile time only)
; SGPRBlocks: 0
; VGPRBlocks: 0
; NumSGPRsForWavesPerEU: 1
; NumVGPRsForWavesPerEU: 1
; Occupancy: 15
; WaveLimiterHint : 0
; COMPUTE_PGM_RSRC2:SCRATCH_EN: 0
; COMPUTE_PGM_RSRC2:USER_SGPR: 15
; COMPUTE_PGM_RSRC2:TRAP_HANDLER: 0
; COMPUTE_PGM_RSRC2:TGID_X_EN: 1
; COMPUTE_PGM_RSRC2:TGID_Y_EN: 0
; COMPUTE_PGM_RSRC2:TGID_Z_EN: 0
; COMPUTE_PGM_RSRC2:TIDIG_COMP_CNT: 0
	.section	.text._ZN7rocprim17ROCPRIM_400000_NS6detail17trampoline_kernelINS0_14default_configENS1_25partition_config_selectorILNS1_17partition_subalgoE5ElNS0_10empty_typeEbEEZZNS1_14partition_implILS5_5ELb0ES3_mN6hipcub16HIPCUB_304000_NS21CountingInputIteratorIllEEPS6_NSA_22TransformInputIteratorIbN2at6native12_GLOBAL__N_19NonZeroOpIhEEPKhlEENS0_5tupleIJPlS6_EEENSN_IJSD_SD_EEES6_PiJS6_EEE10hipError_tPvRmT3_T4_T5_T6_T7_T9_mT8_P12ihipStream_tbDpT10_ENKUlT_T0_E_clISt17integral_constantIbLb0EES1B_EEDaS16_S17_EUlS16_E_NS1_11comp_targetILNS1_3genE3ELNS1_11target_archE908ELNS1_3gpuE7ELNS1_3repE0EEENS1_30default_config_static_selectorELNS0_4arch9wavefront6targetE0EEEvT1_,"axG",@progbits,_ZN7rocprim17ROCPRIM_400000_NS6detail17trampoline_kernelINS0_14default_configENS1_25partition_config_selectorILNS1_17partition_subalgoE5ElNS0_10empty_typeEbEEZZNS1_14partition_implILS5_5ELb0ES3_mN6hipcub16HIPCUB_304000_NS21CountingInputIteratorIllEEPS6_NSA_22TransformInputIteratorIbN2at6native12_GLOBAL__N_19NonZeroOpIhEEPKhlEENS0_5tupleIJPlS6_EEENSN_IJSD_SD_EEES6_PiJS6_EEE10hipError_tPvRmT3_T4_T5_T6_T7_T9_mT8_P12ihipStream_tbDpT10_ENKUlT_T0_E_clISt17integral_constantIbLb0EES1B_EEDaS16_S17_EUlS16_E_NS1_11comp_targetILNS1_3genE3ELNS1_11target_archE908ELNS1_3gpuE7ELNS1_3repE0EEENS1_30default_config_static_selectorELNS0_4arch9wavefront6targetE0EEEvT1_,comdat
	.globl	_ZN7rocprim17ROCPRIM_400000_NS6detail17trampoline_kernelINS0_14default_configENS1_25partition_config_selectorILNS1_17partition_subalgoE5ElNS0_10empty_typeEbEEZZNS1_14partition_implILS5_5ELb0ES3_mN6hipcub16HIPCUB_304000_NS21CountingInputIteratorIllEEPS6_NSA_22TransformInputIteratorIbN2at6native12_GLOBAL__N_19NonZeroOpIhEEPKhlEENS0_5tupleIJPlS6_EEENSN_IJSD_SD_EEES6_PiJS6_EEE10hipError_tPvRmT3_T4_T5_T6_T7_T9_mT8_P12ihipStream_tbDpT10_ENKUlT_T0_E_clISt17integral_constantIbLb0EES1B_EEDaS16_S17_EUlS16_E_NS1_11comp_targetILNS1_3genE3ELNS1_11target_archE908ELNS1_3gpuE7ELNS1_3repE0EEENS1_30default_config_static_selectorELNS0_4arch9wavefront6targetE0EEEvT1_ ; -- Begin function _ZN7rocprim17ROCPRIM_400000_NS6detail17trampoline_kernelINS0_14default_configENS1_25partition_config_selectorILNS1_17partition_subalgoE5ElNS0_10empty_typeEbEEZZNS1_14partition_implILS5_5ELb0ES3_mN6hipcub16HIPCUB_304000_NS21CountingInputIteratorIllEEPS6_NSA_22TransformInputIteratorIbN2at6native12_GLOBAL__N_19NonZeroOpIhEEPKhlEENS0_5tupleIJPlS6_EEENSN_IJSD_SD_EEES6_PiJS6_EEE10hipError_tPvRmT3_T4_T5_T6_T7_T9_mT8_P12ihipStream_tbDpT10_ENKUlT_T0_E_clISt17integral_constantIbLb0EES1B_EEDaS16_S17_EUlS16_E_NS1_11comp_targetILNS1_3genE3ELNS1_11target_archE908ELNS1_3gpuE7ELNS1_3repE0EEENS1_30default_config_static_selectorELNS0_4arch9wavefront6targetE0EEEvT1_
	.p2align	8
	.type	_ZN7rocprim17ROCPRIM_400000_NS6detail17trampoline_kernelINS0_14default_configENS1_25partition_config_selectorILNS1_17partition_subalgoE5ElNS0_10empty_typeEbEEZZNS1_14partition_implILS5_5ELb0ES3_mN6hipcub16HIPCUB_304000_NS21CountingInputIteratorIllEEPS6_NSA_22TransformInputIteratorIbN2at6native12_GLOBAL__N_19NonZeroOpIhEEPKhlEENS0_5tupleIJPlS6_EEENSN_IJSD_SD_EEES6_PiJS6_EEE10hipError_tPvRmT3_T4_T5_T6_T7_T9_mT8_P12ihipStream_tbDpT10_ENKUlT_T0_E_clISt17integral_constantIbLb0EES1B_EEDaS16_S17_EUlS16_E_NS1_11comp_targetILNS1_3genE3ELNS1_11target_archE908ELNS1_3gpuE7ELNS1_3repE0EEENS1_30default_config_static_selectorELNS0_4arch9wavefront6targetE0EEEvT1_,@function
_ZN7rocprim17ROCPRIM_400000_NS6detail17trampoline_kernelINS0_14default_configENS1_25partition_config_selectorILNS1_17partition_subalgoE5ElNS0_10empty_typeEbEEZZNS1_14partition_implILS5_5ELb0ES3_mN6hipcub16HIPCUB_304000_NS21CountingInputIteratorIllEEPS6_NSA_22TransformInputIteratorIbN2at6native12_GLOBAL__N_19NonZeroOpIhEEPKhlEENS0_5tupleIJPlS6_EEENSN_IJSD_SD_EEES6_PiJS6_EEE10hipError_tPvRmT3_T4_T5_T6_T7_T9_mT8_P12ihipStream_tbDpT10_ENKUlT_T0_E_clISt17integral_constantIbLb0EES1B_EEDaS16_S17_EUlS16_E_NS1_11comp_targetILNS1_3genE3ELNS1_11target_archE908ELNS1_3gpuE7ELNS1_3repE0EEENS1_30default_config_static_selectorELNS0_4arch9wavefront6targetE0EEEvT1_: ; @_ZN7rocprim17ROCPRIM_400000_NS6detail17trampoline_kernelINS0_14default_configENS1_25partition_config_selectorILNS1_17partition_subalgoE5ElNS0_10empty_typeEbEEZZNS1_14partition_implILS5_5ELb0ES3_mN6hipcub16HIPCUB_304000_NS21CountingInputIteratorIllEEPS6_NSA_22TransformInputIteratorIbN2at6native12_GLOBAL__N_19NonZeroOpIhEEPKhlEENS0_5tupleIJPlS6_EEENSN_IJSD_SD_EEES6_PiJS6_EEE10hipError_tPvRmT3_T4_T5_T6_T7_T9_mT8_P12ihipStream_tbDpT10_ENKUlT_T0_E_clISt17integral_constantIbLb0EES1B_EEDaS16_S17_EUlS16_E_NS1_11comp_targetILNS1_3genE3ELNS1_11target_archE908ELNS1_3gpuE7ELNS1_3repE0EEENS1_30default_config_static_selectorELNS0_4arch9wavefront6targetE0EEEvT1_
; %bb.0:
	.section	.rodata,"a",@progbits
	.p2align	6, 0x0
	.amdhsa_kernel _ZN7rocprim17ROCPRIM_400000_NS6detail17trampoline_kernelINS0_14default_configENS1_25partition_config_selectorILNS1_17partition_subalgoE5ElNS0_10empty_typeEbEEZZNS1_14partition_implILS5_5ELb0ES3_mN6hipcub16HIPCUB_304000_NS21CountingInputIteratorIllEEPS6_NSA_22TransformInputIteratorIbN2at6native12_GLOBAL__N_19NonZeroOpIhEEPKhlEENS0_5tupleIJPlS6_EEENSN_IJSD_SD_EEES6_PiJS6_EEE10hipError_tPvRmT3_T4_T5_T6_T7_T9_mT8_P12ihipStream_tbDpT10_ENKUlT_T0_E_clISt17integral_constantIbLb0EES1B_EEDaS16_S17_EUlS16_E_NS1_11comp_targetILNS1_3genE3ELNS1_11target_archE908ELNS1_3gpuE7ELNS1_3repE0EEENS1_30default_config_static_selectorELNS0_4arch9wavefront6targetE0EEEvT1_
		.amdhsa_group_segment_fixed_size 0
		.amdhsa_private_segment_fixed_size 0
		.amdhsa_kernarg_size 120
		.amdhsa_user_sgpr_count 15
		.amdhsa_user_sgpr_dispatch_ptr 0
		.amdhsa_user_sgpr_queue_ptr 0
		.amdhsa_user_sgpr_kernarg_segment_ptr 1
		.amdhsa_user_sgpr_dispatch_id 0
		.amdhsa_user_sgpr_private_segment_size 0
		.amdhsa_wavefront_size32 1
		.amdhsa_uses_dynamic_stack 0
		.amdhsa_enable_private_segment 0
		.amdhsa_system_sgpr_workgroup_id_x 1
		.amdhsa_system_sgpr_workgroup_id_y 0
		.amdhsa_system_sgpr_workgroup_id_z 0
		.amdhsa_system_sgpr_workgroup_info 0
		.amdhsa_system_vgpr_workitem_id 0
		.amdhsa_next_free_vgpr 1
		.amdhsa_next_free_sgpr 1
		.amdhsa_reserve_vcc 0
		.amdhsa_float_round_mode_32 0
		.amdhsa_float_round_mode_16_64 0
		.amdhsa_float_denorm_mode_32 3
		.amdhsa_float_denorm_mode_16_64 3
		.amdhsa_dx10_clamp 1
		.amdhsa_ieee_mode 1
		.amdhsa_fp16_overflow 0
		.amdhsa_workgroup_processor_mode 1
		.amdhsa_memory_ordered 1
		.amdhsa_forward_progress 0
		.amdhsa_shared_vgpr_count 0
		.amdhsa_exception_fp_ieee_invalid_op 0
		.amdhsa_exception_fp_denorm_src 0
		.amdhsa_exception_fp_ieee_div_zero 0
		.amdhsa_exception_fp_ieee_overflow 0
		.amdhsa_exception_fp_ieee_underflow 0
		.amdhsa_exception_fp_ieee_inexact 0
		.amdhsa_exception_int_div_zero 0
	.end_amdhsa_kernel
	.section	.text._ZN7rocprim17ROCPRIM_400000_NS6detail17trampoline_kernelINS0_14default_configENS1_25partition_config_selectorILNS1_17partition_subalgoE5ElNS0_10empty_typeEbEEZZNS1_14partition_implILS5_5ELb0ES3_mN6hipcub16HIPCUB_304000_NS21CountingInputIteratorIllEEPS6_NSA_22TransformInputIteratorIbN2at6native12_GLOBAL__N_19NonZeroOpIhEEPKhlEENS0_5tupleIJPlS6_EEENSN_IJSD_SD_EEES6_PiJS6_EEE10hipError_tPvRmT3_T4_T5_T6_T7_T9_mT8_P12ihipStream_tbDpT10_ENKUlT_T0_E_clISt17integral_constantIbLb0EES1B_EEDaS16_S17_EUlS16_E_NS1_11comp_targetILNS1_3genE3ELNS1_11target_archE908ELNS1_3gpuE7ELNS1_3repE0EEENS1_30default_config_static_selectorELNS0_4arch9wavefront6targetE0EEEvT1_,"axG",@progbits,_ZN7rocprim17ROCPRIM_400000_NS6detail17trampoline_kernelINS0_14default_configENS1_25partition_config_selectorILNS1_17partition_subalgoE5ElNS0_10empty_typeEbEEZZNS1_14partition_implILS5_5ELb0ES3_mN6hipcub16HIPCUB_304000_NS21CountingInputIteratorIllEEPS6_NSA_22TransformInputIteratorIbN2at6native12_GLOBAL__N_19NonZeroOpIhEEPKhlEENS0_5tupleIJPlS6_EEENSN_IJSD_SD_EEES6_PiJS6_EEE10hipError_tPvRmT3_T4_T5_T6_T7_T9_mT8_P12ihipStream_tbDpT10_ENKUlT_T0_E_clISt17integral_constantIbLb0EES1B_EEDaS16_S17_EUlS16_E_NS1_11comp_targetILNS1_3genE3ELNS1_11target_archE908ELNS1_3gpuE7ELNS1_3repE0EEENS1_30default_config_static_selectorELNS0_4arch9wavefront6targetE0EEEvT1_,comdat
.Lfunc_end41:
	.size	_ZN7rocprim17ROCPRIM_400000_NS6detail17trampoline_kernelINS0_14default_configENS1_25partition_config_selectorILNS1_17partition_subalgoE5ElNS0_10empty_typeEbEEZZNS1_14partition_implILS5_5ELb0ES3_mN6hipcub16HIPCUB_304000_NS21CountingInputIteratorIllEEPS6_NSA_22TransformInputIteratorIbN2at6native12_GLOBAL__N_19NonZeroOpIhEEPKhlEENS0_5tupleIJPlS6_EEENSN_IJSD_SD_EEES6_PiJS6_EEE10hipError_tPvRmT3_T4_T5_T6_T7_T9_mT8_P12ihipStream_tbDpT10_ENKUlT_T0_E_clISt17integral_constantIbLb0EES1B_EEDaS16_S17_EUlS16_E_NS1_11comp_targetILNS1_3genE3ELNS1_11target_archE908ELNS1_3gpuE7ELNS1_3repE0EEENS1_30default_config_static_selectorELNS0_4arch9wavefront6targetE0EEEvT1_, .Lfunc_end41-_ZN7rocprim17ROCPRIM_400000_NS6detail17trampoline_kernelINS0_14default_configENS1_25partition_config_selectorILNS1_17partition_subalgoE5ElNS0_10empty_typeEbEEZZNS1_14partition_implILS5_5ELb0ES3_mN6hipcub16HIPCUB_304000_NS21CountingInputIteratorIllEEPS6_NSA_22TransformInputIteratorIbN2at6native12_GLOBAL__N_19NonZeroOpIhEEPKhlEENS0_5tupleIJPlS6_EEENSN_IJSD_SD_EEES6_PiJS6_EEE10hipError_tPvRmT3_T4_T5_T6_T7_T9_mT8_P12ihipStream_tbDpT10_ENKUlT_T0_E_clISt17integral_constantIbLb0EES1B_EEDaS16_S17_EUlS16_E_NS1_11comp_targetILNS1_3genE3ELNS1_11target_archE908ELNS1_3gpuE7ELNS1_3repE0EEENS1_30default_config_static_selectorELNS0_4arch9wavefront6targetE0EEEvT1_
                                        ; -- End function
	.section	.AMDGPU.csdata,"",@progbits
; Kernel info:
; codeLenInByte = 0
; NumSgprs: 0
; NumVgprs: 0
; ScratchSize: 0
; MemoryBound: 0
; FloatMode: 240
; IeeeMode: 1
; LDSByteSize: 0 bytes/workgroup (compile time only)
; SGPRBlocks: 0
; VGPRBlocks: 0
; NumSGPRsForWavesPerEU: 1
; NumVGPRsForWavesPerEU: 1
; Occupancy: 16
; WaveLimiterHint : 0
; COMPUTE_PGM_RSRC2:SCRATCH_EN: 0
; COMPUTE_PGM_RSRC2:USER_SGPR: 15
; COMPUTE_PGM_RSRC2:TRAP_HANDLER: 0
; COMPUTE_PGM_RSRC2:TGID_X_EN: 1
; COMPUTE_PGM_RSRC2:TGID_Y_EN: 0
; COMPUTE_PGM_RSRC2:TGID_Z_EN: 0
; COMPUTE_PGM_RSRC2:TIDIG_COMP_CNT: 0
	.section	.text._ZN7rocprim17ROCPRIM_400000_NS6detail17trampoline_kernelINS0_14default_configENS1_25partition_config_selectorILNS1_17partition_subalgoE5ElNS0_10empty_typeEbEEZZNS1_14partition_implILS5_5ELb0ES3_mN6hipcub16HIPCUB_304000_NS21CountingInputIteratorIllEEPS6_NSA_22TransformInputIteratorIbN2at6native12_GLOBAL__N_19NonZeroOpIhEEPKhlEENS0_5tupleIJPlS6_EEENSN_IJSD_SD_EEES6_PiJS6_EEE10hipError_tPvRmT3_T4_T5_T6_T7_T9_mT8_P12ihipStream_tbDpT10_ENKUlT_T0_E_clISt17integral_constantIbLb0EES1B_EEDaS16_S17_EUlS16_E_NS1_11comp_targetILNS1_3genE2ELNS1_11target_archE906ELNS1_3gpuE6ELNS1_3repE0EEENS1_30default_config_static_selectorELNS0_4arch9wavefront6targetE0EEEvT1_,"axG",@progbits,_ZN7rocprim17ROCPRIM_400000_NS6detail17trampoline_kernelINS0_14default_configENS1_25partition_config_selectorILNS1_17partition_subalgoE5ElNS0_10empty_typeEbEEZZNS1_14partition_implILS5_5ELb0ES3_mN6hipcub16HIPCUB_304000_NS21CountingInputIteratorIllEEPS6_NSA_22TransformInputIteratorIbN2at6native12_GLOBAL__N_19NonZeroOpIhEEPKhlEENS0_5tupleIJPlS6_EEENSN_IJSD_SD_EEES6_PiJS6_EEE10hipError_tPvRmT3_T4_T5_T6_T7_T9_mT8_P12ihipStream_tbDpT10_ENKUlT_T0_E_clISt17integral_constantIbLb0EES1B_EEDaS16_S17_EUlS16_E_NS1_11comp_targetILNS1_3genE2ELNS1_11target_archE906ELNS1_3gpuE6ELNS1_3repE0EEENS1_30default_config_static_selectorELNS0_4arch9wavefront6targetE0EEEvT1_,comdat
	.globl	_ZN7rocprim17ROCPRIM_400000_NS6detail17trampoline_kernelINS0_14default_configENS1_25partition_config_selectorILNS1_17partition_subalgoE5ElNS0_10empty_typeEbEEZZNS1_14partition_implILS5_5ELb0ES3_mN6hipcub16HIPCUB_304000_NS21CountingInputIteratorIllEEPS6_NSA_22TransformInputIteratorIbN2at6native12_GLOBAL__N_19NonZeroOpIhEEPKhlEENS0_5tupleIJPlS6_EEENSN_IJSD_SD_EEES6_PiJS6_EEE10hipError_tPvRmT3_T4_T5_T6_T7_T9_mT8_P12ihipStream_tbDpT10_ENKUlT_T0_E_clISt17integral_constantIbLb0EES1B_EEDaS16_S17_EUlS16_E_NS1_11comp_targetILNS1_3genE2ELNS1_11target_archE906ELNS1_3gpuE6ELNS1_3repE0EEENS1_30default_config_static_selectorELNS0_4arch9wavefront6targetE0EEEvT1_ ; -- Begin function _ZN7rocprim17ROCPRIM_400000_NS6detail17trampoline_kernelINS0_14default_configENS1_25partition_config_selectorILNS1_17partition_subalgoE5ElNS0_10empty_typeEbEEZZNS1_14partition_implILS5_5ELb0ES3_mN6hipcub16HIPCUB_304000_NS21CountingInputIteratorIllEEPS6_NSA_22TransformInputIteratorIbN2at6native12_GLOBAL__N_19NonZeroOpIhEEPKhlEENS0_5tupleIJPlS6_EEENSN_IJSD_SD_EEES6_PiJS6_EEE10hipError_tPvRmT3_T4_T5_T6_T7_T9_mT8_P12ihipStream_tbDpT10_ENKUlT_T0_E_clISt17integral_constantIbLb0EES1B_EEDaS16_S17_EUlS16_E_NS1_11comp_targetILNS1_3genE2ELNS1_11target_archE906ELNS1_3gpuE6ELNS1_3repE0EEENS1_30default_config_static_selectorELNS0_4arch9wavefront6targetE0EEEvT1_
	.p2align	8
	.type	_ZN7rocprim17ROCPRIM_400000_NS6detail17trampoline_kernelINS0_14default_configENS1_25partition_config_selectorILNS1_17partition_subalgoE5ElNS0_10empty_typeEbEEZZNS1_14partition_implILS5_5ELb0ES3_mN6hipcub16HIPCUB_304000_NS21CountingInputIteratorIllEEPS6_NSA_22TransformInputIteratorIbN2at6native12_GLOBAL__N_19NonZeroOpIhEEPKhlEENS0_5tupleIJPlS6_EEENSN_IJSD_SD_EEES6_PiJS6_EEE10hipError_tPvRmT3_T4_T5_T6_T7_T9_mT8_P12ihipStream_tbDpT10_ENKUlT_T0_E_clISt17integral_constantIbLb0EES1B_EEDaS16_S17_EUlS16_E_NS1_11comp_targetILNS1_3genE2ELNS1_11target_archE906ELNS1_3gpuE6ELNS1_3repE0EEENS1_30default_config_static_selectorELNS0_4arch9wavefront6targetE0EEEvT1_,@function
_ZN7rocprim17ROCPRIM_400000_NS6detail17trampoline_kernelINS0_14default_configENS1_25partition_config_selectorILNS1_17partition_subalgoE5ElNS0_10empty_typeEbEEZZNS1_14partition_implILS5_5ELb0ES3_mN6hipcub16HIPCUB_304000_NS21CountingInputIteratorIllEEPS6_NSA_22TransformInputIteratorIbN2at6native12_GLOBAL__N_19NonZeroOpIhEEPKhlEENS0_5tupleIJPlS6_EEENSN_IJSD_SD_EEES6_PiJS6_EEE10hipError_tPvRmT3_T4_T5_T6_T7_T9_mT8_P12ihipStream_tbDpT10_ENKUlT_T0_E_clISt17integral_constantIbLb0EES1B_EEDaS16_S17_EUlS16_E_NS1_11comp_targetILNS1_3genE2ELNS1_11target_archE906ELNS1_3gpuE6ELNS1_3repE0EEENS1_30default_config_static_selectorELNS0_4arch9wavefront6targetE0EEEvT1_: ; @_ZN7rocprim17ROCPRIM_400000_NS6detail17trampoline_kernelINS0_14default_configENS1_25partition_config_selectorILNS1_17partition_subalgoE5ElNS0_10empty_typeEbEEZZNS1_14partition_implILS5_5ELb0ES3_mN6hipcub16HIPCUB_304000_NS21CountingInputIteratorIllEEPS6_NSA_22TransformInputIteratorIbN2at6native12_GLOBAL__N_19NonZeroOpIhEEPKhlEENS0_5tupleIJPlS6_EEENSN_IJSD_SD_EEES6_PiJS6_EEE10hipError_tPvRmT3_T4_T5_T6_T7_T9_mT8_P12ihipStream_tbDpT10_ENKUlT_T0_E_clISt17integral_constantIbLb0EES1B_EEDaS16_S17_EUlS16_E_NS1_11comp_targetILNS1_3genE2ELNS1_11target_archE906ELNS1_3gpuE6ELNS1_3repE0EEENS1_30default_config_static_selectorELNS0_4arch9wavefront6targetE0EEEvT1_
; %bb.0:
	.section	.rodata,"a",@progbits
	.p2align	6, 0x0
	.amdhsa_kernel _ZN7rocprim17ROCPRIM_400000_NS6detail17trampoline_kernelINS0_14default_configENS1_25partition_config_selectorILNS1_17partition_subalgoE5ElNS0_10empty_typeEbEEZZNS1_14partition_implILS5_5ELb0ES3_mN6hipcub16HIPCUB_304000_NS21CountingInputIteratorIllEEPS6_NSA_22TransformInputIteratorIbN2at6native12_GLOBAL__N_19NonZeroOpIhEEPKhlEENS0_5tupleIJPlS6_EEENSN_IJSD_SD_EEES6_PiJS6_EEE10hipError_tPvRmT3_T4_T5_T6_T7_T9_mT8_P12ihipStream_tbDpT10_ENKUlT_T0_E_clISt17integral_constantIbLb0EES1B_EEDaS16_S17_EUlS16_E_NS1_11comp_targetILNS1_3genE2ELNS1_11target_archE906ELNS1_3gpuE6ELNS1_3repE0EEENS1_30default_config_static_selectorELNS0_4arch9wavefront6targetE0EEEvT1_
		.amdhsa_group_segment_fixed_size 0
		.amdhsa_private_segment_fixed_size 0
		.amdhsa_kernarg_size 120
		.amdhsa_user_sgpr_count 15
		.amdhsa_user_sgpr_dispatch_ptr 0
		.amdhsa_user_sgpr_queue_ptr 0
		.amdhsa_user_sgpr_kernarg_segment_ptr 1
		.amdhsa_user_sgpr_dispatch_id 0
		.amdhsa_user_sgpr_private_segment_size 0
		.amdhsa_wavefront_size32 1
		.amdhsa_uses_dynamic_stack 0
		.amdhsa_enable_private_segment 0
		.amdhsa_system_sgpr_workgroup_id_x 1
		.amdhsa_system_sgpr_workgroup_id_y 0
		.amdhsa_system_sgpr_workgroup_id_z 0
		.amdhsa_system_sgpr_workgroup_info 0
		.amdhsa_system_vgpr_workitem_id 0
		.amdhsa_next_free_vgpr 1
		.amdhsa_next_free_sgpr 1
		.amdhsa_reserve_vcc 0
		.amdhsa_float_round_mode_32 0
		.amdhsa_float_round_mode_16_64 0
		.amdhsa_float_denorm_mode_32 3
		.amdhsa_float_denorm_mode_16_64 3
		.amdhsa_dx10_clamp 1
		.amdhsa_ieee_mode 1
		.amdhsa_fp16_overflow 0
		.amdhsa_workgroup_processor_mode 1
		.amdhsa_memory_ordered 1
		.amdhsa_forward_progress 0
		.amdhsa_shared_vgpr_count 0
		.amdhsa_exception_fp_ieee_invalid_op 0
		.amdhsa_exception_fp_denorm_src 0
		.amdhsa_exception_fp_ieee_div_zero 0
		.amdhsa_exception_fp_ieee_overflow 0
		.amdhsa_exception_fp_ieee_underflow 0
		.amdhsa_exception_fp_ieee_inexact 0
		.amdhsa_exception_int_div_zero 0
	.end_amdhsa_kernel
	.section	.text._ZN7rocprim17ROCPRIM_400000_NS6detail17trampoline_kernelINS0_14default_configENS1_25partition_config_selectorILNS1_17partition_subalgoE5ElNS0_10empty_typeEbEEZZNS1_14partition_implILS5_5ELb0ES3_mN6hipcub16HIPCUB_304000_NS21CountingInputIteratorIllEEPS6_NSA_22TransformInputIteratorIbN2at6native12_GLOBAL__N_19NonZeroOpIhEEPKhlEENS0_5tupleIJPlS6_EEENSN_IJSD_SD_EEES6_PiJS6_EEE10hipError_tPvRmT3_T4_T5_T6_T7_T9_mT8_P12ihipStream_tbDpT10_ENKUlT_T0_E_clISt17integral_constantIbLb0EES1B_EEDaS16_S17_EUlS16_E_NS1_11comp_targetILNS1_3genE2ELNS1_11target_archE906ELNS1_3gpuE6ELNS1_3repE0EEENS1_30default_config_static_selectorELNS0_4arch9wavefront6targetE0EEEvT1_,"axG",@progbits,_ZN7rocprim17ROCPRIM_400000_NS6detail17trampoline_kernelINS0_14default_configENS1_25partition_config_selectorILNS1_17partition_subalgoE5ElNS0_10empty_typeEbEEZZNS1_14partition_implILS5_5ELb0ES3_mN6hipcub16HIPCUB_304000_NS21CountingInputIteratorIllEEPS6_NSA_22TransformInputIteratorIbN2at6native12_GLOBAL__N_19NonZeroOpIhEEPKhlEENS0_5tupleIJPlS6_EEENSN_IJSD_SD_EEES6_PiJS6_EEE10hipError_tPvRmT3_T4_T5_T6_T7_T9_mT8_P12ihipStream_tbDpT10_ENKUlT_T0_E_clISt17integral_constantIbLb0EES1B_EEDaS16_S17_EUlS16_E_NS1_11comp_targetILNS1_3genE2ELNS1_11target_archE906ELNS1_3gpuE6ELNS1_3repE0EEENS1_30default_config_static_selectorELNS0_4arch9wavefront6targetE0EEEvT1_,comdat
.Lfunc_end42:
	.size	_ZN7rocprim17ROCPRIM_400000_NS6detail17trampoline_kernelINS0_14default_configENS1_25partition_config_selectorILNS1_17partition_subalgoE5ElNS0_10empty_typeEbEEZZNS1_14partition_implILS5_5ELb0ES3_mN6hipcub16HIPCUB_304000_NS21CountingInputIteratorIllEEPS6_NSA_22TransformInputIteratorIbN2at6native12_GLOBAL__N_19NonZeroOpIhEEPKhlEENS0_5tupleIJPlS6_EEENSN_IJSD_SD_EEES6_PiJS6_EEE10hipError_tPvRmT3_T4_T5_T6_T7_T9_mT8_P12ihipStream_tbDpT10_ENKUlT_T0_E_clISt17integral_constantIbLb0EES1B_EEDaS16_S17_EUlS16_E_NS1_11comp_targetILNS1_3genE2ELNS1_11target_archE906ELNS1_3gpuE6ELNS1_3repE0EEENS1_30default_config_static_selectorELNS0_4arch9wavefront6targetE0EEEvT1_, .Lfunc_end42-_ZN7rocprim17ROCPRIM_400000_NS6detail17trampoline_kernelINS0_14default_configENS1_25partition_config_selectorILNS1_17partition_subalgoE5ElNS0_10empty_typeEbEEZZNS1_14partition_implILS5_5ELb0ES3_mN6hipcub16HIPCUB_304000_NS21CountingInputIteratorIllEEPS6_NSA_22TransformInputIteratorIbN2at6native12_GLOBAL__N_19NonZeroOpIhEEPKhlEENS0_5tupleIJPlS6_EEENSN_IJSD_SD_EEES6_PiJS6_EEE10hipError_tPvRmT3_T4_T5_T6_T7_T9_mT8_P12ihipStream_tbDpT10_ENKUlT_T0_E_clISt17integral_constantIbLb0EES1B_EEDaS16_S17_EUlS16_E_NS1_11comp_targetILNS1_3genE2ELNS1_11target_archE906ELNS1_3gpuE6ELNS1_3repE0EEENS1_30default_config_static_selectorELNS0_4arch9wavefront6targetE0EEEvT1_
                                        ; -- End function
	.section	.AMDGPU.csdata,"",@progbits
; Kernel info:
; codeLenInByte = 0
; NumSgprs: 0
; NumVgprs: 0
; ScratchSize: 0
; MemoryBound: 0
; FloatMode: 240
; IeeeMode: 1
; LDSByteSize: 0 bytes/workgroup (compile time only)
; SGPRBlocks: 0
; VGPRBlocks: 0
; NumSGPRsForWavesPerEU: 1
; NumVGPRsForWavesPerEU: 1
; Occupancy: 16
; WaveLimiterHint : 0
; COMPUTE_PGM_RSRC2:SCRATCH_EN: 0
; COMPUTE_PGM_RSRC2:USER_SGPR: 15
; COMPUTE_PGM_RSRC2:TRAP_HANDLER: 0
; COMPUTE_PGM_RSRC2:TGID_X_EN: 1
; COMPUTE_PGM_RSRC2:TGID_Y_EN: 0
; COMPUTE_PGM_RSRC2:TGID_Z_EN: 0
; COMPUTE_PGM_RSRC2:TIDIG_COMP_CNT: 0
	.section	.text._ZN7rocprim17ROCPRIM_400000_NS6detail17trampoline_kernelINS0_14default_configENS1_25partition_config_selectorILNS1_17partition_subalgoE5ElNS0_10empty_typeEbEEZZNS1_14partition_implILS5_5ELb0ES3_mN6hipcub16HIPCUB_304000_NS21CountingInputIteratorIllEEPS6_NSA_22TransformInputIteratorIbN2at6native12_GLOBAL__N_19NonZeroOpIhEEPKhlEENS0_5tupleIJPlS6_EEENSN_IJSD_SD_EEES6_PiJS6_EEE10hipError_tPvRmT3_T4_T5_T6_T7_T9_mT8_P12ihipStream_tbDpT10_ENKUlT_T0_E_clISt17integral_constantIbLb0EES1B_EEDaS16_S17_EUlS16_E_NS1_11comp_targetILNS1_3genE10ELNS1_11target_archE1200ELNS1_3gpuE4ELNS1_3repE0EEENS1_30default_config_static_selectorELNS0_4arch9wavefront6targetE0EEEvT1_,"axG",@progbits,_ZN7rocprim17ROCPRIM_400000_NS6detail17trampoline_kernelINS0_14default_configENS1_25partition_config_selectorILNS1_17partition_subalgoE5ElNS0_10empty_typeEbEEZZNS1_14partition_implILS5_5ELb0ES3_mN6hipcub16HIPCUB_304000_NS21CountingInputIteratorIllEEPS6_NSA_22TransformInputIteratorIbN2at6native12_GLOBAL__N_19NonZeroOpIhEEPKhlEENS0_5tupleIJPlS6_EEENSN_IJSD_SD_EEES6_PiJS6_EEE10hipError_tPvRmT3_T4_T5_T6_T7_T9_mT8_P12ihipStream_tbDpT10_ENKUlT_T0_E_clISt17integral_constantIbLb0EES1B_EEDaS16_S17_EUlS16_E_NS1_11comp_targetILNS1_3genE10ELNS1_11target_archE1200ELNS1_3gpuE4ELNS1_3repE0EEENS1_30default_config_static_selectorELNS0_4arch9wavefront6targetE0EEEvT1_,comdat
	.globl	_ZN7rocprim17ROCPRIM_400000_NS6detail17trampoline_kernelINS0_14default_configENS1_25partition_config_selectorILNS1_17partition_subalgoE5ElNS0_10empty_typeEbEEZZNS1_14partition_implILS5_5ELb0ES3_mN6hipcub16HIPCUB_304000_NS21CountingInputIteratorIllEEPS6_NSA_22TransformInputIteratorIbN2at6native12_GLOBAL__N_19NonZeroOpIhEEPKhlEENS0_5tupleIJPlS6_EEENSN_IJSD_SD_EEES6_PiJS6_EEE10hipError_tPvRmT3_T4_T5_T6_T7_T9_mT8_P12ihipStream_tbDpT10_ENKUlT_T0_E_clISt17integral_constantIbLb0EES1B_EEDaS16_S17_EUlS16_E_NS1_11comp_targetILNS1_3genE10ELNS1_11target_archE1200ELNS1_3gpuE4ELNS1_3repE0EEENS1_30default_config_static_selectorELNS0_4arch9wavefront6targetE0EEEvT1_ ; -- Begin function _ZN7rocprim17ROCPRIM_400000_NS6detail17trampoline_kernelINS0_14default_configENS1_25partition_config_selectorILNS1_17partition_subalgoE5ElNS0_10empty_typeEbEEZZNS1_14partition_implILS5_5ELb0ES3_mN6hipcub16HIPCUB_304000_NS21CountingInputIteratorIllEEPS6_NSA_22TransformInputIteratorIbN2at6native12_GLOBAL__N_19NonZeroOpIhEEPKhlEENS0_5tupleIJPlS6_EEENSN_IJSD_SD_EEES6_PiJS6_EEE10hipError_tPvRmT3_T4_T5_T6_T7_T9_mT8_P12ihipStream_tbDpT10_ENKUlT_T0_E_clISt17integral_constantIbLb0EES1B_EEDaS16_S17_EUlS16_E_NS1_11comp_targetILNS1_3genE10ELNS1_11target_archE1200ELNS1_3gpuE4ELNS1_3repE0EEENS1_30default_config_static_selectorELNS0_4arch9wavefront6targetE0EEEvT1_
	.p2align	8
	.type	_ZN7rocprim17ROCPRIM_400000_NS6detail17trampoline_kernelINS0_14default_configENS1_25partition_config_selectorILNS1_17partition_subalgoE5ElNS0_10empty_typeEbEEZZNS1_14partition_implILS5_5ELb0ES3_mN6hipcub16HIPCUB_304000_NS21CountingInputIteratorIllEEPS6_NSA_22TransformInputIteratorIbN2at6native12_GLOBAL__N_19NonZeroOpIhEEPKhlEENS0_5tupleIJPlS6_EEENSN_IJSD_SD_EEES6_PiJS6_EEE10hipError_tPvRmT3_T4_T5_T6_T7_T9_mT8_P12ihipStream_tbDpT10_ENKUlT_T0_E_clISt17integral_constantIbLb0EES1B_EEDaS16_S17_EUlS16_E_NS1_11comp_targetILNS1_3genE10ELNS1_11target_archE1200ELNS1_3gpuE4ELNS1_3repE0EEENS1_30default_config_static_selectorELNS0_4arch9wavefront6targetE0EEEvT1_,@function
_ZN7rocprim17ROCPRIM_400000_NS6detail17trampoline_kernelINS0_14default_configENS1_25partition_config_selectorILNS1_17partition_subalgoE5ElNS0_10empty_typeEbEEZZNS1_14partition_implILS5_5ELb0ES3_mN6hipcub16HIPCUB_304000_NS21CountingInputIteratorIllEEPS6_NSA_22TransformInputIteratorIbN2at6native12_GLOBAL__N_19NonZeroOpIhEEPKhlEENS0_5tupleIJPlS6_EEENSN_IJSD_SD_EEES6_PiJS6_EEE10hipError_tPvRmT3_T4_T5_T6_T7_T9_mT8_P12ihipStream_tbDpT10_ENKUlT_T0_E_clISt17integral_constantIbLb0EES1B_EEDaS16_S17_EUlS16_E_NS1_11comp_targetILNS1_3genE10ELNS1_11target_archE1200ELNS1_3gpuE4ELNS1_3repE0EEENS1_30default_config_static_selectorELNS0_4arch9wavefront6targetE0EEEvT1_: ; @_ZN7rocprim17ROCPRIM_400000_NS6detail17trampoline_kernelINS0_14default_configENS1_25partition_config_selectorILNS1_17partition_subalgoE5ElNS0_10empty_typeEbEEZZNS1_14partition_implILS5_5ELb0ES3_mN6hipcub16HIPCUB_304000_NS21CountingInputIteratorIllEEPS6_NSA_22TransformInputIteratorIbN2at6native12_GLOBAL__N_19NonZeroOpIhEEPKhlEENS0_5tupleIJPlS6_EEENSN_IJSD_SD_EEES6_PiJS6_EEE10hipError_tPvRmT3_T4_T5_T6_T7_T9_mT8_P12ihipStream_tbDpT10_ENKUlT_T0_E_clISt17integral_constantIbLb0EES1B_EEDaS16_S17_EUlS16_E_NS1_11comp_targetILNS1_3genE10ELNS1_11target_archE1200ELNS1_3gpuE4ELNS1_3repE0EEENS1_30default_config_static_selectorELNS0_4arch9wavefront6targetE0EEEvT1_
; %bb.0:
	.section	.rodata,"a",@progbits
	.p2align	6, 0x0
	.amdhsa_kernel _ZN7rocprim17ROCPRIM_400000_NS6detail17trampoline_kernelINS0_14default_configENS1_25partition_config_selectorILNS1_17partition_subalgoE5ElNS0_10empty_typeEbEEZZNS1_14partition_implILS5_5ELb0ES3_mN6hipcub16HIPCUB_304000_NS21CountingInputIteratorIllEEPS6_NSA_22TransformInputIteratorIbN2at6native12_GLOBAL__N_19NonZeroOpIhEEPKhlEENS0_5tupleIJPlS6_EEENSN_IJSD_SD_EEES6_PiJS6_EEE10hipError_tPvRmT3_T4_T5_T6_T7_T9_mT8_P12ihipStream_tbDpT10_ENKUlT_T0_E_clISt17integral_constantIbLb0EES1B_EEDaS16_S17_EUlS16_E_NS1_11comp_targetILNS1_3genE10ELNS1_11target_archE1200ELNS1_3gpuE4ELNS1_3repE0EEENS1_30default_config_static_selectorELNS0_4arch9wavefront6targetE0EEEvT1_
		.amdhsa_group_segment_fixed_size 0
		.amdhsa_private_segment_fixed_size 0
		.amdhsa_kernarg_size 120
		.amdhsa_user_sgpr_count 15
		.amdhsa_user_sgpr_dispatch_ptr 0
		.amdhsa_user_sgpr_queue_ptr 0
		.amdhsa_user_sgpr_kernarg_segment_ptr 1
		.amdhsa_user_sgpr_dispatch_id 0
		.amdhsa_user_sgpr_private_segment_size 0
		.amdhsa_wavefront_size32 1
		.amdhsa_uses_dynamic_stack 0
		.amdhsa_enable_private_segment 0
		.amdhsa_system_sgpr_workgroup_id_x 1
		.amdhsa_system_sgpr_workgroup_id_y 0
		.amdhsa_system_sgpr_workgroup_id_z 0
		.amdhsa_system_sgpr_workgroup_info 0
		.amdhsa_system_vgpr_workitem_id 0
		.amdhsa_next_free_vgpr 1
		.amdhsa_next_free_sgpr 1
		.amdhsa_reserve_vcc 0
		.amdhsa_float_round_mode_32 0
		.amdhsa_float_round_mode_16_64 0
		.amdhsa_float_denorm_mode_32 3
		.amdhsa_float_denorm_mode_16_64 3
		.amdhsa_dx10_clamp 1
		.amdhsa_ieee_mode 1
		.amdhsa_fp16_overflow 0
		.amdhsa_workgroup_processor_mode 1
		.amdhsa_memory_ordered 1
		.amdhsa_forward_progress 0
		.amdhsa_shared_vgpr_count 0
		.amdhsa_exception_fp_ieee_invalid_op 0
		.amdhsa_exception_fp_denorm_src 0
		.amdhsa_exception_fp_ieee_div_zero 0
		.amdhsa_exception_fp_ieee_overflow 0
		.amdhsa_exception_fp_ieee_underflow 0
		.amdhsa_exception_fp_ieee_inexact 0
		.amdhsa_exception_int_div_zero 0
	.end_amdhsa_kernel
	.section	.text._ZN7rocprim17ROCPRIM_400000_NS6detail17trampoline_kernelINS0_14default_configENS1_25partition_config_selectorILNS1_17partition_subalgoE5ElNS0_10empty_typeEbEEZZNS1_14partition_implILS5_5ELb0ES3_mN6hipcub16HIPCUB_304000_NS21CountingInputIteratorIllEEPS6_NSA_22TransformInputIteratorIbN2at6native12_GLOBAL__N_19NonZeroOpIhEEPKhlEENS0_5tupleIJPlS6_EEENSN_IJSD_SD_EEES6_PiJS6_EEE10hipError_tPvRmT3_T4_T5_T6_T7_T9_mT8_P12ihipStream_tbDpT10_ENKUlT_T0_E_clISt17integral_constantIbLb0EES1B_EEDaS16_S17_EUlS16_E_NS1_11comp_targetILNS1_3genE10ELNS1_11target_archE1200ELNS1_3gpuE4ELNS1_3repE0EEENS1_30default_config_static_selectorELNS0_4arch9wavefront6targetE0EEEvT1_,"axG",@progbits,_ZN7rocprim17ROCPRIM_400000_NS6detail17trampoline_kernelINS0_14default_configENS1_25partition_config_selectorILNS1_17partition_subalgoE5ElNS0_10empty_typeEbEEZZNS1_14partition_implILS5_5ELb0ES3_mN6hipcub16HIPCUB_304000_NS21CountingInputIteratorIllEEPS6_NSA_22TransformInputIteratorIbN2at6native12_GLOBAL__N_19NonZeroOpIhEEPKhlEENS0_5tupleIJPlS6_EEENSN_IJSD_SD_EEES6_PiJS6_EEE10hipError_tPvRmT3_T4_T5_T6_T7_T9_mT8_P12ihipStream_tbDpT10_ENKUlT_T0_E_clISt17integral_constantIbLb0EES1B_EEDaS16_S17_EUlS16_E_NS1_11comp_targetILNS1_3genE10ELNS1_11target_archE1200ELNS1_3gpuE4ELNS1_3repE0EEENS1_30default_config_static_selectorELNS0_4arch9wavefront6targetE0EEEvT1_,comdat
.Lfunc_end43:
	.size	_ZN7rocprim17ROCPRIM_400000_NS6detail17trampoline_kernelINS0_14default_configENS1_25partition_config_selectorILNS1_17partition_subalgoE5ElNS0_10empty_typeEbEEZZNS1_14partition_implILS5_5ELb0ES3_mN6hipcub16HIPCUB_304000_NS21CountingInputIteratorIllEEPS6_NSA_22TransformInputIteratorIbN2at6native12_GLOBAL__N_19NonZeroOpIhEEPKhlEENS0_5tupleIJPlS6_EEENSN_IJSD_SD_EEES6_PiJS6_EEE10hipError_tPvRmT3_T4_T5_T6_T7_T9_mT8_P12ihipStream_tbDpT10_ENKUlT_T0_E_clISt17integral_constantIbLb0EES1B_EEDaS16_S17_EUlS16_E_NS1_11comp_targetILNS1_3genE10ELNS1_11target_archE1200ELNS1_3gpuE4ELNS1_3repE0EEENS1_30default_config_static_selectorELNS0_4arch9wavefront6targetE0EEEvT1_, .Lfunc_end43-_ZN7rocprim17ROCPRIM_400000_NS6detail17trampoline_kernelINS0_14default_configENS1_25partition_config_selectorILNS1_17partition_subalgoE5ElNS0_10empty_typeEbEEZZNS1_14partition_implILS5_5ELb0ES3_mN6hipcub16HIPCUB_304000_NS21CountingInputIteratorIllEEPS6_NSA_22TransformInputIteratorIbN2at6native12_GLOBAL__N_19NonZeroOpIhEEPKhlEENS0_5tupleIJPlS6_EEENSN_IJSD_SD_EEES6_PiJS6_EEE10hipError_tPvRmT3_T4_T5_T6_T7_T9_mT8_P12ihipStream_tbDpT10_ENKUlT_T0_E_clISt17integral_constantIbLb0EES1B_EEDaS16_S17_EUlS16_E_NS1_11comp_targetILNS1_3genE10ELNS1_11target_archE1200ELNS1_3gpuE4ELNS1_3repE0EEENS1_30default_config_static_selectorELNS0_4arch9wavefront6targetE0EEEvT1_
                                        ; -- End function
	.section	.AMDGPU.csdata,"",@progbits
; Kernel info:
; codeLenInByte = 0
; NumSgprs: 0
; NumVgprs: 0
; ScratchSize: 0
; MemoryBound: 0
; FloatMode: 240
; IeeeMode: 1
; LDSByteSize: 0 bytes/workgroup (compile time only)
; SGPRBlocks: 0
; VGPRBlocks: 0
; NumSGPRsForWavesPerEU: 1
; NumVGPRsForWavesPerEU: 1
; Occupancy: 16
; WaveLimiterHint : 0
; COMPUTE_PGM_RSRC2:SCRATCH_EN: 0
; COMPUTE_PGM_RSRC2:USER_SGPR: 15
; COMPUTE_PGM_RSRC2:TRAP_HANDLER: 0
; COMPUTE_PGM_RSRC2:TGID_X_EN: 1
; COMPUTE_PGM_RSRC2:TGID_Y_EN: 0
; COMPUTE_PGM_RSRC2:TGID_Z_EN: 0
; COMPUTE_PGM_RSRC2:TIDIG_COMP_CNT: 0
	.section	.text._ZN7rocprim17ROCPRIM_400000_NS6detail17trampoline_kernelINS0_14default_configENS1_25partition_config_selectorILNS1_17partition_subalgoE5ElNS0_10empty_typeEbEEZZNS1_14partition_implILS5_5ELb0ES3_mN6hipcub16HIPCUB_304000_NS21CountingInputIteratorIllEEPS6_NSA_22TransformInputIteratorIbN2at6native12_GLOBAL__N_19NonZeroOpIhEEPKhlEENS0_5tupleIJPlS6_EEENSN_IJSD_SD_EEES6_PiJS6_EEE10hipError_tPvRmT3_T4_T5_T6_T7_T9_mT8_P12ihipStream_tbDpT10_ENKUlT_T0_E_clISt17integral_constantIbLb0EES1B_EEDaS16_S17_EUlS16_E_NS1_11comp_targetILNS1_3genE9ELNS1_11target_archE1100ELNS1_3gpuE3ELNS1_3repE0EEENS1_30default_config_static_selectorELNS0_4arch9wavefront6targetE0EEEvT1_,"axG",@progbits,_ZN7rocprim17ROCPRIM_400000_NS6detail17trampoline_kernelINS0_14default_configENS1_25partition_config_selectorILNS1_17partition_subalgoE5ElNS0_10empty_typeEbEEZZNS1_14partition_implILS5_5ELb0ES3_mN6hipcub16HIPCUB_304000_NS21CountingInputIteratorIllEEPS6_NSA_22TransformInputIteratorIbN2at6native12_GLOBAL__N_19NonZeroOpIhEEPKhlEENS0_5tupleIJPlS6_EEENSN_IJSD_SD_EEES6_PiJS6_EEE10hipError_tPvRmT3_T4_T5_T6_T7_T9_mT8_P12ihipStream_tbDpT10_ENKUlT_T0_E_clISt17integral_constantIbLb0EES1B_EEDaS16_S17_EUlS16_E_NS1_11comp_targetILNS1_3genE9ELNS1_11target_archE1100ELNS1_3gpuE3ELNS1_3repE0EEENS1_30default_config_static_selectorELNS0_4arch9wavefront6targetE0EEEvT1_,comdat
	.globl	_ZN7rocprim17ROCPRIM_400000_NS6detail17trampoline_kernelINS0_14default_configENS1_25partition_config_selectorILNS1_17partition_subalgoE5ElNS0_10empty_typeEbEEZZNS1_14partition_implILS5_5ELb0ES3_mN6hipcub16HIPCUB_304000_NS21CountingInputIteratorIllEEPS6_NSA_22TransformInputIteratorIbN2at6native12_GLOBAL__N_19NonZeroOpIhEEPKhlEENS0_5tupleIJPlS6_EEENSN_IJSD_SD_EEES6_PiJS6_EEE10hipError_tPvRmT3_T4_T5_T6_T7_T9_mT8_P12ihipStream_tbDpT10_ENKUlT_T0_E_clISt17integral_constantIbLb0EES1B_EEDaS16_S17_EUlS16_E_NS1_11comp_targetILNS1_3genE9ELNS1_11target_archE1100ELNS1_3gpuE3ELNS1_3repE0EEENS1_30default_config_static_selectorELNS0_4arch9wavefront6targetE0EEEvT1_ ; -- Begin function _ZN7rocprim17ROCPRIM_400000_NS6detail17trampoline_kernelINS0_14default_configENS1_25partition_config_selectorILNS1_17partition_subalgoE5ElNS0_10empty_typeEbEEZZNS1_14partition_implILS5_5ELb0ES3_mN6hipcub16HIPCUB_304000_NS21CountingInputIteratorIllEEPS6_NSA_22TransformInputIteratorIbN2at6native12_GLOBAL__N_19NonZeroOpIhEEPKhlEENS0_5tupleIJPlS6_EEENSN_IJSD_SD_EEES6_PiJS6_EEE10hipError_tPvRmT3_T4_T5_T6_T7_T9_mT8_P12ihipStream_tbDpT10_ENKUlT_T0_E_clISt17integral_constantIbLb0EES1B_EEDaS16_S17_EUlS16_E_NS1_11comp_targetILNS1_3genE9ELNS1_11target_archE1100ELNS1_3gpuE3ELNS1_3repE0EEENS1_30default_config_static_selectorELNS0_4arch9wavefront6targetE0EEEvT1_
	.p2align	8
	.type	_ZN7rocprim17ROCPRIM_400000_NS6detail17trampoline_kernelINS0_14default_configENS1_25partition_config_selectorILNS1_17partition_subalgoE5ElNS0_10empty_typeEbEEZZNS1_14partition_implILS5_5ELb0ES3_mN6hipcub16HIPCUB_304000_NS21CountingInputIteratorIllEEPS6_NSA_22TransformInputIteratorIbN2at6native12_GLOBAL__N_19NonZeroOpIhEEPKhlEENS0_5tupleIJPlS6_EEENSN_IJSD_SD_EEES6_PiJS6_EEE10hipError_tPvRmT3_T4_T5_T6_T7_T9_mT8_P12ihipStream_tbDpT10_ENKUlT_T0_E_clISt17integral_constantIbLb0EES1B_EEDaS16_S17_EUlS16_E_NS1_11comp_targetILNS1_3genE9ELNS1_11target_archE1100ELNS1_3gpuE3ELNS1_3repE0EEENS1_30default_config_static_selectorELNS0_4arch9wavefront6targetE0EEEvT1_,@function
_ZN7rocprim17ROCPRIM_400000_NS6detail17trampoline_kernelINS0_14default_configENS1_25partition_config_selectorILNS1_17partition_subalgoE5ElNS0_10empty_typeEbEEZZNS1_14partition_implILS5_5ELb0ES3_mN6hipcub16HIPCUB_304000_NS21CountingInputIteratorIllEEPS6_NSA_22TransformInputIteratorIbN2at6native12_GLOBAL__N_19NonZeroOpIhEEPKhlEENS0_5tupleIJPlS6_EEENSN_IJSD_SD_EEES6_PiJS6_EEE10hipError_tPvRmT3_T4_T5_T6_T7_T9_mT8_P12ihipStream_tbDpT10_ENKUlT_T0_E_clISt17integral_constantIbLb0EES1B_EEDaS16_S17_EUlS16_E_NS1_11comp_targetILNS1_3genE9ELNS1_11target_archE1100ELNS1_3gpuE3ELNS1_3repE0EEENS1_30default_config_static_selectorELNS0_4arch9wavefront6targetE0EEEvT1_: ; @_ZN7rocprim17ROCPRIM_400000_NS6detail17trampoline_kernelINS0_14default_configENS1_25partition_config_selectorILNS1_17partition_subalgoE5ElNS0_10empty_typeEbEEZZNS1_14partition_implILS5_5ELb0ES3_mN6hipcub16HIPCUB_304000_NS21CountingInputIteratorIllEEPS6_NSA_22TransformInputIteratorIbN2at6native12_GLOBAL__N_19NonZeroOpIhEEPKhlEENS0_5tupleIJPlS6_EEENSN_IJSD_SD_EEES6_PiJS6_EEE10hipError_tPvRmT3_T4_T5_T6_T7_T9_mT8_P12ihipStream_tbDpT10_ENKUlT_T0_E_clISt17integral_constantIbLb0EES1B_EEDaS16_S17_EUlS16_E_NS1_11comp_targetILNS1_3genE9ELNS1_11target_archE1100ELNS1_3gpuE3ELNS1_3repE0EEENS1_30default_config_static_selectorELNS0_4arch9wavefront6targetE0EEEvT1_
; %bb.0:
	s_clause 0x4
	s_load_b128 s[8:11], s[0:1], 0x8
	s_load_b128 s[4:7], s[0:1], 0x48
	s_load_b32 s14, s[0:1], 0x70
	s_load_b64 s[2:3], s[0:1], 0x58
	s_load_b64 s[12:13], s[0:1], 0x20
	s_waitcnt lgkmcnt(0)
	s_add_u32 s8, s10, s8
	s_load_b64 s[6:7], s[6:7], 0x0
	s_mul_i32 s17, s14, 0x300
	s_addc_u32 s9, s11, s9
	s_add_i32 s14, s14, -1
	s_add_u32 s18, s10, s17
	s_addc_u32 s19, s11, 0
	s_cmp_eq_u32 s15, s14
	v_cmp_ge_u64_e64 s3, s[18:19], s[2:3]
	s_cselect_b32 s14, -1, 0
	s_mov_b32 s18, -1
	s_delay_alu instid0(VALU_DEP_1) | instskip(NEXT) | instid1(SALU_CYCLE_1)
	s_and_b32 s3, s14, s3
	s_xor_b32 s16, s3, -1
	s_mul_i32 s3, s15, 0x300
	s_and_b32 vcc_lo, exec_lo, s16
	s_cbranch_vccz .LBB44_2
; %bb.1:
	s_add_u32 s18, s8, s3
	s_addc_u32 s19, s9, 0
	v_add_co_u32 v1, s18, s18, v0
	s_delay_alu instid0(VALU_DEP_1) | instskip(SKIP_1) | instid1(VALU_DEP_3)
	v_add_co_ci_u32_e64 v2, null, s19, 0, s18
	v_lshlrev_b32_e32 v13, 3, v0
	v_add_co_u32 v3, vcc_lo, 0x80, v1
	s_delay_alu instid0(VALU_DEP_3)
	v_add_co_ci_u32_e32 v4, vcc_lo, 0, v2, vcc_lo
	v_add_co_u32 v5, vcc_lo, 0x100, v1
	v_add_co_ci_u32_e32 v6, vcc_lo, 0, v2, vcc_lo
	v_add_co_u32 v7, vcc_lo, 0x180, v1
	;; [unrolled: 2-line block ×4, first 2 shown]
	v_add_co_ci_u32_e32 v12, vcc_lo, 0, v2, vcc_lo
	ds_store_2addr_stride64_b64 v13, v[1:2], v[3:4] offset1:2
	ds_store_2addr_stride64_b64 v13, v[5:6], v[7:8] offset0:4 offset1:6
	ds_store_2addr_stride64_b64 v13, v[9:10], v[11:12] offset0:8 offset1:10
	s_waitcnt lgkmcnt(0)
	s_mov_b32 s18, 0
	s_barrier
.LBB44_2:
	v_or_b32_e32 v17, 0x100, v0
	v_or_b32_e32 v16, 0x180, v0
	v_or_b32_e32 v14, 0x200, v0
	v_or_b32_e32 v13, 0x280, v0
	s_and_not1_b32 vcc_lo, exec_lo, s18
	s_cbranch_vccnz .LBB44_4
; %bb.3:
	v_or_b32_e32 v3, 0x80, v0
	s_add_u32 s8, s8, s3
	s_addc_u32 s9, s9, 0
	v_add_co_u32 v1, s18, s8, v0
	s_delay_alu instid0(VALU_DEP_1) | instskip(SKIP_1) | instid1(VALU_DEP_1)
	v_add_co_ci_u32_e64 v2, null, s9, 0, s18
	v_add_co_u32 v3, s18, s8, v3
	v_add_co_ci_u32_e64 v4, null, s9, 0, s18
	v_add_co_u32 v5, s18, s8, v17
	s_delay_alu instid0(VALU_DEP_1) | instskip(SKIP_1) | instid1(VALU_DEP_1)
	v_add_co_ci_u32_e64 v6, null, s9, 0, s18
	v_add_co_u32 v7, s18, s8, v16
	v_add_co_ci_u32_e64 v8, null, s9, 0, s18
	v_add_co_u32 v9, s18, s8, v14
	v_lshlrev_b32_e32 v15, 3, v0
	v_add_co_u32 v11, s8, s8, v13
	v_add_co_ci_u32_e64 v10, null, s9, 0, s18
	v_add_co_ci_u32_e64 v12, null, s9, 0, s8
	ds_store_2addr_stride64_b64 v15, v[1:2], v[3:4] offset1:2
	ds_store_2addr_stride64_b64 v15, v[5:6], v[7:8] offset0:4 offset1:6
	ds_store_2addr_stride64_b64 v15, v[9:10], v[11:12] offset0:8 offset1:10
	s_waitcnt lgkmcnt(0)
	s_barrier
.LBB44_4:
	v_mul_u32_u24_e32 v1, 6, v0
	s_waitcnt lgkmcnt(0)
	buffer_gl0_inv
	s_add_u32 s8, s12, s10
	s_addc_u32 s9, s13, s11
	s_add_u32 s12, s8, s3
	v_lshlrev_b32_e32 v15, 3, v1
	s_addc_u32 s13, s9, 0
	s_and_b32 vcc_lo, exec_lo, s16
	s_mov_b32 s3, -1
	ds_load_b128 v[9:12], v15
	ds_load_b128 v[5:8], v15 offset:16
	ds_load_b128 v[1:4], v15 offset:32
	s_waitcnt lgkmcnt(0)
	s_barrier
	buffer_gl0_inv
	s_cbranch_vccz .LBB44_6
; %bb.5:
	s_clause 0x5
	global_load_u8 v18, v0, s[12:13]
	global_load_u8 v19, v0, s[12:13] offset:128
	global_load_u8 v20, v0, s[12:13] offset:256
	;; [unrolled: 1-line block ×5, first 2 shown]
	s_mov_b32 s3, 0
	s_waitcnt vmcnt(5)
	v_cmp_ne_u16_e32 vcc_lo, 0, v18
	v_cndmask_b32_e64 v18, 0, 1, vcc_lo
	s_waitcnt vmcnt(4)
	v_cmp_ne_u16_e32 vcc_lo, 0, v19
	v_cndmask_b32_e64 v19, 0, 1, vcc_lo
	;; [unrolled: 3-line block ×6, first 2 shown]
	ds_store_b8 v0, v18
	ds_store_b8 v0, v19 offset:128
	ds_store_b8 v0, v20 offset:256
	;; [unrolled: 1-line block ×5, first 2 shown]
	s_waitcnt lgkmcnt(0)
	s_barrier
.LBB44_6:
	s_load_b64 s[8:9], s[0:1], 0x68
	s_and_not1_b32 vcc_lo, exec_lo, s3
	s_cbranch_vccnz .LBB44_20
; %bb.7:
	s_add_i32 s17, s17, s10
	v_dual_mov_b32 v18, 0 :: v_dual_mov_b32 v19, 0
	s_sub_i32 s2, s2, s17
	s_mov_b32 s3, exec_lo
	s_addk_i32 s2, 0x300
	s_delay_alu instid0(SALU_CYCLE_1)
	v_cmpx_gt_u32_e64 s2, v0
	s_cbranch_execz .LBB44_9
; %bb.8:
	global_load_u8 v19, v0, s[12:13]
	s_waitcnt vmcnt(0)
	v_cmp_ne_u16_e32 vcc_lo, 0, v19
	v_cndmask_b32_e64 v19, 0, 1, vcc_lo
.LBB44_9:
	s_or_b32 exec_lo, exec_lo, s3
	v_or_b32_e32 v20, 0x80, v0
	s_mov_b32 s3, exec_lo
	s_delay_alu instid0(VALU_DEP_1)
	v_cmpx_gt_u32_e64 s2, v20
	s_cbranch_execz .LBB44_11
; %bb.10:
	global_load_u8 v18, v0, s[12:13] offset:128
	s_waitcnt vmcnt(0)
	v_cmp_ne_u16_e32 vcc_lo, 0, v18
	v_cndmask_b32_e64 v18, 0, 1, vcc_lo
.LBB44_11:
	s_or_b32 exec_lo, exec_lo, s3
	v_cmp_gt_u32_e32 vcc_lo, s2, v17
	v_dual_mov_b32 v17, 0 :: v_dual_mov_b32 v20, 0
	s_and_saveexec_b32 s3, vcc_lo
	s_cbranch_execz .LBB44_13
; %bb.12:
	global_load_u8 v20, v0, s[12:13] offset:256
	s_waitcnt vmcnt(0)
	v_cmp_ne_u16_e32 vcc_lo, 0, v20
	v_cndmask_b32_e64 v20, 0, 1, vcc_lo
.LBB44_13:
	s_or_b32 exec_lo, exec_lo, s3
	s_delay_alu instid0(SALU_CYCLE_1)
	s_mov_b32 s3, exec_lo
	v_cmpx_gt_u32_e64 s2, v16
	s_cbranch_execz .LBB44_15
; %bb.14:
	global_load_u8 v16, v0, s[12:13] offset:384
	s_waitcnt vmcnt(0)
	v_cmp_ne_u16_e32 vcc_lo, 0, v16
	v_cndmask_b32_e64 v17, 0, 1, vcc_lo
.LBB44_15:
	s_or_b32 exec_lo, exec_lo, s3
	v_cmp_gt_u32_e32 vcc_lo, s2, v14
	v_mov_b32_e32 v14, 0
	v_mov_b32_e32 v16, 0
	s_and_saveexec_b32 s3, vcc_lo
	s_cbranch_execz .LBB44_17
; %bb.16:
	global_load_u8 v16, v0, s[12:13] offset:512
	s_waitcnt vmcnt(0)
	v_cmp_ne_u16_e32 vcc_lo, 0, v16
	v_cndmask_b32_e64 v16, 0, 1, vcc_lo
.LBB44_17:
	s_or_b32 exec_lo, exec_lo, s3
	v_cmp_gt_u32_e32 vcc_lo, s2, v13
	s_and_saveexec_b32 s2, vcc_lo
	s_cbranch_execz .LBB44_19
; %bb.18:
	global_load_u8 v13, v0, s[12:13] offset:640
	s_waitcnt vmcnt(0)
	v_cmp_ne_u16_e32 vcc_lo, 0, v13
	v_cndmask_b32_e64 v14, 0, 1, vcc_lo
.LBB44_19:
	s_or_b32 exec_lo, exec_lo, s2
	ds_store_b8 v0, v19
	ds_store_b8 v0, v18 offset:128
	ds_store_b8 v0, v20 offset:256
	;; [unrolled: 1-line block ×5, first 2 shown]
	s_waitcnt lgkmcnt(0)
	s_barrier
.LBB44_20:
	v_mad_i32_i24 v43, 0xffffffd6, v0, v15
	s_waitcnt lgkmcnt(0)
	buffer_gl0_inv
	v_mbcnt_lo_u32_b32 v42, -1, 0
	s_cmp_lg_u32 s15, 0
	s_mov_b32 s3, -1
	ds_load_u16 v36, v43
	ds_load_u16 v33, v43 offset:2
	ds_load_u16 v31, v43 offset:4
	v_mov_b32_e32 v14, 0
	v_and_b32_e32 v44, 15, v42
	s_waitcnt lgkmcnt(0)
	s_barrier
	buffer_gl0_inv
	v_and_b32_e32 v41, 0xff, v36
	v_lshrrev_b16 v34, 8, v36
	v_lshrrev_b16 v35, 8, v33
	v_and_b32_e32 v39, 0xff, v33
	v_lshrrev_b16 v32, 8, v31
	v_and_b32_e32 v37, 0xff, v31
	v_and_b32_e32 v40, 0xffff, v34
	;; [unrolled: 1-line block ×3, first 2 shown]
	s_delay_alu instid0(VALU_DEP_4) | instskip(NEXT) | instid1(VALU_DEP_3)
	v_and_b32_e32 v16, 0xffff, v32
	v_add_co_u32 v13, s2, v40, v41
	s_delay_alu instid0(VALU_DEP_1) | instskip(SKIP_1) | instid1(VALU_DEP_3)
	v_add_co_ci_u32_e64 v15, null, 0, 0, s2
	v_cmp_ne_u32_e64 s2, 0, v44
	v_add_co_u32 v13, vcc_lo, v13, v39
	s_delay_alu instid0(VALU_DEP_3) | instskip(NEXT) | instid1(VALU_DEP_2)
	v_add_co_ci_u32_e32 v15, vcc_lo, 0, v15, vcc_lo
	v_add_co_u32 v13, vcc_lo, v13, v38
	s_delay_alu instid0(VALU_DEP_2) | instskip(NEXT) | instid1(VALU_DEP_2)
	v_add_co_ci_u32_e32 v15, vcc_lo, 0, v15, vcc_lo
	v_add_co_u32 v13, vcc_lo, v13, v37
	s_delay_alu instid0(VALU_DEP_2) | instskip(NEXT) | instid1(VALU_DEP_2)
	v_add_co_ci_u32_e32 v15, vcc_lo, 0, v15, vcc_lo
	v_add_co_u32 v21, vcc_lo, v13, v16
	s_delay_alu instid0(VALU_DEP_2)
	v_add_co_ci_u32_e32 v22, vcc_lo, 0, v15, vcc_lo
	s_cbranch_scc0 .LBB44_84
; %bb.21:
	s_delay_alu instid0(VALU_DEP_2)
	v_mov_b32_e32 v15, v21
	v_mov_b32_dpp v13, v21 row_shr:1 row_mask:0xf bank_mask:0xf
	v_mov_b32_dpp v18, v14 row_shr:1 row_mask:0xf bank_mask:0xf
	v_dual_mov_b32 v17, v21 :: v_dual_mov_b32 v16, v22
	s_and_saveexec_b32 s3, s2
; %bb.22:
	s_delay_alu instid0(VALU_DEP_3) | instskip(SKIP_1) | instid1(VALU_DEP_2)
	v_add_co_u32 v17, vcc_lo, v21, v13
	v_add_co_ci_u32_e32 v14, vcc_lo, 0, v22, vcc_lo
	v_add_co_u32 v13, vcc_lo, 0, v17
	s_delay_alu instid0(VALU_DEP_2) | instskip(NEXT) | instid1(VALU_DEP_1)
	v_add_co_ci_u32_e32 v14, vcc_lo, v18, v14, vcc_lo
	v_dual_mov_b32 v16, v14 :: v_dual_mov_b32 v15, v13
; %bb.23:
	s_or_b32 exec_lo, exec_lo, s3
	v_mov_b32_dpp v13, v17 row_shr:2 row_mask:0xf bank_mask:0xf
	v_mov_b32_dpp v18, v14 row_shr:2 row_mask:0xf bank_mask:0xf
	s_mov_b32 s3, exec_lo
	v_cmpx_lt_u32_e32 1, v44
; %bb.24:
	s_delay_alu instid0(VALU_DEP_3) | instskip(SKIP_1) | instid1(VALU_DEP_2)
	v_add_co_u32 v17, vcc_lo, v15, v13
	v_add_co_ci_u32_e32 v14, vcc_lo, 0, v16, vcc_lo
	v_add_co_u32 v13, vcc_lo, 0, v17
	s_delay_alu instid0(VALU_DEP_2) | instskip(NEXT) | instid1(VALU_DEP_1)
	v_add_co_ci_u32_e32 v14, vcc_lo, v18, v14, vcc_lo
	v_dual_mov_b32 v16, v14 :: v_dual_mov_b32 v15, v13
; %bb.25:
	s_or_b32 exec_lo, exec_lo, s3
	v_mov_b32_dpp v13, v17 row_shr:4 row_mask:0xf bank_mask:0xf
	v_mov_b32_dpp v18, v14 row_shr:4 row_mask:0xf bank_mask:0xf
	s_mov_b32 s3, exec_lo
	v_cmpx_lt_u32_e32 3, v44
; %bb.26:
	s_delay_alu instid0(VALU_DEP_3) | instskip(SKIP_1) | instid1(VALU_DEP_2)
	v_add_co_u32 v17, vcc_lo, v15, v13
	v_add_co_ci_u32_e32 v14, vcc_lo, 0, v16, vcc_lo
	v_add_co_u32 v13, vcc_lo, 0, v17
	s_delay_alu instid0(VALU_DEP_2) | instskip(NEXT) | instid1(VALU_DEP_1)
	v_add_co_ci_u32_e32 v14, vcc_lo, v18, v14, vcc_lo
	v_dual_mov_b32 v16, v14 :: v_dual_mov_b32 v15, v13
; %bb.27:
	s_or_b32 exec_lo, exec_lo, s3
	v_mov_b32_dpp v18, v17 row_shr:8 row_mask:0xf bank_mask:0xf
	v_mov_b32_dpp v13, v14 row_shr:8 row_mask:0xf bank_mask:0xf
	s_mov_b32 s3, exec_lo
	v_cmpx_lt_u32_e32 7, v44
; %bb.28:
	s_delay_alu instid0(VALU_DEP_3) | instskip(SKIP_1) | instid1(VALU_DEP_2)
	v_add_co_u32 v17, vcc_lo, v15, v18
	v_add_co_ci_u32_e32 v14, vcc_lo, 0, v16, vcc_lo
	v_add_co_u32 v15, vcc_lo, 0, v17
	s_delay_alu instid0(VALU_DEP_2) | instskip(NEXT) | instid1(VALU_DEP_1)
	v_add_co_ci_u32_e32 v16, vcc_lo, v13, v14, vcc_lo
	v_mov_b32_e32 v14, v16
; %bb.29:
	s_or_b32 exec_lo, exec_lo, s3
	ds_swizzle_b32 v13, v17 offset:swizzle(BROADCAST,32,15)
	ds_swizzle_b32 v18, v14 offset:swizzle(BROADCAST,32,15)
	v_and_b32_e32 v19, 16, v42
	s_mov_b32 s3, exec_lo
	s_delay_alu instid0(VALU_DEP_1)
	v_cmpx_ne_u32_e32 0, v19
	s_cbranch_execz .LBB44_31
; %bb.30:
	s_waitcnt lgkmcnt(1)
	v_add_co_u32 v17, vcc_lo, v15, v13
	v_add_co_ci_u32_e32 v14, vcc_lo, 0, v16, vcc_lo
	s_delay_alu instid0(VALU_DEP_2) | instskip(SKIP_1) | instid1(VALU_DEP_2)
	v_add_co_u32 v13, vcc_lo, 0, v17
	s_waitcnt lgkmcnt(0)
	v_add_co_ci_u32_e32 v14, vcc_lo, v18, v14, vcc_lo
	s_delay_alu instid0(VALU_DEP_1)
	v_dual_mov_b32 v16, v14 :: v_dual_mov_b32 v15, v13
.LBB44_31:
	s_or_b32 exec_lo, exec_lo, s3
	s_waitcnt lgkmcnt(0)
	v_or_b32_e32 v18, 31, v0
	v_lshrrev_b32_e32 v13, 5, v0
	s_mov_b32 s3, exec_lo
	s_delay_alu instid0(VALU_DEP_2)
	v_cmpx_eq_u32_e64 v18, v0
	s_cbranch_execz .LBB44_33
; %bb.32:
	s_delay_alu instid0(VALU_DEP_2)
	v_lshlrev_b32_e32 v18, 3, v13
	ds_store_b64 v18, v[15:16]
.LBB44_33:
	s_or_b32 exec_lo, exec_lo, s3
	s_delay_alu instid0(SALU_CYCLE_1)
	s_mov_b32 s3, exec_lo
	s_waitcnt lgkmcnt(0)
	s_barrier
	buffer_gl0_inv
	v_cmpx_gt_u32_e32 4, v0
	s_cbranch_execz .LBB44_39
; %bb.34:
	v_lshlrev_b32_e32 v18, 3, v0
	s_mov_b32 s10, exec_lo
	ds_load_b64 v[15:16], v18
	s_waitcnt lgkmcnt(0)
	v_dual_mov_b32 v20, v15 :: v_dual_and_b32 v19, 3, v42
	v_mov_b32_dpp v24, v15 row_shr:1 row_mask:0xf bank_mask:0xf
	v_mov_b32_dpp v23, v16 row_shr:1 row_mask:0xf bank_mask:0xf
	s_delay_alu instid0(VALU_DEP_3)
	v_cmpx_ne_u32_e32 0, v19
; %bb.35:
	s_delay_alu instid0(VALU_DEP_3) | instskip(SKIP_1) | instid1(VALU_DEP_2)
	v_add_co_u32 v20, vcc_lo, v15, v24
	v_add_co_ci_u32_e32 v16, vcc_lo, 0, v16, vcc_lo
	v_add_co_u32 v15, vcc_lo, 0, v20
	s_delay_alu instid0(VALU_DEP_2)
	v_add_co_ci_u32_e32 v16, vcc_lo, v23, v16, vcc_lo
; %bb.36:
	s_or_b32 exec_lo, exec_lo, s10
	v_mov_b32_dpp v23, v20 row_shr:2 row_mask:0xf bank_mask:0xf
	s_delay_alu instid0(VALU_DEP_2)
	v_mov_b32_dpp v20, v16 row_shr:2 row_mask:0xf bank_mask:0xf
	s_mov_b32 s10, exec_lo
	v_cmpx_lt_u32_e32 1, v19
; %bb.37:
	s_delay_alu instid0(VALU_DEP_3) | instskip(SKIP_1) | instid1(VALU_DEP_2)
	v_add_co_u32 v15, vcc_lo, v15, v23
	v_add_co_ci_u32_e32 v16, vcc_lo, 0, v16, vcc_lo
	v_add_co_u32 v15, vcc_lo, v15, 0
	s_delay_alu instid0(VALU_DEP_2)
	v_add_co_ci_u32_e32 v16, vcc_lo, v16, v20, vcc_lo
; %bb.38:
	s_or_b32 exec_lo, exec_lo, s10
	ds_store_b64 v18, v[15:16]
.LBB44_39:
	s_or_b32 exec_lo, exec_lo, s3
	v_cmp_gt_u32_e32 vcc_lo, 32, v0
	s_mov_b32 s10, exec_lo
	s_waitcnt lgkmcnt(0)
	s_barrier
	buffer_gl0_inv
                                        ; implicit-def: $vgpr23_vgpr24
	v_cmpx_lt_u32_e32 31, v0
	s_cbranch_execz .LBB44_41
; %bb.40:
	v_lshl_add_u32 v13, v13, 3, -8
	ds_load_b64 v[23:24], v13
	s_waitcnt lgkmcnt(0)
	v_add_co_u32 v17, s3, v17, v23
	s_delay_alu instid0(VALU_DEP_1)
	v_add_co_ci_u32_e64 v14, s3, v14, v24, s3
.LBB44_41:
	s_or_b32 exec_lo, exec_lo, s10
	v_add_nc_u32_e32 v13, -1, v42
	s_delay_alu instid0(VALU_DEP_1) | instskip(NEXT) | instid1(VALU_DEP_1)
	v_cmp_gt_i32_e64 s3, 0, v13
	v_cndmask_b32_e64 v13, v13, v42, s3
	v_cmp_eq_u32_e64 s3, 0, v42
	s_delay_alu instid0(VALU_DEP_2)
	v_lshlrev_b32_e32 v13, 2, v13
	ds_bpermute_b32 v29, v13, v17
	ds_bpermute_b32 v30, v13, v14
	s_and_saveexec_b32 s10, vcc_lo
	s_cbranch_execz .LBB44_79
; %bb.42:
	v_mov_b32_e32 v16, 0
	ds_load_b64 v[13:14], v16 offset:24
	s_and_saveexec_b32 s11, s3
	s_cbranch_execz .LBB44_44
; %bb.43:
	s_add_i32 s12, s15, 32
	s_mov_b32 s13, 0
	s_delay_alu instid0(SALU_CYCLE_1) | instskip(NEXT) | instid1(SALU_CYCLE_1)
	s_lshl_b64 s[12:13], s[12:13], 4
	s_add_u32 s12, s8, s12
	s_addc_u32 s13, s9, s13
	s_delay_alu instid0(SALU_CYCLE_1)
	v_dual_mov_b32 v15, 1 :: v_dual_mov_b32 v18, s13
	v_mov_b32_e32 v17, s12
	s_waitcnt lgkmcnt(0)
	;;#ASMSTART
	global_store_dwordx4 v[17:18], v[13:16] off	
s_waitcnt vmcnt(0)
	;;#ASMEND
.LBB44_44:
	s_or_b32 exec_lo, exec_lo, s11
	v_xad_u32 v25, v42, -1, s15
	s_mov_b32 s12, 0
	s_mov_b32 s11, exec_lo
	s_delay_alu instid0(VALU_DEP_1) | instskip(NEXT) | instid1(VALU_DEP_1)
	v_add_nc_u32_e32 v15, 32, v25
	v_lshlrev_b64 v[15:16], 4, v[15:16]
	s_delay_alu instid0(VALU_DEP_1) | instskip(NEXT) | instid1(VALU_DEP_2)
	v_add_co_u32 v15, vcc_lo, s8, v15
	v_add_co_ci_u32_e32 v16, vcc_lo, s9, v16, vcc_lo
	;;#ASMSTART
	global_load_dwordx4 v[17:20], v[15:16] off glc	
s_waitcnt vmcnt(0)
	;;#ASMEND
	v_and_b32_e32 v20, 0xff, v18
	v_and_b32_e32 v26, 0xff00, v18
	v_or3_b32 v17, v17, 0, 0
	v_and_b32_e32 v27, 0xff000000, v18
	v_and_b32_e32 v18, 0xff0000, v18
	s_delay_alu instid0(VALU_DEP_4) | instskip(SKIP_2) | instid1(VALU_DEP_3)
	v_or3_b32 v20, 0, v20, v26
	v_and_b32_e32 v26, 0xff, v19
	v_or3_b32 v17, v17, 0, 0
	v_or3_b32 v18, v20, v18, v27
	s_delay_alu instid0(VALU_DEP_3)
	v_cmpx_eq_u16_e32 0, v26
	s_cbranch_execz .LBB44_47
.LBB44_45:                              ; =>This Inner Loop Header: Depth=1
	;;#ASMSTART
	global_load_dwordx4 v[17:20], v[15:16] off glc	
s_waitcnt vmcnt(0)
	;;#ASMEND
	v_and_b32_e32 v20, 0xff, v19
	s_delay_alu instid0(VALU_DEP_1) | instskip(SKIP_1) | instid1(SALU_CYCLE_1)
	v_cmp_ne_u16_e32 vcc_lo, 0, v20
	s_or_b32 s12, vcc_lo, s12
	s_and_not1_b32 exec_lo, exec_lo, s12
	s_cbranch_execnz .LBB44_45
; %bb.46:
	s_or_b32 exec_lo, exec_lo, s12
.LBB44_47:
	s_delay_alu instid0(SALU_CYCLE_1)
	s_or_b32 exec_lo, exec_lo, s11
	v_cmp_ne_u32_e32 vcc_lo, 31, v42
	v_and_b32_e32 v16, 0xff, v19
	v_lshlrev_b32_e64 v46, v42, -1
	s_mov_b32 s11, exec_lo
	v_add_co_ci_u32_e32 v15, vcc_lo, 0, v42, vcc_lo
	s_delay_alu instid0(VALU_DEP_3) | instskip(NEXT) | instid1(VALU_DEP_2)
	v_cmp_eq_u16_e32 vcc_lo, 2, v16
	v_dual_mov_b32 v16, v17 :: v_dual_lshlrev_b32 v45, 2, v15
	v_and_or_b32 v15, vcc_lo, v46, 0x80000000
	ds_bpermute_b32 v26, v45, v17
	ds_bpermute_b32 v20, v45, v18
	v_ctz_i32_b32_e32 v15, v15
	s_delay_alu instid0(VALU_DEP_1)
	v_cmpx_lt_u32_e64 v42, v15
	s_cbranch_execz .LBB44_49
; %bb.48:
	s_waitcnt lgkmcnt(1)
	v_add_co_u32 v16, vcc_lo, v17, v26
	v_add_co_ci_u32_e32 v18, vcc_lo, 0, v18, vcc_lo
	s_delay_alu instid0(VALU_DEP_2) | instskip(SKIP_1) | instid1(VALU_DEP_2)
	v_add_co_u32 v17, vcc_lo, 0, v16
	s_waitcnt lgkmcnt(0)
	v_add_co_ci_u32_e32 v18, vcc_lo, v20, v18, vcc_lo
.LBB44_49:
	s_or_b32 exec_lo, exec_lo, s11
	v_cmp_gt_u32_e32 vcc_lo, 30, v42
	v_add_nc_u32_e32 v48, 2, v42
	s_mov_b32 s11, exec_lo
	s_waitcnt lgkmcnt(0)
	v_cndmask_b32_e64 v20, 0, 1, vcc_lo
	s_delay_alu instid0(VALU_DEP_1) | instskip(NEXT) | instid1(VALU_DEP_1)
	v_lshlrev_b32_e32 v20, 1, v20
	v_add_lshl_u32 v47, v20, v42, 2
	ds_bpermute_b32 v26, v47, v16
	ds_bpermute_b32 v20, v47, v18
	v_cmpx_le_u32_e64 v48, v15
	s_cbranch_execz .LBB44_51
; %bb.50:
	s_waitcnt lgkmcnt(1)
	v_add_co_u32 v16, vcc_lo, v17, v26
	v_add_co_ci_u32_e32 v18, vcc_lo, 0, v18, vcc_lo
	s_delay_alu instid0(VALU_DEP_2) | instskip(SKIP_1) | instid1(VALU_DEP_2)
	v_add_co_u32 v17, vcc_lo, 0, v16
	s_waitcnt lgkmcnt(0)
	v_add_co_ci_u32_e32 v18, vcc_lo, v20, v18, vcc_lo
.LBB44_51:
	s_or_b32 exec_lo, exec_lo, s11
	v_cmp_gt_u32_e32 vcc_lo, 28, v42
	v_add_nc_u32_e32 v50, 4, v42
	s_mov_b32 s11, exec_lo
	s_waitcnt lgkmcnt(0)
	v_cndmask_b32_e64 v20, 0, 1, vcc_lo
	s_delay_alu instid0(VALU_DEP_1) | instskip(NEXT) | instid1(VALU_DEP_1)
	v_lshlrev_b32_e32 v20, 2, v20
	v_add_lshl_u32 v49, v20, v42, 2
	ds_bpermute_b32 v26, v49, v16
	ds_bpermute_b32 v20, v49, v18
	v_cmpx_le_u32_e64 v50, v15
	;; [unrolled: 22-line block ×4, first 2 shown]
	s_cbranch_execz .LBB44_57
; %bb.56:
	s_waitcnt lgkmcnt(1)
	v_add_co_u32 v15, vcc_lo, v17, v20
	v_add_co_ci_u32_e32 v18, vcc_lo, 0, v18, vcc_lo
	s_delay_alu instid0(VALU_DEP_2) | instskip(SKIP_1) | instid1(VALU_DEP_2)
	v_add_co_u32 v17, vcc_lo, v15, 0
	s_waitcnt lgkmcnt(0)
	v_add_co_ci_u32_e32 v18, vcc_lo, v18, v16, vcc_lo
.LBB44_57:
	s_or_b32 exec_lo, exec_lo, s11
	v_mov_b32_e32 v26, 0
	s_branch .LBB44_59
.LBB44_58:                              ;   in Loop: Header=BB44_59 Depth=1
	s_or_b32 exec_lo, exec_lo, s11
	v_add_co_u32 v17, vcc_lo, v17, v15
	v_subrev_nc_u32_e32 v25, 32, v25
	v_add_co_ci_u32_e32 v18, vcc_lo, v18, v16, vcc_lo
.LBB44_59:                              ; =>This Loop Header: Depth=1
                                        ;     Child Loop BB44_62 Depth 2
	v_and_b32_e32 v15, 0xff, v19
	s_delay_alu instid0(VALU_DEP_1) | instskip(SKIP_2) | instid1(VALU_DEP_1)
	v_cmp_ne_u16_e32 vcc_lo, 2, v15
	v_cndmask_b32_e64 v15, 0, 1, vcc_lo
	;;#ASMSTART
	;;#ASMEND
	v_cmp_ne_u32_e32 vcc_lo, 0, v15
	s_waitcnt lgkmcnt(0)
	v_dual_mov_b32 v15, v17 :: v_dual_mov_b32 v16, v18
	s_cmp_lg_u32 vcc_lo, exec_lo
	s_cbranch_scc1 .LBB44_74
; %bb.60:                               ;   in Loop: Header=BB44_59 Depth=1
	v_lshlrev_b64 v[17:18], 4, v[25:26]
	s_mov_b32 s11, exec_lo
	s_delay_alu instid0(VALU_DEP_1) | instskip(NEXT) | instid1(VALU_DEP_2)
	v_add_co_u32 v27, vcc_lo, s8, v17
	v_add_co_ci_u32_e32 v28, vcc_lo, s9, v18, vcc_lo
	;;#ASMSTART
	global_load_dwordx4 v[17:20], v[27:28] off glc	
s_waitcnt vmcnt(0)
	;;#ASMEND
	v_and_b32_e32 v20, 0xff, v18
	v_and_b32_e32 v55, 0xff00, v18
	v_or3_b32 v17, v17, 0, 0
	v_and_b32_e32 v56, 0xff000000, v18
	v_and_b32_e32 v18, 0xff0000, v18
	s_delay_alu instid0(VALU_DEP_4) | instskip(SKIP_2) | instid1(VALU_DEP_3)
	v_or3_b32 v20, 0, v20, v55
	v_and_b32_e32 v55, 0xff, v19
	v_or3_b32 v17, v17, 0, 0
	v_or3_b32 v18, v20, v18, v56
	s_delay_alu instid0(VALU_DEP_3)
	v_cmpx_eq_u16_e32 0, v55
	s_cbranch_execz .LBB44_64
; %bb.61:                               ;   in Loop: Header=BB44_59 Depth=1
	s_mov_b32 s12, 0
.LBB44_62:                              ;   Parent Loop BB44_59 Depth=1
                                        ; =>  This Inner Loop Header: Depth=2
	;;#ASMSTART
	global_load_dwordx4 v[17:20], v[27:28] off glc	
s_waitcnt vmcnt(0)
	;;#ASMEND
	v_and_b32_e32 v20, 0xff, v19
	s_delay_alu instid0(VALU_DEP_1) | instskip(SKIP_1) | instid1(SALU_CYCLE_1)
	v_cmp_ne_u16_e32 vcc_lo, 0, v20
	s_or_b32 s12, vcc_lo, s12
	s_and_not1_b32 exec_lo, exec_lo, s12
	s_cbranch_execnz .LBB44_62
; %bb.63:                               ;   in Loop: Header=BB44_59 Depth=1
	s_or_b32 exec_lo, exec_lo, s12
.LBB44_64:                              ;   in Loop: Header=BB44_59 Depth=1
	s_delay_alu instid0(SALU_CYCLE_1)
	s_or_b32 exec_lo, exec_lo, s11
	v_dual_mov_b32 v27, v17 :: v_dual_and_b32 v20, 0xff, v19
	ds_bpermute_b32 v55, v45, v17
	ds_bpermute_b32 v28, v45, v18
	s_mov_b32 s11, exec_lo
	v_cmp_eq_u16_e32 vcc_lo, 2, v20
	v_and_or_b32 v20, vcc_lo, v46, 0x80000000
	s_delay_alu instid0(VALU_DEP_1) | instskip(NEXT) | instid1(VALU_DEP_1)
	v_ctz_i32_b32_e32 v20, v20
	v_cmpx_lt_u32_e64 v42, v20
	s_cbranch_execz .LBB44_66
; %bb.65:                               ;   in Loop: Header=BB44_59 Depth=1
	s_waitcnt lgkmcnt(1)
	v_add_co_u32 v27, vcc_lo, v17, v55
	v_add_co_ci_u32_e32 v18, vcc_lo, 0, v18, vcc_lo
	s_delay_alu instid0(VALU_DEP_2) | instskip(SKIP_1) | instid1(VALU_DEP_2)
	v_add_co_u32 v17, vcc_lo, 0, v27
	s_waitcnt lgkmcnt(0)
	v_add_co_ci_u32_e32 v18, vcc_lo, v28, v18, vcc_lo
.LBB44_66:                              ;   in Loop: Header=BB44_59 Depth=1
	s_or_b32 exec_lo, exec_lo, s11
	s_waitcnt lgkmcnt(1)
	ds_bpermute_b32 v55, v47, v27
	s_waitcnt lgkmcnt(1)
	ds_bpermute_b32 v28, v47, v18
	s_mov_b32 s11, exec_lo
	v_cmpx_le_u32_e64 v48, v20
	s_cbranch_execz .LBB44_68
; %bb.67:                               ;   in Loop: Header=BB44_59 Depth=1
	s_waitcnt lgkmcnt(1)
	v_add_co_u32 v27, vcc_lo, v17, v55
	v_add_co_ci_u32_e32 v18, vcc_lo, 0, v18, vcc_lo
	s_delay_alu instid0(VALU_DEP_2) | instskip(SKIP_1) | instid1(VALU_DEP_2)
	v_add_co_u32 v17, vcc_lo, 0, v27
	s_waitcnt lgkmcnt(0)
	v_add_co_ci_u32_e32 v18, vcc_lo, v28, v18, vcc_lo
.LBB44_68:                              ;   in Loop: Header=BB44_59 Depth=1
	s_or_b32 exec_lo, exec_lo, s11
	s_waitcnt lgkmcnt(1)
	ds_bpermute_b32 v55, v49, v27
	s_waitcnt lgkmcnt(1)
	ds_bpermute_b32 v28, v49, v18
	s_mov_b32 s11, exec_lo
	v_cmpx_le_u32_e64 v50, v20
	;; [unrolled: 17-line block ×3, first 2 shown]
	s_cbranch_execz .LBB44_72
; %bb.71:                               ;   in Loop: Header=BB44_59 Depth=1
	s_waitcnt lgkmcnt(1)
	v_add_co_u32 v27, vcc_lo, v17, v55
	v_add_co_ci_u32_e32 v18, vcc_lo, 0, v18, vcc_lo
	s_delay_alu instid0(VALU_DEP_2) | instskip(SKIP_1) | instid1(VALU_DEP_2)
	v_add_co_u32 v17, vcc_lo, 0, v27
	s_waitcnt lgkmcnt(0)
	v_add_co_ci_u32_e32 v18, vcc_lo, v28, v18, vcc_lo
.LBB44_72:                              ;   in Loop: Header=BB44_59 Depth=1
	s_or_b32 exec_lo, exec_lo, s11
	s_waitcnt lgkmcnt(0)
	ds_bpermute_b32 v28, v53, v27
	ds_bpermute_b32 v27, v53, v18
	s_mov_b32 s11, exec_lo
	v_cmpx_le_u32_e64 v54, v20
	s_cbranch_execz .LBB44_58
; %bb.73:                               ;   in Loop: Header=BB44_59 Depth=1
	s_waitcnt lgkmcnt(1)
	v_add_co_u32 v17, vcc_lo, v17, v28
	v_add_co_ci_u32_e32 v18, vcc_lo, 0, v18, vcc_lo
	s_delay_alu instid0(VALU_DEP_2) | instskip(SKIP_1) | instid1(VALU_DEP_2)
	v_add_co_u32 v17, vcc_lo, v17, 0
	s_waitcnt lgkmcnt(0)
	v_add_co_ci_u32_e32 v18, vcc_lo, v18, v27, vcc_lo
	s_branch .LBB44_58
.LBB44_74:                              ;   in Loop: Header=BB44_59 Depth=1
                                        ; implicit-def: $vgpr17_vgpr18
	s_cbranch_execz .LBB44_59
; %bb.75:
	s_and_saveexec_b32 s11, s3
	s_cbranch_execz .LBB44_77
; %bb.76:
	s_add_i32 s12, s15, 32
	s_mov_b32 s13, 0
	v_add_co_u32 v17, vcc_lo, v15, v13
	s_lshl_b64 s[12:13], s[12:13], 4
	v_dual_mov_b32 v19, 2 :: v_dual_mov_b32 v20, 0
	s_add_u32 s12, s8, s12
	s_addc_u32 s13, s9, s13
	v_add_co_ci_u32_e32 v18, vcc_lo, v16, v14, vcc_lo
	v_dual_mov_b32 v26, s13 :: v_dual_mov_b32 v25, s12
	;;#ASMSTART
	global_store_dwordx4 v[25:26], v[17:20] off	
s_waitcnt vmcnt(0)
	;;#ASMEND
	ds_store_b128 v20, v[13:16] offset:6144
.LBB44_77:
	s_or_b32 exec_lo, exec_lo, s11
	v_cmp_eq_u32_e32 vcc_lo, 0, v0
	s_and_b32 exec_lo, exec_lo, vcc_lo
	s_cbranch_execz .LBB44_79
; %bb.78:
	v_mov_b32_e32 v13, 0
	ds_store_b64 v13, v[15:16] offset:24
.LBB44_79:
	s_or_b32 exec_lo, exec_lo, s10
	s_waitcnt lgkmcnt(1)
	v_cndmask_b32_e64 v16, v29, v23, s3
	v_cmp_ne_u32_e32 vcc_lo, 0, v0
	v_mov_b32_e32 v15, 0
	s_waitcnt lgkmcnt(0)
	s_barrier
	buffer_gl0_inv
	v_cndmask_b32_e32 v16, 0, v16, vcc_lo
	ds_load_b64 v[13:14], v15 offset:24
	v_cndmask_b32_e64 v17, v30, v24, s3
	s_waitcnt lgkmcnt(0)
	s_barrier
	buffer_gl0_inv
	v_cndmask_b32_e32 v17, 0, v17, vcc_lo
	v_add_co_u32 v29, vcc_lo, v13, v16
	s_delay_alu instid0(VALU_DEP_2) | instskip(SKIP_3) | instid1(VALU_DEP_2)
	v_add_co_ci_u32_e32 v30, vcc_lo, v14, v17, vcc_lo
	ds_load_b128 v[13:16], v15 offset:6144
	v_add_co_u32 v27, vcc_lo, v29, v41
	v_add_co_ci_u32_e32 v28, vcc_lo, 0, v30, vcc_lo
	v_add_co_u32 v25, vcc_lo, v27, v40
	s_delay_alu instid0(VALU_DEP_2) | instskip(NEXT) | instid1(VALU_DEP_2)
	v_add_co_ci_u32_e32 v26, vcc_lo, 0, v28, vcc_lo
	v_add_co_u32 v23, vcc_lo, v25, v39
	s_delay_alu instid0(VALU_DEP_2) | instskip(NEXT) | instid1(VALU_DEP_2)
	;; [unrolled: 3-line block ×3, first 2 shown]
	v_add_co_ci_u32_e32 v20, vcc_lo, 0, v24, vcc_lo
	v_add_co_u32 v17, vcc_lo, v19, v37
	s_delay_alu instid0(VALU_DEP_2)
	v_add_co_ci_u32_e32 v18, vcc_lo, 0, v20, vcc_lo
	s_load_b64 s[10:11], s[0:1], 0x30
.LBB44_80:
	s_waitcnt lgkmcnt(0)
	v_cmp_gt_u64_e32 vcc_lo, 0x81, v[13:14]
	s_mov_b32 s0, -1
	s_cbranch_vccnz .LBB44_108
.LBB44_81:
	s_and_b32 vcc_lo, exec_lo, s0
	s_cbranch_vccnz .LBB44_127
.LBB44_82:
	v_cmp_eq_u32_e32 vcc_lo, 0, v0
	s_and_b32 s0, vcc_lo, s14
	s_delay_alu instid0(SALU_CYCLE_1)
	s_and_saveexec_b32 s1, s0
	s_cbranch_execnz .LBB44_143
.LBB44_83:
	s_nop 0
	s_sendmsg sendmsg(MSG_DEALLOC_VGPRS)
	s_endpgm
.LBB44_84:
                                        ; kill: def $vgpr13_vgpr14 killed $sgpr0_sgpr1 killed $exec
                                        ; implicit-def: $vgpr17_vgpr18
                                        ; implicit-def: $vgpr19_vgpr20
                                        ; implicit-def: $vgpr23_vgpr24
                                        ; implicit-def: $vgpr25_vgpr26
                                        ; implicit-def: $vgpr27_vgpr28
                                        ; implicit-def: $vgpr29_vgpr30
                                        ; implicit-def: $vgpr15_vgpr16
	s_load_b64 s[10:11], s[0:1], 0x30
	s_and_b32 vcc_lo, exec_lo, s3
	s_cbranch_vccz .LBB44_80
; %bb.85:
	s_waitcnt lgkmcnt(0)
	v_dual_mov_b32 v14, 0 :: v_dual_mov_b32 v15, v21
	v_mov_b32_dpp v16, v21 row_shr:1 row_mask:0xf bank_mask:0xf
	s_delay_alu instid0(VALU_DEP_2)
	v_mov_b32_dpp v13, v14 row_shr:1 row_mask:0xf bank_mask:0xf
	s_and_saveexec_b32 s0, s2
; %bb.86:
	s_delay_alu instid0(VALU_DEP_2) | instskip(SKIP_1) | instid1(VALU_DEP_2)
	v_add_co_u32 v15, vcc_lo, v21, v16
	v_add_co_ci_u32_e32 v14, vcc_lo, 0, v22, vcc_lo
	v_add_co_u32 v21, vcc_lo, 0, v15
	s_delay_alu instid0(VALU_DEP_2) | instskip(NEXT) | instid1(VALU_DEP_1)
	v_add_co_ci_u32_e32 v22, vcc_lo, v13, v14, vcc_lo
	v_mov_b32_e32 v14, v22
; %bb.87:
	s_or_b32 exec_lo, exec_lo, s0
	v_mov_b32_dpp v13, v15 row_shr:2 row_mask:0xf bank_mask:0xf
	s_delay_alu instid0(VALU_DEP_2)
	v_mov_b32_dpp v16, v14 row_shr:2 row_mask:0xf bank_mask:0xf
	s_mov_b32 s0, exec_lo
	v_cmpx_lt_u32_e32 1, v44
; %bb.88:
	s_delay_alu instid0(VALU_DEP_3) | instskip(SKIP_1) | instid1(VALU_DEP_2)
	v_add_co_u32 v15, vcc_lo, v21, v13
	v_add_co_ci_u32_e32 v14, vcc_lo, 0, v22, vcc_lo
	v_add_co_u32 v13, vcc_lo, 0, v15
	s_delay_alu instid0(VALU_DEP_2) | instskip(NEXT) | instid1(VALU_DEP_1)
	v_add_co_ci_u32_e32 v14, vcc_lo, v16, v14, vcc_lo
	v_dual_mov_b32 v22, v14 :: v_dual_mov_b32 v21, v13
; %bb.89:
	s_or_b32 exec_lo, exec_lo, s0
	v_mov_b32_dpp v13, v15 row_shr:4 row_mask:0xf bank_mask:0xf
	v_mov_b32_dpp v16, v14 row_shr:4 row_mask:0xf bank_mask:0xf
	s_mov_b32 s0, exec_lo
	v_cmpx_lt_u32_e32 3, v44
; %bb.90:
	s_delay_alu instid0(VALU_DEP_3) | instskip(SKIP_1) | instid1(VALU_DEP_2)
	v_add_co_u32 v15, vcc_lo, v21, v13
	v_add_co_ci_u32_e32 v14, vcc_lo, 0, v22, vcc_lo
	v_add_co_u32 v13, vcc_lo, 0, v15
	s_delay_alu instid0(VALU_DEP_2) | instskip(NEXT) | instid1(VALU_DEP_1)
	v_add_co_ci_u32_e32 v14, vcc_lo, v16, v14, vcc_lo
	v_dual_mov_b32 v22, v14 :: v_dual_mov_b32 v21, v13
; %bb.91:
	s_or_b32 exec_lo, exec_lo, s0
	v_mov_b32_dpp v16, v15 row_shr:8 row_mask:0xf bank_mask:0xf
	v_mov_b32_dpp v13, v14 row_shr:8 row_mask:0xf bank_mask:0xf
	s_mov_b32 s0, exec_lo
	v_cmpx_lt_u32_e32 7, v44
; %bb.92:
	s_delay_alu instid0(VALU_DEP_3) | instskip(SKIP_1) | instid1(VALU_DEP_2)
	v_add_co_u32 v15, vcc_lo, v21, v16
	v_add_co_ci_u32_e32 v14, vcc_lo, 0, v22, vcc_lo
	v_add_co_u32 v21, vcc_lo, 0, v15
	s_delay_alu instid0(VALU_DEP_2) | instskip(NEXT) | instid1(VALU_DEP_1)
	v_add_co_ci_u32_e32 v22, vcc_lo, v13, v14, vcc_lo
	v_mov_b32_e32 v14, v22
; %bb.93:
	s_or_b32 exec_lo, exec_lo, s0
	ds_swizzle_b32 v15, v15 offset:swizzle(BROADCAST,32,15)
	ds_swizzle_b32 v13, v14 offset:swizzle(BROADCAST,32,15)
	v_and_b32_e32 v14, 16, v42
	s_mov_b32 s0, exec_lo
	s_delay_alu instid0(VALU_DEP_1)
	v_cmpx_ne_u32_e32 0, v14
	s_cbranch_execz .LBB44_95
; %bb.94:
	s_waitcnt lgkmcnt(1)
	v_add_co_u32 v14, vcc_lo, v21, v15
	v_add_co_ci_u32_e32 v15, vcc_lo, 0, v22, vcc_lo
	s_delay_alu instid0(VALU_DEP_2) | instskip(SKIP_1) | instid1(VALU_DEP_2)
	v_add_co_u32 v21, vcc_lo, v14, 0
	s_waitcnt lgkmcnt(0)
	v_add_co_ci_u32_e32 v22, vcc_lo, v15, v13, vcc_lo
.LBB44_95:
	s_or_b32 exec_lo, exec_lo, s0
	s_waitcnt lgkmcnt(0)
	v_or_b32_e32 v13, 31, v0
	v_lshrrev_b32_e32 v15, 5, v0
	s_mov_b32 s0, exec_lo
	s_delay_alu instid0(VALU_DEP_2)
	v_cmpx_eq_u32_e64 v13, v0
	s_cbranch_execz .LBB44_97
; %bb.96:
	s_delay_alu instid0(VALU_DEP_2)
	v_lshlrev_b32_e32 v13, 3, v15
	ds_store_b64 v13, v[21:22]
.LBB44_97:
	s_or_b32 exec_lo, exec_lo, s0
	s_delay_alu instid0(SALU_CYCLE_1)
	s_mov_b32 s0, exec_lo
	s_waitcnt lgkmcnt(0)
	s_barrier
	buffer_gl0_inv
	v_cmpx_gt_u32_e32 4, v0
	s_cbranch_execz .LBB44_103
; %bb.98:
	v_lshlrev_b32_e32 v13, 1, v0
	s_mov_b32 s1, exec_lo
	s_delay_alu instid0(VALU_DEP_1)
	v_add_nc_u32_e32 v16, v43, v13
	ds_load_b64 v[13:14], v16
	s_waitcnt lgkmcnt(0)
	v_dual_mov_b32 v18, v13 :: v_dual_and_b32 v17, 3, v42
	v_mov_b32_dpp v20, v13 row_shr:1 row_mask:0xf bank_mask:0xf
	v_mov_b32_dpp v19, v14 row_shr:1 row_mask:0xf bank_mask:0xf
	s_delay_alu instid0(VALU_DEP_3)
	v_cmpx_ne_u32_e32 0, v17
; %bb.99:
	s_delay_alu instid0(VALU_DEP_3) | instskip(SKIP_1) | instid1(VALU_DEP_2)
	v_add_co_u32 v18, vcc_lo, v13, v20
	v_add_co_ci_u32_e32 v14, vcc_lo, 0, v14, vcc_lo
	v_add_co_u32 v13, vcc_lo, 0, v18
	s_delay_alu instid0(VALU_DEP_2)
	v_add_co_ci_u32_e32 v14, vcc_lo, v19, v14, vcc_lo
; %bb.100:
	s_or_b32 exec_lo, exec_lo, s1
	v_mov_b32_dpp v19, v18 row_shr:2 row_mask:0xf bank_mask:0xf
	s_delay_alu instid0(VALU_DEP_2)
	v_mov_b32_dpp v18, v14 row_shr:2 row_mask:0xf bank_mask:0xf
	s_mov_b32 s1, exec_lo
	v_cmpx_lt_u32_e32 1, v17
; %bb.101:
	s_delay_alu instid0(VALU_DEP_3) | instskip(SKIP_1) | instid1(VALU_DEP_2)
	v_add_co_u32 v13, vcc_lo, v13, v19
	v_add_co_ci_u32_e32 v14, vcc_lo, 0, v14, vcc_lo
	v_add_co_u32 v13, vcc_lo, v13, 0
	s_delay_alu instid0(VALU_DEP_2)
	v_add_co_ci_u32_e32 v14, vcc_lo, v14, v18, vcc_lo
; %bb.102:
	s_or_b32 exec_lo, exec_lo, s1
	ds_store_b64 v16, v[13:14]
.LBB44_103:
	s_or_b32 exec_lo, exec_lo, s0
	v_mov_b32_e32 v17, 0
	v_mov_b32_e32 v18, 0
	s_mov_b32 s0, exec_lo
	s_waitcnt lgkmcnt(0)
	s_barrier
	buffer_gl0_inv
	v_cmpx_lt_u32_e32 31, v0
	s_cbranch_execz .LBB44_105
; %bb.104:
	v_lshl_add_u32 v13, v15, 3, -8
	ds_load_b64 v[17:18], v13
.LBB44_105:
	s_or_b32 exec_lo, exec_lo, s0
	v_dual_mov_b32 v16, 0 :: v_dual_add_nc_u32 v13, -1, v42
	s_delay_alu instid0(VALU_DEP_1) | instskip(SKIP_4) | instid1(VALU_DEP_3)
	v_cmp_gt_i32_e32 vcc_lo, 0, v13
	v_cndmask_b32_e32 v13, v13, v42, vcc_lo
	s_waitcnt lgkmcnt(0)
	v_add_co_u32 v14, vcc_lo, v17, v21
	v_add_co_ci_u32_e32 v15, vcc_lo, v18, v22, vcc_lo
	v_lshlrev_b32_e32 v13, 2, v13
	v_cmp_eq_u32_e32 vcc_lo, 0, v0
	ds_bpermute_b32 v19, v13, v14
	ds_bpermute_b32 v20, v13, v15
	ds_load_b64 v[13:14], v16 offset:24
	s_and_saveexec_b32 s0, vcc_lo
	s_cbranch_execz .LBB44_107
; %bb.106:
	s_add_u32 s2, s8, 0x200
	s_addc_u32 s3, s9, 0
	s_delay_alu instid0(SALU_CYCLE_1)
	v_dual_mov_b32 v15, 2 :: v_dual_mov_b32 v22, s3
	v_mov_b32_e32 v21, s2
	s_waitcnt lgkmcnt(0)
	;;#ASMSTART
	global_store_dwordx4 v[21:22], v[13:16] off	
s_waitcnt vmcnt(0)
	;;#ASMEND
.LBB44_107:
	s_or_b32 exec_lo, exec_lo, s0
	v_cmp_eq_u32_e64 s0, 0, v42
	s_waitcnt lgkmcnt(0)
	s_barrier
	buffer_gl0_inv
	v_cndmask_b32_e64 v15, v19, v17, s0
	v_cndmask_b32_e64 v16, v20, v18, s0
	s_delay_alu instid0(VALU_DEP_2) | instskip(NEXT) | instid1(VALU_DEP_2)
	v_cndmask_b32_e64 v29, v15, 0, vcc_lo
	v_cndmask_b32_e64 v30, v16, 0, vcc_lo
	v_mov_b32_e32 v15, 0
	v_mov_b32_e32 v16, 0
	s_delay_alu instid0(VALU_DEP_4) | instskip(NEXT) | instid1(VALU_DEP_4)
	v_add_co_u32 v27, vcc_lo, v29, v41
	v_add_co_ci_u32_e32 v28, vcc_lo, 0, v30, vcc_lo
	s_delay_alu instid0(VALU_DEP_2) | instskip(NEXT) | instid1(VALU_DEP_2)
	v_add_co_u32 v25, vcc_lo, v27, v40
	v_add_co_ci_u32_e32 v26, vcc_lo, 0, v28, vcc_lo
	s_delay_alu instid0(VALU_DEP_2) | instskip(NEXT) | instid1(VALU_DEP_2)
	;; [unrolled: 3-line block ×4, first 2 shown]
	v_add_co_u32 v17, vcc_lo, v19, v37
	v_add_co_ci_u32_e32 v18, vcc_lo, 0, v20, vcc_lo
	v_cmp_gt_u64_e32 vcc_lo, 0x81, v[13:14]
	s_mov_b32 s0, -1
	s_cbranch_vccz .LBB44_81
.LBB44_108:
	v_add_co_u32 v21, vcc_lo, v15, v13
	v_add_co_ci_u32_e32 v22, vcc_lo, v16, v14, vcc_lo
	s_delay_alu instid0(VALU_DEP_1) | instskip(SKIP_1) | instid1(SALU_CYCLE_1)
	v_cmp_lt_u64_e32 vcc_lo, v[29:30], v[21:22]
	s_or_b32 s1, s16, vcc_lo
	s_and_saveexec_b32 s0, s1
	s_cbranch_execz .LBB44_111
; %bb.109:
	v_and_b32_e32 v37, 1, v36
	s_delay_alu instid0(VALU_DEP_1)
	v_cmp_eq_u32_e32 vcc_lo, 1, v37
	s_and_b32 exec_lo, exec_lo, vcc_lo
	s_cbranch_execz .LBB44_111
; %bb.110:
	v_lshlrev_b64 v[37:38], 3, v[29:30]
	s_lshl_b64 s[2:3], s[6:7], 3
	s_delay_alu instid0(SALU_CYCLE_1) | instskip(SKIP_1) | instid1(VALU_DEP_1)
	s_add_u32 s1, s10, s2
	s_addc_u32 s2, s11, s3
	v_add_co_u32 v37, vcc_lo, s1, v37
	s_delay_alu instid0(VALU_DEP_2)
	v_add_co_ci_u32_e32 v38, vcc_lo, s2, v38, vcc_lo
	global_store_b64 v[37:38], v[9:10], off
.LBB44_111:
	s_or_b32 exec_lo, exec_lo, s0
	v_cmp_lt_u64_e32 vcc_lo, v[27:28], v[21:22]
	s_or_b32 s1, s16, vcc_lo
	s_delay_alu instid0(SALU_CYCLE_1)
	s_and_saveexec_b32 s0, s1
	s_cbranch_execz .LBB44_114
; %bb.112:
	v_and_b32_e32 v30, 1, v34
	s_delay_alu instid0(VALU_DEP_1)
	v_cmp_eq_u32_e32 vcc_lo, 1, v30
	s_and_b32 exec_lo, exec_lo, vcc_lo
	s_cbranch_execz .LBB44_114
; %bb.113:
	v_lshlrev_b64 v[37:38], 3, v[27:28]
	s_lshl_b64 s[2:3], s[6:7], 3
	s_delay_alu instid0(SALU_CYCLE_1) | instskip(SKIP_1) | instid1(VALU_DEP_1)
	s_add_u32 s1, s10, s2
	s_addc_u32 s2, s11, s3
	v_add_co_u32 v37, vcc_lo, s1, v37
	s_delay_alu instid0(VALU_DEP_2)
	v_add_co_ci_u32_e32 v38, vcc_lo, s2, v38, vcc_lo
	global_store_b64 v[37:38], v[11:12], off
.LBB44_114:
	s_or_b32 exec_lo, exec_lo, s0
	v_cmp_lt_u64_e32 vcc_lo, v[25:26], v[21:22]
	s_or_b32 s1, s16, vcc_lo
	s_delay_alu instid0(SALU_CYCLE_1)
	;; [unrolled: 23-line block ×5, first 2 shown]
	s_and_saveexec_b32 s0, s1
	s_cbranch_execz .LBB44_126
; %bb.124:
	v_and_b32_e32 v20, 1, v32
	s_delay_alu instid0(VALU_DEP_1)
	v_cmp_eq_u32_e32 vcc_lo, 1, v20
	s_and_b32 exec_lo, exec_lo, vcc_lo
	s_cbranch_execz .LBB44_126
; %bb.125:
	v_lshlrev_b64 v[20:21], 3, v[17:18]
	s_lshl_b64 s[2:3], s[6:7], 3
	s_delay_alu instid0(SALU_CYCLE_1) | instskip(SKIP_1) | instid1(VALU_DEP_1)
	s_add_u32 s1, s10, s2
	s_addc_u32 s2, s11, s3
	v_add_co_u32 v20, vcc_lo, s1, v20
	s_delay_alu instid0(VALU_DEP_2)
	v_add_co_ci_u32_e32 v21, vcc_lo, s2, v21, vcc_lo
	global_store_b64 v[20:21], v[3:4], off
.LBB44_126:
	s_or_b32 exec_lo, exec_lo, s0
	s_branch .LBB44_82
.LBB44_127:
	v_and_b32_e32 v18, 1, v36
	s_mov_b32 s0, exec_lo
	s_delay_alu instid0(VALU_DEP_1)
	v_cmpx_eq_u32_e32 1, v18
	s_cbranch_execz .LBB44_129
; %bb.128:
	v_sub_nc_u32_e32 v18, v29, v15
	s_delay_alu instid0(VALU_DEP_1)
	v_lshlrev_b32_e32 v18, 3, v18
	ds_store_b64 v18, v[9:10]
.LBB44_129:
	s_or_b32 exec_lo, exec_lo, s0
	v_and_b32_e32 v9, 1, v34
	s_mov_b32 s0, exec_lo
	s_delay_alu instid0(VALU_DEP_1)
	v_cmpx_eq_u32_e32 1, v9
	s_cbranch_execz .LBB44_131
; %bb.130:
	v_sub_nc_u32_e32 v9, v27, v15
	s_delay_alu instid0(VALU_DEP_1)
	v_lshlrev_b32_e32 v9, 3, v9
	ds_store_b64 v9, v[11:12]
.LBB44_131:
	s_or_b32 exec_lo, exec_lo, s0
	;; [unrolled: 12-line block ×6, first 2 shown]
	v_mov_b32_e32 v3, 0
	s_mov_b32 s1, exec_lo
	s_waitcnt lgkmcnt(0)
	s_waitcnt_vscnt null, 0x0
	s_barrier
	buffer_gl0_inv
	v_mov_b32_e32 v1, v3
	s_delay_alu instid0(VALU_DEP_1)
	v_cmpx_gt_u64_e64 v[13:14], v[0:1]
	s_cbranch_execz .LBB44_142
; %bb.140:
	v_lshlrev_b64 v[4:5], 3, v[15:16]
	s_lshl_b64 s[2:3], s[6:7], 3
	v_or_b32_e32 v2, 0x80, v0
	s_delay_alu instid0(VALU_DEP_2) | instskip(NEXT) | instid1(VALU_DEP_3)
	v_add_co_u32 v4, vcc_lo, s10, v4
	v_add_co_ci_u32_e32 v5, vcc_lo, s11, v5, vcc_lo
	s_delay_alu instid0(VALU_DEP_2) | instskip(NEXT) | instid1(VALU_DEP_2)
	v_add_co_u32 v6, vcc_lo, v4, s2
	v_add_co_ci_u32_e32 v7, vcc_lo, s3, v5, vcc_lo
	v_dual_mov_b32 v5, v1 :: v_dual_mov_b32 v4, v0
	s_mov_b32 s2, 0
	.p2align	6
.LBB44_141:                             ; =>This Inner Loop Header: Depth=1
	s_delay_alu instid0(VALU_DEP_1) | instskip(NEXT) | instid1(VALU_DEP_2)
	v_lshlrev_b32_e32 v1, 3, v4
	v_lshlrev_b64 v[10:11], 3, v[4:5]
	v_dual_mov_b32 v5, v3 :: v_dual_mov_b32 v4, v2
	v_cmp_le_u64_e32 vcc_lo, v[13:14], v[2:3]
	v_add_nc_u32_e32 v2, 0x80, v2
	ds_load_b64 v[8:9], v1
	v_add_co_u32 v10, s0, v6, v10
	s_delay_alu instid0(VALU_DEP_1)
	v_add_co_ci_u32_e64 v11, s0, v7, v11, s0
	s_or_b32 s2, vcc_lo, s2
	s_waitcnt lgkmcnt(0)
	global_store_b64 v[10:11], v[8:9], off
	s_and_not1_b32 exec_lo, exec_lo, s2
	s_cbranch_execnz .LBB44_141
.LBB44_142:
	s_or_b32 exec_lo, exec_lo, s1
	v_cmp_eq_u32_e32 vcc_lo, 0, v0
	s_and_b32 s0, vcc_lo, s14
	s_delay_alu instid0(SALU_CYCLE_1)
	s_and_saveexec_b32 s1, s0
	s_cbranch_execz .LBB44_83
.LBB44_143:
	v_add_co_u32 v0, vcc_lo, v15, v13
	v_add_co_ci_u32_e32 v1, vcc_lo, v16, v14, vcc_lo
	v_mov_b32_e32 v2, 0
	s_delay_alu instid0(VALU_DEP_3) | instskip(NEXT) | instid1(VALU_DEP_3)
	v_add_co_u32 v0, vcc_lo, v0, s6
	v_add_co_ci_u32_e32 v1, vcc_lo, s7, v1, vcc_lo
	global_store_b64 v2, v[0:1], s[4:5]
	s_nop 0
	s_sendmsg sendmsg(MSG_DEALLOC_VGPRS)
	s_endpgm
	.section	.rodata,"a",@progbits
	.p2align	6, 0x0
	.amdhsa_kernel _ZN7rocprim17ROCPRIM_400000_NS6detail17trampoline_kernelINS0_14default_configENS1_25partition_config_selectorILNS1_17partition_subalgoE5ElNS0_10empty_typeEbEEZZNS1_14partition_implILS5_5ELb0ES3_mN6hipcub16HIPCUB_304000_NS21CountingInputIteratorIllEEPS6_NSA_22TransformInputIteratorIbN2at6native12_GLOBAL__N_19NonZeroOpIhEEPKhlEENS0_5tupleIJPlS6_EEENSN_IJSD_SD_EEES6_PiJS6_EEE10hipError_tPvRmT3_T4_T5_T6_T7_T9_mT8_P12ihipStream_tbDpT10_ENKUlT_T0_E_clISt17integral_constantIbLb0EES1B_EEDaS16_S17_EUlS16_E_NS1_11comp_targetILNS1_3genE9ELNS1_11target_archE1100ELNS1_3gpuE3ELNS1_3repE0EEENS1_30default_config_static_selectorELNS0_4arch9wavefront6targetE0EEEvT1_
		.amdhsa_group_segment_fixed_size 6160
		.amdhsa_private_segment_fixed_size 0
		.amdhsa_kernarg_size 120
		.amdhsa_user_sgpr_count 15
		.amdhsa_user_sgpr_dispatch_ptr 0
		.amdhsa_user_sgpr_queue_ptr 0
		.amdhsa_user_sgpr_kernarg_segment_ptr 1
		.amdhsa_user_sgpr_dispatch_id 0
		.amdhsa_user_sgpr_private_segment_size 0
		.amdhsa_wavefront_size32 1
		.amdhsa_uses_dynamic_stack 0
		.amdhsa_enable_private_segment 0
		.amdhsa_system_sgpr_workgroup_id_x 1
		.amdhsa_system_sgpr_workgroup_id_y 0
		.amdhsa_system_sgpr_workgroup_id_z 0
		.amdhsa_system_sgpr_workgroup_info 0
		.amdhsa_system_vgpr_workitem_id 0
		.amdhsa_next_free_vgpr 57
		.amdhsa_next_free_sgpr 20
		.amdhsa_reserve_vcc 1
		.amdhsa_float_round_mode_32 0
		.amdhsa_float_round_mode_16_64 0
		.amdhsa_float_denorm_mode_32 3
		.amdhsa_float_denorm_mode_16_64 3
		.amdhsa_dx10_clamp 1
		.amdhsa_ieee_mode 1
		.amdhsa_fp16_overflow 0
		.amdhsa_workgroup_processor_mode 1
		.amdhsa_memory_ordered 1
		.amdhsa_forward_progress 0
		.amdhsa_shared_vgpr_count 0
		.amdhsa_exception_fp_ieee_invalid_op 0
		.amdhsa_exception_fp_denorm_src 0
		.amdhsa_exception_fp_ieee_div_zero 0
		.amdhsa_exception_fp_ieee_overflow 0
		.amdhsa_exception_fp_ieee_underflow 0
		.amdhsa_exception_fp_ieee_inexact 0
		.amdhsa_exception_int_div_zero 0
	.end_amdhsa_kernel
	.section	.text._ZN7rocprim17ROCPRIM_400000_NS6detail17trampoline_kernelINS0_14default_configENS1_25partition_config_selectorILNS1_17partition_subalgoE5ElNS0_10empty_typeEbEEZZNS1_14partition_implILS5_5ELb0ES3_mN6hipcub16HIPCUB_304000_NS21CountingInputIteratorIllEEPS6_NSA_22TransformInputIteratorIbN2at6native12_GLOBAL__N_19NonZeroOpIhEEPKhlEENS0_5tupleIJPlS6_EEENSN_IJSD_SD_EEES6_PiJS6_EEE10hipError_tPvRmT3_T4_T5_T6_T7_T9_mT8_P12ihipStream_tbDpT10_ENKUlT_T0_E_clISt17integral_constantIbLb0EES1B_EEDaS16_S17_EUlS16_E_NS1_11comp_targetILNS1_3genE9ELNS1_11target_archE1100ELNS1_3gpuE3ELNS1_3repE0EEENS1_30default_config_static_selectorELNS0_4arch9wavefront6targetE0EEEvT1_,"axG",@progbits,_ZN7rocprim17ROCPRIM_400000_NS6detail17trampoline_kernelINS0_14default_configENS1_25partition_config_selectorILNS1_17partition_subalgoE5ElNS0_10empty_typeEbEEZZNS1_14partition_implILS5_5ELb0ES3_mN6hipcub16HIPCUB_304000_NS21CountingInputIteratorIllEEPS6_NSA_22TransformInputIteratorIbN2at6native12_GLOBAL__N_19NonZeroOpIhEEPKhlEENS0_5tupleIJPlS6_EEENSN_IJSD_SD_EEES6_PiJS6_EEE10hipError_tPvRmT3_T4_T5_T6_T7_T9_mT8_P12ihipStream_tbDpT10_ENKUlT_T0_E_clISt17integral_constantIbLb0EES1B_EEDaS16_S17_EUlS16_E_NS1_11comp_targetILNS1_3genE9ELNS1_11target_archE1100ELNS1_3gpuE3ELNS1_3repE0EEENS1_30default_config_static_selectorELNS0_4arch9wavefront6targetE0EEEvT1_,comdat
.Lfunc_end44:
	.size	_ZN7rocprim17ROCPRIM_400000_NS6detail17trampoline_kernelINS0_14default_configENS1_25partition_config_selectorILNS1_17partition_subalgoE5ElNS0_10empty_typeEbEEZZNS1_14partition_implILS5_5ELb0ES3_mN6hipcub16HIPCUB_304000_NS21CountingInputIteratorIllEEPS6_NSA_22TransformInputIteratorIbN2at6native12_GLOBAL__N_19NonZeroOpIhEEPKhlEENS0_5tupleIJPlS6_EEENSN_IJSD_SD_EEES6_PiJS6_EEE10hipError_tPvRmT3_T4_T5_T6_T7_T9_mT8_P12ihipStream_tbDpT10_ENKUlT_T0_E_clISt17integral_constantIbLb0EES1B_EEDaS16_S17_EUlS16_E_NS1_11comp_targetILNS1_3genE9ELNS1_11target_archE1100ELNS1_3gpuE3ELNS1_3repE0EEENS1_30default_config_static_selectorELNS0_4arch9wavefront6targetE0EEEvT1_, .Lfunc_end44-_ZN7rocprim17ROCPRIM_400000_NS6detail17trampoline_kernelINS0_14default_configENS1_25partition_config_selectorILNS1_17partition_subalgoE5ElNS0_10empty_typeEbEEZZNS1_14partition_implILS5_5ELb0ES3_mN6hipcub16HIPCUB_304000_NS21CountingInputIteratorIllEEPS6_NSA_22TransformInputIteratorIbN2at6native12_GLOBAL__N_19NonZeroOpIhEEPKhlEENS0_5tupleIJPlS6_EEENSN_IJSD_SD_EEES6_PiJS6_EEE10hipError_tPvRmT3_T4_T5_T6_T7_T9_mT8_P12ihipStream_tbDpT10_ENKUlT_T0_E_clISt17integral_constantIbLb0EES1B_EEDaS16_S17_EUlS16_E_NS1_11comp_targetILNS1_3genE9ELNS1_11target_archE1100ELNS1_3gpuE3ELNS1_3repE0EEENS1_30default_config_static_selectorELNS0_4arch9wavefront6targetE0EEEvT1_
                                        ; -- End function
	.section	.AMDGPU.csdata,"",@progbits
; Kernel info:
; codeLenInByte = 6332
; NumSgprs: 22
; NumVgprs: 57
; ScratchSize: 0
; MemoryBound: 0
; FloatMode: 240
; IeeeMode: 1
; LDSByteSize: 6160 bytes/workgroup (compile time only)
; SGPRBlocks: 2
; VGPRBlocks: 7
; NumSGPRsForWavesPerEU: 22
; NumVGPRsForWavesPerEU: 57
; Occupancy: 16
; WaveLimiterHint : 1
; COMPUTE_PGM_RSRC2:SCRATCH_EN: 0
; COMPUTE_PGM_RSRC2:USER_SGPR: 15
; COMPUTE_PGM_RSRC2:TRAP_HANDLER: 0
; COMPUTE_PGM_RSRC2:TGID_X_EN: 1
; COMPUTE_PGM_RSRC2:TGID_Y_EN: 0
; COMPUTE_PGM_RSRC2:TGID_Z_EN: 0
; COMPUTE_PGM_RSRC2:TIDIG_COMP_CNT: 0
	.section	.text._ZN7rocprim17ROCPRIM_400000_NS6detail17trampoline_kernelINS0_14default_configENS1_25partition_config_selectorILNS1_17partition_subalgoE5ElNS0_10empty_typeEbEEZZNS1_14partition_implILS5_5ELb0ES3_mN6hipcub16HIPCUB_304000_NS21CountingInputIteratorIllEEPS6_NSA_22TransformInputIteratorIbN2at6native12_GLOBAL__N_19NonZeroOpIhEEPKhlEENS0_5tupleIJPlS6_EEENSN_IJSD_SD_EEES6_PiJS6_EEE10hipError_tPvRmT3_T4_T5_T6_T7_T9_mT8_P12ihipStream_tbDpT10_ENKUlT_T0_E_clISt17integral_constantIbLb0EES1B_EEDaS16_S17_EUlS16_E_NS1_11comp_targetILNS1_3genE8ELNS1_11target_archE1030ELNS1_3gpuE2ELNS1_3repE0EEENS1_30default_config_static_selectorELNS0_4arch9wavefront6targetE0EEEvT1_,"axG",@progbits,_ZN7rocprim17ROCPRIM_400000_NS6detail17trampoline_kernelINS0_14default_configENS1_25partition_config_selectorILNS1_17partition_subalgoE5ElNS0_10empty_typeEbEEZZNS1_14partition_implILS5_5ELb0ES3_mN6hipcub16HIPCUB_304000_NS21CountingInputIteratorIllEEPS6_NSA_22TransformInputIteratorIbN2at6native12_GLOBAL__N_19NonZeroOpIhEEPKhlEENS0_5tupleIJPlS6_EEENSN_IJSD_SD_EEES6_PiJS6_EEE10hipError_tPvRmT3_T4_T5_T6_T7_T9_mT8_P12ihipStream_tbDpT10_ENKUlT_T0_E_clISt17integral_constantIbLb0EES1B_EEDaS16_S17_EUlS16_E_NS1_11comp_targetILNS1_3genE8ELNS1_11target_archE1030ELNS1_3gpuE2ELNS1_3repE0EEENS1_30default_config_static_selectorELNS0_4arch9wavefront6targetE0EEEvT1_,comdat
	.globl	_ZN7rocprim17ROCPRIM_400000_NS6detail17trampoline_kernelINS0_14default_configENS1_25partition_config_selectorILNS1_17partition_subalgoE5ElNS0_10empty_typeEbEEZZNS1_14partition_implILS5_5ELb0ES3_mN6hipcub16HIPCUB_304000_NS21CountingInputIteratorIllEEPS6_NSA_22TransformInputIteratorIbN2at6native12_GLOBAL__N_19NonZeroOpIhEEPKhlEENS0_5tupleIJPlS6_EEENSN_IJSD_SD_EEES6_PiJS6_EEE10hipError_tPvRmT3_T4_T5_T6_T7_T9_mT8_P12ihipStream_tbDpT10_ENKUlT_T0_E_clISt17integral_constantIbLb0EES1B_EEDaS16_S17_EUlS16_E_NS1_11comp_targetILNS1_3genE8ELNS1_11target_archE1030ELNS1_3gpuE2ELNS1_3repE0EEENS1_30default_config_static_selectorELNS0_4arch9wavefront6targetE0EEEvT1_ ; -- Begin function _ZN7rocprim17ROCPRIM_400000_NS6detail17trampoline_kernelINS0_14default_configENS1_25partition_config_selectorILNS1_17partition_subalgoE5ElNS0_10empty_typeEbEEZZNS1_14partition_implILS5_5ELb0ES3_mN6hipcub16HIPCUB_304000_NS21CountingInputIteratorIllEEPS6_NSA_22TransformInputIteratorIbN2at6native12_GLOBAL__N_19NonZeroOpIhEEPKhlEENS0_5tupleIJPlS6_EEENSN_IJSD_SD_EEES6_PiJS6_EEE10hipError_tPvRmT3_T4_T5_T6_T7_T9_mT8_P12ihipStream_tbDpT10_ENKUlT_T0_E_clISt17integral_constantIbLb0EES1B_EEDaS16_S17_EUlS16_E_NS1_11comp_targetILNS1_3genE8ELNS1_11target_archE1030ELNS1_3gpuE2ELNS1_3repE0EEENS1_30default_config_static_selectorELNS0_4arch9wavefront6targetE0EEEvT1_
	.p2align	8
	.type	_ZN7rocprim17ROCPRIM_400000_NS6detail17trampoline_kernelINS0_14default_configENS1_25partition_config_selectorILNS1_17partition_subalgoE5ElNS0_10empty_typeEbEEZZNS1_14partition_implILS5_5ELb0ES3_mN6hipcub16HIPCUB_304000_NS21CountingInputIteratorIllEEPS6_NSA_22TransformInputIteratorIbN2at6native12_GLOBAL__N_19NonZeroOpIhEEPKhlEENS0_5tupleIJPlS6_EEENSN_IJSD_SD_EEES6_PiJS6_EEE10hipError_tPvRmT3_T4_T5_T6_T7_T9_mT8_P12ihipStream_tbDpT10_ENKUlT_T0_E_clISt17integral_constantIbLb0EES1B_EEDaS16_S17_EUlS16_E_NS1_11comp_targetILNS1_3genE8ELNS1_11target_archE1030ELNS1_3gpuE2ELNS1_3repE0EEENS1_30default_config_static_selectorELNS0_4arch9wavefront6targetE0EEEvT1_,@function
_ZN7rocprim17ROCPRIM_400000_NS6detail17trampoline_kernelINS0_14default_configENS1_25partition_config_selectorILNS1_17partition_subalgoE5ElNS0_10empty_typeEbEEZZNS1_14partition_implILS5_5ELb0ES3_mN6hipcub16HIPCUB_304000_NS21CountingInputIteratorIllEEPS6_NSA_22TransformInputIteratorIbN2at6native12_GLOBAL__N_19NonZeroOpIhEEPKhlEENS0_5tupleIJPlS6_EEENSN_IJSD_SD_EEES6_PiJS6_EEE10hipError_tPvRmT3_T4_T5_T6_T7_T9_mT8_P12ihipStream_tbDpT10_ENKUlT_T0_E_clISt17integral_constantIbLb0EES1B_EEDaS16_S17_EUlS16_E_NS1_11comp_targetILNS1_3genE8ELNS1_11target_archE1030ELNS1_3gpuE2ELNS1_3repE0EEENS1_30default_config_static_selectorELNS0_4arch9wavefront6targetE0EEEvT1_: ; @_ZN7rocprim17ROCPRIM_400000_NS6detail17trampoline_kernelINS0_14default_configENS1_25partition_config_selectorILNS1_17partition_subalgoE5ElNS0_10empty_typeEbEEZZNS1_14partition_implILS5_5ELb0ES3_mN6hipcub16HIPCUB_304000_NS21CountingInputIteratorIllEEPS6_NSA_22TransformInputIteratorIbN2at6native12_GLOBAL__N_19NonZeroOpIhEEPKhlEENS0_5tupleIJPlS6_EEENSN_IJSD_SD_EEES6_PiJS6_EEE10hipError_tPvRmT3_T4_T5_T6_T7_T9_mT8_P12ihipStream_tbDpT10_ENKUlT_T0_E_clISt17integral_constantIbLb0EES1B_EEDaS16_S17_EUlS16_E_NS1_11comp_targetILNS1_3genE8ELNS1_11target_archE1030ELNS1_3gpuE2ELNS1_3repE0EEENS1_30default_config_static_selectorELNS0_4arch9wavefront6targetE0EEEvT1_
; %bb.0:
	.section	.rodata,"a",@progbits
	.p2align	6, 0x0
	.amdhsa_kernel _ZN7rocprim17ROCPRIM_400000_NS6detail17trampoline_kernelINS0_14default_configENS1_25partition_config_selectorILNS1_17partition_subalgoE5ElNS0_10empty_typeEbEEZZNS1_14partition_implILS5_5ELb0ES3_mN6hipcub16HIPCUB_304000_NS21CountingInputIteratorIllEEPS6_NSA_22TransformInputIteratorIbN2at6native12_GLOBAL__N_19NonZeroOpIhEEPKhlEENS0_5tupleIJPlS6_EEENSN_IJSD_SD_EEES6_PiJS6_EEE10hipError_tPvRmT3_T4_T5_T6_T7_T9_mT8_P12ihipStream_tbDpT10_ENKUlT_T0_E_clISt17integral_constantIbLb0EES1B_EEDaS16_S17_EUlS16_E_NS1_11comp_targetILNS1_3genE8ELNS1_11target_archE1030ELNS1_3gpuE2ELNS1_3repE0EEENS1_30default_config_static_selectorELNS0_4arch9wavefront6targetE0EEEvT1_
		.amdhsa_group_segment_fixed_size 0
		.amdhsa_private_segment_fixed_size 0
		.amdhsa_kernarg_size 120
		.amdhsa_user_sgpr_count 15
		.amdhsa_user_sgpr_dispatch_ptr 0
		.amdhsa_user_sgpr_queue_ptr 0
		.amdhsa_user_sgpr_kernarg_segment_ptr 1
		.amdhsa_user_sgpr_dispatch_id 0
		.amdhsa_user_sgpr_private_segment_size 0
		.amdhsa_wavefront_size32 1
		.amdhsa_uses_dynamic_stack 0
		.amdhsa_enable_private_segment 0
		.amdhsa_system_sgpr_workgroup_id_x 1
		.amdhsa_system_sgpr_workgroup_id_y 0
		.amdhsa_system_sgpr_workgroup_id_z 0
		.amdhsa_system_sgpr_workgroup_info 0
		.amdhsa_system_vgpr_workitem_id 0
		.amdhsa_next_free_vgpr 1
		.amdhsa_next_free_sgpr 1
		.amdhsa_reserve_vcc 0
		.amdhsa_float_round_mode_32 0
		.amdhsa_float_round_mode_16_64 0
		.amdhsa_float_denorm_mode_32 3
		.amdhsa_float_denorm_mode_16_64 3
		.amdhsa_dx10_clamp 1
		.amdhsa_ieee_mode 1
		.amdhsa_fp16_overflow 0
		.amdhsa_workgroup_processor_mode 1
		.amdhsa_memory_ordered 1
		.amdhsa_forward_progress 0
		.amdhsa_shared_vgpr_count 0
		.amdhsa_exception_fp_ieee_invalid_op 0
		.amdhsa_exception_fp_denorm_src 0
		.amdhsa_exception_fp_ieee_div_zero 0
		.amdhsa_exception_fp_ieee_overflow 0
		.amdhsa_exception_fp_ieee_underflow 0
		.amdhsa_exception_fp_ieee_inexact 0
		.amdhsa_exception_int_div_zero 0
	.end_amdhsa_kernel
	.section	.text._ZN7rocprim17ROCPRIM_400000_NS6detail17trampoline_kernelINS0_14default_configENS1_25partition_config_selectorILNS1_17partition_subalgoE5ElNS0_10empty_typeEbEEZZNS1_14partition_implILS5_5ELb0ES3_mN6hipcub16HIPCUB_304000_NS21CountingInputIteratorIllEEPS6_NSA_22TransformInputIteratorIbN2at6native12_GLOBAL__N_19NonZeroOpIhEEPKhlEENS0_5tupleIJPlS6_EEENSN_IJSD_SD_EEES6_PiJS6_EEE10hipError_tPvRmT3_T4_T5_T6_T7_T9_mT8_P12ihipStream_tbDpT10_ENKUlT_T0_E_clISt17integral_constantIbLb0EES1B_EEDaS16_S17_EUlS16_E_NS1_11comp_targetILNS1_3genE8ELNS1_11target_archE1030ELNS1_3gpuE2ELNS1_3repE0EEENS1_30default_config_static_selectorELNS0_4arch9wavefront6targetE0EEEvT1_,"axG",@progbits,_ZN7rocprim17ROCPRIM_400000_NS6detail17trampoline_kernelINS0_14default_configENS1_25partition_config_selectorILNS1_17partition_subalgoE5ElNS0_10empty_typeEbEEZZNS1_14partition_implILS5_5ELb0ES3_mN6hipcub16HIPCUB_304000_NS21CountingInputIteratorIllEEPS6_NSA_22TransformInputIteratorIbN2at6native12_GLOBAL__N_19NonZeroOpIhEEPKhlEENS0_5tupleIJPlS6_EEENSN_IJSD_SD_EEES6_PiJS6_EEE10hipError_tPvRmT3_T4_T5_T6_T7_T9_mT8_P12ihipStream_tbDpT10_ENKUlT_T0_E_clISt17integral_constantIbLb0EES1B_EEDaS16_S17_EUlS16_E_NS1_11comp_targetILNS1_3genE8ELNS1_11target_archE1030ELNS1_3gpuE2ELNS1_3repE0EEENS1_30default_config_static_selectorELNS0_4arch9wavefront6targetE0EEEvT1_,comdat
.Lfunc_end45:
	.size	_ZN7rocprim17ROCPRIM_400000_NS6detail17trampoline_kernelINS0_14default_configENS1_25partition_config_selectorILNS1_17partition_subalgoE5ElNS0_10empty_typeEbEEZZNS1_14partition_implILS5_5ELb0ES3_mN6hipcub16HIPCUB_304000_NS21CountingInputIteratorIllEEPS6_NSA_22TransformInputIteratorIbN2at6native12_GLOBAL__N_19NonZeroOpIhEEPKhlEENS0_5tupleIJPlS6_EEENSN_IJSD_SD_EEES6_PiJS6_EEE10hipError_tPvRmT3_T4_T5_T6_T7_T9_mT8_P12ihipStream_tbDpT10_ENKUlT_T0_E_clISt17integral_constantIbLb0EES1B_EEDaS16_S17_EUlS16_E_NS1_11comp_targetILNS1_3genE8ELNS1_11target_archE1030ELNS1_3gpuE2ELNS1_3repE0EEENS1_30default_config_static_selectorELNS0_4arch9wavefront6targetE0EEEvT1_, .Lfunc_end45-_ZN7rocprim17ROCPRIM_400000_NS6detail17trampoline_kernelINS0_14default_configENS1_25partition_config_selectorILNS1_17partition_subalgoE5ElNS0_10empty_typeEbEEZZNS1_14partition_implILS5_5ELb0ES3_mN6hipcub16HIPCUB_304000_NS21CountingInputIteratorIllEEPS6_NSA_22TransformInputIteratorIbN2at6native12_GLOBAL__N_19NonZeroOpIhEEPKhlEENS0_5tupleIJPlS6_EEENSN_IJSD_SD_EEES6_PiJS6_EEE10hipError_tPvRmT3_T4_T5_T6_T7_T9_mT8_P12ihipStream_tbDpT10_ENKUlT_T0_E_clISt17integral_constantIbLb0EES1B_EEDaS16_S17_EUlS16_E_NS1_11comp_targetILNS1_3genE8ELNS1_11target_archE1030ELNS1_3gpuE2ELNS1_3repE0EEENS1_30default_config_static_selectorELNS0_4arch9wavefront6targetE0EEEvT1_
                                        ; -- End function
	.section	.AMDGPU.csdata,"",@progbits
; Kernel info:
; codeLenInByte = 0
; NumSgprs: 0
; NumVgprs: 0
; ScratchSize: 0
; MemoryBound: 0
; FloatMode: 240
; IeeeMode: 1
; LDSByteSize: 0 bytes/workgroup (compile time only)
; SGPRBlocks: 0
; VGPRBlocks: 0
; NumSGPRsForWavesPerEU: 1
; NumVGPRsForWavesPerEU: 1
; Occupancy: 16
; WaveLimiterHint : 0
; COMPUTE_PGM_RSRC2:SCRATCH_EN: 0
; COMPUTE_PGM_RSRC2:USER_SGPR: 15
; COMPUTE_PGM_RSRC2:TRAP_HANDLER: 0
; COMPUTE_PGM_RSRC2:TGID_X_EN: 1
; COMPUTE_PGM_RSRC2:TGID_Y_EN: 0
; COMPUTE_PGM_RSRC2:TGID_Z_EN: 0
; COMPUTE_PGM_RSRC2:TIDIG_COMP_CNT: 0
	.section	.text._ZN7rocprim17ROCPRIM_400000_NS6detail17trampoline_kernelINS0_14default_configENS1_25transform_config_selectorImLb1EEEZNS1_14transform_implILb1ES3_S5_PmPiNS0_8identityIvEEEE10hipError_tT2_T3_mT4_P12ihipStream_tbEUlT_E_NS1_11comp_targetILNS1_3genE0ELNS1_11target_archE4294967295ELNS1_3gpuE0ELNS1_3repE0EEENS1_30default_config_static_selectorELNS0_4arch9wavefront6targetE0EEEvT1_,"axG",@progbits,_ZN7rocprim17ROCPRIM_400000_NS6detail17trampoline_kernelINS0_14default_configENS1_25transform_config_selectorImLb1EEEZNS1_14transform_implILb1ES3_S5_PmPiNS0_8identityIvEEEE10hipError_tT2_T3_mT4_P12ihipStream_tbEUlT_E_NS1_11comp_targetILNS1_3genE0ELNS1_11target_archE4294967295ELNS1_3gpuE0ELNS1_3repE0EEENS1_30default_config_static_selectorELNS0_4arch9wavefront6targetE0EEEvT1_,comdat
	.protected	_ZN7rocprim17ROCPRIM_400000_NS6detail17trampoline_kernelINS0_14default_configENS1_25transform_config_selectorImLb1EEEZNS1_14transform_implILb1ES3_S5_PmPiNS0_8identityIvEEEE10hipError_tT2_T3_mT4_P12ihipStream_tbEUlT_E_NS1_11comp_targetILNS1_3genE0ELNS1_11target_archE4294967295ELNS1_3gpuE0ELNS1_3repE0EEENS1_30default_config_static_selectorELNS0_4arch9wavefront6targetE0EEEvT1_ ; -- Begin function _ZN7rocprim17ROCPRIM_400000_NS6detail17trampoline_kernelINS0_14default_configENS1_25transform_config_selectorImLb1EEEZNS1_14transform_implILb1ES3_S5_PmPiNS0_8identityIvEEEE10hipError_tT2_T3_mT4_P12ihipStream_tbEUlT_E_NS1_11comp_targetILNS1_3genE0ELNS1_11target_archE4294967295ELNS1_3gpuE0ELNS1_3repE0EEENS1_30default_config_static_selectorELNS0_4arch9wavefront6targetE0EEEvT1_
	.globl	_ZN7rocprim17ROCPRIM_400000_NS6detail17trampoline_kernelINS0_14default_configENS1_25transform_config_selectorImLb1EEEZNS1_14transform_implILb1ES3_S5_PmPiNS0_8identityIvEEEE10hipError_tT2_T3_mT4_P12ihipStream_tbEUlT_E_NS1_11comp_targetILNS1_3genE0ELNS1_11target_archE4294967295ELNS1_3gpuE0ELNS1_3repE0EEENS1_30default_config_static_selectorELNS0_4arch9wavefront6targetE0EEEvT1_
	.p2align	8
	.type	_ZN7rocprim17ROCPRIM_400000_NS6detail17trampoline_kernelINS0_14default_configENS1_25transform_config_selectorImLb1EEEZNS1_14transform_implILb1ES3_S5_PmPiNS0_8identityIvEEEE10hipError_tT2_T3_mT4_P12ihipStream_tbEUlT_E_NS1_11comp_targetILNS1_3genE0ELNS1_11target_archE4294967295ELNS1_3gpuE0ELNS1_3repE0EEENS1_30default_config_static_selectorELNS0_4arch9wavefront6targetE0EEEvT1_,@function
_ZN7rocprim17ROCPRIM_400000_NS6detail17trampoline_kernelINS0_14default_configENS1_25transform_config_selectorImLb1EEEZNS1_14transform_implILb1ES3_S5_PmPiNS0_8identityIvEEEE10hipError_tT2_T3_mT4_P12ihipStream_tbEUlT_E_NS1_11comp_targetILNS1_3genE0ELNS1_11target_archE4294967295ELNS1_3gpuE0ELNS1_3repE0EEENS1_30default_config_static_selectorELNS0_4arch9wavefront6targetE0EEEvT1_: ; @_ZN7rocprim17ROCPRIM_400000_NS6detail17trampoline_kernelINS0_14default_configENS1_25transform_config_selectorImLb1EEEZNS1_14transform_implILb1ES3_S5_PmPiNS0_8identityIvEEEE10hipError_tT2_T3_mT4_P12ihipStream_tbEUlT_E_NS1_11comp_targetILNS1_3genE0ELNS1_11target_archE4294967295ELNS1_3gpuE0ELNS1_3repE0EEENS1_30default_config_static_selectorELNS0_4arch9wavefront6targetE0EEEvT1_
; %bb.0:
	.section	.rodata,"a",@progbits
	.p2align	6, 0x0
	.amdhsa_kernel _ZN7rocprim17ROCPRIM_400000_NS6detail17trampoline_kernelINS0_14default_configENS1_25transform_config_selectorImLb1EEEZNS1_14transform_implILb1ES3_S5_PmPiNS0_8identityIvEEEE10hipError_tT2_T3_mT4_P12ihipStream_tbEUlT_E_NS1_11comp_targetILNS1_3genE0ELNS1_11target_archE4294967295ELNS1_3gpuE0ELNS1_3repE0EEENS1_30default_config_static_selectorELNS0_4arch9wavefront6targetE0EEEvT1_
		.amdhsa_group_segment_fixed_size 0
		.amdhsa_private_segment_fixed_size 0
		.amdhsa_kernarg_size 40
		.amdhsa_user_sgpr_count 15
		.amdhsa_user_sgpr_dispatch_ptr 0
		.amdhsa_user_sgpr_queue_ptr 0
		.amdhsa_user_sgpr_kernarg_segment_ptr 1
		.amdhsa_user_sgpr_dispatch_id 0
		.amdhsa_user_sgpr_private_segment_size 0
		.amdhsa_wavefront_size32 1
		.amdhsa_uses_dynamic_stack 0
		.amdhsa_enable_private_segment 0
		.amdhsa_system_sgpr_workgroup_id_x 1
		.amdhsa_system_sgpr_workgroup_id_y 0
		.amdhsa_system_sgpr_workgroup_id_z 0
		.amdhsa_system_sgpr_workgroup_info 0
		.amdhsa_system_vgpr_workitem_id 0
		.amdhsa_next_free_vgpr 1
		.amdhsa_next_free_sgpr 1
		.amdhsa_reserve_vcc 0
		.amdhsa_float_round_mode_32 0
		.amdhsa_float_round_mode_16_64 0
		.amdhsa_float_denorm_mode_32 3
		.amdhsa_float_denorm_mode_16_64 3
		.amdhsa_dx10_clamp 1
		.amdhsa_ieee_mode 1
		.amdhsa_fp16_overflow 0
		.amdhsa_workgroup_processor_mode 1
		.amdhsa_memory_ordered 1
		.amdhsa_forward_progress 0
		.amdhsa_shared_vgpr_count 0
		.amdhsa_exception_fp_ieee_invalid_op 0
		.amdhsa_exception_fp_denorm_src 0
		.amdhsa_exception_fp_ieee_div_zero 0
		.amdhsa_exception_fp_ieee_overflow 0
		.amdhsa_exception_fp_ieee_underflow 0
		.amdhsa_exception_fp_ieee_inexact 0
		.amdhsa_exception_int_div_zero 0
	.end_amdhsa_kernel
	.section	.text._ZN7rocprim17ROCPRIM_400000_NS6detail17trampoline_kernelINS0_14default_configENS1_25transform_config_selectorImLb1EEEZNS1_14transform_implILb1ES3_S5_PmPiNS0_8identityIvEEEE10hipError_tT2_T3_mT4_P12ihipStream_tbEUlT_E_NS1_11comp_targetILNS1_3genE0ELNS1_11target_archE4294967295ELNS1_3gpuE0ELNS1_3repE0EEENS1_30default_config_static_selectorELNS0_4arch9wavefront6targetE0EEEvT1_,"axG",@progbits,_ZN7rocprim17ROCPRIM_400000_NS6detail17trampoline_kernelINS0_14default_configENS1_25transform_config_selectorImLb1EEEZNS1_14transform_implILb1ES3_S5_PmPiNS0_8identityIvEEEE10hipError_tT2_T3_mT4_P12ihipStream_tbEUlT_E_NS1_11comp_targetILNS1_3genE0ELNS1_11target_archE4294967295ELNS1_3gpuE0ELNS1_3repE0EEENS1_30default_config_static_selectorELNS0_4arch9wavefront6targetE0EEEvT1_,comdat
.Lfunc_end46:
	.size	_ZN7rocprim17ROCPRIM_400000_NS6detail17trampoline_kernelINS0_14default_configENS1_25transform_config_selectorImLb1EEEZNS1_14transform_implILb1ES3_S5_PmPiNS0_8identityIvEEEE10hipError_tT2_T3_mT4_P12ihipStream_tbEUlT_E_NS1_11comp_targetILNS1_3genE0ELNS1_11target_archE4294967295ELNS1_3gpuE0ELNS1_3repE0EEENS1_30default_config_static_selectorELNS0_4arch9wavefront6targetE0EEEvT1_, .Lfunc_end46-_ZN7rocprim17ROCPRIM_400000_NS6detail17trampoline_kernelINS0_14default_configENS1_25transform_config_selectorImLb1EEEZNS1_14transform_implILb1ES3_S5_PmPiNS0_8identityIvEEEE10hipError_tT2_T3_mT4_P12ihipStream_tbEUlT_E_NS1_11comp_targetILNS1_3genE0ELNS1_11target_archE4294967295ELNS1_3gpuE0ELNS1_3repE0EEENS1_30default_config_static_selectorELNS0_4arch9wavefront6targetE0EEEvT1_
                                        ; -- End function
	.section	.AMDGPU.csdata,"",@progbits
; Kernel info:
; codeLenInByte = 0
; NumSgprs: 0
; NumVgprs: 0
; ScratchSize: 0
; MemoryBound: 0
; FloatMode: 240
; IeeeMode: 1
; LDSByteSize: 0 bytes/workgroup (compile time only)
; SGPRBlocks: 0
; VGPRBlocks: 0
; NumSGPRsForWavesPerEU: 1
; NumVGPRsForWavesPerEU: 1
; Occupancy: 16
; WaveLimiterHint : 0
; COMPUTE_PGM_RSRC2:SCRATCH_EN: 0
; COMPUTE_PGM_RSRC2:USER_SGPR: 15
; COMPUTE_PGM_RSRC2:TRAP_HANDLER: 0
; COMPUTE_PGM_RSRC2:TGID_X_EN: 1
; COMPUTE_PGM_RSRC2:TGID_Y_EN: 0
; COMPUTE_PGM_RSRC2:TGID_Z_EN: 0
; COMPUTE_PGM_RSRC2:TIDIG_COMP_CNT: 0
	.section	.text._ZN7rocprim17ROCPRIM_400000_NS6detail17trampoline_kernelINS0_14default_configENS1_25transform_config_selectorImLb1EEEZNS1_14transform_implILb1ES3_S5_PmPiNS0_8identityIvEEEE10hipError_tT2_T3_mT4_P12ihipStream_tbEUlT_E_NS1_11comp_targetILNS1_3genE10ELNS1_11target_archE1201ELNS1_3gpuE5ELNS1_3repE0EEENS1_30default_config_static_selectorELNS0_4arch9wavefront6targetE0EEEvT1_,"axG",@progbits,_ZN7rocprim17ROCPRIM_400000_NS6detail17trampoline_kernelINS0_14default_configENS1_25transform_config_selectorImLb1EEEZNS1_14transform_implILb1ES3_S5_PmPiNS0_8identityIvEEEE10hipError_tT2_T3_mT4_P12ihipStream_tbEUlT_E_NS1_11comp_targetILNS1_3genE10ELNS1_11target_archE1201ELNS1_3gpuE5ELNS1_3repE0EEENS1_30default_config_static_selectorELNS0_4arch9wavefront6targetE0EEEvT1_,comdat
	.protected	_ZN7rocprim17ROCPRIM_400000_NS6detail17trampoline_kernelINS0_14default_configENS1_25transform_config_selectorImLb1EEEZNS1_14transform_implILb1ES3_S5_PmPiNS0_8identityIvEEEE10hipError_tT2_T3_mT4_P12ihipStream_tbEUlT_E_NS1_11comp_targetILNS1_3genE10ELNS1_11target_archE1201ELNS1_3gpuE5ELNS1_3repE0EEENS1_30default_config_static_selectorELNS0_4arch9wavefront6targetE0EEEvT1_ ; -- Begin function _ZN7rocprim17ROCPRIM_400000_NS6detail17trampoline_kernelINS0_14default_configENS1_25transform_config_selectorImLb1EEEZNS1_14transform_implILb1ES3_S5_PmPiNS0_8identityIvEEEE10hipError_tT2_T3_mT4_P12ihipStream_tbEUlT_E_NS1_11comp_targetILNS1_3genE10ELNS1_11target_archE1201ELNS1_3gpuE5ELNS1_3repE0EEENS1_30default_config_static_selectorELNS0_4arch9wavefront6targetE0EEEvT1_
	.globl	_ZN7rocprim17ROCPRIM_400000_NS6detail17trampoline_kernelINS0_14default_configENS1_25transform_config_selectorImLb1EEEZNS1_14transform_implILb1ES3_S5_PmPiNS0_8identityIvEEEE10hipError_tT2_T3_mT4_P12ihipStream_tbEUlT_E_NS1_11comp_targetILNS1_3genE10ELNS1_11target_archE1201ELNS1_3gpuE5ELNS1_3repE0EEENS1_30default_config_static_selectorELNS0_4arch9wavefront6targetE0EEEvT1_
	.p2align	8
	.type	_ZN7rocprim17ROCPRIM_400000_NS6detail17trampoline_kernelINS0_14default_configENS1_25transform_config_selectorImLb1EEEZNS1_14transform_implILb1ES3_S5_PmPiNS0_8identityIvEEEE10hipError_tT2_T3_mT4_P12ihipStream_tbEUlT_E_NS1_11comp_targetILNS1_3genE10ELNS1_11target_archE1201ELNS1_3gpuE5ELNS1_3repE0EEENS1_30default_config_static_selectorELNS0_4arch9wavefront6targetE0EEEvT1_,@function
_ZN7rocprim17ROCPRIM_400000_NS6detail17trampoline_kernelINS0_14default_configENS1_25transform_config_selectorImLb1EEEZNS1_14transform_implILb1ES3_S5_PmPiNS0_8identityIvEEEE10hipError_tT2_T3_mT4_P12ihipStream_tbEUlT_E_NS1_11comp_targetILNS1_3genE10ELNS1_11target_archE1201ELNS1_3gpuE5ELNS1_3repE0EEENS1_30default_config_static_selectorELNS0_4arch9wavefront6targetE0EEEvT1_: ; @_ZN7rocprim17ROCPRIM_400000_NS6detail17trampoline_kernelINS0_14default_configENS1_25transform_config_selectorImLb1EEEZNS1_14transform_implILb1ES3_S5_PmPiNS0_8identityIvEEEE10hipError_tT2_T3_mT4_P12ihipStream_tbEUlT_E_NS1_11comp_targetILNS1_3genE10ELNS1_11target_archE1201ELNS1_3gpuE5ELNS1_3repE0EEENS1_30default_config_static_selectorELNS0_4arch9wavefront6targetE0EEEvT1_
; %bb.0:
	.section	.rodata,"a",@progbits
	.p2align	6, 0x0
	.amdhsa_kernel _ZN7rocprim17ROCPRIM_400000_NS6detail17trampoline_kernelINS0_14default_configENS1_25transform_config_selectorImLb1EEEZNS1_14transform_implILb1ES3_S5_PmPiNS0_8identityIvEEEE10hipError_tT2_T3_mT4_P12ihipStream_tbEUlT_E_NS1_11comp_targetILNS1_3genE10ELNS1_11target_archE1201ELNS1_3gpuE5ELNS1_3repE0EEENS1_30default_config_static_selectorELNS0_4arch9wavefront6targetE0EEEvT1_
		.amdhsa_group_segment_fixed_size 0
		.amdhsa_private_segment_fixed_size 0
		.amdhsa_kernarg_size 40
		.amdhsa_user_sgpr_count 15
		.amdhsa_user_sgpr_dispatch_ptr 0
		.amdhsa_user_sgpr_queue_ptr 0
		.amdhsa_user_sgpr_kernarg_segment_ptr 1
		.amdhsa_user_sgpr_dispatch_id 0
		.amdhsa_user_sgpr_private_segment_size 0
		.amdhsa_wavefront_size32 1
		.amdhsa_uses_dynamic_stack 0
		.amdhsa_enable_private_segment 0
		.amdhsa_system_sgpr_workgroup_id_x 1
		.amdhsa_system_sgpr_workgroup_id_y 0
		.amdhsa_system_sgpr_workgroup_id_z 0
		.amdhsa_system_sgpr_workgroup_info 0
		.amdhsa_system_vgpr_workitem_id 0
		.amdhsa_next_free_vgpr 1
		.amdhsa_next_free_sgpr 1
		.amdhsa_reserve_vcc 0
		.amdhsa_float_round_mode_32 0
		.amdhsa_float_round_mode_16_64 0
		.amdhsa_float_denorm_mode_32 3
		.amdhsa_float_denorm_mode_16_64 3
		.amdhsa_dx10_clamp 1
		.amdhsa_ieee_mode 1
		.amdhsa_fp16_overflow 0
		.amdhsa_workgroup_processor_mode 1
		.amdhsa_memory_ordered 1
		.amdhsa_forward_progress 0
		.amdhsa_shared_vgpr_count 0
		.amdhsa_exception_fp_ieee_invalid_op 0
		.amdhsa_exception_fp_denorm_src 0
		.amdhsa_exception_fp_ieee_div_zero 0
		.amdhsa_exception_fp_ieee_overflow 0
		.amdhsa_exception_fp_ieee_underflow 0
		.amdhsa_exception_fp_ieee_inexact 0
		.amdhsa_exception_int_div_zero 0
	.end_amdhsa_kernel
	.section	.text._ZN7rocprim17ROCPRIM_400000_NS6detail17trampoline_kernelINS0_14default_configENS1_25transform_config_selectorImLb1EEEZNS1_14transform_implILb1ES3_S5_PmPiNS0_8identityIvEEEE10hipError_tT2_T3_mT4_P12ihipStream_tbEUlT_E_NS1_11comp_targetILNS1_3genE10ELNS1_11target_archE1201ELNS1_3gpuE5ELNS1_3repE0EEENS1_30default_config_static_selectorELNS0_4arch9wavefront6targetE0EEEvT1_,"axG",@progbits,_ZN7rocprim17ROCPRIM_400000_NS6detail17trampoline_kernelINS0_14default_configENS1_25transform_config_selectorImLb1EEEZNS1_14transform_implILb1ES3_S5_PmPiNS0_8identityIvEEEE10hipError_tT2_T3_mT4_P12ihipStream_tbEUlT_E_NS1_11comp_targetILNS1_3genE10ELNS1_11target_archE1201ELNS1_3gpuE5ELNS1_3repE0EEENS1_30default_config_static_selectorELNS0_4arch9wavefront6targetE0EEEvT1_,comdat
.Lfunc_end47:
	.size	_ZN7rocprim17ROCPRIM_400000_NS6detail17trampoline_kernelINS0_14default_configENS1_25transform_config_selectorImLb1EEEZNS1_14transform_implILb1ES3_S5_PmPiNS0_8identityIvEEEE10hipError_tT2_T3_mT4_P12ihipStream_tbEUlT_E_NS1_11comp_targetILNS1_3genE10ELNS1_11target_archE1201ELNS1_3gpuE5ELNS1_3repE0EEENS1_30default_config_static_selectorELNS0_4arch9wavefront6targetE0EEEvT1_, .Lfunc_end47-_ZN7rocprim17ROCPRIM_400000_NS6detail17trampoline_kernelINS0_14default_configENS1_25transform_config_selectorImLb1EEEZNS1_14transform_implILb1ES3_S5_PmPiNS0_8identityIvEEEE10hipError_tT2_T3_mT4_P12ihipStream_tbEUlT_E_NS1_11comp_targetILNS1_3genE10ELNS1_11target_archE1201ELNS1_3gpuE5ELNS1_3repE0EEENS1_30default_config_static_selectorELNS0_4arch9wavefront6targetE0EEEvT1_
                                        ; -- End function
	.section	.AMDGPU.csdata,"",@progbits
; Kernel info:
; codeLenInByte = 0
; NumSgprs: 0
; NumVgprs: 0
; ScratchSize: 0
; MemoryBound: 0
; FloatMode: 240
; IeeeMode: 1
; LDSByteSize: 0 bytes/workgroup (compile time only)
; SGPRBlocks: 0
; VGPRBlocks: 0
; NumSGPRsForWavesPerEU: 1
; NumVGPRsForWavesPerEU: 1
; Occupancy: 16
; WaveLimiterHint : 0
; COMPUTE_PGM_RSRC2:SCRATCH_EN: 0
; COMPUTE_PGM_RSRC2:USER_SGPR: 15
; COMPUTE_PGM_RSRC2:TRAP_HANDLER: 0
; COMPUTE_PGM_RSRC2:TGID_X_EN: 1
; COMPUTE_PGM_RSRC2:TGID_Y_EN: 0
; COMPUTE_PGM_RSRC2:TGID_Z_EN: 0
; COMPUTE_PGM_RSRC2:TIDIG_COMP_CNT: 0
	.section	.text._ZN7rocprim17ROCPRIM_400000_NS6detail17trampoline_kernelINS0_14default_configENS1_25transform_config_selectorImLb1EEEZNS1_14transform_implILb1ES3_S5_PmPiNS0_8identityIvEEEE10hipError_tT2_T3_mT4_P12ihipStream_tbEUlT_E_NS1_11comp_targetILNS1_3genE5ELNS1_11target_archE942ELNS1_3gpuE9ELNS1_3repE0EEENS1_30default_config_static_selectorELNS0_4arch9wavefront6targetE0EEEvT1_,"axG",@progbits,_ZN7rocprim17ROCPRIM_400000_NS6detail17trampoline_kernelINS0_14default_configENS1_25transform_config_selectorImLb1EEEZNS1_14transform_implILb1ES3_S5_PmPiNS0_8identityIvEEEE10hipError_tT2_T3_mT4_P12ihipStream_tbEUlT_E_NS1_11comp_targetILNS1_3genE5ELNS1_11target_archE942ELNS1_3gpuE9ELNS1_3repE0EEENS1_30default_config_static_selectorELNS0_4arch9wavefront6targetE0EEEvT1_,comdat
	.protected	_ZN7rocprim17ROCPRIM_400000_NS6detail17trampoline_kernelINS0_14default_configENS1_25transform_config_selectorImLb1EEEZNS1_14transform_implILb1ES3_S5_PmPiNS0_8identityIvEEEE10hipError_tT2_T3_mT4_P12ihipStream_tbEUlT_E_NS1_11comp_targetILNS1_3genE5ELNS1_11target_archE942ELNS1_3gpuE9ELNS1_3repE0EEENS1_30default_config_static_selectorELNS0_4arch9wavefront6targetE0EEEvT1_ ; -- Begin function _ZN7rocprim17ROCPRIM_400000_NS6detail17trampoline_kernelINS0_14default_configENS1_25transform_config_selectorImLb1EEEZNS1_14transform_implILb1ES3_S5_PmPiNS0_8identityIvEEEE10hipError_tT2_T3_mT4_P12ihipStream_tbEUlT_E_NS1_11comp_targetILNS1_3genE5ELNS1_11target_archE942ELNS1_3gpuE9ELNS1_3repE0EEENS1_30default_config_static_selectorELNS0_4arch9wavefront6targetE0EEEvT1_
	.globl	_ZN7rocprim17ROCPRIM_400000_NS6detail17trampoline_kernelINS0_14default_configENS1_25transform_config_selectorImLb1EEEZNS1_14transform_implILb1ES3_S5_PmPiNS0_8identityIvEEEE10hipError_tT2_T3_mT4_P12ihipStream_tbEUlT_E_NS1_11comp_targetILNS1_3genE5ELNS1_11target_archE942ELNS1_3gpuE9ELNS1_3repE0EEENS1_30default_config_static_selectorELNS0_4arch9wavefront6targetE0EEEvT1_
	.p2align	8
	.type	_ZN7rocprim17ROCPRIM_400000_NS6detail17trampoline_kernelINS0_14default_configENS1_25transform_config_selectorImLb1EEEZNS1_14transform_implILb1ES3_S5_PmPiNS0_8identityIvEEEE10hipError_tT2_T3_mT4_P12ihipStream_tbEUlT_E_NS1_11comp_targetILNS1_3genE5ELNS1_11target_archE942ELNS1_3gpuE9ELNS1_3repE0EEENS1_30default_config_static_selectorELNS0_4arch9wavefront6targetE0EEEvT1_,@function
_ZN7rocprim17ROCPRIM_400000_NS6detail17trampoline_kernelINS0_14default_configENS1_25transform_config_selectorImLb1EEEZNS1_14transform_implILb1ES3_S5_PmPiNS0_8identityIvEEEE10hipError_tT2_T3_mT4_P12ihipStream_tbEUlT_E_NS1_11comp_targetILNS1_3genE5ELNS1_11target_archE942ELNS1_3gpuE9ELNS1_3repE0EEENS1_30default_config_static_selectorELNS0_4arch9wavefront6targetE0EEEvT1_: ; @_ZN7rocprim17ROCPRIM_400000_NS6detail17trampoline_kernelINS0_14default_configENS1_25transform_config_selectorImLb1EEEZNS1_14transform_implILb1ES3_S5_PmPiNS0_8identityIvEEEE10hipError_tT2_T3_mT4_P12ihipStream_tbEUlT_E_NS1_11comp_targetILNS1_3genE5ELNS1_11target_archE942ELNS1_3gpuE9ELNS1_3repE0EEENS1_30default_config_static_selectorELNS0_4arch9wavefront6targetE0EEEvT1_
; %bb.0:
	.section	.rodata,"a",@progbits
	.p2align	6, 0x0
	.amdhsa_kernel _ZN7rocprim17ROCPRIM_400000_NS6detail17trampoline_kernelINS0_14default_configENS1_25transform_config_selectorImLb1EEEZNS1_14transform_implILb1ES3_S5_PmPiNS0_8identityIvEEEE10hipError_tT2_T3_mT4_P12ihipStream_tbEUlT_E_NS1_11comp_targetILNS1_3genE5ELNS1_11target_archE942ELNS1_3gpuE9ELNS1_3repE0EEENS1_30default_config_static_selectorELNS0_4arch9wavefront6targetE0EEEvT1_
		.amdhsa_group_segment_fixed_size 0
		.amdhsa_private_segment_fixed_size 0
		.amdhsa_kernarg_size 40
		.amdhsa_user_sgpr_count 15
		.amdhsa_user_sgpr_dispatch_ptr 0
		.amdhsa_user_sgpr_queue_ptr 0
		.amdhsa_user_sgpr_kernarg_segment_ptr 1
		.amdhsa_user_sgpr_dispatch_id 0
		.amdhsa_user_sgpr_private_segment_size 0
		.amdhsa_wavefront_size32 1
		.amdhsa_uses_dynamic_stack 0
		.amdhsa_enable_private_segment 0
		.amdhsa_system_sgpr_workgroup_id_x 1
		.amdhsa_system_sgpr_workgroup_id_y 0
		.amdhsa_system_sgpr_workgroup_id_z 0
		.amdhsa_system_sgpr_workgroup_info 0
		.amdhsa_system_vgpr_workitem_id 0
		.amdhsa_next_free_vgpr 1
		.amdhsa_next_free_sgpr 1
		.amdhsa_reserve_vcc 0
		.amdhsa_float_round_mode_32 0
		.amdhsa_float_round_mode_16_64 0
		.amdhsa_float_denorm_mode_32 3
		.amdhsa_float_denorm_mode_16_64 3
		.amdhsa_dx10_clamp 1
		.amdhsa_ieee_mode 1
		.amdhsa_fp16_overflow 0
		.amdhsa_workgroup_processor_mode 1
		.amdhsa_memory_ordered 1
		.amdhsa_forward_progress 0
		.amdhsa_shared_vgpr_count 0
		.amdhsa_exception_fp_ieee_invalid_op 0
		.amdhsa_exception_fp_denorm_src 0
		.amdhsa_exception_fp_ieee_div_zero 0
		.amdhsa_exception_fp_ieee_overflow 0
		.amdhsa_exception_fp_ieee_underflow 0
		.amdhsa_exception_fp_ieee_inexact 0
		.amdhsa_exception_int_div_zero 0
	.end_amdhsa_kernel
	.section	.text._ZN7rocprim17ROCPRIM_400000_NS6detail17trampoline_kernelINS0_14default_configENS1_25transform_config_selectorImLb1EEEZNS1_14transform_implILb1ES3_S5_PmPiNS0_8identityIvEEEE10hipError_tT2_T3_mT4_P12ihipStream_tbEUlT_E_NS1_11comp_targetILNS1_3genE5ELNS1_11target_archE942ELNS1_3gpuE9ELNS1_3repE0EEENS1_30default_config_static_selectorELNS0_4arch9wavefront6targetE0EEEvT1_,"axG",@progbits,_ZN7rocprim17ROCPRIM_400000_NS6detail17trampoline_kernelINS0_14default_configENS1_25transform_config_selectorImLb1EEEZNS1_14transform_implILb1ES3_S5_PmPiNS0_8identityIvEEEE10hipError_tT2_T3_mT4_P12ihipStream_tbEUlT_E_NS1_11comp_targetILNS1_3genE5ELNS1_11target_archE942ELNS1_3gpuE9ELNS1_3repE0EEENS1_30default_config_static_selectorELNS0_4arch9wavefront6targetE0EEEvT1_,comdat
.Lfunc_end48:
	.size	_ZN7rocprim17ROCPRIM_400000_NS6detail17trampoline_kernelINS0_14default_configENS1_25transform_config_selectorImLb1EEEZNS1_14transform_implILb1ES3_S5_PmPiNS0_8identityIvEEEE10hipError_tT2_T3_mT4_P12ihipStream_tbEUlT_E_NS1_11comp_targetILNS1_3genE5ELNS1_11target_archE942ELNS1_3gpuE9ELNS1_3repE0EEENS1_30default_config_static_selectorELNS0_4arch9wavefront6targetE0EEEvT1_, .Lfunc_end48-_ZN7rocprim17ROCPRIM_400000_NS6detail17trampoline_kernelINS0_14default_configENS1_25transform_config_selectorImLb1EEEZNS1_14transform_implILb1ES3_S5_PmPiNS0_8identityIvEEEE10hipError_tT2_T3_mT4_P12ihipStream_tbEUlT_E_NS1_11comp_targetILNS1_3genE5ELNS1_11target_archE942ELNS1_3gpuE9ELNS1_3repE0EEENS1_30default_config_static_selectorELNS0_4arch9wavefront6targetE0EEEvT1_
                                        ; -- End function
	.section	.AMDGPU.csdata,"",@progbits
; Kernel info:
; codeLenInByte = 0
; NumSgprs: 0
; NumVgprs: 0
; ScratchSize: 0
; MemoryBound: 0
; FloatMode: 240
; IeeeMode: 1
; LDSByteSize: 0 bytes/workgroup (compile time only)
; SGPRBlocks: 0
; VGPRBlocks: 0
; NumSGPRsForWavesPerEU: 1
; NumVGPRsForWavesPerEU: 1
; Occupancy: 16
; WaveLimiterHint : 0
; COMPUTE_PGM_RSRC2:SCRATCH_EN: 0
; COMPUTE_PGM_RSRC2:USER_SGPR: 15
; COMPUTE_PGM_RSRC2:TRAP_HANDLER: 0
; COMPUTE_PGM_RSRC2:TGID_X_EN: 1
; COMPUTE_PGM_RSRC2:TGID_Y_EN: 0
; COMPUTE_PGM_RSRC2:TGID_Z_EN: 0
; COMPUTE_PGM_RSRC2:TIDIG_COMP_CNT: 0
	.section	.text._ZN7rocprim17ROCPRIM_400000_NS6detail17trampoline_kernelINS0_14default_configENS1_25transform_config_selectorImLb1EEEZNS1_14transform_implILb1ES3_S5_PmPiNS0_8identityIvEEEE10hipError_tT2_T3_mT4_P12ihipStream_tbEUlT_E_NS1_11comp_targetILNS1_3genE4ELNS1_11target_archE910ELNS1_3gpuE8ELNS1_3repE0EEENS1_30default_config_static_selectorELNS0_4arch9wavefront6targetE0EEEvT1_,"axG",@progbits,_ZN7rocprim17ROCPRIM_400000_NS6detail17trampoline_kernelINS0_14default_configENS1_25transform_config_selectorImLb1EEEZNS1_14transform_implILb1ES3_S5_PmPiNS0_8identityIvEEEE10hipError_tT2_T3_mT4_P12ihipStream_tbEUlT_E_NS1_11comp_targetILNS1_3genE4ELNS1_11target_archE910ELNS1_3gpuE8ELNS1_3repE0EEENS1_30default_config_static_selectorELNS0_4arch9wavefront6targetE0EEEvT1_,comdat
	.protected	_ZN7rocprim17ROCPRIM_400000_NS6detail17trampoline_kernelINS0_14default_configENS1_25transform_config_selectorImLb1EEEZNS1_14transform_implILb1ES3_S5_PmPiNS0_8identityIvEEEE10hipError_tT2_T3_mT4_P12ihipStream_tbEUlT_E_NS1_11comp_targetILNS1_3genE4ELNS1_11target_archE910ELNS1_3gpuE8ELNS1_3repE0EEENS1_30default_config_static_selectorELNS0_4arch9wavefront6targetE0EEEvT1_ ; -- Begin function _ZN7rocprim17ROCPRIM_400000_NS6detail17trampoline_kernelINS0_14default_configENS1_25transform_config_selectorImLb1EEEZNS1_14transform_implILb1ES3_S5_PmPiNS0_8identityIvEEEE10hipError_tT2_T3_mT4_P12ihipStream_tbEUlT_E_NS1_11comp_targetILNS1_3genE4ELNS1_11target_archE910ELNS1_3gpuE8ELNS1_3repE0EEENS1_30default_config_static_selectorELNS0_4arch9wavefront6targetE0EEEvT1_
	.globl	_ZN7rocprim17ROCPRIM_400000_NS6detail17trampoline_kernelINS0_14default_configENS1_25transform_config_selectorImLb1EEEZNS1_14transform_implILb1ES3_S5_PmPiNS0_8identityIvEEEE10hipError_tT2_T3_mT4_P12ihipStream_tbEUlT_E_NS1_11comp_targetILNS1_3genE4ELNS1_11target_archE910ELNS1_3gpuE8ELNS1_3repE0EEENS1_30default_config_static_selectorELNS0_4arch9wavefront6targetE0EEEvT1_
	.p2align	8
	.type	_ZN7rocprim17ROCPRIM_400000_NS6detail17trampoline_kernelINS0_14default_configENS1_25transform_config_selectorImLb1EEEZNS1_14transform_implILb1ES3_S5_PmPiNS0_8identityIvEEEE10hipError_tT2_T3_mT4_P12ihipStream_tbEUlT_E_NS1_11comp_targetILNS1_3genE4ELNS1_11target_archE910ELNS1_3gpuE8ELNS1_3repE0EEENS1_30default_config_static_selectorELNS0_4arch9wavefront6targetE0EEEvT1_,@function
_ZN7rocprim17ROCPRIM_400000_NS6detail17trampoline_kernelINS0_14default_configENS1_25transform_config_selectorImLb1EEEZNS1_14transform_implILb1ES3_S5_PmPiNS0_8identityIvEEEE10hipError_tT2_T3_mT4_P12ihipStream_tbEUlT_E_NS1_11comp_targetILNS1_3genE4ELNS1_11target_archE910ELNS1_3gpuE8ELNS1_3repE0EEENS1_30default_config_static_selectorELNS0_4arch9wavefront6targetE0EEEvT1_: ; @_ZN7rocprim17ROCPRIM_400000_NS6detail17trampoline_kernelINS0_14default_configENS1_25transform_config_selectorImLb1EEEZNS1_14transform_implILb1ES3_S5_PmPiNS0_8identityIvEEEE10hipError_tT2_T3_mT4_P12ihipStream_tbEUlT_E_NS1_11comp_targetILNS1_3genE4ELNS1_11target_archE910ELNS1_3gpuE8ELNS1_3repE0EEENS1_30default_config_static_selectorELNS0_4arch9wavefront6targetE0EEEvT1_
; %bb.0:
	.section	.rodata,"a",@progbits
	.p2align	6, 0x0
	.amdhsa_kernel _ZN7rocprim17ROCPRIM_400000_NS6detail17trampoline_kernelINS0_14default_configENS1_25transform_config_selectorImLb1EEEZNS1_14transform_implILb1ES3_S5_PmPiNS0_8identityIvEEEE10hipError_tT2_T3_mT4_P12ihipStream_tbEUlT_E_NS1_11comp_targetILNS1_3genE4ELNS1_11target_archE910ELNS1_3gpuE8ELNS1_3repE0EEENS1_30default_config_static_selectorELNS0_4arch9wavefront6targetE0EEEvT1_
		.amdhsa_group_segment_fixed_size 0
		.amdhsa_private_segment_fixed_size 0
		.amdhsa_kernarg_size 40
		.amdhsa_user_sgpr_count 15
		.amdhsa_user_sgpr_dispatch_ptr 0
		.amdhsa_user_sgpr_queue_ptr 0
		.amdhsa_user_sgpr_kernarg_segment_ptr 1
		.amdhsa_user_sgpr_dispatch_id 0
		.amdhsa_user_sgpr_private_segment_size 0
		.amdhsa_wavefront_size32 1
		.amdhsa_uses_dynamic_stack 0
		.amdhsa_enable_private_segment 0
		.amdhsa_system_sgpr_workgroup_id_x 1
		.amdhsa_system_sgpr_workgroup_id_y 0
		.amdhsa_system_sgpr_workgroup_id_z 0
		.amdhsa_system_sgpr_workgroup_info 0
		.amdhsa_system_vgpr_workitem_id 0
		.amdhsa_next_free_vgpr 1
		.amdhsa_next_free_sgpr 1
		.amdhsa_reserve_vcc 0
		.amdhsa_float_round_mode_32 0
		.amdhsa_float_round_mode_16_64 0
		.amdhsa_float_denorm_mode_32 3
		.amdhsa_float_denorm_mode_16_64 3
		.amdhsa_dx10_clamp 1
		.amdhsa_ieee_mode 1
		.amdhsa_fp16_overflow 0
		.amdhsa_workgroup_processor_mode 1
		.amdhsa_memory_ordered 1
		.amdhsa_forward_progress 0
		.amdhsa_shared_vgpr_count 0
		.amdhsa_exception_fp_ieee_invalid_op 0
		.amdhsa_exception_fp_denorm_src 0
		.amdhsa_exception_fp_ieee_div_zero 0
		.amdhsa_exception_fp_ieee_overflow 0
		.amdhsa_exception_fp_ieee_underflow 0
		.amdhsa_exception_fp_ieee_inexact 0
		.amdhsa_exception_int_div_zero 0
	.end_amdhsa_kernel
	.section	.text._ZN7rocprim17ROCPRIM_400000_NS6detail17trampoline_kernelINS0_14default_configENS1_25transform_config_selectorImLb1EEEZNS1_14transform_implILb1ES3_S5_PmPiNS0_8identityIvEEEE10hipError_tT2_T3_mT4_P12ihipStream_tbEUlT_E_NS1_11comp_targetILNS1_3genE4ELNS1_11target_archE910ELNS1_3gpuE8ELNS1_3repE0EEENS1_30default_config_static_selectorELNS0_4arch9wavefront6targetE0EEEvT1_,"axG",@progbits,_ZN7rocprim17ROCPRIM_400000_NS6detail17trampoline_kernelINS0_14default_configENS1_25transform_config_selectorImLb1EEEZNS1_14transform_implILb1ES3_S5_PmPiNS0_8identityIvEEEE10hipError_tT2_T3_mT4_P12ihipStream_tbEUlT_E_NS1_11comp_targetILNS1_3genE4ELNS1_11target_archE910ELNS1_3gpuE8ELNS1_3repE0EEENS1_30default_config_static_selectorELNS0_4arch9wavefront6targetE0EEEvT1_,comdat
.Lfunc_end49:
	.size	_ZN7rocprim17ROCPRIM_400000_NS6detail17trampoline_kernelINS0_14default_configENS1_25transform_config_selectorImLb1EEEZNS1_14transform_implILb1ES3_S5_PmPiNS0_8identityIvEEEE10hipError_tT2_T3_mT4_P12ihipStream_tbEUlT_E_NS1_11comp_targetILNS1_3genE4ELNS1_11target_archE910ELNS1_3gpuE8ELNS1_3repE0EEENS1_30default_config_static_selectorELNS0_4arch9wavefront6targetE0EEEvT1_, .Lfunc_end49-_ZN7rocprim17ROCPRIM_400000_NS6detail17trampoline_kernelINS0_14default_configENS1_25transform_config_selectorImLb1EEEZNS1_14transform_implILb1ES3_S5_PmPiNS0_8identityIvEEEE10hipError_tT2_T3_mT4_P12ihipStream_tbEUlT_E_NS1_11comp_targetILNS1_3genE4ELNS1_11target_archE910ELNS1_3gpuE8ELNS1_3repE0EEENS1_30default_config_static_selectorELNS0_4arch9wavefront6targetE0EEEvT1_
                                        ; -- End function
	.section	.AMDGPU.csdata,"",@progbits
; Kernel info:
; codeLenInByte = 0
; NumSgprs: 0
; NumVgprs: 0
; ScratchSize: 0
; MemoryBound: 0
; FloatMode: 240
; IeeeMode: 1
; LDSByteSize: 0 bytes/workgroup (compile time only)
; SGPRBlocks: 0
; VGPRBlocks: 0
; NumSGPRsForWavesPerEU: 1
; NumVGPRsForWavesPerEU: 1
; Occupancy: 16
; WaveLimiterHint : 0
; COMPUTE_PGM_RSRC2:SCRATCH_EN: 0
; COMPUTE_PGM_RSRC2:USER_SGPR: 15
; COMPUTE_PGM_RSRC2:TRAP_HANDLER: 0
; COMPUTE_PGM_RSRC2:TGID_X_EN: 1
; COMPUTE_PGM_RSRC2:TGID_Y_EN: 0
; COMPUTE_PGM_RSRC2:TGID_Z_EN: 0
; COMPUTE_PGM_RSRC2:TIDIG_COMP_CNT: 0
	.section	.text._ZN7rocprim17ROCPRIM_400000_NS6detail17trampoline_kernelINS0_14default_configENS1_25transform_config_selectorImLb1EEEZNS1_14transform_implILb1ES3_S5_PmPiNS0_8identityIvEEEE10hipError_tT2_T3_mT4_P12ihipStream_tbEUlT_E_NS1_11comp_targetILNS1_3genE3ELNS1_11target_archE908ELNS1_3gpuE7ELNS1_3repE0EEENS1_30default_config_static_selectorELNS0_4arch9wavefront6targetE0EEEvT1_,"axG",@progbits,_ZN7rocprim17ROCPRIM_400000_NS6detail17trampoline_kernelINS0_14default_configENS1_25transform_config_selectorImLb1EEEZNS1_14transform_implILb1ES3_S5_PmPiNS0_8identityIvEEEE10hipError_tT2_T3_mT4_P12ihipStream_tbEUlT_E_NS1_11comp_targetILNS1_3genE3ELNS1_11target_archE908ELNS1_3gpuE7ELNS1_3repE0EEENS1_30default_config_static_selectorELNS0_4arch9wavefront6targetE0EEEvT1_,comdat
	.protected	_ZN7rocprim17ROCPRIM_400000_NS6detail17trampoline_kernelINS0_14default_configENS1_25transform_config_selectorImLb1EEEZNS1_14transform_implILb1ES3_S5_PmPiNS0_8identityIvEEEE10hipError_tT2_T3_mT4_P12ihipStream_tbEUlT_E_NS1_11comp_targetILNS1_3genE3ELNS1_11target_archE908ELNS1_3gpuE7ELNS1_3repE0EEENS1_30default_config_static_selectorELNS0_4arch9wavefront6targetE0EEEvT1_ ; -- Begin function _ZN7rocprim17ROCPRIM_400000_NS6detail17trampoline_kernelINS0_14default_configENS1_25transform_config_selectorImLb1EEEZNS1_14transform_implILb1ES3_S5_PmPiNS0_8identityIvEEEE10hipError_tT2_T3_mT4_P12ihipStream_tbEUlT_E_NS1_11comp_targetILNS1_3genE3ELNS1_11target_archE908ELNS1_3gpuE7ELNS1_3repE0EEENS1_30default_config_static_selectorELNS0_4arch9wavefront6targetE0EEEvT1_
	.globl	_ZN7rocprim17ROCPRIM_400000_NS6detail17trampoline_kernelINS0_14default_configENS1_25transform_config_selectorImLb1EEEZNS1_14transform_implILb1ES3_S5_PmPiNS0_8identityIvEEEE10hipError_tT2_T3_mT4_P12ihipStream_tbEUlT_E_NS1_11comp_targetILNS1_3genE3ELNS1_11target_archE908ELNS1_3gpuE7ELNS1_3repE0EEENS1_30default_config_static_selectorELNS0_4arch9wavefront6targetE0EEEvT1_
	.p2align	8
	.type	_ZN7rocprim17ROCPRIM_400000_NS6detail17trampoline_kernelINS0_14default_configENS1_25transform_config_selectorImLb1EEEZNS1_14transform_implILb1ES3_S5_PmPiNS0_8identityIvEEEE10hipError_tT2_T3_mT4_P12ihipStream_tbEUlT_E_NS1_11comp_targetILNS1_3genE3ELNS1_11target_archE908ELNS1_3gpuE7ELNS1_3repE0EEENS1_30default_config_static_selectorELNS0_4arch9wavefront6targetE0EEEvT1_,@function
_ZN7rocprim17ROCPRIM_400000_NS6detail17trampoline_kernelINS0_14default_configENS1_25transform_config_selectorImLb1EEEZNS1_14transform_implILb1ES3_S5_PmPiNS0_8identityIvEEEE10hipError_tT2_T3_mT4_P12ihipStream_tbEUlT_E_NS1_11comp_targetILNS1_3genE3ELNS1_11target_archE908ELNS1_3gpuE7ELNS1_3repE0EEENS1_30default_config_static_selectorELNS0_4arch9wavefront6targetE0EEEvT1_: ; @_ZN7rocprim17ROCPRIM_400000_NS6detail17trampoline_kernelINS0_14default_configENS1_25transform_config_selectorImLb1EEEZNS1_14transform_implILb1ES3_S5_PmPiNS0_8identityIvEEEE10hipError_tT2_T3_mT4_P12ihipStream_tbEUlT_E_NS1_11comp_targetILNS1_3genE3ELNS1_11target_archE908ELNS1_3gpuE7ELNS1_3repE0EEENS1_30default_config_static_selectorELNS0_4arch9wavefront6targetE0EEEvT1_
; %bb.0:
	.section	.rodata,"a",@progbits
	.p2align	6, 0x0
	.amdhsa_kernel _ZN7rocprim17ROCPRIM_400000_NS6detail17trampoline_kernelINS0_14default_configENS1_25transform_config_selectorImLb1EEEZNS1_14transform_implILb1ES3_S5_PmPiNS0_8identityIvEEEE10hipError_tT2_T3_mT4_P12ihipStream_tbEUlT_E_NS1_11comp_targetILNS1_3genE3ELNS1_11target_archE908ELNS1_3gpuE7ELNS1_3repE0EEENS1_30default_config_static_selectorELNS0_4arch9wavefront6targetE0EEEvT1_
		.amdhsa_group_segment_fixed_size 0
		.amdhsa_private_segment_fixed_size 0
		.amdhsa_kernarg_size 40
		.amdhsa_user_sgpr_count 15
		.amdhsa_user_sgpr_dispatch_ptr 0
		.amdhsa_user_sgpr_queue_ptr 0
		.amdhsa_user_sgpr_kernarg_segment_ptr 1
		.amdhsa_user_sgpr_dispatch_id 0
		.amdhsa_user_sgpr_private_segment_size 0
		.amdhsa_wavefront_size32 1
		.amdhsa_uses_dynamic_stack 0
		.amdhsa_enable_private_segment 0
		.amdhsa_system_sgpr_workgroup_id_x 1
		.amdhsa_system_sgpr_workgroup_id_y 0
		.amdhsa_system_sgpr_workgroup_id_z 0
		.amdhsa_system_sgpr_workgroup_info 0
		.amdhsa_system_vgpr_workitem_id 0
		.amdhsa_next_free_vgpr 1
		.amdhsa_next_free_sgpr 1
		.amdhsa_reserve_vcc 0
		.amdhsa_float_round_mode_32 0
		.amdhsa_float_round_mode_16_64 0
		.amdhsa_float_denorm_mode_32 3
		.amdhsa_float_denorm_mode_16_64 3
		.amdhsa_dx10_clamp 1
		.amdhsa_ieee_mode 1
		.amdhsa_fp16_overflow 0
		.amdhsa_workgroup_processor_mode 1
		.amdhsa_memory_ordered 1
		.amdhsa_forward_progress 0
		.amdhsa_shared_vgpr_count 0
		.amdhsa_exception_fp_ieee_invalid_op 0
		.amdhsa_exception_fp_denorm_src 0
		.amdhsa_exception_fp_ieee_div_zero 0
		.amdhsa_exception_fp_ieee_overflow 0
		.amdhsa_exception_fp_ieee_underflow 0
		.amdhsa_exception_fp_ieee_inexact 0
		.amdhsa_exception_int_div_zero 0
	.end_amdhsa_kernel
	.section	.text._ZN7rocprim17ROCPRIM_400000_NS6detail17trampoline_kernelINS0_14default_configENS1_25transform_config_selectorImLb1EEEZNS1_14transform_implILb1ES3_S5_PmPiNS0_8identityIvEEEE10hipError_tT2_T3_mT4_P12ihipStream_tbEUlT_E_NS1_11comp_targetILNS1_3genE3ELNS1_11target_archE908ELNS1_3gpuE7ELNS1_3repE0EEENS1_30default_config_static_selectorELNS0_4arch9wavefront6targetE0EEEvT1_,"axG",@progbits,_ZN7rocprim17ROCPRIM_400000_NS6detail17trampoline_kernelINS0_14default_configENS1_25transform_config_selectorImLb1EEEZNS1_14transform_implILb1ES3_S5_PmPiNS0_8identityIvEEEE10hipError_tT2_T3_mT4_P12ihipStream_tbEUlT_E_NS1_11comp_targetILNS1_3genE3ELNS1_11target_archE908ELNS1_3gpuE7ELNS1_3repE0EEENS1_30default_config_static_selectorELNS0_4arch9wavefront6targetE0EEEvT1_,comdat
.Lfunc_end50:
	.size	_ZN7rocprim17ROCPRIM_400000_NS6detail17trampoline_kernelINS0_14default_configENS1_25transform_config_selectorImLb1EEEZNS1_14transform_implILb1ES3_S5_PmPiNS0_8identityIvEEEE10hipError_tT2_T3_mT4_P12ihipStream_tbEUlT_E_NS1_11comp_targetILNS1_3genE3ELNS1_11target_archE908ELNS1_3gpuE7ELNS1_3repE0EEENS1_30default_config_static_selectorELNS0_4arch9wavefront6targetE0EEEvT1_, .Lfunc_end50-_ZN7rocprim17ROCPRIM_400000_NS6detail17trampoline_kernelINS0_14default_configENS1_25transform_config_selectorImLb1EEEZNS1_14transform_implILb1ES3_S5_PmPiNS0_8identityIvEEEE10hipError_tT2_T3_mT4_P12ihipStream_tbEUlT_E_NS1_11comp_targetILNS1_3genE3ELNS1_11target_archE908ELNS1_3gpuE7ELNS1_3repE0EEENS1_30default_config_static_selectorELNS0_4arch9wavefront6targetE0EEEvT1_
                                        ; -- End function
	.section	.AMDGPU.csdata,"",@progbits
; Kernel info:
; codeLenInByte = 0
; NumSgprs: 0
; NumVgprs: 0
; ScratchSize: 0
; MemoryBound: 0
; FloatMode: 240
; IeeeMode: 1
; LDSByteSize: 0 bytes/workgroup (compile time only)
; SGPRBlocks: 0
; VGPRBlocks: 0
; NumSGPRsForWavesPerEU: 1
; NumVGPRsForWavesPerEU: 1
; Occupancy: 16
; WaveLimiterHint : 0
; COMPUTE_PGM_RSRC2:SCRATCH_EN: 0
; COMPUTE_PGM_RSRC2:USER_SGPR: 15
; COMPUTE_PGM_RSRC2:TRAP_HANDLER: 0
; COMPUTE_PGM_RSRC2:TGID_X_EN: 1
; COMPUTE_PGM_RSRC2:TGID_Y_EN: 0
; COMPUTE_PGM_RSRC2:TGID_Z_EN: 0
; COMPUTE_PGM_RSRC2:TIDIG_COMP_CNT: 0
	.section	.text._ZN7rocprim17ROCPRIM_400000_NS6detail17trampoline_kernelINS0_14default_configENS1_25transform_config_selectorImLb1EEEZNS1_14transform_implILb1ES3_S5_PmPiNS0_8identityIvEEEE10hipError_tT2_T3_mT4_P12ihipStream_tbEUlT_E_NS1_11comp_targetILNS1_3genE2ELNS1_11target_archE906ELNS1_3gpuE6ELNS1_3repE0EEENS1_30default_config_static_selectorELNS0_4arch9wavefront6targetE0EEEvT1_,"axG",@progbits,_ZN7rocprim17ROCPRIM_400000_NS6detail17trampoline_kernelINS0_14default_configENS1_25transform_config_selectorImLb1EEEZNS1_14transform_implILb1ES3_S5_PmPiNS0_8identityIvEEEE10hipError_tT2_T3_mT4_P12ihipStream_tbEUlT_E_NS1_11comp_targetILNS1_3genE2ELNS1_11target_archE906ELNS1_3gpuE6ELNS1_3repE0EEENS1_30default_config_static_selectorELNS0_4arch9wavefront6targetE0EEEvT1_,comdat
	.protected	_ZN7rocprim17ROCPRIM_400000_NS6detail17trampoline_kernelINS0_14default_configENS1_25transform_config_selectorImLb1EEEZNS1_14transform_implILb1ES3_S5_PmPiNS0_8identityIvEEEE10hipError_tT2_T3_mT4_P12ihipStream_tbEUlT_E_NS1_11comp_targetILNS1_3genE2ELNS1_11target_archE906ELNS1_3gpuE6ELNS1_3repE0EEENS1_30default_config_static_selectorELNS0_4arch9wavefront6targetE0EEEvT1_ ; -- Begin function _ZN7rocprim17ROCPRIM_400000_NS6detail17trampoline_kernelINS0_14default_configENS1_25transform_config_selectorImLb1EEEZNS1_14transform_implILb1ES3_S5_PmPiNS0_8identityIvEEEE10hipError_tT2_T3_mT4_P12ihipStream_tbEUlT_E_NS1_11comp_targetILNS1_3genE2ELNS1_11target_archE906ELNS1_3gpuE6ELNS1_3repE0EEENS1_30default_config_static_selectorELNS0_4arch9wavefront6targetE0EEEvT1_
	.globl	_ZN7rocprim17ROCPRIM_400000_NS6detail17trampoline_kernelINS0_14default_configENS1_25transform_config_selectorImLb1EEEZNS1_14transform_implILb1ES3_S5_PmPiNS0_8identityIvEEEE10hipError_tT2_T3_mT4_P12ihipStream_tbEUlT_E_NS1_11comp_targetILNS1_3genE2ELNS1_11target_archE906ELNS1_3gpuE6ELNS1_3repE0EEENS1_30default_config_static_selectorELNS0_4arch9wavefront6targetE0EEEvT1_
	.p2align	8
	.type	_ZN7rocprim17ROCPRIM_400000_NS6detail17trampoline_kernelINS0_14default_configENS1_25transform_config_selectorImLb1EEEZNS1_14transform_implILb1ES3_S5_PmPiNS0_8identityIvEEEE10hipError_tT2_T3_mT4_P12ihipStream_tbEUlT_E_NS1_11comp_targetILNS1_3genE2ELNS1_11target_archE906ELNS1_3gpuE6ELNS1_3repE0EEENS1_30default_config_static_selectorELNS0_4arch9wavefront6targetE0EEEvT1_,@function
_ZN7rocprim17ROCPRIM_400000_NS6detail17trampoline_kernelINS0_14default_configENS1_25transform_config_selectorImLb1EEEZNS1_14transform_implILb1ES3_S5_PmPiNS0_8identityIvEEEE10hipError_tT2_T3_mT4_P12ihipStream_tbEUlT_E_NS1_11comp_targetILNS1_3genE2ELNS1_11target_archE906ELNS1_3gpuE6ELNS1_3repE0EEENS1_30default_config_static_selectorELNS0_4arch9wavefront6targetE0EEEvT1_: ; @_ZN7rocprim17ROCPRIM_400000_NS6detail17trampoline_kernelINS0_14default_configENS1_25transform_config_selectorImLb1EEEZNS1_14transform_implILb1ES3_S5_PmPiNS0_8identityIvEEEE10hipError_tT2_T3_mT4_P12ihipStream_tbEUlT_E_NS1_11comp_targetILNS1_3genE2ELNS1_11target_archE906ELNS1_3gpuE6ELNS1_3repE0EEENS1_30default_config_static_selectorELNS0_4arch9wavefront6targetE0EEEvT1_
; %bb.0:
	.section	.rodata,"a",@progbits
	.p2align	6, 0x0
	.amdhsa_kernel _ZN7rocprim17ROCPRIM_400000_NS6detail17trampoline_kernelINS0_14default_configENS1_25transform_config_selectorImLb1EEEZNS1_14transform_implILb1ES3_S5_PmPiNS0_8identityIvEEEE10hipError_tT2_T3_mT4_P12ihipStream_tbEUlT_E_NS1_11comp_targetILNS1_3genE2ELNS1_11target_archE906ELNS1_3gpuE6ELNS1_3repE0EEENS1_30default_config_static_selectorELNS0_4arch9wavefront6targetE0EEEvT1_
		.amdhsa_group_segment_fixed_size 0
		.amdhsa_private_segment_fixed_size 0
		.amdhsa_kernarg_size 40
		.amdhsa_user_sgpr_count 15
		.amdhsa_user_sgpr_dispatch_ptr 0
		.amdhsa_user_sgpr_queue_ptr 0
		.amdhsa_user_sgpr_kernarg_segment_ptr 1
		.amdhsa_user_sgpr_dispatch_id 0
		.amdhsa_user_sgpr_private_segment_size 0
		.amdhsa_wavefront_size32 1
		.amdhsa_uses_dynamic_stack 0
		.amdhsa_enable_private_segment 0
		.amdhsa_system_sgpr_workgroup_id_x 1
		.amdhsa_system_sgpr_workgroup_id_y 0
		.amdhsa_system_sgpr_workgroup_id_z 0
		.amdhsa_system_sgpr_workgroup_info 0
		.amdhsa_system_vgpr_workitem_id 0
		.amdhsa_next_free_vgpr 1
		.amdhsa_next_free_sgpr 1
		.amdhsa_reserve_vcc 0
		.amdhsa_float_round_mode_32 0
		.amdhsa_float_round_mode_16_64 0
		.amdhsa_float_denorm_mode_32 3
		.amdhsa_float_denorm_mode_16_64 3
		.amdhsa_dx10_clamp 1
		.amdhsa_ieee_mode 1
		.amdhsa_fp16_overflow 0
		.amdhsa_workgroup_processor_mode 1
		.amdhsa_memory_ordered 1
		.amdhsa_forward_progress 0
		.amdhsa_shared_vgpr_count 0
		.amdhsa_exception_fp_ieee_invalid_op 0
		.amdhsa_exception_fp_denorm_src 0
		.amdhsa_exception_fp_ieee_div_zero 0
		.amdhsa_exception_fp_ieee_overflow 0
		.amdhsa_exception_fp_ieee_underflow 0
		.amdhsa_exception_fp_ieee_inexact 0
		.amdhsa_exception_int_div_zero 0
	.end_amdhsa_kernel
	.section	.text._ZN7rocprim17ROCPRIM_400000_NS6detail17trampoline_kernelINS0_14default_configENS1_25transform_config_selectorImLb1EEEZNS1_14transform_implILb1ES3_S5_PmPiNS0_8identityIvEEEE10hipError_tT2_T3_mT4_P12ihipStream_tbEUlT_E_NS1_11comp_targetILNS1_3genE2ELNS1_11target_archE906ELNS1_3gpuE6ELNS1_3repE0EEENS1_30default_config_static_selectorELNS0_4arch9wavefront6targetE0EEEvT1_,"axG",@progbits,_ZN7rocprim17ROCPRIM_400000_NS6detail17trampoline_kernelINS0_14default_configENS1_25transform_config_selectorImLb1EEEZNS1_14transform_implILb1ES3_S5_PmPiNS0_8identityIvEEEE10hipError_tT2_T3_mT4_P12ihipStream_tbEUlT_E_NS1_11comp_targetILNS1_3genE2ELNS1_11target_archE906ELNS1_3gpuE6ELNS1_3repE0EEENS1_30default_config_static_selectorELNS0_4arch9wavefront6targetE0EEEvT1_,comdat
.Lfunc_end51:
	.size	_ZN7rocprim17ROCPRIM_400000_NS6detail17trampoline_kernelINS0_14default_configENS1_25transform_config_selectorImLb1EEEZNS1_14transform_implILb1ES3_S5_PmPiNS0_8identityIvEEEE10hipError_tT2_T3_mT4_P12ihipStream_tbEUlT_E_NS1_11comp_targetILNS1_3genE2ELNS1_11target_archE906ELNS1_3gpuE6ELNS1_3repE0EEENS1_30default_config_static_selectorELNS0_4arch9wavefront6targetE0EEEvT1_, .Lfunc_end51-_ZN7rocprim17ROCPRIM_400000_NS6detail17trampoline_kernelINS0_14default_configENS1_25transform_config_selectorImLb1EEEZNS1_14transform_implILb1ES3_S5_PmPiNS0_8identityIvEEEE10hipError_tT2_T3_mT4_P12ihipStream_tbEUlT_E_NS1_11comp_targetILNS1_3genE2ELNS1_11target_archE906ELNS1_3gpuE6ELNS1_3repE0EEENS1_30default_config_static_selectorELNS0_4arch9wavefront6targetE0EEEvT1_
                                        ; -- End function
	.section	.AMDGPU.csdata,"",@progbits
; Kernel info:
; codeLenInByte = 0
; NumSgprs: 0
; NumVgprs: 0
; ScratchSize: 0
; MemoryBound: 0
; FloatMode: 240
; IeeeMode: 1
; LDSByteSize: 0 bytes/workgroup (compile time only)
; SGPRBlocks: 0
; VGPRBlocks: 0
; NumSGPRsForWavesPerEU: 1
; NumVGPRsForWavesPerEU: 1
; Occupancy: 16
; WaveLimiterHint : 0
; COMPUTE_PGM_RSRC2:SCRATCH_EN: 0
; COMPUTE_PGM_RSRC2:USER_SGPR: 15
; COMPUTE_PGM_RSRC2:TRAP_HANDLER: 0
; COMPUTE_PGM_RSRC2:TGID_X_EN: 1
; COMPUTE_PGM_RSRC2:TGID_Y_EN: 0
; COMPUTE_PGM_RSRC2:TGID_Z_EN: 0
; COMPUTE_PGM_RSRC2:TIDIG_COMP_CNT: 0
	.section	.text._ZN7rocprim17ROCPRIM_400000_NS6detail17trampoline_kernelINS0_14default_configENS1_25transform_config_selectorImLb1EEEZNS1_14transform_implILb1ES3_S5_PmPiNS0_8identityIvEEEE10hipError_tT2_T3_mT4_P12ihipStream_tbEUlT_E_NS1_11comp_targetILNS1_3genE9ELNS1_11target_archE1100ELNS1_3gpuE3ELNS1_3repE0EEENS1_30default_config_static_selectorELNS0_4arch9wavefront6targetE0EEEvT1_,"axG",@progbits,_ZN7rocprim17ROCPRIM_400000_NS6detail17trampoline_kernelINS0_14default_configENS1_25transform_config_selectorImLb1EEEZNS1_14transform_implILb1ES3_S5_PmPiNS0_8identityIvEEEE10hipError_tT2_T3_mT4_P12ihipStream_tbEUlT_E_NS1_11comp_targetILNS1_3genE9ELNS1_11target_archE1100ELNS1_3gpuE3ELNS1_3repE0EEENS1_30default_config_static_selectorELNS0_4arch9wavefront6targetE0EEEvT1_,comdat
	.protected	_ZN7rocprim17ROCPRIM_400000_NS6detail17trampoline_kernelINS0_14default_configENS1_25transform_config_selectorImLb1EEEZNS1_14transform_implILb1ES3_S5_PmPiNS0_8identityIvEEEE10hipError_tT2_T3_mT4_P12ihipStream_tbEUlT_E_NS1_11comp_targetILNS1_3genE9ELNS1_11target_archE1100ELNS1_3gpuE3ELNS1_3repE0EEENS1_30default_config_static_selectorELNS0_4arch9wavefront6targetE0EEEvT1_ ; -- Begin function _ZN7rocprim17ROCPRIM_400000_NS6detail17trampoline_kernelINS0_14default_configENS1_25transform_config_selectorImLb1EEEZNS1_14transform_implILb1ES3_S5_PmPiNS0_8identityIvEEEE10hipError_tT2_T3_mT4_P12ihipStream_tbEUlT_E_NS1_11comp_targetILNS1_3genE9ELNS1_11target_archE1100ELNS1_3gpuE3ELNS1_3repE0EEENS1_30default_config_static_selectorELNS0_4arch9wavefront6targetE0EEEvT1_
	.globl	_ZN7rocprim17ROCPRIM_400000_NS6detail17trampoline_kernelINS0_14default_configENS1_25transform_config_selectorImLb1EEEZNS1_14transform_implILb1ES3_S5_PmPiNS0_8identityIvEEEE10hipError_tT2_T3_mT4_P12ihipStream_tbEUlT_E_NS1_11comp_targetILNS1_3genE9ELNS1_11target_archE1100ELNS1_3gpuE3ELNS1_3repE0EEENS1_30default_config_static_selectorELNS0_4arch9wavefront6targetE0EEEvT1_
	.p2align	8
	.type	_ZN7rocprim17ROCPRIM_400000_NS6detail17trampoline_kernelINS0_14default_configENS1_25transform_config_selectorImLb1EEEZNS1_14transform_implILb1ES3_S5_PmPiNS0_8identityIvEEEE10hipError_tT2_T3_mT4_P12ihipStream_tbEUlT_E_NS1_11comp_targetILNS1_3genE9ELNS1_11target_archE1100ELNS1_3gpuE3ELNS1_3repE0EEENS1_30default_config_static_selectorELNS0_4arch9wavefront6targetE0EEEvT1_,@function
_ZN7rocprim17ROCPRIM_400000_NS6detail17trampoline_kernelINS0_14default_configENS1_25transform_config_selectorImLb1EEEZNS1_14transform_implILb1ES3_S5_PmPiNS0_8identityIvEEEE10hipError_tT2_T3_mT4_P12ihipStream_tbEUlT_E_NS1_11comp_targetILNS1_3genE9ELNS1_11target_archE1100ELNS1_3gpuE3ELNS1_3repE0EEENS1_30default_config_static_selectorELNS0_4arch9wavefront6targetE0EEEvT1_: ; @_ZN7rocprim17ROCPRIM_400000_NS6detail17trampoline_kernelINS0_14default_configENS1_25transform_config_selectorImLb1EEEZNS1_14transform_implILb1ES3_S5_PmPiNS0_8identityIvEEEE10hipError_tT2_T3_mT4_P12ihipStream_tbEUlT_E_NS1_11comp_targetILNS1_3genE9ELNS1_11target_archE1100ELNS1_3gpuE3ELNS1_3repE0EEENS1_30default_config_static_selectorELNS0_4arch9wavefront6targetE0EEEvT1_
; %bb.0:
	s_load_b256 s[4:11], s[0:1], 0x0
	s_waitcnt lgkmcnt(0)
	s_load_b32 s9, s[0:1], 0x28
	s_lshl_b64 s[0:1], s[6:7], 3
	s_delay_alu instid0(SALU_CYCLE_1) | instskip(SKIP_2) | instid1(SALU_CYCLE_1)
	s_add_u32 s0, s4, s0
	s_addc_u32 s12, s5, s1
	s_lshl_b64 s[2:3], s[6:7], 2
	s_add_u32 s1, s10, s2
	s_addc_u32 s6, s11, s3
	s_lshl_b32 s2, s15, 11
	s_mov_b32 s3, 0
	s_waitcnt lgkmcnt(0)
	s_add_i32 s9, s9, -1
	s_lshl_b64 s[4:5], s[2:3], 3
	s_delay_alu instid0(SALU_CYCLE_1)
	s_add_u32 s4, s0, s4
	s_addc_u32 s5, s12, s5
	s_cmp_lg_u32 s15, s9
	s_mov_b32 s0, -1
	s_cbranch_scc0 .LBB52_2
; %bb.1:
	v_lshlrev_b32_e32 v1, 4, v0
	s_lshl_b64 s[10:11], s[2:3], 2
	s_mov_b32 s0, s3
	s_add_u32 s10, s1, s10
	s_addc_u32 s11, s6, s11
	global_load_b128 v[1:4], v1, s[4:5] slc dlc
	s_waitcnt vmcnt(0)
	v_dual_mov_b32 v2, v3 :: v_dual_lshlrev_b32 v3, 3, v0
	global_store_b64 v3, v[1:2], s[10:11]
.LBB52_2:
	s_and_not1_b32 vcc_lo, exec_lo, s0
	s_cbranch_vccnz .LBB52_11
; %bb.3:
	s_sub_i32 s0, s8, s2
                                        ; implicit-def: $vgpr1_vgpr2_vgpr3_vgpr4
	s_delay_alu instid0(SALU_CYCLE_1)
	v_cmp_gt_u32_e32 vcc_lo, s0, v0
	s_and_saveexec_b32 s7, vcc_lo
	s_cbranch_execz .LBB52_5
; %bb.4:
	v_lshlrev_b32_e32 v1, 3, v0
	global_load_b64 v[1:2], v1, s[4:5]
.LBB52_5:
	s_or_b32 exec_lo, exec_lo, s7
	s_waitcnt vmcnt(0)
	v_or_b32_e32 v2, 0x400, v0
	s_delay_alu instid0(VALU_DEP_1) | instskip(NEXT) | instid1(VALU_DEP_1)
	v_cmp_gt_u32_e64 s0, s0, v2
	s_and_saveexec_b32 s7, s0
	s_cbranch_execz .LBB52_7
; %bb.6:
	v_lshlrev_b32_e32 v2, 3, v2
	global_load_b64 v[3:4], v2, s[4:5]
.LBB52_7:
	s_or_b32 exec_lo, exec_lo, s7
	v_lshlrev_b32_e32 v0, 2, v0
	s_lshl_b64 s[2:3], s[2:3], 2
	s_delay_alu instid0(SALU_CYCLE_1) | instskip(SKIP_3) | instid1(VALU_DEP_1)
	s_add_u32 s1, s1, s2
	s_addc_u32 s2, s6, s3
	s_waitcnt vmcnt(0)
	v_add_co_u32 v4, s1, s1, v0
	v_add_co_ci_u32_e64 v5, null, s2, 0, s1
	s_and_saveexec_b32 s1, vcc_lo
	s_cbranch_execz .LBB52_9
; %bb.8:
	global_store_b32 v[4:5], v1, off
.LBB52_9:
	s_or_b32 exec_lo, exec_lo, s1
	s_and_saveexec_b32 s1, s0
	s_cbranch_execz .LBB52_11
; %bb.10:
	v_add_co_u32 v0, vcc_lo, 0x1000, v4
	v_add_co_ci_u32_e32 v1, vcc_lo, 0, v5, vcc_lo
	global_store_b32 v[0:1], v3, off
.LBB52_11:
	s_nop 0
	s_sendmsg sendmsg(MSG_DEALLOC_VGPRS)
	s_endpgm
	.section	.rodata,"a",@progbits
	.p2align	6, 0x0
	.amdhsa_kernel _ZN7rocprim17ROCPRIM_400000_NS6detail17trampoline_kernelINS0_14default_configENS1_25transform_config_selectorImLb1EEEZNS1_14transform_implILb1ES3_S5_PmPiNS0_8identityIvEEEE10hipError_tT2_T3_mT4_P12ihipStream_tbEUlT_E_NS1_11comp_targetILNS1_3genE9ELNS1_11target_archE1100ELNS1_3gpuE3ELNS1_3repE0EEENS1_30default_config_static_selectorELNS0_4arch9wavefront6targetE0EEEvT1_
		.amdhsa_group_segment_fixed_size 0
		.amdhsa_private_segment_fixed_size 0
		.amdhsa_kernarg_size 296
		.amdhsa_user_sgpr_count 15
		.amdhsa_user_sgpr_dispatch_ptr 0
		.amdhsa_user_sgpr_queue_ptr 0
		.amdhsa_user_sgpr_kernarg_segment_ptr 1
		.amdhsa_user_sgpr_dispatch_id 0
		.amdhsa_user_sgpr_private_segment_size 0
		.amdhsa_wavefront_size32 1
		.amdhsa_uses_dynamic_stack 0
		.amdhsa_enable_private_segment 0
		.amdhsa_system_sgpr_workgroup_id_x 1
		.amdhsa_system_sgpr_workgroup_id_y 0
		.amdhsa_system_sgpr_workgroup_id_z 0
		.amdhsa_system_sgpr_workgroup_info 0
		.amdhsa_system_vgpr_workitem_id 0
		.amdhsa_next_free_vgpr 6
		.amdhsa_next_free_sgpr 16
		.amdhsa_reserve_vcc 1
		.amdhsa_float_round_mode_32 0
		.amdhsa_float_round_mode_16_64 0
		.amdhsa_float_denorm_mode_32 3
		.amdhsa_float_denorm_mode_16_64 3
		.amdhsa_dx10_clamp 1
		.amdhsa_ieee_mode 1
		.amdhsa_fp16_overflow 0
		.amdhsa_workgroup_processor_mode 1
		.amdhsa_memory_ordered 1
		.amdhsa_forward_progress 0
		.amdhsa_shared_vgpr_count 0
		.amdhsa_exception_fp_ieee_invalid_op 0
		.amdhsa_exception_fp_denorm_src 0
		.amdhsa_exception_fp_ieee_div_zero 0
		.amdhsa_exception_fp_ieee_overflow 0
		.amdhsa_exception_fp_ieee_underflow 0
		.amdhsa_exception_fp_ieee_inexact 0
		.amdhsa_exception_int_div_zero 0
	.end_amdhsa_kernel
	.section	.text._ZN7rocprim17ROCPRIM_400000_NS6detail17trampoline_kernelINS0_14default_configENS1_25transform_config_selectorImLb1EEEZNS1_14transform_implILb1ES3_S5_PmPiNS0_8identityIvEEEE10hipError_tT2_T3_mT4_P12ihipStream_tbEUlT_E_NS1_11comp_targetILNS1_3genE9ELNS1_11target_archE1100ELNS1_3gpuE3ELNS1_3repE0EEENS1_30default_config_static_selectorELNS0_4arch9wavefront6targetE0EEEvT1_,"axG",@progbits,_ZN7rocprim17ROCPRIM_400000_NS6detail17trampoline_kernelINS0_14default_configENS1_25transform_config_selectorImLb1EEEZNS1_14transform_implILb1ES3_S5_PmPiNS0_8identityIvEEEE10hipError_tT2_T3_mT4_P12ihipStream_tbEUlT_E_NS1_11comp_targetILNS1_3genE9ELNS1_11target_archE1100ELNS1_3gpuE3ELNS1_3repE0EEENS1_30default_config_static_selectorELNS0_4arch9wavefront6targetE0EEEvT1_,comdat
.Lfunc_end52:
	.size	_ZN7rocprim17ROCPRIM_400000_NS6detail17trampoline_kernelINS0_14default_configENS1_25transform_config_selectorImLb1EEEZNS1_14transform_implILb1ES3_S5_PmPiNS0_8identityIvEEEE10hipError_tT2_T3_mT4_P12ihipStream_tbEUlT_E_NS1_11comp_targetILNS1_3genE9ELNS1_11target_archE1100ELNS1_3gpuE3ELNS1_3repE0EEENS1_30default_config_static_selectorELNS0_4arch9wavefront6targetE0EEEvT1_, .Lfunc_end52-_ZN7rocprim17ROCPRIM_400000_NS6detail17trampoline_kernelINS0_14default_configENS1_25transform_config_selectorImLb1EEEZNS1_14transform_implILb1ES3_S5_PmPiNS0_8identityIvEEEE10hipError_tT2_T3_mT4_P12ihipStream_tbEUlT_E_NS1_11comp_targetILNS1_3genE9ELNS1_11target_archE1100ELNS1_3gpuE3ELNS1_3repE0EEENS1_30default_config_static_selectorELNS0_4arch9wavefront6targetE0EEEvT1_
                                        ; -- End function
	.section	.AMDGPU.csdata,"",@progbits
; Kernel info:
; codeLenInByte = 336
; NumSgprs: 18
; NumVgprs: 6
; ScratchSize: 0
; MemoryBound: 0
; FloatMode: 240
; IeeeMode: 1
; LDSByteSize: 0 bytes/workgroup (compile time only)
; SGPRBlocks: 2
; VGPRBlocks: 0
; NumSGPRsForWavesPerEU: 18
; NumVGPRsForWavesPerEU: 6
; Occupancy: 16
; WaveLimiterHint : 0
; COMPUTE_PGM_RSRC2:SCRATCH_EN: 0
; COMPUTE_PGM_RSRC2:USER_SGPR: 15
; COMPUTE_PGM_RSRC2:TRAP_HANDLER: 0
; COMPUTE_PGM_RSRC2:TGID_X_EN: 1
; COMPUTE_PGM_RSRC2:TGID_Y_EN: 0
; COMPUTE_PGM_RSRC2:TGID_Z_EN: 0
; COMPUTE_PGM_RSRC2:TIDIG_COMP_CNT: 0
	.section	.text._ZN7rocprim17ROCPRIM_400000_NS6detail17trampoline_kernelINS0_14default_configENS1_25transform_config_selectorImLb1EEEZNS1_14transform_implILb1ES3_S5_PmPiNS0_8identityIvEEEE10hipError_tT2_T3_mT4_P12ihipStream_tbEUlT_E_NS1_11comp_targetILNS1_3genE8ELNS1_11target_archE1030ELNS1_3gpuE2ELNS1_3repE0EEENS1_30default_config_static_selectorELNS0_4arch9wavefront6targetE0EEEvT1_,"axG",@progbits,_ZN7rocprim17ROCPRIM_400000_NS6detail17trampoline_kernelINS0_14default_configENS1_25transform_config_selectorImLb1EEEZNS1_14transform_implILb1ES3_S5_PmPiNS0_8identityIvEEEE10hipError_tT2_T3_mT4_P12ihipStream_tbEUlT_E_NS1_11comp_targetILNS1_3genE8ELNS1_11target_archE1030ELNS1_3gpuE2ELNS1_3repE0EEENS1_30default_config_static_selectorELNS0_4arch9wavefront6targetE0EEEvT1_,comdat
	.protected	_ZN7rocprim17ROCPRIM_400000_NS6detail17trampoline_kernelINS0_14default_configENS1_25transform_config_selectorImLb1EEEZNS1_14transform_implILb1ES3_S5_PmPiNS0_8identityIvEEEE10hipError_tT2_T3_mT4_P12ihipStream_tbEUlT_E_NS1_11comp_targetILNS1_3genE8ELNS1_11target_archE1030ELNS1_3gpuE2ELNS1_3repE0EEENS1_30default_config_static_selectorELNS0_4arch9wavefront6targetE0EEEvT1_ ; -- Begin function _ZN7rocprim17ROCPRIM_400000_NS6detail17trampoline_kernelINS0_14default_configENS1_25transform_config_selectorImLb1EEEZNS1_14transform_implILb1ES3_S5_PmPiNS0_8identityIvEEEE10hipError_tT2_T3_mT4_P12ihipStream_tbEUlT_E_NS1_11comp_targetILNS1_3genE8ELNS1_11target_archE1030ELNS1_3gpuE2ELNS1_3repE0EEENS1_30default_config_static_selectorELNS0_4arch9wavefront6targetE0EEEvT1_
	.globl	_ZN7rocprim17ROCPRIM_400000_NS6detail17trampoline_kernelINS0_14default_configENS1_25transform_config_selectorImLb1EEEZNS1_14transform_implILb1ES3_S5_PmPiNS0_8identityIvEEEE10hipError_tT2_T3_mT4_P12ihipStream_tbEUlT_E_NS1_11comp_targetILNS1_3genE8ELNS1_11target_archE1030ELNS1_3gpuE2ELNS1_3repE0EEENS1_30default_config_static_selectorELNS0_4arch9wavefront6targetE0EEEvT1_
	.p2align	8
	.type	_ZN7rocprim17ROCPRIM_400000_NS6detail17trampoline_kernelINS0_14default_configENS1_25transform_config_selectorImLb1EEEZNS1_14transform_implILb1ES3_S5_PmPiNS0_8identityIvEEEE10hipError_tT2_T3_mT4_P12ihipStream_tbEUlT_E_NS1_11comp_targetILNS1_3genE8ELNS1_11target_archE1030ELNS1_3gpuE2ELNS1_3repE0EEENS1_30default_config_static_selectorELNS0_4arch9wavefront6targetE0EEEvT1_,@function
_ZN7rocprim17ROCPRIM_400000_NS6detail17trampoline_kernelINS0_14default_configENS1_25transform_config_selectorImLb1EEEZNS1_14transform_implILb1ES3_S5_PmPiNS0_8identityIvEEEE10hipError_tT2_T3_mT4_P12ihipStream_tbEUlT_E_NS1_11comp_targetILNS1_3genE8ELNS1_11target_archE1030ELNS1_3gpuE2ELNS1_3repE0EEENS1_30default_config_static_selectorELNS0_4arch9wavefront6targetE0EEEvT1_: ; @_ZN7rocprim17ROCPRIM_400000_NS6detail17trampoline_kernelINS0_14default_configENS1_25transform_config_selectorImLb1EEEZNS1_14transform_implILb1ES3_S5_PmPiNS0_8identityIvEEEE10hipError_tT2_T3_mT4_P12ihipStream_tbEUlT_E_NS1_11comp_targetILNS1_3genE8ELNS1_11target_archE1030ELNS1_3gpuE2ELNS1_3repE0EEENS1_30default_config_static_selectorELNS0_4arch9wavefront6targetE0EEEvT1_
; %bb.0:
	.section	.rodata,"a",@progbits
	.p2align	6, 0x0
	.amdhsa_kernel _ZN7rocprim17ROCPRIM_400000_NS6detail17trampoline_kernelINS0_14default_configENS1_25transform_config_selectorImLb1EEEZNS1_14transform_implILb1ES3_S5_PmPiNS0_8identityIvEEEE10hipError_tT2_T3_mT4_P12ihipStream_tbEUlT_E_NS1_11comp_targetILNS1_3genE8ELNS1_11target_archE1030ELNS1_3gpuE2ELNS1_3repE0EEENS1_30default_config_static_selectorELNS0_4arch9wavefront6targetE0EEEvT1_
		.amdhsa_group_segment_fixed_size 0
		.amdhsa_private_segment_fixed_size 0
		.amdhsa_kernarg_size 40
		.amdhsa_user_sgpr_count 15
		.amdhsa_user_sgpr_dispatch_ptr 0
		.amdhsa_user_sgpr_queue_ptr 0
		.amdhsa_user_sgpr_kernarg_segment_ptr 1
		.amdhsa_user_sgpr_dispatch_id 0
		.amdhsa_user_sgpr_private_segment_size 0
		.amdhsa_wavefront_size32 1
		.amdhsa_uses_dynamic_stack 0
		.amdhsa_enable_private_segment 0
		.amdhsa_system_sgpr_workgroup_id_x 1
		.amdhsa_system_sgpr_workgroup_id_y 0
		.amdhsa_system_sgpr_workgroup_id_z 0
		.amdhsa_system_sgpr_workgroup_info 0
		.amdhsa_system_vgpr_workitem_id 0
		.amdhsa_next_free_vgpr 1
		.amdhsa_next_free_sgpr 1
		.amdhsa_reserve_vcc 0
		.amdhsa_float_round_mode_32 0
		.amdhsa_float_round_mode_16_64 0
		.amdhsa_float_denorm_mode_32 3
		.amdhsa_float_denorm_mode_16_64 3
		.amdhsa_dx10_clamp 1
		.amdhsa_ieee_mode 1
		.amdhsa_fp16_overflow 0
		.amdhsa_workgroup_processor_mode 1
		.amdhsa_memory_ordered 1
		.amdhsa_forward_progress 0
		.amdhsa_shared_vgpr_count 0
		.amdhsa_exception_fp_ieee_invalid_op 0
		.amdhsa_exception_fp_denorm_src 0
		.amdhsa_exception_fp_ieee_div_zero 0
		.amdhsa_exception_fp_ieee_overflow 0
		.amdhsa_exception_fp_ieee_underflow 0
		.amdhsa_exception_fp_ieee_inexact 0
		.amdhsa_exception_int_div_zero 0
	.end_amdhsa_kernel
	.section	.text._ZN7rocprim17ROCPRIM_400000_NS6detail17trampoline_kernelINS0_14default_configENS1_25transform_config_selectorImLb1EEEZNS1_14transform_implILb1ES3_S5_PmPiNS0_8identityIvEEEE10hipError_tT2_T3_mT4_P12ihipStream_tbEUlT_E_NS1_11comp_targetILNS1_3genE8ELNS1_11target_archE1030ELNS1_3gpuE2ELNS1_3repE0EEENS1_30default_config_static_selectorELNS0_4arch9wavefront6targetE0EEEvT1_,"axG",@progbits,_ZN7rocprim17ROCPRIM_400000_NS6detail17trampoline_kernelINS0_14default_configENS1_25transform_config_selectorImLb1EEEZNS1_14transform_implILb1ES3_S5_PmPiNS0_8identityIvEEEE10hipError_tT2_T3_mT4_P12ihipStream_tbEUlT_E_NS1_11comp_targetILNS1_3genE8ELNS1_11target_archE1030ELNS1_3gpuE2ELNS1_3repE0EEENS1_30default_config_static_selectorELNS0_4arch9wavefront6targetE0EEEvT1_,comdat
.Lfunc_end53:
	.size	_ZN7rocprim17ROCPRIM_400000_NS6detail17trampoline_kernelINS0_14default_configENS1_25transform_config_selectorImLb1EEEZNS1_14transform_implILb1ES3_S5_PmPiNS0_8identityIvEEEE10hipError_tT2_T3_mT4_P12ihipStream_tbEUlT_E_NS1_11comp_targetILNS1_3genE8ELNS1_11target_archE1030ELNS1_3gpuE2ELNS1_3repE0EEENS1_30default_config_static_selectorELNS0_4arch9wavefront6targetE0EEEvT1_, .Lfunc_end53-_ZN7rocprim17ROCPRIM_400000_NS6detail17trampoline_kernelINS0_14default_configENS1_25transform_config_selectorImLb1EEEZNS1_14transform_implILb1ES3_S5_PmPiNS0_8identityIvEEEE10hipError_tT2_T3_mT4_P12ihipStream_tbEUlT_E_NS1_11comp_targetILNS1_3genE8ELNS1_11target_archE1030ELNS1_3gpuE2ELNS1_3repE0EEENS1_30default_config_static_selectorELNS0_4arch9wavefront6targetE0EEEvT1_
                                        ; -- End function
	.section	.AMDGPU.csdata,"",@progbits
; Kernel info:
; codeLenInByte = 0
; NumSgprs: 0
; NumVgprs: 0
; ScratchSize: 0
; MemoryBound: 0
; FloatMode: 240
; IeeeMode: 1
; LDSByteSize: 0 bytes/workgroup (compile time only)
; SGPRBlocks: 0
; VGPRBlocks: 0
; NumSGPRsForWavesPerEU: 1
; NumVGPRsForWavesPerEU: 1
; Occupancy: 16
; WaveLimiterHint : 0
; COMPUTE_PGM_RSRC2:SCRATCH_EN: 0
; COMPUTE_PGM_RSRC2:USER_SGPR: 15
; COMPUTE_PGM_RSRC2:TRAP_HANDLER: 0
; COMPUTE_PGM_RSRC2:TGID_X_EN: 1
; COMPUTE_PGM_RSRC2:TGID_Y_EN: 0
; COMPUTE_PGM_RSRC2:TGID_Z_EN: 0
; COMPUTE_PGM_RSRC2:TIDIG_COMP_CNT: 0
	.section	.text._ZN7rocprim17ROCPRIM_400000_NS6detail31init_lookback_scan_state_kernelINS1_19lookback_scan_stateImLb1ELb1EEENS1_16block_id_wrapperIjLb1EEEEEvT_jT0_jPNS7_10value_typeE,"axG",@progbits,_ZN7rocprim17ROCPRIM_400000_NS6detail31init_lookback_scan_state_kernelINS1_19lookback_scan_stateImLb1ELb1EEENS1_16block_id_wrapperIjLb1EEEEEvT_jT0_jPNS7_10value_typeE,comdat
	.protected	_ZN7rocprim17ROCPRIM_400000_NS6detail31init_lookback_scan_state_kernelINS1_19lookback_scan_stateImLb1ELb1EEENS1_16block_id_wrapperIjLb1EEEEEvT_jT0_jPNS7_10value_typeE ; -- Begin function _ZN7rocprim17ROCPRIM_400000_NS6detail31init_lookback_scan_state_kernelINS1_19lookback_scan_stateImLb1ELb1EEENS1_16block_id_wrapperIjLb1EEEEEvT_jT0_jPNS7_10value_typeE
	.globl	_ZN7rocprim17ROCPRIM_400000_NS6detail31init_lookback_scan_state_kernelINS1_19lookback_scan_stateImLb1ELb1EEENS1_16block_id_wrapperIjLb1EEEEEvT_jT0_jPNS7_10value_typeE
	.p2align	8
	.type	_ZN7rocprim17ROCPRIM_400000_NS6detail31init_lookback_scan_state_kernelINS1_19lookback_scan_stateImLb1ELb1EEENS1_16block_id_wrapperIjLb1EEEEEvT_jT0_jPNS7_10value_typeE,@function
_ZN7rocprim17ROCPRIM_400000_NS6detail31init_lookback_scan_state_kernelINS1_19lookback_scan_stateImLb1ELb1EEENS1_16block_id_wrapperIjLb1EEEEEvT_jT0_jPNS7_10value_typeE: ; @_ZN7rocprim17ROCPRIM_400000_NS6detail31init_lookback_scan_state_kernelINS1_19lookback_scan_stateImLb1ELb1EEENS1_16block_id_wrapperIjLb1EEEEEvT_jT0_jPNS7_10value_typeE
; %bb.0:
	s_clause 0x3
	s_load_b32 s6, s[0:1], 0x34
	s_load_b64 s[4:5], s[0:1], 0x20
	s_load_b64 s[2:3], s[0:1], 0x0
	s_load_b32 s8, s[0:1], 0x8
	s_waitcnt lgkmcnt(0)
	s_and_b32 s6, s6, 0xffff
	s_cmp_eq_u64 s[4:5], 0
	v_mad_u64_u32 v[1:2], null, s15, s6, v[0:1]
	s_cbranch_scc1 .LBB54_10
; %bb.1:
	s_load_b32 s6, s[0:1], 0x18
	s_waitcnt lgkmcnt(0)
	s_cmp_lt_u32 s6, s8
	s_cselect_b32 s7, s6, 0
	s_delay_alu instid0(VALU_DEP_1) | instid1(SALU_CYCLE_1)
	v_cmp_eq_u32_e32 vcc_lo, s7, v1
	s_mov_b32 s7, 0
	s_and_saveexec_b32 s9, vcc_lo
	s_cbranch_execz .LBB54_9
; %bb.2:
	s_add_i32 s6, s6, 32
	s_mov_b32 s10, exec_lo
	s_lshl_b64 s[6:7], s[6:7], 4
	v_mov_b32_e32 v6, 0
	s_add_u32 s6, s2, s6
	s_addc_u32 s7, s3, s7
	s_delay_alu instid0(SALU_CYCLE_1) | instskip(SKIP_2) | instid1(VALU_DEP_1)
	v_dual_mov_b32 v2, s6 :: v_dual_mov_b32 v3, s7
	;;#ASMSTART
	global_load_dwordx4 v[2:5], v[2:3] off glc	
s_waitcnt vmcnt(0)
	;;#ASMEND
	v_and_b32_e32 v5, 0xff, v4
	v_cmpx_eq_u64_e32 0, v[5:6]
	s_cbranch_execz .LBB54_8
; %bb.3:
	v_dual_mov_b32 v8, s7 :: v_dual_mov_b32 v7, s6
	s_mov_b32 s7, 1
	s_mov_b32 s6, 0
	.p2align	6
.LBB54_4:                               ; =>This Loop Header: Depth=1
                                        ;     Child Loop BB54_5 Depth 2
	s_max_u32 s11, s7, 1
.LBB54_5:                               ;   Parent Loop BB54_4 Depth=1
                                        ; =>  This Inner Loop Header: Depth=2
	s_delay_alu instid0(SALU_CYCLE_1)
	s_add_i32 s11, s11, -1
	s_sleep 1
	s_cmp_eq_u32 s11, 0
	s_cbranch_scc0 .LBB54_5
; %bb.6:                                ;   in Loop: Header=BB54_4 Depth=1
	;;#ASMSTART
	global_load_dwordx4 v[2:5], v[7:8] off glc	
s_waitcnt vmcnt(0)
	;;#ASMEND
	v_and_b32_e32 v5, 0xff, v4
	s_cmp_lt_u32 s7, 32
	s_cselect_b32 s11, -1, 0
	s_delay_alu instid0(SALU_CYCLE_1) | instskip(NEXT) | instid1(VALU_DEP_1)
	s_cmp_lg_u32 s11, 0
	v_cmp_ne_u64_e32 vcc_lo, 0, v[5:6]
	s_addc_u32 s7, s7, 0
	s_or_b32 s6, vcc_lo, s6
	s_delay_alu instid0(SALU_CYCLE_1)
	s_and_not1_b32 exec_lo, exec_lo, s6
	s_cbranch_execnz .LBB54_4
; %bb.7:
	s_or_b32 exec_lo, exec_lo, s6
.LBB54_8:
	s_delay_alu instid0(SALU_CYCLE_1)
	s_or_b32 exec_lo, exec_lo, s10
	v_mov_b32_e32 v0, 0
	global_store_b64 v0, v[2:3], s[4:5]
.LBB54_9:
	s_or_b32 exec_lo, exec_lo, s9
.LBB54_10:
	s_delay_alu instid0(SALU_CYCLE_1) | instskip(NEXT) | instid1(VALU_DEP_1)
	s_mov_b32 s4, exec_lo
	v_cmpx_eq_u32_e32 0, v1
	s_cbranch_execz .LBB54_12
; %bb.11:
	s_load_b64 s[0:1], s[0:1], 0x10
	v_mov_b32_e32 v0, 0
	s_waitcnt lgkmcnt(0)
	global_store_b32 v0, v0, s[0:1]
.LBB54_12:
	s_or_b32 exec_lo, exec_lo, s4
	s_delay_alu instid0(SALU_CYCLE_1)
	s_mov_b32 s0, exec_lo
	v_cmpx_gt_u32_e64 s8, v1
	s_cbranch_execz .LBB54_14
; %bb.13:
	v_dual_mov_b32 v3, 0 :: v_dual_add_nc_u32 v2, 32, v1
	s_delay_alu instid0(VALU_DEP_1) | instskip(SKIP_2) | instid1(VALU_DEP_3)
	v_lshlrev_b64 v[5:6], 4, v[2:3]
	v_mov_b32_e32 v2, v3
	v_mov_b32_e32 v4, v3
	v_add_co_u32 v7, vcc_lo, s2, v5
	s_delay_alu instid0(VALU_DEP_4)
	v_add_co_ci_u32_e32 v8, vcc_lo, s3, v6, vcc_lo
	v_mov_b32_e32 v5, v3
	global_store_b128 v[7:8], v[2:5], off
.LBB54_14:
	s_or_b32 exec_lo, exec_lo, s0
	s_delay_alu instid0(SALU_CYCLE_1)
	s_mov_b32 s0, exec_lo
	v_cmpx_gt_u32_e32 32, v1
	s_cbranch_execz .LBB54_16
; %bb.15:
	v_dual_mov_b32 v2, 0 :: v_dual_mov_b32 v3, 0xff
	s_delay_alu instid0(VALU_DEP_1) | instskip(SKIP_1) | instid1(VALU_DEP_2)
	v_lshlrev_b64 v[4:5], 4, v[1:2]
	v_mov_b32_e32 v1, v2
	v_add_co_u32 v6, vcc_lo, s2, v4
	s_delay_alu instid0(VALU_DEP_3)
	v_add_co_ci_u32_e32 v7, vcc_lo, s3, v5, vcc_lo
	v_mov_b32_e32 v4, v2
	global_store_b128 v[6:7], v[1:4], off
.LBB54_16:
	s_nop 0
	s_sendmsg sendmsg(MSG_DEALLOC_VGPRS)
	s_endpgm
	.section	.rodata,"a",@progbits
	.p2align	6, 0x0
	.amdhsa_kernel _ZN7rocprim17ROCPRIM_400000_NS6detail31init_lookback_scan_state_kernelINS1_19lookback_scan_stateImLb1ELb1EEENS1_16block_id_wrapperIjLb1EEEEEvT_jT0_jPNS7_10value_typeE
		.amdhsa_group_segment_fixed_size 0
		.amdhsa_private_segment_fixed_size 0
		.amdhsa_kernarg_size 296
		.amdhsa_user_sgpr_count 15
		.amdhsa_user_sgpr_dispatch_ptr 0
		.amdhsa_user_sgpr_queue_ptr 0
		.amdhsa_user_sgpr_kernarg_segment_ptr 1
		.amdhsa_user_sgpr_dispatch_id 0
		.amdhsa_user_sgpr_private_segment_size 0
		.amdhsa_wavefront_size32 1
		.amdhsa_uses_dynamic_stack 0
		.amdhsa_enable_private_segment 0
		.amdhsa_system_sgpr_workgroup_id_x 1
		.amdhsa_system_sgpr_workgroup_id_y 0
		.amdhsa_system_sgpr_workgroup_id_z 0
		.amdhsa_system_sgpr_workgroup_info 0
		.amdhsa_system_vgpr_workitem_id 0
		.amdhsa_next_free_vgpr 9
		.amdhsa_next_free_sgpr 16
		.amdhsa_reserve_vcc 1
		.amdhsa_float_round_mode_32 0
		.amdhsa_float_round_mode_16_64 0
		.amdhsa_float_denorm_mode_32 3
		.amdhsa_float_denorm_mode_16_64 3
		.amdhsa_dx10_clamp 1
		.amdhsa_ieee_mode 1
		.amdhsa_fp16_overflow 0
		.amdhsa_workgroup_processor_mode 1
		.amdhsa_memory_ordered 1
		.amdhsa_forward_progress 0
		.amdhsa_shared_vgpr_count 0
		.amdhsa_exception_fp_ieee_invalid_op 0
		.amdhsa_exception_fp_denorm_src 0
		.amdhsa_exception_fp_ieee_div_zero 0
		.amdhsa_exception_fp_ieee_overflow 0
		.amdhsa_exception_fp_ieee_underflow 0
		.amdhsa_exception_fp_ieee_inexact 0
		.amdhsa_exception_int_div_zero 0
	.end_amdhsa_kernel
	.section	.text._ZN7rocprim17ROCPRIM_400000_NS6detail31init_lookback_scan_state_kernelINS1_19lookback_scan_stateImLb1ELb1EEENS1_16block_id_wrapperIjLb1EEEEEvT_jT0_jPNS7_10value_typeE,"axG",@progbits,_ZN7rocprim17ROCPRIM_400000_NS6detail31init_lookback_scan_state_kernelINS1_19lookback_scan_stateImLb1ELb1EEENS1_16block_id_wrapperIjLb1EEEEEvT_jT0_jPNS7_10value_typeE,comdat
.Lfunc_end54:
	.size	_ZN7rocprim17ROCPRIM_400000_NS6detail31init_lookback_scan_state_kernelINS1_19lookback_scan_stateImLb1ELb1EEENS1_16block_id_wrapperIjLb1EEEEEvT_jT0_jPNS7_10value_typeE, .Lfunc_end54-_ZN7rocprim17ROCPRIM_400000_NS6detail31init_lookback_scan_state_kernelINS1_19lookback_scan_stateImLb1ELb1EEENS1_16block_id_wrapperIjLb1EEEEEvT_jT0_jPNS7_10value_typeE
                                        ; -- End function
	.section	.AMDGPU.csdata,"",@progbits
; Kernel info:
; codeLenInByte = 560
; NumSgprs: 18
; NumVgprs: 9
; ScratchSize: 0
; MemoryBound: 0
; FloatMode: 240
; IeeeMode: 1
; LDSByteSize: 0 bytes/workgroup (compile time only)
; SGPRBlocks: 2
; VGPRBlocks: 1
; NumSGPRsForWavesPerEU: 18
; NumVGPRsForWavesPerEU: 9
; Occupancy: 16
; WaveLimiterHint : 0
; COMPUTE_PGM_RSRC2:SCRATCH_EN: 0
; COMPUTE_PGM_RSRC2:USER_SGPR: 15
; COMPUTE_PGM_RSRC2:TRAP_HANDLER: 0
; COMPUTE_PGM_RSRC2:TGID_X_EN: 1
; COMPUTE_PGM_RSRC2:TGID_Y_EN: 0
; COMPUTE_PGM_RSRC2:TGID_Z_EN: 0
; COMPUTE_PGM_RSRC2:TIDIG_COMP_CNT: 0
	.section	.text._ZN7rocprim17ROCPRIM_400000_NS6detail17trampoline_kernelINS0_14default_configENS1_25partition_config_selectorILNS1_17partition_subalgoE5ElNS0_10empty_typeEbEEZZNS1_14partition_implILS5_5ELb0ES3_mN6hipcub16HIPCUB_304000_NS21CountingInputIteratorIllEEPS6_NSA_22TransformInputIteratorIbN2at6native12_GLOBAL__N_19NonZeroOpIhEEPKhlEENS0_5tupleIJPlS6_EEENSN_IJSD_SD_EEES6_PiJS6_EEE10hipError_tPvRmT3_T4_T5_T6_T7_T9_mT8_P12ihipStream_tbDpT10_ENKUlT_T0_E_clISt17integral_constantIbLb1EES1B_EEDaS16_S17_EUlS16_E_NS1_11comp_targetILNS1_3genE0ELNS1_11target_archE4294967295ELNS1_3gpuE0ELNS1_3repE0EEENS1_30default_config_static_selectorELNS0_4arch9wavefront6targetE0EEEvT1_,"axG",@progbits,_ZN7rocprim17ROCPRIM_400000_NS6detail17trampoline_kernelINS0_14default_configENS1_25partition_config_selectorILNS1_17partition_subalgoE5ElNS0_10empty_typeEbEEZZNS1_14partition_implILS5_5ELb0ES3_mN6hipcub16HIPCUB_304000_NS21CountingInputIteratorIllEEPS6_NSA_22TransformInputIteratorIbN2at6native12_GLOBAL__N_19NonZeroOpIhEEPKhlEENS0_5tupleIJPlS6_EEENSN_IJSD_SD_EEES6_PiJS6_EEE10hipError_tPvRmT3_T4_T5_T6_T7_T9_mT8_P12ihipStream_tbDpT10_ENKUlT_T0_E_clISt17integral_constantIbLb1EES1B_EEDaS16_S17_EUlS16_E_NS1_11comp_targetILNS1_3genE0ELNS1_11target_archE4294967295ELNS1_3gpuE0ELNS1_3repE0EEENS1_30default_config_static_selectorELNS0_4arch9wavefront6targetE0EEEvT1_,comdat
	.globl	_ZN7rocprim17ROCPRIM_400000_NS6detail17trampoline_kernelINS0_14default_configENS1_25partition_config_selectorILNS1_17partition_subalgoE5ElNS0_10empty_typeEbEEZZNS1_14partition_implILS5_5ELb0ES3_mN6hipcub16HIPCUB_304000_NS21CountingInputIteratorIllEEPS6_NSA_22TransformInputIteratorIbN2at6native12_GLOBAL__N_19NonZeroOpIhEEPKhlEENS0_5tupleIJPlS6_EEENSN_IJSD_SD_EEES6_PiJS6_EEE10hipError_tPvRmT3_T4_T5_T6_T7_T9_mT8_P12ihipStream_tbDpT10_ENKUlT_T0_E_clISt17integral_constantIbLb1EES1B_EEDaS16_S17_EUlS16_E_NS1_11comp_targetILNS1_3genE0ELNS1_11target_archE4294967295ELNS1_3gpuE0ELNS1_3repE0EEENS1_30default_config_static_selectorELNS0_4arch9wavefront6targetE0EEEvT1_ ; -- Begin function _ZN7rocprim17ROCPRIM_400000_NS6detail17trampoline_kernelINS0_14default_configENS1_25partition_config_selectorILNS1_17partition_subalgoE5ElNS0_10empty_typeEbEEZZNS1_14partition_implILS5_5ELb0ES3_mN6hipcub16HIPCUB_304000_NS21CountingInputIteratorIllEEPS6_NSA_22TransformInputIteratorIbN2at6native12_GLOBAL__N_19NonZeroOpIhEEPKhlEENS0_5tupleIJPlS6_EEENSN_IJSD_SD_EEES6_PiJS6_EEE10hipError_tPvRmT3_T4_T5_T6_T7_T9_mT8_P12ihipStream_tbDpT10_ENKUlT_T0_E_clISt17integral_constantIbLb1EES1B_EEDaS16_S17_EUlS16_E_NS1_11comp_targetILNS1_3genE0ELNS1_11target_archE4294967295ELNS1_3gpuE0ELNS1_3repE0EEENS1_30default_config_static_selectorELNS0_4arch9wavefront6targetE0EEEvT1_
	.p2align	8
	.type	_ZN7rocprim17ROCPRIM_400000_NS6detail17trampoline_kernelINS0_14default_configENS1_25partition_config_selectorILNS1_17partition_subalgoE5ElNS0_10empty_typeEbEEZZNS1_14partition_implILS5_5ELb0ES3_mN6hipcub16HIPCUB_304000_NS21CountingInputIteratorIllEEPS6_NSA_22TransformInputIteratorIbN2at6native12_GLOBAL__N_19NonZeroOpIhEEPKhlEENS0_5tupleIJPlS6_EEENSN_IJSD_SD_EEES6_PiJS6_EEE10hipError_tPvRmT3_T4_T5_T6_T7_T9_mT8_P12ihipStream_tbDpT10_ENKUlT_T0_E_clISt17integral_constantIbLb1EES1B_EEDaS16_S17_EUlS16_E_NS1_11comp_targetILNS1_3genE0ELNS1_11target_archE4294967295ELNS1_3gpuE0ELNS1_3repE0EEENS1_30default_config_static_selectorELNS0_4arch9wavefront6targetE0EEEvT1_,@function
_ZN7rocprim17ROCPRIM_400000_NS6detail17trampoline_kernelINS0_14default_configENS1_25partition_config_selectorILNS1_17partition_subalgoE5ElNS0_10empty_typeEbEEZZNS1_14partition_implILS5_5ELb0ES3_mN6hipcub16HIPCUB_304000_NS21CountingInputIteratorIllEEPS6_NSA_22TransformInputIteratorIbN2at6native12_GLOBAL__N_19NonZeroOpIhEEPKhlEENS0_5tupleIJPlS6_EEENSN_IJSD_SD_EEES6_PiJS6_EEE10hipError_tPvRmT3_T4_T5_T6_T7_T9_mT8_P12ihipStream_tbDpT10_ENKUlT_T0_E_clISt17integral_constantIbLb1EES1B_EEDaS16_S17_EUlS16_E_NS1_11comp_targetILNS1_3genE0ELNS1_11target_archE4294967295ELNS1_3gpuE0ELNS1_3repE0EEENS1_30default_config_static_selectorELNS0_4arch9wavefront6targetE0EEEvT1_: ; @_ZN7rocprim17ROCPRIM_400000_NS6detail17trampoline_kernelINS0_14default_configENS1_25partition_config_selectorILNS1_17partition_subalgoE5ElNS0_10empty_typeEbEEZZNS1_14partition_implILS5_5ELb0ES3_mN6hipcub16HIPCUB_304000_NS21CountingInputIteratorIllEEPS6_NSA_22TransformInputIteratorIbN2at6native12_GLOBAL__N_19NonZeroOpIhEEPKhlEENS0_5tupleIJPlS6_EEENSN_IJSD_SD_EEES6_PiJS6_EEE10hipError_tPvRmT3_T4_T5_T6_T7_T9_mT8_P12ihipStream_tbDpT10_ENKUlT_T0_E_clISt17integral_constantIbLb1EES1B_EEDaS16_S17_EUlS16_E_NS1_11comp_targetILNS1_3genE0ELNS1_11target_archE4294967295ELNS1_3gpuE0ELNS1_3repE0EEENS1_30default_config_static_selectorELNS0_4arch9wavefront6targetE0EEEvT1_
; %bb.0:
	.section	.rodata,"a",@progbits
	.p2align	6, 0x0
	.amdhsa_kernel _ZN7rocprim17ROCPRIM_400000_NS6detail17trampoline_kernelINS0_14default_configENS1_25partition_config_selectorILNS1_17partition_subalgoE5ElNS0_10empty_typeEbEEZZNS1_14partition_implILS5_5ELb0ES3_mN6hipcub16HIPCUB_304000_NS21CountingInputIteratorIllEEPS6_NSA_22TransformInputIteratorIbN2at6native12_GLOBAL__N_19NonZeroOpIhEEPKhlEENS0_5tupleIJPlS6_EEENSN_IJSD_SD_EEES6_PiJS6_EEE10hipError_tPvRmT3_T4_T5_T6_T7_T9_mT8_P12ihipStream_tbDpT10_ENKUlT_T0_E_clISt17integral_constantIbLb1EES1B_EEDaS16_S17_EUlS16_E_NS1_11comp_targetILNS1_3genE0ELNS1_11target_archE4294967295ELNS1_3gpuE0ELNS1_3repE0EEENS1_30default_config_static_selectorELNS0_4arch9wavefront6targetE0EEEvT1_
		.amdhsa_group_segment_fixed_size 0
		.amdhsa_private_segment_fixed_size 0
		.amdhsa_kernarg_size 136
		.amdhsa_user_sgpr_count 15
		.amdhsa_user_sgpr_dispatch_ptr 0
		.amdhsa_user_sgpr_queue_ptr 0
		.amdhsa_user_sgpr_kernarg_segment_ptr 1
		.amdhsa_user_sgpr_dispatch_id 0
		.amdhsa_user_sgpr_private_segment_size 0
		.amdhsa_wavefront_size32 1
		.amdhsa_uses_dynamic_stack 0
		.amdhsa_enable_private_segment 0
		.amdhsa_system_sgpr_workgroup_id_x 1
		.amdhsa_system_sgpr_workgroup_id_y 0
		.amdhsa_system_sgpr_workgroup_id_z 0
		.amdhsa_system_sgpr_workgroup_info 0
		.amdhsa_system_vgpr_workitem_id 0
		.amdhsa_next_free_vgpr 1
		.amdhsa_next_free_sgpr 1
		.amdhsa_reserve_vcc 0
		.amdhsa_float_round_mode_32 0
		.amdhsa_float_round_mode_16_64 0
		.amdhsa_float_denorm_mode_32 3
		.amdhsa_float_denorm_mode_16_64 3
		.amdhsa_dx10_clamp 1
		.amdhsa_ieee_mode 1
		.amdhsa_fp16_overflow 0
		.amdhsa_workgroup_processor_mode 1
		.amdhsa_memory_ordered 1
		.amdhsa_forward_progress 0
		.amdhsa_shared_vgpr_count 0
		.amdhsa_exception_fp_ieee_invalid_op 0
		.amdhsa_exception_fp_denorm_src 0
		.amdhsa_exception_fp_ieee_div_zero 0
		.amdhsa_exception_fp_ieee_overflow 0
		.amdhsa_exception_fp_ieee_underflow 0
		.amdhsa_exception_fp_ieee_inexact 0
		.amdhsa_exception_int_div_zero 0
	.end_amdhsa_kernel
	.section	.text._ZN7rocprim17ROCPRIM_400000_NS6detail17trampoline_kernelINS0_14default_configENS1_25partition_config_selectorILNS1_17partition_subalgoE5ElNS0_10empty_typeEbEEZZNS1_14partition_implILS5_5ELb0ES3_mN6hipcub16HIPCUB_304000_NS21CountingInputIteratorIllEEPS6_NSA_22TransformInputIteratorIbN2at6native12_GLOBAL__N_19NonZeroOpIhEEPKhlEENS0_5tupleIJPlS6_EEENSN_IJSD_SD_EEES6_PiJS6_EEE10hipError_tPvRmT3_T4_T5_T6_T7_T9_mT8_P12ihipStream_tbDpT10_ENKUlT_T0_E_clISt17integral_constantIbLb1EES1B_EEDaS16_S17_EUlS16_E_NS1_11comp_targetILNS1_3genE0ELNS1_11target_archE4294967295ELNS1_3gpuE0ELNS1_3repE0EEENS1_30default_config_static_selectorELNS0_4arch9wavefront6targetE0EEEvT1_,"axG",@progbits,_ZN7rocprim17ROCPRIM_400000_NS6detail17trampoline_kernelINS0_14default_configENS1_25partition_config_selectorILNS1_17partition_subalgoE5ElNS0_10empty_typeEbEEZZNS1_14partition_implILS5_5ELb0ES3_mN6hipcub16HIPCUB_304000_NS21CountingInputIteratorIllEEPS6_NSA_22TransformInputIteratorIbN2at6native12_GLOBAL__N_19NonZeroOpIhEEPKhlEENS0_5tupleIJPlS6_EEENSN_IJSD_SD_EEES6_PiJS6_EEE10hipError_tPvRmT3_T4_T5_T6_T7_T9_mT8_P12ihipStream_tbDpT10_ENKUlT_T0_E_clISt17integral_constantIbLb1EES1B_EEDaS16_S17_EUlS16_E_NS1_11comp_targetILNS1_3genE0ELNS1_11target_archE4294967295ELNS1_3gpuE0ELNS1_3repE0EEENS1_30default_config_static_selectorELNS0_4arch9wavefront6targetE0EEEvT1_,comdat
.Lfunc_end55:
	.size	_ZN7rocprim17ROCPRIM_400000_NS6detail17trampoline_kernelINS0_14default_configENS1_25partition_config_selectorILNS1_17partition_subalgoE5ElNS0_10empty_typeEbEEZZNS1_14partition_implILS5_5ELb0ES3_mN6hipcub16HIPCUB_304000_NS21CountingInputIteratorIllEEPS6_NSA_22TransformInputIteratorIbN2at6native12_GLOBAL__N_19NonZeroOpIhEEPKhlEENS0_5tupleIJPlS6_EEENSN_IJSD_SD_EEES6_PiJS6_EEE10hipError_tPvRmT3_T4_T5_T6_T7_T9_mT8_P12ihipStream_tbDpT10_ENKUlT_T0_E_clISt17integral_constantIbLb1EES1B_EEDaS16_S17_EUlS16_E_NS1_11comp_targetILNS1_3genE0ELNS1_11target_archE4294967295ELNS1_3gpuE0ELNS1_3repE0EEENS1_30default_config_static_selectorELNS0_4arch9wavefront6targetE0EEEvT1_, .Lfunc_end55-_ZN7rocprim17ROCPRIM_400000_NS6detail17trampoline_kernelINS0_14default_configENS1_25partition_config_selectorILNS1_17partition_subalgoE5ElNS0_10empty_typeEbEEZZNS1_14partition_implILS5_5ELb0ES3_mN6hipcub16HIPCUB_304000_NS21CountingInputIteratorIllEEPS6_NSA_22TransformInputIteratorIbN2at6native12_GLOBAL__N_19NonZeroOpIhEEPKhlEENS0_5tupleIJPlS6_EEENSN_IJSD_SD_EEES6_PiJS6_EEE10hipError_tPvRmT3_T4_T5_T6_T7_T9_mT8_P12ihipStream_tbDpT10_ENKUlT_T0_E_clISt17integral_constantIbLb1EES1B_EEDaS16_S17_EUlS16_E_NS1_11comp_targetILNS1_3genE0ELNS1_11target_archE4294967295ELNS1_3gpuE0ELNS1_3repE0EEENS1_30default_config_static_selectorELNS0_4arch9wavefront6targetE0EEEvT1_
                                        ; -- End function
	.section	.AMDGPU.csdata,"",@progbits
; Kernel info:
; codeLenInByte = 0
; NumSgprs: 0
; NumVgprs: 0
; ScratchSize: 0
; MemoryBound: 0
; FloatMode: 240
; IeeeMode: 1
; LDSByteSize: 0 bytes/workgroup (compile time only)
; SGPRBlocks: 0
; VGPRBlocks: 0
; NumSGPRsForWavesPerEU: 1
; NumVGPRsForWavesPerEU: 1
; Occupancy: 16
; WaveLimiterHint : 0
; COMPUTE_PGM_RSRC2:SCRATCH_EN: 0
; COMPUTE_PGM_RSRC2:USER_SGPR: 15
; COMPUTE_PGM_RSRC2:TRAP_HANDLER: 0
; COMPUTE_PGM_RSRC2:TGID_X_EN: 1
; COMPUTE_PGM_RSRC2:TGID_Y_EN: 0
; COMPUTE_PGM_RSRC2:TGID_Z_EN: 0
; COMPUTE_PGM_RSRC2:TIDIG_COMP_CNT: 0
	.section	.text._ZN7rocprim17ROCPRIM_400000_NS6detail17trampoline_kernelINS0_14default_configENS1_25partition_config_selectorILNS1_17partition_subalgoE5ElNS0_10empty_typeEbEEZZNS1_14partition_implILS5_5ELb0ES3_mN6hipcub16HIPCUB_304000_NS21CountingInputIteratorIllEEPS6_NSA_22TransformInputIteratorIbN2at6native12_GLOBAL__N_19NonZeroOpIhEEPKhlEENS0_5tupleIJPlS6_EEENSN_IJSD_SD_EEES6_PiJS6_EEE10hipError_tPvRmT3_T4_T5_T6_T7_T9_mT8_P12ihipStream_tbDpT10_ENKUlT_T0_E_clISt17integral_constantIbLb1EES1B_EEDaS16_S17_EUlS16_E_NS1_11comp_targetILNS1_3genE5ELNS1_11target_archE942ELNS1_3gpuE9ELNS1_3repE0EEENS1_30default_config_static_selectorELNS0_4arch9wavefront6targetE0EEEvT1_,"axG",@progbits,_ZN7rocprim17ROCPRIM_400000_NS6detail17trampoline_kernelINS0_14default_configENS1_25partition_config_selectorILNS1_17partition_subalgoE5ElNS0_10empty_typeEbEEZZNS1_14partition_implILS5_5ELb0ES3_mN6hipcub16HIPCUB_304000_NS21CountingInputIteratorIllEEPS6_NSA_22TransformInputIteratorIbN2at6native12_GLOBAL__N_19NonZeroOpIhEEPKhlEENS0_5tupleIJPlS6_EEENSN_IJSD_SD_EEES6_PiJS6_EEE10hipError_tPvRmT3_T4_T5_T6_T7_T9_mT8_P12ihipStream_tbDpT10_ENKUlT_T0_E_clISt17integral_constantIbLb1EES1B_EEDaS16_S17_EUlS16_E_NS1_11comp_targetILNS1_3genE5ELNS1_11target_archE942ELNS1_3gpuE9ELNS1_3repE0EEENS1_30default_config_static_selectorELNS0_4arch9wavefront6targetE0EEEvT1_,comdat
	.globl	_ZN7rocprim17ROCPRIM_400000_NS6detail17trampoline_kernelINS0_14default_configENS1_25partition_config_selectorILNS1_17partition_subalgoE5ElNS0_10empty_typeEbEEZZNS1_14partition_implILS5_5ELb0ES3_mN6hipcub16HIPCUB_304000_NS21CountingInputIteratorIllEEPS6_NSA_22TransformInputIteratorIbN2at6native12_GLOBAL__N_19NonZeroOpIhEEPKhlEENS0_5tupleIJPlS6_EEENSN_IJSD_SD_EEES6_PiJS6_EEE10hipError_tPvRmT3_T4_T5_T6_T7_T9_mT8_P12ihipStream_tbDpT10_ENKUlT_T0_E_clISt17integral_constantIbLb1EES1B_EEDaS16_S17_EUlS16_E_NS1_11comp_targetILNS1_3genE5ELNS1_11target_archE942ELNS1_3gpuE9ELNS1_3repE0EEENS1_30default_config_static_selectorELNS0_4arch9wavefront6targetE0EEEvT1_ ; -- Begin function _ZN7rocprim17ROCPRIM_400000_NS6detail17trampoline_kernelINS0_14default_configENS1_25partition_config_selectorILNS1_17partition_subalgoE5ElNS0_10empty_typeEbEEZZNS1_14partition_implILS5_5ELb0ES3_mN6hipcub16HIPCUB_304000_NS21CountingInputIteratorIllEEPS6_NSA_22TransformInputIteratorIbN2at6native12_GLOBAL__N_19NonZeroOpIhEEPKhlEENS0_5tupleIJPlS6_EEENSN_IJSD_SD_EEES6_PiJS6_EEE10hipError_tPvRmT3_T4_T5_T6_T7_T9_mT8_P12ihipStream_tbDpT10_ENKUlT_T0_E_clISt17integral_constantIbLb1EES1B_EEDaS16_S17_EUlS16_E_NS1_11comp_targetILNS1_3genE5ELNS1_11target_archE942ELNS1_3gpuE9ELNS1_3repE0EEENS1_30default_config_static_selectorELNS0_4arch9wavefront6targetE0EEEvT1_
	.p2align	8
	.type	_ZN7rocprim17ROCPRIM_400000_NS6detail17trampoline_kernelINS0_14default_configENS1_25partition_config_selectorILNS1_17partition_subalgoE5ElNS0_10empty_typeEbEEZZNS1_14partition_implILS5_5ELb0ES3_mN6hipcub16HIPCUB_304000_NS21CountingInputIteratorIllEEPS6_NSA_22TransformInputIteratorIbN2at6native12_GLOBAL__N_19NonZeroOpIhEEPKhlEENS0_5tupleIJPlS6_EEENSN_IJSD_SD_EEES6_PiJS6_EEE10hipError_tPvRmT3_T4_T5_T6_T7_T9_mT8_P12ihipStream_tbDpT10_ENKUlT_T0_E_clISt17integral_constantIbLb1EES1B_EEDaS16_S17_EUlS16_E_NS1_11comp_targetILNS1_3genE5ELNS1_11target_archE942ELNS1_3gpuE9ELNS1_3repE0EEENS1_30default_config_static_selectorELNS0_4arch9wavefront6targetE0EEEvT1_,@function
_ZN7rocprim17ROCPRIM_400000_NS6detail17trampoline_kernelINS0_14default_configENS1_25partition_config_selectorILNS1_17partition_subalgoE5ElNS0_10empty_typeEbEEZZNS1_14partition_implILS5_5ELb0ES3_mN6hipcub16HIPCUB_304000_NS21CountingInputIteratorIllEEPS6_NSA_22TransformInputIteratorIbN2at6native12_GLOBAL__N_19NonZeroOpIhEEPKhlEENS0_5tupleIJPlS6_EEENSN_IJSD_SD_EEES6_PiJS6_EEE10hipError_tPvRmT3_T4_T5_T6_T7_T9_mT8_P12ihipStream_tbDpT10_ENKUlT_T0_E_clISt17integral_constantIbLb1EES1B_EEDaS16_S17_EUlS16_E_NS1_11comp_targetILNS1_3genE5ELNS1_11target_archE942ELNS1_3gpuE9ELNS1_3repE0EEENS1_30default_config_static_selectorELNS0_4arch9wavefront6targetE0EEEvT1_: ; @_ZN7rocprim17ROCPRIM_400000_NS6detail17trampoline_kernelINS0_14default_configENS1_25partition_config_selectorILNS1_17partition_subalgoE5ElNS0_10empty_typeEbEEZZNS1_14partition_implILS5_5ELb0ES3_mN6hipcub16HIPCUB_304000_NS21CountingInputIteratorIllEEPS6_NSA_22TransformInputIteratorIbN2at6native12_GLOBAL__N_19NonZeroOpIhEEPKhlEENS0_5tupleIJPlS6_EEENSN_IJSD_SD_EEES6_PiJS6_EEE10hipError_tPvRmT3_T4_T5_T6_T7_T9_mT8_P12ihipStream_tbDpT10_ENKUlT_T0_E_clISt17integral_constantIbLb1EES1B_EEDaS16_S17_EUlS16_E_NS1_11comp_targetILNS1_3genE5ELNS1_11target_archE942ELNS1_3gpuE9ELNS1_3repE0EEENS1_30default_config_static_selectorELNS0_4arch9wavefront6targetE0EEEvT1_
; %bb.0:
	.section	.rodata,"a",@progbits
	.p2align	6, 0x0
	.amdhsa_kernel _ZN7rocprim17ROCPRIM_400000_NS6detail17trampoline_kernelINS0_14default_configENS1_25partition_config_selectorILNS1_17partition_subalgoE5ElNS0_10empty_typeEbEEZZNS1_14partition_implILS5_5ELb0ES3_mN6hipcub16HIPCUB_304000_NS21CountingInputIteratorIllEEPS6_NSA_22TransformInputIteratorIbN2at6native12_GLOBAL__N_19NonZeroOpIhEEPKhlEENS0_5tupleIJPlS6_EEENSN_IJSD_SD_EEES6_PiJS6_EEE10hipError_tPvRmT3_T4_T5_T6_T7_T9_mT8_P12ihipStream_tbDpT10_ENKUlT_T0_E_clISt17integral_constantIbLb1EES1B_EEDaS16_S17_EUlS16_E_NS1_11comp_targetILNS1_3genE5ELNS1_11target_archE942ELNS1_3gpuE9ELNS1_3repE0EEENS1_30default_config_static_selectorELNS0_4arch9wavefront6targetE0EEEvT1_
		.amdhsa_group_segment_fixed_size 0
		.amdhsa_private_segment_fixed_size 0
		.amdhsa_kernarg_size 136
		.amdhsa_user_sgpr_count 15
		.amdhsa_user_sgpr_dispatch_ptr 0
		.amdhsa_user_sgpr_queue_ptr 0
		.amdhsa_user_sgpr_kernarg_segment_ptr 1
		.amdhsa_user_sgpr_dispatch_id 0
		.amdhsa_user_sgpr_private_segment_size 0
		.amdhsa_wavefront_size32 1
		.amdhsa_uses_dynamic_stack 0
		.amdhsa_enable_private_segment 0
		.amdhsa_system_sgpr_workgroup_id_x 1
		.amdhsa_system_sgpr_workgroup_id_y 0
		.amdhsa_system_sgpr_workgroup_id_z 0
		.amdhsa_system_sgpr_workgroup_info 0
		.amdhsa_system_vgpr_workitem_id 0
		.amdhsa_next_free_vgpr 1
		.amdhsa_next_free_sgpr 1
		.amdhsa_reserve_vcc 0
		.amdhsa_float_round_mode_32 0
		.amdhsa_float_round_mode_16_64 0
		.amdhsa_float_denorm_mode_32 3
		.amdhsa_float_denorm_mode_16_64 3
		.amdhsa_dx10_clamp 1
		.amdhsa_ieee_mode 1
		.amdhsa_fp16_overflow 0
		.amdhsa_workgroup_processor_mode 1
		.amdhsa_memory_ordered 1
		.amdhsa_forward_progress 0
		.amdhsa_shared_vgpr_count 0
		.amdhsa_exception_fp_ieee_invalid_op 0
		.amdhsa_exception_fp_denorm_src 0
		.amdhsa_exception_fp_ieee_div_zero 0
		.amdhsa_exception_fp_ieee_overflow 0
		.amdhsa_exception_fp_ieee_underflow 0
		.amdhsa_exception_fp_ieee_inexact 0
		.amdhsa_exception_int_div_zero 0
	.end_amdhsa_kernel
	.section	.text._ZN7rocprim17ROCPRIM_400000_NS6detail17trampoline_kernelINS0_14default_configENS1_25partition_config_selectorILNS1_17partition_subalgoE5ElNS0_10empty_typeEbEEZZNS1_14partition_implILS5_5ELb0ES3_mN6hipcub16HIPCUB_304000_NS21CountingInputIteratorIllEEPS6_NSA_22TransformInputIteratorIbN2at6native12_GLOBAL__N_19NonZeroOpIhEEPKhlEENS0_5tupleIJPlS6_EEENSN_IJSD_SD_EEES6_PiJS6_EEE10hipError_tPvRmT3_T4_T5_T6_T7_T9_mT8_P12ihipStream_tbDpT10_ENKUlT_T0_E_clISt17integral_constantIbLb1EES1B_EEDaS16_S17_EUlS16_E_NS1_11comp_targetILNS1_3genE5ELNS1_11target_archE942ELNS1_3gpuE9ELNS1_3repE0EEENS1_30default_config_static_selectorELNS0_4arch9wavefront6targetE0EEEvT1_,"axG",@progbits,_ZN7rocprim17ROCPRIM_400000_NS6detail17trampoline_kernelINS0_14default_configENS1_25partition_config_selectorILNS1_17partition_subalgoE5ElNS0_10empty_typeEbEEZZNS1_14partition_implILS5_5ELb0ES3_mN6hipcub16HIPCUB_304000_NS21CountingInputIteratorIllEEPS6_NSA_22TransformInputIteratorIbN2at6native12_GLOBAL__N_19NonZeroOpIhEEPKhlEENS0_5tupleIJPlS6_EEENSN_IJSD_SD_EEES6_PiJS6_EEE10hipError_tPvRmT3_T4_T5_T6_T7_T9_mT8_P12ihipStream_tbDpT10_ENKUlT_T0_E_clISt17integral_constantIbLb1EES1B_EEDaS16_S17_EUlS16_E_NS1_11comp_targetILNS1_3genE5ELNS1_11target_archE942ELNS1_3gpuE9ELNS1_3repE0EEENS1_30default_config_static_selectorELNS0_4arch9wavefront6targetE0EEEvT1_,comdat
.Lfunc_end56:
	.size	_ZN7rocprim17ROCPRIM_400000_NS6detail17trampoline_kernelINS0_14default_configENS1_25partition_config_selectorILNS1_17partition_subalgoE5ElNS0_10empty_typeEbEEZZNS1_14partition_implILS5_5ELb0ES3_mN6hipcub16HIPCUB_304000_NS21CountingInputIteratorIllEEPS6_NSA_22TransformInputIteratorIbN2at6native12_GLOBAL__N_19NonZeroOpIhEEPKhlEENS0_5tupleIJPlS6_EEENSN_IJSD_SD_EEES6_PiJS6_EEE10hipError_tPvRmT3_T4_T5_T6_T7_T9_mT8_P12ihipStream_tbDpT10_ENKUlT_T0_E_clISt17integral_constantIbLb1EES1B_EEDaS16_S17_EUlS16_E_NS1_11comp_targetILNS1_3genE5ELNS1_11target_archE942ELNS1_3gpuE9ELNS1_3repE0EEENS1_30default_config_static_selectorELNS0_4arch9wavefront6targetE0EEEvT1_, .Lfunc_end56-_ZN7rocprim17ROCPRIM_400000_NS6detail17trampoline_kernelINS0_14default_configENS1_25partition_config_selectorILNS1_17partition_subalgoE5ElNS0_10empty_typeEbEEZZNS1_14partition_implILS5_5ELb0ES3_mN6hipcub16HIPCUB_304000_NS21CountingInputIteratorIllEEPS6_NSA_22TransformInputIteratorIbN2at6native12_GLOBAL__N_19NonZeroOpIhEEPKhlEENS0_5tupleIJPlS6_EEENSN_IJSD_SD_EEES6_PiJS6_EEE10hipError_tPvRmT3_T4_T5_T6_T7_T9_mT8_P12ihipStream_tbDpT10_ENKUlT_T0_E_clISt17integral_constantIbLb1EES1B_EEDaS16_S17_EUlS16_E_NS1_11comp_targetILNS1_3genE5ELNS1_11target_archE942ELNS1_3gpuE9ELNS1_3repE0EEENS1_30default_config_static_selectorELNS0_4arch9wavefront6targetE0EEEvT1_
                                        ; -- End function
	.section	.AMDGPU.csdata,"",@progbits
; Kernel info:
; codeLenInByte = 0
; NumSgprs: 0
; NumVgprs: 0
; ScratchSize: 0
; MemoryBound: 0
; FloatMode: 240
; IeeeMode: 1
; LDSByteSize: 0 bytes/workgroup (compile time only)
; SGPRBlocks: 0
; VGPRBlocks: 0
; NumSGPRsForWavesPerEU: 1
; NumVGPRsForWavesPerEU: 1
; Occupancy: 16
; WaveLimiterHint : 0
; COMPUTE_PGM_RSRC2:SCRATCH_EN: 0
; COMPUTE_PGM_RSRC2:USER_SGPR: 15
; COMPUTE_PGM_RSRC2:TRAP_HANDLER: 0
; COMPUTE_PGM_RSRC2:TGID_X_EN: 1
; COMPUTE_PGM_RSRC2:TGID_Y_EN: 0
; COMPUTE_PGM_RSRC2:TGID_Z_EN: 0
; COMPUTE_PGM_RSRC2:TIDIG_COMP_CNT: 0
	.section	.text._ZN7rocprim17ROCPRIM_400000_NS6detail17trampoline_kernelINS0_14default_configENS1_25partition_config_selectorILNS1_17partition_subalgoE5ElNS0_10empty_typeEbEEZZNS1_14partition_implILS5_5ELb0ES3_mN6hipcub16HIPCUB_304000_NS21CountingInputIteratorIllEEPS6_NSA_22TransformInputIteratorIbN2at6native12_GLOBAL__N_19NonZeroOpIhEEPKhlEENS0_5tupleIJPlS6_EEENSN_IJSD_SD_EEES6_PiJS6_EEE10hipError_tPvRmT3_T4_T5_T6_T7_T9_mT8_P12ihipStream_tbDpT10_ENKUlT_T0_E_clISt17integral_constantIbLb1EES1B_EEDaS16_S17_EUlS16_E_NS1_11comp_targetILNS1_3genE4ELNS1_11target_archE910ELNS1_3gpuE8ELNS1_3repE0EEENS1_30default_config_static_selectorELNS0_4arch9wavefront6targetE0EEEvT1_,"axG",@progbits,_ZN7rocprim17ROCPRIM_400000_NS6detail17trampoline_kernelINS0_14default_configENS1_25partition_config_selectorILNS1_17partition_subalgoE5ElNS0_10empty_typeEbEEZZNS1_14partition_implILS5_5ELb0ES3_mN6hipcub16HIPCUB_304000_NS21CountingInputIteratorIllEEPS6_NSA_22TransformInputIteratorIbN2at6native12_GLOBAL__N_19NonZeroOpIhEEPKhlEENS0_5tupleIJPlS6_EEENSN_IJSD_SD_EEES6_PiJS6_EEE10hipError_tPvRmT3_T4_T5_T6_T7_T9_mT8_P12ihipStream_tbDpT10_ENKUlT_T0_E_clISt17integral_constantIbLb1EES1B_EEDaS16_S17_EUlS16_E_NS1_11comp_targetILNS1_3genE4ELNS1_11target_archE910ELNS1_3gpuE8ELNS1_3repE0EEENS1_30default_config_static_selectorELNS0_4arch9wavefront6targetE0EEEvT1_,comdat
	.globl	_ZN7rocprim17ROCPRIM_400000_NS6detail17trampoline_kernelINS0_14default_configENS1_25partition_config_selectorILNS1_17partition_subalgoE5ElNS0_10empty_typeEbEEZZNS1_14partition_implILS5_5ELb0ES3_mN6hipcub16HIPCUB_304000_NS21CountingInputIteratorIllEEPS6_NSA_22TransformInputIteratorIbN2at6native12_GLOBAL__N_19NonZeroOpIhEEPKhlEENS0_5tupleIJPlS6_EEENSN_IJSD_SD_EEES6_PiJS6_EEE10hipError_tPvRmT3_T4_T5_T6_T7_T9_mT8_P12ihipStream_tbDpT10_ENKUlT_T0_E_clISt17integral_constantIbLb1EES1B_EEDaS16_S17_EUlS16_E_NS1_11comp_targetILNS1_3genE4ELNS1_11target_archE910ELNS1_3gpuE8ELNS1_3repE0EEENS1_30default_config_static_selectorELNS0_4arch9wavefront6targetE0EEEvT1_ ; -- Begin function _ZN7rocprim17ROCPRIM_400000_NS6detail17trampoline_kernelINS0_14default_configENS1_25partition_config_selectorILNS1_17partition_subalgoE5ElNS0_10empty_typeEbEEZZNS1_14partition_implILS5_5ELb0ES3_mN6hipcub16HIPCUB_304000_NS21CountingInputIteratorIllEEPS6_NSA_22TransformInputIteratorIbN2at6native12_GLOBAL__N_19NonZeroOpIhEEPKhlEENS0_5tupleIJPlS6_EEENSN_IJSD_SD_EEES6_PiJS6_EEE10hipError_tPvRmT3_T4_T5_T6_T7_T9_mT8_P12ihipStream_tbDpT10_ENKUlT_T0_E_clISt17integral_constantIbLb1EES1B_EEDaS16_S17_EUlS16_E_NS1_11comp_targetILNS1_3genE4ELNS1_11target_archE910ELNS1_3gpuE8ELNS1_3repE0EEENS1_30default_config_static_selectorELNS0_4arch9wavefront6targetE0EEEvT1_
	.p2align	8
	.type	_ZN7rocprim17ROCPRIM_400000_NS6detail17trampoline_kernelINS0_14default_configENS1_25partition_config_selectorILNS1_17partition_subalgoE5ElNS0_10empty_typeEbEEZZNS1_14partition_implILS5_5ELb0ES3_mN6hipcub16HIPCUB_304000_NS21CountingInputIteratorIllEEPS6_NSA_22TransformInputIteratorIbN2at6native12_GLOBAL__N_19NonZeroOpIhEEPKhlEENS0_5tupleIJPlS6_EEENSN_IJSD_SD_EEES6_PiJS6_EEE10hipError_tPvRmT3_T4_T5_T6_T7_T9_mT8_P12ihipStream_tbDpT10_ENKUlT_T0_E_clISt17integral_constantIbLb1EES1B_EEDaS16_S17_EUlS16_E_NS1_11comp_targetILNS1_3genE4ELNS1_11target_archE910ELNS1_3gpuE8ELNS1_3repE0EEENS1_30default_config_static_selectorELNS0_4arch9wavefront6targetE0EEEvT1_,@function
_ZN7rocprim17ROCPRIM_400000_NS6detail17trampoline_kernelINS0_14default_configENS1_25partition_config_selectorILNS1_17partition_subalgoE5ElNS0_10empty_typeEbEEZZNS1_14partition_implILS5_5ELb0ES3_mN6hipcub16HIPCUB_304000_NS21CountingInputIteratorIllEEPS6_NSA_22TransformInputIteratorIbN2at6native12_GLOBAL__N_19NonZeroOpIhEEPKhlEENS0_5tupleIJPlS6_EEENSN_IJSD_SD_EEES6_PiJS6_EEE10hipError_tPvRmT3_T4_T5_T6_T7_T9_mT8_P12ihipStream_tbDpT10_ENKUlT_T0_E_clISt17integral_constantIbLb1EES1B_EEDaS16_S17_EUlS16_E_NS1_11comp_targetILNS1_3genE4ELNS1_11target_archE910ELNS1_3gpuE8ELNS1_3repE0EEENS1_30default_config_static_selectorELNS0_4arch9wavefront6targetE0EEEvT1_: ; @_ZN7rocprim17ROCPRIM_400000_NS6detail17trampoline_kernelINS0_14default_configENS1_25partition_config_selectorILNS1_17partition_subalgoE5ElNS0_10empty_typeEbEEZZNS1_14partition_implILS5_5ELb0ES3_mN6hipcub16HIPCUB_304000_NS21CountingInputIteratorIllEEPS6_NSA_22TransformInputIteratorIbN2at6native12_GLOBAL__N_19NonZeroOpIhEEPKhlEENS0_5tupleIJPlS6_EEENSN_IJSD_SD_EEES6_PiJS6_EEE10hipError_tPvRmT3_T4_T5_T6_T7_T9_mT8_P12ihipStream_tbDpT10_ENKUlT_T0_E_clISt17integral_constantIbLb1EES1B_EEDaS16_S17_EUlS16_E_NS1_11comp_targetILNS1_3genE4ELNS1_11target_archE910ELNS1_3gpuE8ELNS1_3repE0EEENS1_30default_config_static_selectorELNS0_4arch9wavefront6targetE0EEEvT1_
; %bb.0:
	.section	.rodata,"a",@progbits
	.p2align	6, 0x0
	.amdhsa_kernel _ZN7rocprim17ROCPRIM_400000_NS6detail17trampoline_kernelINS0_14default_configENS1_25partition_config_selectorILNS1_17partition_subalgoE5ElNS0_10empty_typeEbEEZZNS1_14partition_implILS5_5ELb0ES3_mN6hipcub16HIPCUB_304000_NS21CountingInputIteratorIllEEPS6_NSA_22TransformInputIteratorIbN2at6native12_GLOBAL__N_19NonZeroOpIhEEPKhlEENS0_5tupleIJPlS6_EEENSN_IJSD_SD_EEES6_PiJS6_EEE10hipError_tPvRmT3_T4_T5_T6_T7_T9_mT8_P12ihipStream_tbDpT10_ENKUlT_T0_E_clISt17integral_constantIbLb1EES1B_EEDaS16_S17_EUlS16_E_NS1_11comp_targetILNS1_3genE4ELNS1_11target_archE910ELNS1_3gpuE8ELNS1_3repE0EEENS1_30default_config_static_selectorELNS0_4arch9wavefront6targetE0EEEvT1_
		.amdhsa_group_segment_fixed_size 0
		.amdhsa_private_segment_fixed_size 0
		.amdhsa_kernarg_size 136
		.amdhsa_user_sgpr_count 15
		.amdhsa_user_sgpr_dispatch_ptr 0
		.amdhsa_user_sgpr_queue_ptr 0
		.amdhsa_user_sgpr_kernarg_segment_ptr 1
		.amdhsa_user_sgpr_dispatch_id 0
		.amdhsa_user_sgpr_private_segment_size 0
		.amdhsa_wavefront_size32 1
		.amdhsa_uses_dynamic_stack 0
		.amdhsa_enable_private_segment 0
		.amdhsa_system_sgpr_workgroup_id_x 1
		.amdhsa_system_sgpr_workgroup_id_y 0
		.amdhsa_system_sgpr_workgroup_id_z 0
		.amdhsa_system_sgpr_workgroup_info 0
		.amdhsa_system_vgpr_workitem_id 0
		.amdhsa_next_free_vgpr 1
		.amdhsa_next_free_sgpr 1
		.amdhsa_reserve_vcc 0
		.amdhsa_float_round_mode_32 0
		.amdhsa_float_round_mode_16_64 0
		.amdhsa_float_denorm_mode_32 3
		.amdhsa_float_denorm_mode_16_64 3
		.amdhsa_dx10_clamp 1
		.amdhsa_ieee_mode 1
		.amdhsa_fp16_overflow 0
		.amdhsa_workgroup_processor_mode 1
		.amdhsa_memory_ordered 1
		.amdhsa_forward_progress 0
		.amdhsa_shared_vgpr_count 0
		.amdhsa_exception_fp_ieee_invalid_op 0
		.amdhsa_exception_fp_denorm_src 0
		.amdhsa_exception_fp_ieee_div_zero 0
		.amdhsa_exception_fp_ieee_overflow 0
		.amdhsa_exception_fp_ieee_underflow 0
		.amdhsa_exception_fp_ieee_inexact 0
		.amdhsa_exception_int_div_zero 0
	.end_amdhsa_kernel
	.section	.text._ZN7rocprim17ROCPRIM_400000_NS6detail17trampoline_kernelINS0_14default_configENS1_25partition_config_selectorILNS1_17partition_subalgoE5ElNS0_10empty_typeEbEEZZNS1_14partition_implILS5_5ELb0ES3_mN6hipcub16HIPCUB_304000_NS21CountingInputIteratorIllEEPS6_NSA_22TransformInputIteratorIbN2at6native12_GLOBAL__N_19NonZeroOpIhEEPKhlEENS0_5tupleIJPlS6_EEENSN_IJSD_SD_EEES6_PiJS6_EEE10hipError_tPvRmT3_T4_T5_T6_T7_T9_mT8_P12ihipStream_tbDpT10_ENKUlT_T0_E_clISt17integral_constantIbLb1EES1B_EEDaS16_S17_EUlS16_E_NS1_11comp_targetILNS1_3genE4ELNS1_11target_archE910ELNS1_3gpuE8ELNS1_3repE0EEENS1_30default_config_static_selectorELNS0_4arch9wavefront6targetE0EEEvT1_,"axG",@progbits,_ZN7rocprim17ROCPRIM_400000_NS6detail17trampoline_kernelINS0_14default_configENS1_25partition_config_selectorILNS1_17partition_subalgoE5ElNS0_10empty_typeEbEEZZNS1_14partition_implILS5_5ELb0ES3_mN6hipcub16HIPCUB_304000_NS21CountingInputIteratorIllEEPS6_NSA_22TransformInputIteratorIbN2at6native12_GLOBAL__N_19NonZeroOpIhEEPKhlEENS0_5tupleIJPlS6_EEENSN_IJSD_SD_EEES6_PiJS6_EEE10hipError_tPvRmT3_T4_T5_T6_T7_T9_mT8_P12ihipStream_tbDpT10_ENKUlT_T0_E_clISt17integral_constantIbLb1EES1B_EEDaS16_S17_EUlS16_E_NS1_11comp_targetILNS1_3genE4ELNS1_11target_archE910ELNS1_3gpuE8ELNS1_3repE0EEENS1_30default_config_static_selectorELNS0_4arch9wavefront6targetE0EEEvT1_,comdat
.Lfunc_end57:
	.size	_ZN7rocprim17ROCPRIM_400000_NS6detail17trampoline_kernelINS0_14default_configENS1_25partition_config_selectorILNS1_17partition_subalgoE5ElNS0_10empty_typeEbEEZZNS1_14partition_implILS5_5ELb0ES3_mN6hipcub16HIPCUB_304000_NS21CountingInputIteratorIllEEPS6_NSA_22TransformInputIteratorIbN2at6native12_GLOBAL__N_19NonZeroOpIhEEPKhlEENS0_5tupleIJPlS6_EEENSN_IJSD_SD_EEES6_PiJS6_EEE10hipError_tPvRmT3_T4_T5_T6_T7_T9_mT8_P12ihipStream_tbDpT10_ENKUlT_T0_E_clISt17integral_constantIbLb1EES1B_EEDaS16_S17_EUlS16_E_NS1_11comp_targetILNS1_3genE4ELNS1_11target_archE910ELNS1_3gpuE8ELNS1_3repE0EEENS1_30default_config_static_selectorELNS0_4arch9wavefront6targetE0EEEvT1_, .Lfunc_end57-_ZN7rocprim17ROCPRIM_400000_NS6detail17trampoline_kernelINS0_14default_configENS1_25partition_config_selectorILNS1_17partition_subalgoE5ElNS0_10empty_typeEbEEZZNS1_14partition_implILS5_5ELb0ES3_mN6hipcub16HIPCUB_304000_NS21CountingInputIteratorIllEEPS6_NSA_22TransformInputIteratorIbN2at6native12_GLOBAL__N_19NonZeroOpIhEEPKhlEENS0_5tupleIJPlS6_EEENSN_IJSD_SD_EEES6_PiJS6_EEE10hipError_tPvRmT3_T4_T5_T6_T7_T9_mT8_P12ihipStream_tbDpT10_ENKUlT_T0_E_clISt17integral_constantIbLb1EES1B_EEDaS16_S17_EUlS16_E_NS1_11comp_targetILNS1_3genE4ELNS1_11target_archE910ELNS1_3gpuE8ELNS1_3repE0EEENS1_30default_config_static_selectorELNS0_4arch9wavefront6targetE0EEEvT1_
                                        ; -- End function
	.section	.AMDGPU.csdata,"",@progbits
; Kernel info:
; codeLenInByte = 0
; NumSgprs: 0
; NumVgprs: 0
; ScratchSize: 0
; MemoryBound: 0
; FloatMode: 240
; IeeeMode: 1
; LDSByteSize: 0 bytes/workgroup (compile time only)
; SGPRBlocks: 0
; VGPRBlocks: 0
; NumSGPRsForWavesPerEU: 1
; NumVGPRsForWavesPerEU: 1
; Occupancy: 15
; WaveLimiterHint : 0
; COMPUTE_PGM_RSRC2:SCRATCH_EN: 0
; COMPUTE_PGM_RSRC2:USER_SGPR: 15
; COMPUTE_PGM_RSRC2:TRAP_HANDLER: 0
; COMPUTE_PGM_RSRC2:TGID_X_EN: 1
; COMPUTE_PGM_RSRC2:TGID_Y_EN: 0
; COMPUTE_PGM_RSRC2:TGID_Z_EN: 0
; COMPUTE_PGM_RSRC2:TIDIG_COMP_CNT: 0
	.section	.text._ZN7rocprim17ROCPRIM_400000_NS6detail17trampoline_kernelINS0_14default_configENS1_25partition_config_selectorILNS1_17partition_subalgoE5ElNS0_10empty_typeEbEEZZNS1_14partition_implILS5_5ELb0ES3_mN6hipcub16HIPCUB_304000_NS21CountingInputIteratorIllEEPS6_NSA_22TransformInputIteratorIbN2at6native12_GLOBAL__N_19NonZeroOpIhEEPKhlEENS0_5tupleIJPlS6_EEENSN_IJSD_SD_EEES6_PiJS6_EEE10hipError_tPvRmT3_T4_T5_T6_T7_T9_mT8_P12ihipStream_tbDpT10_ENKUlT_T0_E_clISt17integral_constantIbLb1EES1B_EEDaS16_S17_EUlS16_E_NS1_11comp_targetILNS1_3genE3ELNS1_11target_archE908ELNS1_3gpuE7ELNS1_3repE0EEENS1_30default_config_static_selectorELNS0_4arch9wavefront6targetE0EEEvT1_,"axG",@progbits,_ZN7rocprim17ROCPRIM_400000_NS6detail17trampoline_kernelINS0_14default_configENS1_25partition_config_selectorILNS1_17partition_subalgoE5ElNS0_10empty_typeEbEEZZNS1_14partition_implILS5_5ELb0ES3_mN6hipcub16HIPCUB_304000_NS21CountingInputIteratorIllEEPS6_NSA_22TransformInputIteratorIbN2at6native12_GLOBAL__N_19NonZeroOpIhEEPKhlEENS0_5tupleIJPlS6_EEENSN_IJSD_SD_EEES6_PiJS6_EEE10hipError_tPvRmT3_T4_T5_T6_T7_T9_mT8_P12ihipStream_tbDpT10_ENKUlT_T0_E_clISt17integral_constantIbLb1EES1B_EEDaS16_S17_EUlS16_E_NS1_11comp_targetILNS1_3genE3ELNS1_11target_archE908ELNS1_3gpuE7ELNS1_3repE0EEENS1_30default_config_static_selectorELNS0_4arch9wavefront6targetE0EEEvT1_,comdat
	.globl	_ZN7rocprim17ROCPRIM_400000_NS6detail17trampoline_kernelINS0_14default_configENS1_25partition_config_selectorILNS1_17partition_subalgoE5ElNS0_10empty_typeEbEEZZNS1_14partition_implILS5_5ELb0ES3_mN6hipcub16HIPCUB_304000_NS21CountingInputIteratorIllEEPS6_NSA_22TransformInputIteratorIbN2at6native12_GLOBAL__N_19NonZeroOpIhEEPKhlEENS0_5tupleIJPlS6_EEENSN_IJSD_SD_EEES6_PiJS6_EEE10hipError_tPvRmT3_T4_T5_T6_T7_T9_mT8_P12ihipStream_tbDpT10_ENKUlT_T0_E_clISt17integral_constantIbLb1EES1B_EEDaS16_S17_EUlS16_E_NS1_11comp_targetILNS1_3genE3ELNS1_11target_archE908ELNS1_3gpuE7ELNS1_3repE0EEENS1_30default_config_static_selectorELNS0_4arch9wavefront6targetE0EEEvT1_ ; -- Begin function _ZN7rocprim17ROCPRIM_400000_NS6detail17trampoline_kernelINS0_14default_configENS1_25partition_config_selectorILNS1_17partition_subalgoE5ElNS0_10empty_typeEbEEZZNS1_14partition_implILS5_5ELb0ES3_mN6hipcub16HIPCUB_304000_NS21CountingInputIteratorIllEEPS6_NSA_22TransformInputIteratorIbN2at6native12_GLOBAL__N_19NonZeroOpIhEEPKhlEENS0_5tupleIJPlS6_EEENSN_IJSD_SD_EEES6_PiJS6_EEE10hipError_tPvRmT3_T4_T5_T6_T7_T9_mT8_P12ihipStream_tbDpT10_ENKUlT_T0_E_clISt17integral_constantIbLb1EES1B_EEDaS16_S17_EUlS16_E_NS1_11comp_targetILNS1_3genE3ELNS1_11target_archE908ELNS1_3gpuE7ELNS1_3repE0EEENS1_30default_config_static_selectorELNS0_4arch9wavefront6targetE0EEEvT1_
	.p2align	8
	.type	_ZN7rocprim17ROCPRIM_400000_NS6detail17trampoline_kernelINS0_14default_configENS1_25partition_config_selectorILNS1_17partition_subalgoE5ElNS0_10empty_typeEbEEZZNS1_14partition_implILS5_5ELb0ES3_mN6hipcub16HIPCUB_304000_NS21CountingInputIteratorIllEEPS6_NSA_22TransformInputIteratorIbN2at6native12_GLOBAL__N_19NonZeroOpIhEEPKhlEENS0_5tupleIJPlS6_EEENSN_IJSD_SD_EEES6_PiJS6_EEE10hipError_tPvRmT3_T4_T5_T6_T7_T9_mT8_P12ihipStream_tbDpT10_ENKUlT_T0_E_clISt17integral_constantIbLb1EES1B_EEDaS16_S17_EUlS16_E_NS1_11comp_targetILNS1_3genE3ELNS1_11target_archE908ELNS1_3gpuE7ELNS1_3repE0EEENS1_30default_config_static_selectorELNS0_4arch9wavefront6targetE0EEEvT1_,@function
_ZN7rocprim17ROCPRIM_400000_NS6detail17trampoline_kernelINS0_14default_configENS1_25partition_config_selectorILNS1_17partition_subalgoE5ElNS0_10empty_typeEbEEZZNS1_14partition_implILS5_5ELb0ES3_mN6hipcub16HIPCUB_304000_NS21CountingInputIteratorIllEEPS6_NSA_22TransformInputIteratorIbN2at6native12_GLOBAL__N_19NonZeroOpIhEEPKhlEENS0_5tupleIJPlS6_EEENSN_IJSD_SD_EEES6_PiJS6_EEE10hipError_tPvRmT3_T4_T5_T6_T7_T9_mT8_P12ihipStream_tbDpT10_ENKUlT_T0_E_clISt17integral_constantIbLb1EES1B_EEDaS16_S17_EUlS16_E_NS1_11comp_targetILNS1_3genE3ELNS1_11target_archE908ELNS1_3gpuE7ELNS1_3repE0EEENS1_30default_config_static_selectorELNS0_4arch9wavefront6targetE0EEEvT1_: ; @_ZN7rocprim17ROCPRIM_400000_NS6detail17trampoline_kernelINS0_14default_configENS1_25partition_config_selectorILNS1_17partition_subalgoE5ElNS0_10empty_typeEbEEZZNS1_14partition_implILS5_5ELb0ES3_mN6hipcub16HIPCUB_304000_NS21CountingInputIteratorIllEEPS6_NSA_22TransformInputIteratorIbN2at6native12_GLOBAL__N_19NonZeroOpIhEEPKhlEENS0_5tupleIJPlS6_EEENSN_IJSD_SD_EEES6_PiJS6_EEE10hipError_tPvRmT3_T4_T5_T6_T7_T9_mT8_P12ihipStream_tbDpT10_ENKUlT_T0_E_clISt17integral_constantIbLb1EES1B_EEDaS16_S17_EUlS16_E_NS1_11comp_targetILNS1_3genE3ELNS1_11target_archE908ELNS1_3gpuE7ELNS1_3repE0EEENS1_30default_config_static_selectorELNS0_4arch9wavefront6targetE0EEEvT1_
; %bb.0:
	.section	.rodata,"a",@progbits
	.p2align	6, 0x0
	.amdhsa_kernel _ZN7rocprim17ROCPRIM_400000_NS6detail17trampoline_kernelINS0_14default_configENS1_25partition_config_selectorILNS1_17partition_subalgoE5ElNS0_10empty_typeEbEEZZNS1_14partition_implILS5_5ELb0ES3_mN6hipcub16HIPCUB_304000_NS21CountingInputIteratorIllEEPS6_NSA_22TransformInputIteratorIbN2at6native12_GLOBAL__N_19NonZeroOpIhEEPKhlEENS0_5tupleIJPlS6_EEENSN_IJSD_SD_EEES6_PiJS6_EEE10hipError_tPvRmT3_T4_T5_T6_T7_T9_mT8_P12ihipStream_tbDpT10_ENKUlT_T0_E_clISt17integral_constantIbLb1EES1B_EEDaS16_S17_EUlS16_E_NS1_11comp_targetILNS1_3genE3ELNS1_11target_archE908ELNS1_3gpuE7ELNS1_3repE0EEENS1_30default_config_static_selectorELNS0_4arch9wavefront6targetE0EEEvT1_
		.amdhsa_group_segment_fixed_size 0
		.amdhsa_private_segment_fixed_size 0
		.amdhsa_kernarg_size 136
		.amdhsa_user_sgpr_count 15
		.amdhsa_user_sgpr_dispatch_ptr 0
		.amdhsa_user_sgpr_queue_ptr 0
		.amdhsa_user_sgpr_kernarg_segment_ptr 1
		.amdhsa_user_sgpr_dispatch_id 0
		.amdhsa_user_sgpr_private_segment_size 0
		.amdhsa_wavefront_size32 1
		.amdhsa_uses_dynamic_stack 0
		.amdhsa_enable_private_segment 0
		.amdhsa_system_sgpr_workgroup_id_x 1
		.amdhsa_system_sgpr_workgroup_id_y 0
		.amdhsa_system_sgpr_workgroup_id_z 0
		.amdhsa_system_sgpr_workgroup_info 0
		.amdhsa_system_vgpr_workitem_id 0
		.amdhsa_next_free_vgpr 1
		.amdhsa_next_free_sgpr 1
		.amdhsa_reserve_vcc 0
		.amdhsa_float_round_mode_32 0
		.amdhsa_float_round_mode_16_64 0
		.amdhsa_float_denorm_mode_32 3
		.amdhsa_float_denorm_mode_16_64 3
		.amdhsa_dx10_clamp 1
		.amdhsa_ieee_mode 1
		.amdhsa_fp16_overflow 0
		.amdhsa_workgroup_processor_mode 1
		.amdhsa_memory_ordered 1
		.amdhsa_forward_progress 0
		.amdhsa_shared_vgpr_count 0
		.amdhsa_exception_fp_ieee_invalid_op 0
		.amdhsa_exception_fp_denorm_src 0
		.amdhsa_exception_fp_ieee_div_zero 0
		.amdhsa_exception_fp_ieee_overflow 0
		.amdhsa_exception_fp_ieee_underflow 0
		.amdhsa_exception_fp_ieee_inexact 0
		.amdhsa_exception_int_div_zero 0
	.end_amdhsa_kernel
	.section	.text._ZN7rocprim17ROCPRIM_400000_NS6detail17trampoline_kernelINS0_14default_configENS1_25partition_config_selectorILNS1_17partition_subalgoE5ElNS0_10empty_typeEbEEZZNS1_14partition_implILS5_5ELb0ES3_mN6hipcub16HIPCUB_304000_NS21CountingInputIteratorIllEEPS6_NSA_22TransformInputIteratorIbN2at6native12_GLOBAL__N_19NonZeroOpIhEEPKhlEENS0_5tupleIJPlS6_EEENSN_IJSD_SD_EEES6_PiJS6_EEE10hipError_tPvRmT3_T4_T5_T6_T7_T9_mT8_P12ihipStream_tbDpT10_ENKUlT_T0_E_clISt17integral_constantIbLb1EES1B_EEDaS16_S17_EUlS16_E_NS1_11comp_targetILNS1_3genE3ELNS1_11target_archE908ELNS1_3gpuE7ELNS1_3repE0EEENS1_30default_config_static_selectorELNS0_4arch9wavefront6targetE0EEEvT1_,"axG",@progbits,_ZN7rocprim17ROCPRIM_400000_NS6detail17trampoline_kernelINS0_14default_configENS1_25partition_config_selectorILNS1_17partition_subalgoE5ElNS0_10empty_typeEbEEZZNS1_14partition_implILS5_5ELb0ES3_mN6hipcub16HIPCUB_304000_NS21CountingInputIteratorIllEEPS6_NSA_22TransformInputIteratorIbN2at6native12_GLOBAL__N_19NonZeroOpIhEEPKhlEENS0_5tupleIJPlS6_EEENSN_IJSD_SD_EEES6_PiJS6_EEE10hipError_tPvRmT3_T4_T5_T6_T7_T9_mT8_P12ihipStream_tbDpT10_ENKUlT_T0_E_clISt17integral_constantIbLb1EES1B_EEDaS16_S17_EUlS16_E_NS1_11comp_targetILNS1_3genE3ELNS1_11target_archE908ELNS1_3gpuE7ELNS1_3repE0EEENS1_30default_config_static_selectorELNS0_4arch9wavefront6targetE0EEEvT1_,comdat
.Lfunc_end58:
	.size	_ZN7rocprim17ROCPRIM_400000_NS6detail17trampoline_kernelINS0_14default_configENS1_25partition_config_selectorILNS1_17partition_subalgoE5ElNS0_10empty_typeEbEEZZNS1_14partition_implILS5_5ELb0ES3_mN6hipcub16HIPCUB_304000_NS21CountingInputIteratorIllEEPS6_NSA_22TransformInputIteratorIbN2at6native12_GLOBAL__N_19NonZeroOpIhEEPKhlEENS0_5tupleIJPlS6_EEENSN_IJSD_SD_EEES6_PiJS6_EEE10hipError_tPvRmT3_T4_T5_T6_T7_T9_mT8_P12ihipStream_tbDpT10_ENKUlT_T0_E_clISt17integral_constantIbLb1EES1B_EEDaS16_S17_EUlS16_E_NS1_11comp_targetILNS1_3genE3ELNS1_11target_archE908ELNS1_3gpuE7ELNS1_3repE0EEENS1_30default_config_static_selectorELNS0_4arch9wavefront6targetE0EEEvT1_, .Lfunc_end58-_ZN7rocprim17ROCPRIM_400000_NS6detail17trampoline_kernelINS0_14default_configENS1_25partition_config_selectorILNS1_17partition_subalgoE5ElNS0_10empty_typeEbEEZZNS1_14partition_implILS5_5ELb0ES3_mN6hipcub16HIPCUB_304000_NS21CountingInputIteratorIllEEPS6_NSA_22TransformInputIteratorIbN2at6native12_GLOBAL__N_19NonZeroOpIhEEPKhlEENS0_5tupleIJPlS6_EEENSN_IJSD_SD_EEES6_PiJS6_EEE10hipError_tPvRmT3_T4_T5_T6_T7_T9_mT8_P12ihipStream_tbDpT10_ENKUlT_T0_E_clISt17integral_constantIbLb1EES1B_EEDaS16_S17_EUlS16_E_NS1_11comp_targetILNS1_3genE3ELNS1_11target_archE908ELNS1_3gpuE7ELNS1_3repE0EEENS1_30default_config_static_selectorELNS0_4arch9wavefront6targetE0EEEvT1_
                                        ; -- End function
	.section	.AMDGPU.csdata,"",@progbits
; Kernel info:
; codeLenInByte = 0
; NumSgprs: 0
; NumVgprs: 0
; ScratchSize: 0
; MemoryBound: 0
; FloatMode: 240
; IeeeMode: 1
; LDSByteSize: 0 bytes/workgroup (compile time only)
; SGPRBlocks: 0
; VGPRBlocks: 0
; NumSGPRsForWavesPerEU: 1
; NumVGPRsForWavesPerEU: 1
; Occupancy: 16
; WaveLimiterHint : 0
; COMPUTE_PGM_RSRC2:SCRATCH_EN: 0
; COMPUTE_PGM_RSRC2:USER_SGPR: 15
; COMPUTE_PGM_RSRC2:TRAP_HANDLER: 0
; COMPUTE_PGM_RSRC2:TGID_X_EN: 1
; COMPUTE_PGM_RSRC2:TGID_Y_EN: 0
; COMPUTE_PGM_RSRC2:TGID_Z_EN: 0
; COMPUTE_PGM_RSRC2:TIDIG_COMP_CNT: 0
	.section	.text._ZN7rocprim17ROCPRIM_400000_NS6detail17trampoline_kernelINS0_14default_configENS1_25partition_config_selectorILNS1_17partition_subalgoE5ElNS0_10empty_typeEbEEZZNS1_14partition_implILS5_5ELb0ES3_mN6hipcub16HIPCUB_304000_NS21CountingInputIteratorIllEEPS6_NSA_22TransformInputIteratorIbN2at6native12_GLOBAL__N_19NonZeroOpIhEEPKhlEENS0_5tupleIJPlS6_EEENSN_IJSD_SD_EEES6_PiJS6_EEE10hipError_tPvRmT3_T4_T5_T6_T7_T9_mT8_P12ihipStream_tbDpT10_ENKUlT_T0_E_clISt17integral_constantIbLb1EES1B_EEDaS16_S17_EUlS16_E_NS1_11comp_targetILNS1_3genE2ELNS1_11target_archE906ELNS1_3gpuE6ELNS1_3repE0EEENS1_30default_config_static_selectorELNS0_4arch9wavefront6targetE0EEEvT1_,"axG",@progbits,_ZN7rocprim17ROCPRIM_400000_NS6detail17trampoline_kernelINS0_14default_configENS1_25partition_config_selectorILNS1_17partition_subalgoE5ElNS0_10empty_typeEbEEZZNS1_14partition_implILS5_5ELb0ES3_mN6hipcub16HIPCUB_304000_NS21CountingInputIteratorIllEEPS6_NSA_22TransformInputIteratorIbN2at6native12_GLOBAL__N_19NonZeroOpIhEEPKhlEENS0_5tupleIJPlS6_EEENSN_IJSD_SD_EEES6_PiJS6_EEE10hipError_tPvRmT3_T4_T5_T6_T7_T9_mT8_P12ihipStream_tbDpT10_ENKUlT_T0_E_clISt17integral_constantIbLb1EES1B_EEDaS16_S17_EUlS16_E_NS1_11comp_targetILNS1_3genE2ELNS1_11target_archE906ELNS1_3gpuE6ELNS1_3repE0EEENS1_30default_config_static_selectorELNS0_4arch9wavefront6targetE0EEEvT1_,comdat
	.globl	_ZN7rocprim17ROCPRIM_400000_NS6detail17trampoline_kernelINS0_14default_configENS1_25partition_config_selectorILNS1_17partition_subalgoE5ElNS0_10empty_typeEbEEZZNS1_14partition_implILS5_5ELb0ES3_mN6hipcub16HIPCUB_304000_NS21CountingInputIteratorIllEEPS6_NSA_22TransformInputIteratorIbN2at6native12_GLOBAL__N_19NonZeroOpIhEEPKhlEENS0_5tupleIJPlS6_EEENSN_IJSD_SD_EEES6_PiJS6_EEE10hipError_tPvRmT3_T4_T5_T6_T7_T9_mT8_P12ihipStream_tbDpT10_ENKUlT_T0_E_clISt17integral_constantIbLb1EES1B_EEDaS16_S17_EUlS16_E_NS1_11comp_targetILNS1_3genE2ELNS1_11target_archE906ELNS1_3gpuE6ELNS1_3repE0EEENS1_30default_config_static_selectorELNS0_4arch9wavefront6targetE0EEEvT1_ ; -- Begin function _ZN7rocprim17ROCPRIM_400000_NS6detail17trampoline_kernelINS0_14default_configENS1_25partition_config_selectorILNS1_17partition_subalgoE5ElNS0_10empty_typeEbEEZZNS1_14partition_implILS5_5ELb0ES3_mN6hipcub16HIPCUB_304000_NS21CountingInputIteratorIllEEPS6_NSA_22TransformInputIteratorIbN2at6native12_GLOBAL__N_19NonZeroOpIhEEPKhlEENS0_5tupleIJPlS6_EEENSN_IJSD_SD_EEES6_PiJS6_EEE10hipError_tPvRmT3_T4_T5_T6_T7_T9_mT8_P12ihipStream_tbDpT10_ENKUlT_T0_E_clISt17integral_constantIbLb1EES1B_EEDaS16_S17_EUlS16_E_NS1_11comp_targetILNS1_3genE2ELNS1_11target_archE906ELNS1_3gpuE6ELNS1_3repE0EEENS1_30default_config_static_selectorELNS0_4arch9wavefront6targetE0EEEvT1_
	.p2align	8
	.type	_ZN7rocprim17ROCPRIM_400000_NS6detail17trampoline_kernelINS0_14default_configENS1_25partition_config_selectorILNS1_17partition_subalgoE5ElNS0_10empty_typeEbEEZZNS1_14partition_implILS5_5ELb0ES3_mN6hipcub16HIPCUB_304000_NS21CountingInputIteratorIllEEPS6_NSA_22TransformInputIteratorIbN2at6native12_GLOBAL__N_19NonZeroOpIhEEPKhlEENS0_5tupleIJPlS6_EEENSN_IJSD_SD_EEES6_PiJS6_EEE10hipError_tPvRmT3_T4_T5_T6_T7_T9_mT8_P12ihipStream_tbDpT10_ENKUlT_T0_E_clISt17integral_constantIbLb1EES1B_EEDaS16_S17_EUlS16_E_NS1_11comp_targetILNS1_3genE2ELNS1_11target_archE906ELNS1_3gpuE6ELNS1_3repE0EEENS1_30default_config_static_selectorELNS0_4arch9wavefront6targetE0EEEvT1_,@function
_ZN7rocprim17ROCPRIM_400000_NS6detail17trampoline_kernelINS0_14default_configENS1_25partition_config_selectorILNS1_17partition_subalgoE5ElNS0_10empty_typeEbEEZZNS1_14partition_implILS5_5ELb0ES3_mN6hipcub16HIPCUB_304000_NS21CountingInputIteratorIllEEPS6_NSA_22TransformInputIteratorIbN2at6native12_GLOBAL__N_19NonZeroOpIhEEPKhlEENS0_5tupleIJPlS6_EEENSN_IJSD_SD_EEES6_PiJS6_EEE10hipError_tPvRmT3_T4_T5_T6_T7_T9_mT8_P12ihipStream_tbDpT10_ENKUlT_T0_E_clISt17integral_constantIbLb1EES1B_EEDaS16_S17_EUlS16_E_NS1_11comp_targetILNS1_3genE2ELNS1_11target_archE906ELNS1_3gpuE6ELNS1_3repE0EEENS1_30default_config_static_selectorELNS0_4arch9wavefront6targetE0EEEvT1_: ; @_ZN7rocprim17ROCPRIM_400000_NS6detail17trampoline_kernelINS0_14default_configENS1_25partition_config_selectorILNS1_17partition_subalgoE5ElNS0_10empty_typeEbEEZZNS1_14partition_implILS5_5ELb0ES3_mN6hipcub16HIPCUB_304000_NS21CountingInputIteratorIllEEPS6_NSA_22TransformInputIteratorIbN2at6native12_GLOBAL__N_19NonZeroOpIhEEPKhlEENS0_5tupleIJPlS6_EEENSN_IJSD_SD_EEES6_PiJS6_EEE10hipError_tPvRmT3_T4_T5_T6_T7_T9_mT8_P12ihipStream_tbDpT10_ENKUlT_T0_E_clISt17integral_constantIbLb1EES1B_EEDaS16_S17_EUlS16_E_NS1_11comp_targetILNS1_3genE2ELNS1_11target_archE906ELNS1_3gpuE6ELNS1_3repE0EEENS1_30default_config_static_selectorELNS0_4arch9wavefront6targetE0EEEvT1_
; %bb.0:
	.section	.rodata,"a",@progbits
	.p2align	6, 0x0
	.amdhsa_kernel _ZN7rocprim17ROCPRIM_400000_NS6detail17trampoline_kernelINS0_14default_configENS1_25partition_config_selectorILNS1_17partition_subalgoE5ElNS0_10empty_typeEbEEZZNS1_14partition_implILS5_5ELb0ES3_mN6hipcub16HIPCUB_304000_NS21CountingInputIteratorIllEEPS6_NSA_22TransformInputIteratorIbN2at6native12_GLOBAL__N_19NonZeroOpIhEEPKhlEENS0_5tupleIJPlS6_EEENSN_IJSD_SD_EEES6_PiJS6_EEE10hipError_tPvRmT3_T4_T5_T6_T7_T9_mT8_P12ihipStream_tbDpT10_ENKUlT_T0_E_clISt17integral_constantIbLb1EES1B_EEDaS16_S17_EUlS16_E_NS1_11comp_targetILNS1_3genE2ELNS1_11target_archE906ELNS1_3gpuE6ELNS1_3repE0EEENS1_30default_config_static_selectorELNS0_4arch9wavefront6targetE0EEEvT1_
		.amdhsa_group_segment_fixed_size 0
		.amdhsa_private_segment_fixed_size 0
		.amdhsa_kernarg_size 136
		.amdhsa_user_sgpr_count 15
		.amdhsa_user_sgpr_dispatch_ptr 0
		.amdhsa_user_sgpr_queue_ptr 0
		.amdhsa_user_sgpr_kernarg_segment_ptr 1
		.amdhsa_user_sgpr_dispatch_id 0
		.amdhsa_user_sgpr_private_segment_size 0
		.amdhsa_wavefront_size32 1
		.amdhsa_uses_dynamic_stack 0
		.amdhsa_enable_private_segment 0
		.amdhsa_system_sgpr_workgroup_id_x 1
		.amdhsa_system_sgpr_workgroup_id_y 0
		.amdhsa_system_sgpr_workgroup_id_z 0
		.amdhsa_system_sgpr_workgroup_info 0
		.amdhsa_system_vgpr_workitem_id 0
		.amdhsa_next_free_vgpr 1
		.amdhsa_next_free_sgpr 1
		.amdhsa_reserve_vcc 0
		.amdhsa_float_round_mode_32 0
		.amdhsa_float_round_mode_16_64 0
		.amdhsa_float_denorm_mode_32 3
		.amdhsa_float_denorm_mode_16_64 3
		.amdhsa_dx10_clamp 1
		.amdhsa_ieee_mode 1
		.amdhsa_fp16_overflow 0
		.amdhsa_workgroup_processor_mode 1
		.amdhsa_memory_ordered 1
		.amdhsa_forward_progress 0
		.amdhsa_shared_vgpr_count 0
		.amdhsa_exception_fp_ieee_invalid_op 0
		.amdhsa_exception_fp_denorm_src 0
		.amdhsa_exception_fp_ieee_div_zero 0
		.amdhsa_exception_fp_ieee_overflow 0
		.amdhsa_exception_fp_ieee_underflow 0
		.amdhsa_exception_fp_ieee_inexact 0
		.amdhsa_exception_int_div_zero 0
	.end_amdhsa_kernel
	.section	.text._ZN7rocprim17ROCPRIM_400000_NS6detail17trampoline_kernelINS0_14default_configENS1_25partition_config_selectorILNS1_17partition_subalgoE5ElNS0_10empty_typeEbEEZZNS1_14partition_implILS5_5ELb0ES3_mN6hipcub16HIPCUB_304000_NS21CountingInputIteratorIllEEPS6_NSA_22TransformInputIteratorIbN2at6native12_GLOBAL__N_19NonZeroOpIhEEPKhlEENS0_5tupleIJPlS6_EEENSN_IJSD_SD_EEES6_PiJS6_EEE10hipError_tPvRmT3_T4_T5_T6_T7_T9_mT8_P12ihipStream_tbDpT10_ENKUlT_T0_E_clISt17integral_constantIbLb1EES1B_EEDaS16_S17_EUlS16_E_NS1_11comp_targetILNS1_3genE2ELNS1_11target_archE906ELNS1_3gpuE6ELNS1_3repE0EEENS1_30default_config_static_selectorELNS0_4arch9wavefront6targetE0EEEvT1_,"axG",@progbits,_ZN7rocprim17ROCPRIM_400000_NS6detail17trampoline_kernelINS0_14default_configENS1_25partition_config_selectorILNS1_17partition_subalgoE5ElNS0_10empty_typeEbEEZZNS1_14partition_implILS5_5ELb0ES3_mN6hipcub16HIPCUB_304000_NS21CountingInputIteratorIllEEPS6_NSA_22TransformInputIteratorIbN2at6native12_GLOBAL__N_19NonZeroOpIhEEPKhlEENS0_5tupleIJPlS6_EEENSN_IJSD_SD_EEES6_PiJS6_EEE10hipError_tPvRmT3_T4_T5_T6_T7_T9_mT8_P12ihipStream_tbDpT10_ENKUlT_T0_E_clISt17integral_constantIbLb1EES1B_EEDaS16_S17_EUlS16_E_NS1_11comp_targetILNS1_3genE2ELNS1_11target_archE906ELNS1_3gpuE6ELNS1_3repE0EEENS1_30default_config_static_selectorELNS0_4arch9wavefront6targetE0EEEvT1_,comdat
.Lfunc_end59:
	.size	_ZN7rocprim17ROCPRIM_400000_NS6detail17trampoline_kernelINS0_14default_configENS1_25partition_config_selectorILNS1_17partition_subalgoE5ElNS0_10empty_typeEbEEZZNS1_14partition_implILS5_5ELb0ES3_mN6hipcub16HIPCUB_304000_NS21CountingInputIteratorIllEEPS6_NSA_22TransformInputIteratorIbN2at6native12_GLOBAL__N_19NonZeroOpIhEEPKhlEENS0_5tupleIJPlS6_EEENSN_IJSD_SD_EEES6_PiJS6_EEE10hipError_tPvRmT3_T4_T5_T6_T7_T9_mT8_P12ihipStream_tbDpT10_ENKUlT_T0_E_clISt17integral_constantIbLb1EES1B_EEDaS16_S17_EUlS16_E_NS1_11comp_targetILNS1_3genE2ELNS1_11target_archE906ELNS1_3gpuE6ELNS1_3repE0EEENS1_30default_config_static_selectorELNS0_4arch9wavefront6targetE0EEEvT1_, .Lfunc_end59-_ZN7rocprim17ROCPRIM_400000_NS6detail17trampoline_kernelINS0_14default_configENS1_25partition_config_selectorILNS1_17partition_subalgoE5ElNS0_10empty_typeEbEEZZNS1_14partition_implILS5_5ELb0ES3_mN6hipcub16HIPCUB_304000_NS21CountingInputIteratorIllEEPS6_NSA_22TransformInputIteratorIbN2at6native12_GLOBAL__N_19NonZeroOpIhEEPKhlEENS0_5tupleIJPlS6_EEENSN_IJSD_SD_EEES6_PiJS6_EEE10hipError_tPvRmT3_T4_T5_T6_T7_T9_mT8_P12ihipStream_tbDpT10_ENKUlT_T0_E_clISt17integral_constantIbLb1EES1B_EEDaS16_S17_EUlS16_E_NS1_11comp_targetILNS1_3genE2ELNS1_11target_archE906ELNS1_3gpuE6ELNS1_3repE0EEENS1_30default_config_static_selectorELNS0_4arch9wavefront6targetE0EEEvT1_
                                        ; -- End function
	.section	.AMDGPU.csdata,"",@progbits
; Kernel info:
; codeLenInByte = 0
; NumSgprs: 0
; NumVgprs: 0
; ScratchSize: 0
; MemoryBound: 0
; FloatMode: 240
; IeeeMode: 1
; LDSByteSize: 0 bytes/workgroup (compile time only)
; SGPRBlocks: 0
; VGPRBlocks: 0
; NumSGPRsForWavesPerEU: 1
; NumVGPRsForWavesPerEU: 1
; Occupancy: 16
; WaveLimiterHint : 0
; COMPUTE_PGM_RSRC2:SCRATCH_EN: 0
; COMPUTE_PGM_RSRC2:USER_SGPR: 15
; COMPUTE_PGM_RSRC2:TRAP_HANDLER: 0
; COMPUTE_PGM_RSRC2:TGID_X_EN: 1
; COMPUTE_PGM_RSRC2:TGID_Y_EN: 0
; COMPUTE_PGM_RSRC2:TGID_Z_EN: 0
; COMPUTE_PGM_RSRC2:TIDIG_COMP_CNT: 0
	.section	.text._ZN7rocprim17ROCPRIM_400000_NS6detail17trampoline_kernelINS0_14default_configENS1_25partition_config_selectorILNS1_17partition_subalgoE5ElNS0_10empty_typeEbEEZZNS1_14partition_implILS5_5ELb0ES3_mN6hipcub16HIPCUB_304000_NS21CountingInputIteratorIllEEPS6_NSA_22TransformInputIteratorIbN2at6native12_GLOBAL__N_19NonZeroOpIhEEPKhlEENS0_5tupleIJPlS6_EEENSN_IJSD_SD_EEES6_PiJS6_EEE10hipError_tPvRmT3_T4_T5_T6_T7_T9_mT8_P12ihipStream_tbDpT10_ENKUlT_T0_E_clISt17integral_constantIbLb1EES1B_EEDaS16_S17_EUlS16_E_NS1_11comp_targetILNS1_3genE10ELNS1_11target_archE1200ELNS1_3gpuE4ELNS1_3repE0EEENS1_30default_config_static_selectorELNS0_4arch9wavefront6targetE0EEEvT1_,"axG",@progbits,_ZN7rocprim17ROCPRIM_400000_NS6detail17trampoline_kernelINS0_14default_configENS1_25partition_config_selectorILNS1_17partition_subalgoE5ElNS0_10empty_typeEbEEZZNS1_14partition_implILS5_5ELb0ES3_mN6hipcub16HIPCUB_304000_NS21CountingInputIteratorIllEEPS6_NSA_22TransformInputIteratorIbN2at6native12_GLOBAL__N_19NonZeroOpIhEEPKhlEENS0_5tupleIJPlS6_EEENSN_IJSD_SD_EEES6_PiJS6_EEE10hipError_tPvRmT3_T4_T5_T6_T7_T9_mT8_P12ihipStream_tbDpT10_ENKUlT_T0_E_clISt17integral_constantIbLb1EES1B_EEDaS16_S17_EUlS16_E_NS1_11comp_targetILNS1_3genE10ELNS1_11target_archE1200ELNS1_3gpuE4ELNS1_3repE0EEENS1_30default_config_static_selectorELNS0_4arch9wavefront6targetE0EEEvT1_,comdat
	.globl	_ZN7rocprim17ROCPRIM_400000_NS6detail17trampoline_kernelINS0_14default_configENS1_25partition_config_selectorILNS1_17partition_subalgoE5ElNS0_10empty_typeEbEEZZNS1_14partition_implILS5_5ELb0ES3_mN6hipcub16HIPCUB_304000_NS21CountingInputIteratorIllEEPS6_NSA_22TransformInputIteratorIbN2at6native12_GLOBAL__N_19NonZeroOpIhEEPKhlEENS0_5tupleIJPlS6_EEENSN_IJSD_SD_EEES6_PiJS6_EEE10hipError_tPvRmT3_T4_T5_T6_T7_T9_mT8_P12ihipStream_tbDpT10_ENKUlT_T0_E_clISt17integral_constantIbLb1EES1B_EEDaS16_S17_EUlS16_E_NS1_11comp_targetILNS1_3genE10ELNS1_11target_archE1200ELNS1_3gpuE4ELNS1_3repE0EEENS1_30default_config_static_selectorELNS0_4arch9wavefront6targetE0EEEvT1_ ; -- Begin function _ZN7rocprim17ROCPRIM_400000_NS6detail17trampoline_kernelINS0_14default_configENS1_25partition_config_selectorILNS1_17partition_subalgoE5ElNS0_10empty_typeEbEEZZNS1_14partition_implILS5_5ELb0ES3_mN6hipcub16HIPCUB_304000_NS21CountingInputIteratorIllEEPS6_NSA_22TransformInputIteratorIbN2at6native12_GLOBAL__N_19NonZeroOpIhEEPKhlEENS0_5tupleIJPlS6_EEENSN_IJSD_SD_EEES6_PiJS6_EEE10hipError_tPvRmT3_T4_T5_T6_T7_T9_mT8_P12ihipStream_tbDpT10_ENKUlT_T0_E_clISt17integral_constantIbLb1EES1B_EEDaS16_S17_EUlS16_E_NS1_11comp_targetILNS1_3genE10ELNS1_11target_archE1200ELNS1_3gpuE4ELNS1_3repE0EEENS1_30default_config_static_selectorELNS0_4arch9wavefront6targetE0EEEvT1_
	.p2align	8
	.type	_ZN7rocprim17ROCPRIM_400000_NS6detail17trampoline_kernelINS0_14default_configENS1_25partition_config_selectorILNS1_17partition_subalgoE5ElNS0_10empty_typeEbEEZZNS1_14partition_implILS5_5ELb0ES3_mN6hipcub16HIPCUB_304000_NS21CountingInputIteratorIllEEPS6_NSA_22TransformInputIteratorIbN2at6native12_GLOBAL__N_19NonZeroOpIhEEPKhlEENS0_5tupleIJPlS6_EEENSN_IJSD_SD_EEES6_PiJS6_EEE10hipError_tPvRmT3_T4_T5_T6_T7_T9_mT8_P12ihipStream_tbDpT10_ENKUlT_T0_E_clISt17integral_constantIbLb1EES1B_EEDaS16_S17_EUlS16_E_NS1_11comp_targetILNS1_3genE10ELNS1_11target_archE1200ELNS1_3gpuE4ELNS1_3repE0EEENS1_30default_config_static_selectorELNS0_4arch9wavefront6targetE0EEEvT1_,@function
_ZN7rocprim17ROCPRIM_400000_NS6detail17trampoline_kernelINS0_14default_configENS1_25partition_config_selectorILNS1_17partition_subalgoE5ElNS0_10empty_typeEbEEZZNS1_14partition_implILS5_5ELb0ES3_mN6hipcub16HIPCUB_304000_NS21CountingInputIteratorIllEEPS6_NSA_22TransformInputIteratorIbN2at6native12_GLOBAL__N_19NonZeroOpIhEEPKhlEENS0_5tupleIJPlS6_EEENSN_IJSD_SD_EEES6_PiJS6_EEE10hipError_tPvRmT3_T4_T5_T6_T7_T9_mT8_P12ihipStream_tbDpT10_ENKUlT_T0_E_clISt17integral_constantIbLb1EES1B_EEDaS16_S17_EUlS16_E_NS1_11comp_targetILNS1_3genE10ELNS1_11target_archE1200ELNS1_3gpuE4ELNS1_3repE0EEENS1_30default_config_static_selectorELNS0_4arch9wavefront6targetE0EEEvT1_: ; @_ZN7rocprim17ROCPRIM_400000_NS6detail17trampoline_kernelINS0_14default_configENS1_25partition_config_selectorILNS1_17partition_subalgoE5ElNS0_10empty_typeEbEEZZNS1_14partition_implILS5_5ELb0ES3_mN6hipcub16HIPCUB_304000_NS21CountingInputIteratorIllEEPS6_NSA_22TransformInputIteratorIbN2at6native12_GLOBAL__N_19NonZeroOpIhEEPKhlEENS0_5tupleIJPlS6_EEENSN_IJSD_SD_EEES6_PiJS6_EEE10hipError_tPvRmT3_T4_T5_T6_T7_T9_mT8_P12ihipStream_tbDpT10_ENKUlT_T0_E_clISt17integral_constantIbLb1EES1B_EEDaS16_S17_EUlS16_E_NS1_11comp_targetILNS1_3genE10ELNS1_11target_archE1200ELNS1_3gpuE4ELNS1_3repE0EEENS1_30default_config_static_selectorELNS0_4arch9wavefront6targetE0EEEvT1_
; %bb.0:
	.section	.rodata,"a",@progbits
	.p2align	6, 0x0
	.amdhsa_kernel _ZN7rocprim17ROCPRIM_400000_NS6detail17trampoline_kernelINS0_14default_configENS1_25partition_config_selectorILNS1_17partition_subalgoE5ElNS0_10empty_typeEbEEZZNS1_14partition_implILS5_5ELb0ES3_mN6hipcub16HIPCUB_304000_NS21CountingInputIteratorIllEEPS6_NSA_22TransformInputIteratorIbN2at6native12_GLOBAL__N_19NonZeroOpIhEEPKhlEENS0_5tupleIJPlS6_EEENSN_IJSD_SD_EEES6_PiJS6_EEE10hipError_tPvRmT3_T4_T5_T6_T7_T9_mT8_P12ihipStream_tbDpT10_ENKUlT_T0_E_clISt17integral_constantIbLb1EES1B_EEDaS16_S17_EUlS16_E_NS1_11comp_targetILNS1_3genE10ELNS1_11target_archE1200ELNS1_3gpuE4ELNS1_3repE0EEENS1_30default_config_static_selectorELNS0_4arch9wavefront6targetE0EEEvT1_
		.amdhsa_group_segment_fixed_size 0
		.amdhsa_private_segment_fixed_size 0
		.amdhsa_kernarg_size 136
		.amdhsa_user_sgpr_count 15
		.amdhsa_user_sgpr_dispatch_ptr 0
		.amdhsa_user_sgpr_queue_ptr 0
		.amdhsa_user_sgpr_kernarg_segment_ptr 1
		.amdhsa_user_sgpr_dispatch_id 0
		.amdhsa_user_sgpr_private_segment_size 0
		.amdhsa_wavefront_size32 1
		.amdhsa_uses_dynamic_stack 0
		.amdhsa_enable_private_segment 0
		.amdhsa_system_sgpr_workgroup_id_x 1
		.amdhsa_system_sgpr_workgroup_id_y 0
		.amdhsa_system_sgpr_workgroup_id_z 0
		.amdhsa_system_sgpr_workgroup_info 0
		.amdhsa_system_vgpr_workitem_id 0
		.amdhsa_next_free_vgpr 1
		.amdhsa_next_free_sgpr 1
		.amdhsa_reserve_vcc 0
		.amdhsa_float_round_mode_32 0
		.amdhsa_float_round_mode_16_64 0
		.amdhsa_float_denorm_mode_32 3
		.amdhsa_float_denorm_mode_16_64 3
		.amdhsa_dx10_clamp 1
		.amdhsa_ieee_mode 1
		.amdhsa_fp16_overflow 0
		.amdhsa_workgroup_processor_mode 1
		.amdhsa_memory_ordered 1
		.amdhsa_forward_progress 0
		.amdhsa_shared_vgpr_count 0
		.amdhsa_exception_fp_ieee_invalid_op 0
		.amdhsa_exception_fp_denorm_src 0
		.amdhsa_exception_fp_ieee_div_zero 0
		.amdhsa_exception_fp_ieee_overflow 0
		.amdhsa_exception_fp_ieee_underflow 0
		.amdhsa_exception_fp_ieee_inexact 0
		.amdhsa_exception_int_div_zero 0
	.end_amdhsa_kernel
	.section	.text._ZN7rocprim17ROCPRIM_400000_NS6detail17trampoline_kernelINS0_14default_configENS1_25partition_config_selectorILNS1_17partition_subalgoE5ElNS0_10empty_typeEbEEZZNS1_14partition_implILS5_5ELb0ES3_mN6hipcub16HIPCUB_304000_NS21CountingInputIteratorIllEEPS6_NSA_22TransformInputIteratorIbN2at6native12_GLOBAL__N_19NonZeroOpIhEEPKhlEENS0_5tupleIJPlS6_EEENSN_IJSD_SD_EEES6_PiJS6_EEE10hipError_tPvRmT3_T4_T5_T6_T7_T9_mT8_P12ihipStream_tbDpT10_ENKUlT_T0_E_clISt17integral_constantIbLb1EES1B_EEDaS16_S17_EUlS16_E_NS1_11comp_targetILNS1_3genE10ELNS1_11target_archE1200ELNS1_3gpuE4ELNS1_3repE0EEENS1_30default_config_static_selectorELNS0_4arch9wavefront6targetE0EEEvT1_,"axG",@progbits,_ZN7rocprim17ROCPRIM_400000_NS6detail17trampoline_kernelINS0_14default_configENS1_25partition_config_selectorILNS1_17partition_subalgoE5ElNS0_10empty_typeEbEEZZNS1_14partition_implILS5_5ELb0ES3_mN6hipcub16HIPCUB_304000_NS21CountingInputIteratorIllEEPS6_NSA_22TransformInputIteratorIbN2at6native12_GLOBAL__N_19NonZeroOpIhEEPKhlEENS0_5tupleIJPlS6_EEENSN_IJSD_SD_EEES6_PiJS6_EEE10hipError_tPvRmT3_T4_T5_T6_T7_T9_mT8_P12ihipStream_tbDpT10_ENKUlT_T0_E_clISt17integral_constantIbLb1EES1B_EEDaS16_S17_EUlS16_E_NS1_11comp_targetILNS1_3genE10ELNS1_11target_archE1200ELNS1_3gpuE4ELNS1_3repE0EEENS1_30default_config_static_selectorELNS0_4arch9wavefront6targetE0EEEvT1_,comdat
.Lfunc_end60:
	.size	_ZN7rocprim17ROCPRIM_400000_NS6detail17trampoline_kernelINS0_14default_configENS1_25partition_config_selectorILNS1_17partition_subalgoE5ElNS0_10empty_typeEbEEZZNS1_14partition_implILS5_5ELb0ES3_mN6hipcub16HIPCUB_304000_NS21CountingInputIteratorIllEEPS6_NSA_22TransformInputIteratorIbN2at6native12_GLOBAL__N_19NonZeroOpIhEEPKhlEENS0_5tupleIJPlS6_EEENSN_IJSD_SD_EEES6_PiJS6_EEE10hipError_tPvRmT3_T4_T5_T6_T7_T9_mT8_P12ihipStream_tbDpT10_ENKUlT_T0_E_clISt17integral_constantIbLb1EES1B_EEDaS16_S17_EUlS16_E_NS1_11comp_targetILNS1_3genE10ELNS1_11target_archE1200ELNS1_3gpuE4ELNS1_3repE0EEENS1_30default_config_static_selectorELNS0_4arch9wavefront6targetE0EEEvT1_, .Lfunc_end60-_ZN7rocprim17ROCPRIM_400000_NS6detail17trampoline_kernelINS0_14default_configENS1_25partition_config_selectorILNS1_17partition_subalgoE5ElNS0_10empty_typeEbEEZZNS1_14partition_implILS5_5ELb0ES3_mN6hipcub16HIPCUB_304000_NS21CountingInputIteratorIllEEPS6_NSA_22TransformInputIteratorIbN2at6native12_GLOBAL__N_19NonZeroOpIhEEPKhlEENS0_5tupleIJPlS6_EEENSN_IJSD_SD_EEES6_PiJS6_EEE10hipError_tPvRmT3_T4_T5_T6_T7_T9_mT8_P12ihipStream_tbDpT10_ENKUlT_T0_E_clISt17integral_constantIbLb1EES1B_EEDaS16_S17_EUlS16_E_NS1_11comp_targetILNS1_3genE10ELNS1_11target_archE1200ELNS1_3gpuE4ELNS1_3repE0EEENS1_30default_config_static_selectorELNS0_4arch9wavefront6targetE0EEEvT1_
                                        ; -- End function
	.section	.AMDGPU.csdata,"",@progbits
; Kernel info:
; codeLenInByte = 0
; NumSgprs: 0
; NumVgprs: 0
; ScratchSize: 0
; MemoryBound: 0
; FloatMode: 240
; IeeeMode: 1
; LDSByteSize: 0 bytes/workgroup (compile time only)
; SGPRBlocks: 0
; VGPRBlocks: 0
; NumSGPRsForWavesPerEU: 1
; NumVGPRsForWavesPerEU: 1
; Occupancy: 16
; WaveLimiterHint : 0
; COMPUTE_PGM_RSRC2:SCRATCH_EN: 0
; COMPUTE_PGM_RSRC2:USER_SGPR: 15
; COMPUTE_PGM_RSRC2:TRAP_HANDLER: 0
; COMPUTE_PGM_RSRC2:TGID_X_EN: 1
; COMPUTE_PGM_RSRC2:TGID_Y_EN: 0
; COMPUTE_PGM_RSRC2:TGID_Z_EN: 0
; COMPUTE_PGM_RSRC2:TIDIG_COMP_CNT: 0
	.section	.text._ZN7rocprim17ROCPRIM_400000_NS6detail17trampoline_kernelINS0_14default_configENS1_25partition_config_selectorILNS1_17partition_subalgoE5ElNS0_10empty_typeEbEEZZNS1_14partition_implILS5_5ELb0ES3_mN6hipcub16HIPCUB_304000_NS21CountingInputIteratorIllEEPS6_NSA_22TransformInputIteratorIbN2at6native12_GLOBAL__N_19NonZeroOpIhEEPKhlEENS0_5tupleIJPlS6_EEENSN_IJSD_SD_EEES6_PiJS6_EEE10hipError_tPvRmT3_T4_T5_T6_T7_T9_mT8_P12ihipStream_tbDpT10_ENKUlT_T0_E_clISt17integral_constantIbLb1EES1B_EEDaS16_S17_EUlS16_E_NS1_11comp_targetILNS1_3genE9ELNS1_11target_archE1100ELNS1_3gpuE3ELNS1_3repE0EEENS1_30default_config_static_selectorELNS0_4arch9wavefront6targetE0EEEvT1_,"axG",@progbits,_ZN7rocprim17ROCPRIM_400000_NS6detail17trampoline_kernelINS0_14default_configENS1_25partition_config_selectorILNS1_17partition_subalgoE5ElNS0_10empty_typeEbEEZZNS1_14partition_implILS5_5ELb0ES3_mN6hipcub16HIPCUB_304000_NS21CountingInputIteratorIllEEPS6_NSA_22TransformInputIteratorIbN2at6native12_GLOBAL__N_19NonZeroOpIhEEPKhlEENS0_5tupleIJPlS6_EEENSN_IJSD_SD_EEES6_PiJS6_EEE10hipError_tPvRmT3_T4_T5_T6_T7_T9_mT8_P12ihipStream_tbDpT10_ENKUlT_T0_E_clISt17integral_constantIbLb1EES1B_EEDaS16_S17_EUlS16_E_NS1_11comp_targetILNS1_3genE9ELNS1_11target_archE1100ELNS1_3gpuE3ELNS1_3repE0EEENS1_30default_config_static_selectorELNS0_4arch9wavefront6targetE0EEEvT1_,comdat
	.globl	_ZN7rocprim17ROCPRIM_400000_NS6detail17trampoline_kernelINS0_14default_configENS1_25partition_config_selectorILNS1_17partition_subalgoE5ElNS0_10empty_typeEbEEZZNS1_14partition_implILS5_5ELb0ES3_mN6hipcub16HIPCUB_304000_NS21CountingInputIteratorIllEEPS6_NSA_22TransformInputIteratorIbN2at6native12_GLOBAL__N_19NonZeroOpIhEEPKhlEENS0_5tupleIJPlS6_EEENSN_IJSD_SD_EEES6_PiJS6_EEE10hipError_tPvRmT3_T4_T5_T6_T7_T9_mT8_P12ihipStream_tbDpT10_ENKUlT_T0_E_clISt17integral_constantIbLb1EES1B_EEDaS16_S17_EUlS16_E_NS1_11comp_targetILNS1_3genE9ELNS1_11target_archE1100ELNS1_3gpuE3ELNS1_3repE0EEENS1_30default_config_static_selectorELNS0_4arch9wavefront6targetE0EEEvT1_ ; -- Begin function _ZN7rocprim17ROCPRIM_400000_NS6detail17trampoline_kernelINS0_14default_configENS1_25partition_config_selectorILNS1_17partition_subalgoE5ElNS0_10empty_typeEbEEZZNS1_14partition_implILS5_5ELb0ES3_mN6hipcub16HIPCUB_304000_NS21CountingInputIteratorIllEEPS6_NSA_22TransformInputIteratorIbN2at6native12_GLOBAL__N_19NonZeroOpIhEEPKhlEENS0_5tupleIJPlS6_EEENSN_IJSD_SD_EEES6_PiJS6_EEE10hipError_tPvRmT3_T4_T5_T6_T7_T9_mT8_P12ihipStream_tbDpT10_ENKUlT_T0_E_clISt17integral_constantIbLb1EES1B_EEDaS16_S17_EUlS16_E_NS1_11comp_targetILNS1_3genE9ELNS1_11target_archE1100ELNS1_3gpuE3ELNS1_3repE0EEENS1_30default_config_static_selectorELNS0_4arch9wavefront6targetE0EEEvT1_
	.p2align	8
	.type	_ZN7rocprim17ROCPRIM_400000_NS6detail17trampoline_kernelINS0_14default_configENS1_25partition_config_selectorILNS1_17partition_subalgoE5ElNS0_10empty_typeEbEEZZNS1_14partition_implILS5_5ELb0ES3_mN6hipcub16HIPCUB_304000_NS21CountingInputIteratorIllEEPS6_NSA_22TransformInputIteratorIbN2at6native12_GLOBAL__N_19NonZeroOpIhEEPKhlEENS0_5tupleIJPlS6_EEENSN_IJSD_SD_EEES6_PiJS6_EEE10hipError_tPvRmT3_T4_T5_T6_T7_T9_mT8_P12ihipStream_tbDpT10_ENKUlT_T0_E_clISt17integral_constantIbLb1EES1B_EEDaS16_S17_EUlS16_E_NS1_11comp_targetILNS1_3genE9ELNS1_11target_archE1100ELNS1_3gpuE3ELNS1_3repE0EEENS1_30default_config_static_selectorELNS0_4arch9wavefront6targetE0EEEvT1_,@function
_ZN7rocprim17ROCPRIM_400000_NS6detail17trampoline_kernelINS0_14default_configENS1_25partition_config_selectorILNS1_17partition_subalgoE5ElNS0_10empty_typeEbEEZZNS1_14partition_implILS5_5ELb0ES3_mN6hipcub16HIPCUB_304000_NS21CountingInputIteratorIllEEPS6_NSA_22TransformInputIteratorIbN2at6native12_GLOBAL__N_19NonZeroOpIhEEPKhlEENS0_5tupleIJPlS6_EEENSN_IJSD_SD_EEES6_PiJS6_EEE10hipError_tPvRmT3_T4_T5_T6_T7_T9_mT8_P12ihipStream_tbDpT10_ENKUlT_T0_E_clISt17integral_constantIbLb1EES1B_EEDaS16_S17_EUlS16_E_NS1_11comp_targetILNS1_3genE9ELNS1_11target_archE1100ELNS1_3gpuE3ELNS1_3repE0EEENS1_30default_config_static_selectorELNS0_4arch9wavefront6targetE0EEEvT1_: ; @_ZN7rocprim17ROCPRIM_400000_NS6detail17trampoline_kernelINS0_14default_configENS1_25partition_config_selectorILNS1_17partition_subalgoE5ElNS0_10empty_typeEbEEZZNS1_14partition_implILS5_5ELb0ES3_mN6hipcub16HIPCUB_304000_NS21CountingInputIteratorIllEEPS6_NSA_22TransformInputIteratorIbN2at6native12_GLOBAL__N_19NonZeroOpIhEEPKhlEENS0_5tupleIJPlS6_EEENSN_IJSD_SD_EEES6_PiJS6_EEE10hipError_tPvRmT3_T4_T5_T6_T7_T9_mT8_P12ihipStream_tbDpT10_ENKUlT_T0_E_clISt17integral_constantIbLb1EES1B_EEDaS16_S17_EUlS16_E_NS1_11comp_targetILNS1_3genE9ELNS1_11target_archE1100ELNS1_3gpuE3ELNS1_3repE0EEENS1_30default_config_static_selectorELNS0_4arch9wavefront6targetE0EEEvT1_
; %bb.0:
	s_clause 0x4
	s_load_b64 s[18:19], s[0:1], 0x20
	s_load_b64 s[12:13], s[0:1], 0x30
	s_load_b64 s[16:17], s[0:1], 0x58
	s_load_b128 s[4:7], s[0:1], 0x48
	s_load_b64 s[14:15], s[0:1], 0x68
	v_cmp_eq_u32_e64 s2, 0, v0
	s_delay_alu instid0(VALU_DEP_1)
	s_and_saveexec_b32 s3, s2
	s_cbranch_execz .LBB61_4
; %bb.1:
	s_mov_b32 s9, exec_lo
	s_mov_b32 s8, exec_lo
	v_mbcnt_lo_u32_b32 v1, s9, 0
                                        ; implicit-def: $vgpr2
	s_delay_alu instid0(VALU_DEP_1)
	v_cmpx_eq_u32_e32 0, v1
	s_cbranch_execz .LBB61_3
; %bb.2:
	s_load_b64 s[10:11], s[0:1], 0x78
	s_bcnt1_i32_b32 s9, s9
	s_delay_alu instid0(SALU_CYCLE_1)
	v_dual_mov_b32 v2, 0 :: v_dual_mov_b32 v3, s9
	s_waitcnt lgkmcnt(0)
	global_atomic_add_u32 v2, v2, v3, s[10:11] glc
.LBB61_3:
	s_or_b32 exec_lo, exec_lo, s8
	s_waitcnt vmcnt(0)
	v_readfirstlane_b32 s8, v2
	s_delay_alu instid0(VALU_DEP_1)
	v_dual_mov_b32 v2, 0 :: v_dual_add_nc_u32 v1, s8, v1
	ds_store_b32 v2, v1
.LBB61_4:
	s_or_b32 exec_lo, exec_lo, s3
	v_mov_b32_e32 v1, 0
	s_clause 0x1
	s_load_b128 s[8:11], s[0:1], 0x8
	s_load_b32 s0, s[0:1], 0x70
	s_waitcnt lgkmcnt(0)
	s_barrier
	buffer_gl0_inv
	ds_load_b32 v3, v1
	s_waitcnt lgkmcnt(0)
	s_barrier
	buffer_gl0_inv
	global_load_b64 v[1:2], v1, s[6:7]
	s_add_u32 s1, s10, s8
	s_mul_i32 s20, s0, 0x300
	s_addc_u32 s21, s11, s9
	s_add_i32 s0, s0, -1
	s_add_u32 s6, s10, s20
	v_readfirstlane_b32 s9, v3
	s_addc_u32 s7, s11, 0
	s_delay_alu instid0(SALU_CYCLE_1) | instskip(SKIP_1) | instid1(VALU_DEP_2)
	v_cmp_ge_u64_e64 s6, s[6:7], s[16:17]
	s_mov_b32 s17, -1
	s_cmp_eq_u32 s9, s0
	s_mul_i32 s0, s9, 0x300
	s_cselect_b32 s3, -1, 0
	s_delay_alu instid0(VALU_DEP_1) | instid1(SALU_CYCLE_1)
	s_and_b32 s6, s6, s3
	s_delay_alu instid0(SALU_CYCLE_1) | instskip(NEXT) | instid1(SALU_CYCLE_1)
	s_xor_b32 s8, s6, -1
	s_and_b32 vcc_lo, exec_lo, s8
	s_waitcnt vmcnt(0)
	v_readfirstlane_b32 s6, v1
	v_readfirstlane_b32 s7, v2
	s_cbranch_vccz .LBB61_6
; %bb.5:
	s_add_u32 s17, s0, s1
	s_addc_u32 s22, 0, s21
	v_add_co_u32 v1, s17, s17, v0
	s_delay_alu instid0(VALU_DEP_1) | instskip(SKIP_1) | instid1(VALU_DEP_3)
	v_add_co_ci_u32_e64 v2, null, s22, 0, s17
	v_lshlrev_b32_e32 v13, 3, v0
	v_add_co_u32 v3, vcc_lo, 0x80, v1
	s_delay_alu instid0(VALU_DEP_3)
	v_add_co_ci_u32_e32 v4, vcc_lo, 0, v2, vcc_lo
	v_add_co_u32 v5, vcc_lo, 0x100, v1
	v_add_co_ci_u32_e32 v6, vcc_lo, 0, v2, vcc_lo
	v_add_co_u32 v7, vcc_lo, 0x180, v1
	;; [unrolled: 2-line block ×4, first 2 shown]
	v_add_co_ci_u32_e32 v12, vcc_lo, 0, v2, vcc_lo
	ds_store_2addr_stride64_b64 v13, v[1:2], v[3:4] offset1:2
	ds_store_2addr_stride64_b64 v13, v[5:6], v[7:8] offset0:4 offset1:6
	ds_store_2addr_stride64_b64 v13, v[9:10], v[11:12] offset0:8 offset1:10
	s_waitcnt lgkmcnt(0)
	s_mov_b32 s17, 0
	s_barrier
.LBB61_6:
	v_or_b32_e32 v17, 0x100, v0
	v_or_b32_e32 v16, 0x180, v0
	;; [unrolled: 1-line block ×4, first 2 shown]
	s_and_not1_b32 vcc_lo, exec_lo, s17
	s_cbranch_vccnz .LBB61_8
; %bb.7:
	v_or_b32_e32 v3, 0x80, v0
	s_add_u32 s1, s1, s0
	s_addc_u32 s17, s21, 0
	v_add_co_u32 v1, s21, s1, v0
	s_delay_alu instid0(VALU_DEP_1) | instskip(SKIP_1) | instid1(VALU_DEP_1)
	v_add_co_ci_u32_e64 v2, null, s17, 0, s21
	v_add_co_u32 v3, s21, s1, v3
	v_add_co_ci_u32_e64 v4, null, s17, 0, s21
	v_add_co_u32 v5, s21, s1, v17
	s_delay_alu instid0(VALU_DEP_1) | instskip(SKIP_1) | instid1(VALU_DEP_1)
	v_add_co_ci_u32_e64 v6, null, s17, 0, s21
	v_add_co_u32 v7, s21, s1, v16
	v_add_co_ci_u32_e64 v8, null, s17, 0, s21
	v_add_co_u32 v9, s21, s1, v14
	v_lshlrev_b32_e32 v15, 3, v0
	v_add_co_u32 v11, s1, s1, v13
	v_add_co_ci_u32_e64 v10, null, s17, 0, s21
	v_add_co_ci_u32_e64 v12, null, s17, 0, s1
	ds_store_2addr_stride64_b64 v15, v[1:2], v[3:4] offset1:2
	ds_store_2addr_stride64_b64 v15, v[5:6], v[7:8] offset0:4 offset1:6
	ds_store_2addr_stride64_b64 v15, v[9:10], v[11:12] offset0:8 offset1:10
	s_waitcnt lgkmcnt(0)
	s_barrier
.LBB61_8:
	v_mul_u32_u24_e32 v1, 6, v0
	buffer_gl0_inv
	s_add_u32 s1, s18, s10
	s_addc_u32 s11, s19, s11
	s_add_u32 s0, s1, s0
	v_lshlrev_b32_e32 v15, 3, v1
	s_addc_u32 s1, s11, 0
	s_and_b32 vcc_lo, exec_lo, s8
	s_mov_b32 s11, -1
	ds_load_b128 v[9:12], v15
	ds_load_b128 v[5:8], v15 offset:16
	ds_load_b128 v[1:4], v15 offset:32
	s_waitcnt lgkmcnt(0)
	s_barrier
	buffer_gl0_inv
	s_cbranch_vccz .LBB61_10
; %bb.9:
	s_clause 0x5
	global_load_u8 v18, v0, s[0:1]
	global_load_u8 v19, v0, s[0:1] offset:128
	global_load_u8 v20, v0, s[0:1] offset:256
	global_load_u8 v21, v0, s[0:1] offset:384
	global_load_u8 v22, v0, s[0:1] offset:512
	global_load_u8 v23, v0, s[0:1] offset:640
	s_mov_b32 s11, 0
	s_waitcnt vmcnt(5)
	v_cmp_ne_u16_e32 vcc_lo, 0, v18
	v_cndmask_b32_e64 v18, 0, 1, vcc_lo
	s_waitcnt vmcnt(4)
	v_cmp_ne_u16_e32 vcc_lo, 0, v19
	v_cndmask_b32_e64 v19, 0, 1, vcc_lo
	;; [unrolled: 3-line block ×6, first 2 shown]
	ds_store_b8 v0, v18
	ds_store_b8 v0, v19 offset:128
	ds_store_b8 v0, v20 offset:256
	;; [unrolled: 1-line block ×5, first 2 shown]
	s_waitcnt lgkmcnt(0)
	s_barrier
.LBB61_10:
	s_and_not1_b32 vcc_lo, exec_lo, s11
	s_cbranch_vccnz .LBB61_24
; %bb.11:
	s_add_i32 s20, s20, s10
	v_dual_mov_b32 v18, 0 :: v_dual_mov_b32 v19, 0
	s_sub_i32 s10, s16, s20
	s_mov_b32 s11, exec_lo
	s_addk_i32 s10, 0x300
	s_delay_alu instid0(SALU_CYCLE_1)
	v_cmpx_gt_u32_e64 s10, v0
	s_cbranch_execz .LBB61_13
; %bb.12:
	global_load_u8 v19, v0, s[0:1]
	s_waitcnt vmcnt(0)
	v_cmp_ne_u16_e32 vcc_lo, 0, v19
	v_cndmask_b32_e64 v19, 0, 1, vcc_lo
.LBB61_13:
	s_or_b32 exec_lo, exec_lo, s11
	v_or_b32_e32 v20, 0x80, v0
	s_mov_b32 s11, exec_lo
	s_delay_alu instid0(VALU_DEP_1)
	v_cmpx_gt_u32_e64 s10, v20
	s_cbranch_execz .LBB61_15
; %bb.14:
	global_load_u8 v18, v0, s[0:1] offset:128
	s_waitcnt vmcnt(0)
	v_cmp_ne_u16_e32 vcc_lo, 0, v18
	v_cndmask_b32_e64 v18, 0, 1, vcc_lo
.LBB61_15:
	s_or_b32 exec_lo, exec_lo, s11
	v_cmp_gt_u32_e32 vcc_lo, s10, v17
	v_dual_mov_b32 v17, 0 :: v_dual_mov_b32 v20, 0
	s_and_saveexec_b32 s11, vcc_lo
	s_cbranch_execz .LBB61_17
; %bb.16:
	global_load_u8 v20, v0, s[0:1] offset:256
	s_waitcnt vmcnt(0)
	v_cmp_ne_u16_e32 vcc_lo, 0, v20
	v_cndmask_b32_e64 v20, 0, 1, vcc_lo
.LBB61_17:
	s_or_b32 exec_lo, exec_lo, s11
	s_delay_alu instid0(SALU_CYCLE_1)
	s_mov_b32 s11, exec_lo
	v_cmpx_gt_u32_e64 s10, v16
	s_cbranch_execz .LBB61_19
; %bb.18:
	global_load_u8 v16, v0, s[0:1] offset:384
	s_waitcnt vmcnt(0)
	v_cmp_ne_u16_e32 vcc_lo, 0, v16
	v_cndmask_b32_e64 v17, 0, 1, vcc_lo
.LBB61_19:
	s_or_b32 exec_lo, exec_lo, s11
	v_cmp_gt_u32_e32 vcc_lo, s10, v14
	v_mov_b32_e32 v14, 0
	v_mov_b32_e32 v16, 0
	s_and_saveexec_b32 s11, vcc_lo
	s_cbranch_execz .LBB61_21
; %bb.20:
	global_load_u8 v16, v0, s[0:1] offset:512
	s_waitcnt vmcnt(0)
	v_cmp_ne_u16_e32 vcc_lo, 0, v16
	v_cndmask_b32_e64 v16, 0, 1, vcc_lo
.LBB61_21:
	s_or_b32 exec_lo, exec_lo, s11
	v_cmp_gt_u32_e32 vcc_lo, s10, v13
	s_and_saveexec_b32 s10, vcc_lo
	s_cbranch_execz .LBB61_23
; %bb.22:
	global_load_u8 v13, v0, s[0:1] offset:640
	s_waitcnt vmcnt(0)
	v_cmp_ne_u16_e32 vcc_lo, 0, v13
	v_cndmask_b32_e64 v14, 0, 1, vcc_lo
.LBB61_23:
	s_or_b32 exec_lo, exec_lo, s10
	ds_store_b8 v0, v19
	ds_store_b8 v0, v18 offset:128
	ds_store_b8 v0, v20 offset:256
	ds_store_b8 v0, v17 offset:384
	ds_store_b8 v0, v16 offset:512
	ds_store_b8 v0, v14 offset:640
	s_waitcnt lgkmcnt(0)
	s_barrier
.LBB61_24:
	v_mad_i32_i24 v43, 0xffffffd6, v0, v15
	buffer_gl0_inv
	v_mbcnt_lo_u32_b32 v42, -1, 0
	s_cmp_lg_u32 s9, 0
	s_mov_b32 s1, -1
	ds_load_u16 v36, v43
	ds_load_u16 v33, v43 offset:2
	ds_load_u16 v31, v43 offset:4
	v_mov_b32_e32 v14, 0
	v_and_b32_e32 v44, 15, v42
	s_waitcnt lgkmcnt(0)
	s_barrier
	buffer_gl0_inv
	v_and_b32_e32 v41, 0xff, v36
	v_lshrrev_b16 v34, 8, v36
	v_lshrrev_b16 v35, 8, v33
	v_and_b32_e32 v39, 0xff, v33
	v_lshrrev_b16 v32, 8, v31
	v_and_b32_e32 v37, 0xff, v31
	v_and_b32_e32 v40, 0xffff, v34
	;; [unrolled: 1-line block ×3, first 2 shown]
	s_delay_alu instid0(VALU_DEP_4) | instskip(NEXT) | instid1(VALU_DEP_3)
	v_and_b32_e32 v16, 0xffff, v32
	v_add_co_u32 v13, s0, v40, v41
	s_delay_alu instid0(VALU_DEP_1) | instskip(SKIP_1) | instid1(VALU_DEP_3)
	v_add_co_ci_u32_e64 v15, null, 0, 0, s0
	v_cmp_ne_u32_e64 s0, 0, v44
	v_add_co_u32 v13, vcc_lo, v13, v39
	s_delay_alu instid0(VALU_DEP_3) | instskip(NEXT) | instid1(VALU_DEP_2)
	v_add_co_ci_u32_e32 v15, vcc_lo, 0, v15, vcc_lo
	v_add_co_u32 v13, vcc_lo, v13, v38
	s_delay_alu instid0(VALU_DEP_2) | instskip(NEXT) | instid1(VALU_DEP_2)
	v_add_co_ci_u32_e32 v15, vcc_lo, 0, v15, vcc_lo
	v_add_co_u32 v13, vcc_lo, v13, v37
	s_delay_alu instid0(VALU_DEP_2) | instskip(NEXT) | instid1(VALU_DEP_2)
	v_add_co_ci_u32_e32 v15, vcc_lo, 0, v15, vcc_lo
	v_add_co_u32 v21, vcc_lo, v13, v16
	s_delay_alu instid0(VALU_DEP_2)
	v_add_co_ci_u32_e32 v22, vcc_lo, 0, v15, vcc_lo
	s_cbranch_scc0 .LBB61_93
; %bb.25:
	s_delay_alu instid0(VALU_DEP_2)
	v_mov_b32_e32 v15, v21
	v_mov_b32_dpp v13, v21 row_shr:1 row_mask:0xf bank_mask:0xf
	v_mov_b32_dpp v18, v14 row_shr:1 row_mask:0xf bank_mask:0xf
	v_dual_mov_b32 v17, v21 :: v_dual_mov_b32 v16, v22
	s_and_saveexec_b32 s1, s0
; %bb.26:
	s_delay_alu instid0(VALU_DEP_3) | instskip(SKIP_1) | instid1(VALU_DEP_2)
	v_add_co_u32 v17, vcc_lo, v21, v13
	v_add_co_ci_u32_e32 v14, vcc_lo, 0, v22, vcc_lo
	v_add_co_u32 v13, vcc_lo, 0, v17
	s_delay_alu instid0(VALU_DEP_2) | instskip(NEXT) | instid1(VALU_DEP_1)
	v_add_co_ci_u32_e32 v14, vcc_lo, v18, v14, vcc_lo
	v_dual_mov_b32 v16, v14 :: v_dual_mov_b32 v15, v13
; %bb.27:
	s_or_b32 exec_lo, exec_lo, s1
	v_mov_b32_dpp v13, v17 row_shr:2 row_mask:0xf bank_mask:0xf
	v_mov_b32_dpp v18, v14 row_shr:2 row_mask:0xf bank_mask:0xf
	s_mov_b32 s1, exec_lo
	v_cmpx_lt_u32_e32 1, v44
; %bb.28:
	s_delay_alu instid0(VALU_DEP_3) | instskip(SKIP_1) | instid1(VALU_DEP_2)
	v_add_co_u32 v17, vcc_lo, v15, v13
	v_add_co_ci_u32_e32 v14, vcc_lo, 0, v16, vcc_lo
	v_add_co_u32 v13, vcc_lo, 0, v17
	s_delay_alu instid0(VALU_DEP_2) | instskip(NEXT) | instid1(VALU_DEP_1)
	v_add_co_ci_u32_e32 v14, vcc_lo, v18, v14, vcc_lo
	v_dual_mov_b32 v16, v14 :: v_dual_mov_b32 v15, v13
; %bb.29:
	s_or_b32 exec_lo, exec_lo, s1
	v_mov_b32_dpp v13, v17 row_shr:4 row_mask:0xf bank_mask:0xf
	v_mov_b32_dpp v18, v14 row_shr:4 row_mask:0xf bank_mask:0xf
	s_mov_b32 s1, exec_lo
	v_cmpx_lt_u32_e32 3, v44
	;; [unrolled: 14-line block ×3, first 2 shown]
; %bb.32:
	s_delay_alu instid0(VALU_DEP_3) | instskip(SKIP_1) | instid1(VALU_DEP_2)
	v_add_co_u32 v17, vcc_lo, v15, v18
	v_add_co_ci_u32_e32 v14, vcc_lo, 0, v16, vcc_lo
	v_add_co_u32 v15, vcc_lo, 0, v17
	s_delay_alu instid0(VALU_DEP_2) | instskip(NEXT) | instid1(VALU_DEP_1)
	v_add_co_ci_u32_e32 v16, vcc_lo, v13, v14, vcc_lo
	v_mov_b32_e32 v14, v16
; %bb.33:
	s_or_b32 exec_lo, exec_lo, s1
	ds_swizzle_b32 v13, v17 offset:swizzle(BROADCAST,32,15)
	ds_swizzle_b32 v18, v14 offset:swizzle(BROADCAST,32,15)
	v_and_b32_e32 v19, 16, v42
	s_mov_b32 s1, exec_lo
	s_delay_alu instid0(VALU_DEP_1)
	v_cmpx_ne_u32_e32 0, v19
	s_cbranch_execz .LBB61_35
; %bb.34:
	s_waitcnt lgkmcnt(1)
	v_add_co_u32 v17, vcc_lo, v15, v13
	v_add_co_ci_u32_e32 v14, vcc_lo, 0, v16, vcc_lo
	s_delay_alu instid0(VALU_DEP_2) | instskip(SKIP_1) | instid1(VALU_DEP_2)
	v_add_co_u32 v13, vcc_lo, 0, v17
	s_waitcnt lgkmcnt(0)
	v_add_co_ci_u32_e32 v14, vcc_lo, v18, v14, vcc_lo
	s_delay_alu instid0(VALU_DEP_1)
	v_dual_mov_b32 v16, v14 :: v_dual_mov_b32 v15, v13
.LBB61_35:
	s_or_b32 exec_lo, exec_lo, s1
	s_waitcnt lgkmcnt(0)
	v_or_b32_e32 v18, 31, v0
	v_lshrrev_b32_e32 v13, 5, v0
	s_mov_b32 s1, exec_lo
	s_delay_alu instid0(VALU_DEP_2)
	v_cmpx_eq_u32_e64 v18, v0
	s_cbranch_execz .LBB61_37
; %bb.36:
	s_delay_alu instid0(VALU_DEP_2)
	v_lshlrev_b32_e32 v18, 3, v13
	ds_store_b64 v18, v[15:16]
.LBB61_37:
	s_or_b32 exec_lo, exec_lo, s1
	s_delay_alu instid0(SALU_CYCLE_1)
	s_mov_b32 s1, exec_lo
	s_waitcnt lgkmcnt(0)
	s_barrier
	buffer_gl0_inv
	v_cmpx_gt_u32_e32 4, v0
	s_cbranch_execz .LBB61_43
; %bb.38:
	v_lshlrev_b32_e32 v18, 3, v0
	s_mov_b32 s10, exec_lo
	ds_load_b64 v[15:16], v18
	s_waitcnt lgkmcnt(0)
	v_dual_mov_b32 v20, v15 :: v_dual_and_b32 v19, 3, v42
	v_mov_b32_dpp v24, v15 row_shr:1 row_mask:0xf bank_mask:0xf
	v_mov_b32_dpp v23, v16 row_shr:1 row_mask:0xf bank_mask:0xf
	s_delay_alu instid0(VALU_DEP_3)
	v_cmpx_ne_u32_e32 0, v19
; %bb.39:
	s_delay_alu instid0(VALU_DEP_3) | instskip(SKIP_1) | instid1(VALU_DEP_2)
	v_add_co_u32 v20, vcc_lo, v15, v24
	v_add_co_ci_u32_e32 v16, vcc_lo, 0, v16, vcc_lo
	v_add_co_u32 v15, vcc_lo, 0, v20
	s_delay_alu instid0(VALU_DEP_2)
	v_add_co_ci_u32_e32 v16, vcc_lo, v23, v16, vcc_lo
; %bb.40:
	s_or_b32 exec_lo, exec_lo, s10
	v_mov_b32_dpp v23, v20 row_shr:2 row_mask:0xf bank_mask:0xf
	s_delay_alu instid0(VALU_DEP_2)
	v_mov_b32_dpp v20, v16 row_shr:2 row_mask:0xf bank_mask:0xf
	s_mov_b32 s10, exec_lo
	v_cmpx_lt_u32_e32 1, v19
; %bb.41:
	s_delay_alu instid0(VALU_DEP_3) | instskip(SKIP_1) | instid1(VALU_DEP_2)
	v_add_co_u32 v15, vcc_lo, v15, v23
	v_add_co_ci_u32_e32 v16, vcc_lo, 0, v16, vcc_lo
	v_add_co_u32 v15, vcc_lo, v15, 0
	s_delay_alu instid0(VALU_DEP_2)
	v_add_co_ci_u32_e32 v16, vcc_lo, v16, v20, vcc_lo
; %bb.42:
	s_or_b32 exec_lo, exec_lo, s10
	ds_store_b64 v18, v[15:16]
.LBB61_43:
	s_or_b32 exec_lo, exec_lo, s1
	v_cmp_gt_u32_e32 vcc_lo, 32, v0
	s_mov_b32 s10, exec_lo
	s_waitcnt lgkmcnt(0)
	s_barrier
	buffer_gl0_inv
                                        ; implicit-def: $vgpr23_vgpr24
	v_cmpx_lt_u32_e32 31, v0
	s_cbranch_execz .LBB61_45
; %bb.44:
	v_lshl_add_u32 v13, v13, 3, -8
	ds_load_b64 v[23:24], v13
	s_waitcnt lgkmcnt(0)
	v_add_co_u32 v17, s1, v17, v23
	s_delay_alu instid0(VALU_DEP_1)
	v_add_co_ci_u32_e64 v14, s1, v14, v24, s1
.LBB61_45:
	s_or_b32 exec_lo, exec_lo, s10
	v_add_nc_u32_e32 v13, -1, v42
	s_delay_alu instid0(VALU_DEP_1) | instskip(NEXT) | instid1(VALU_DEP_1)
	v_cmp_gt_i32_e64 s1, 0, v13
	v_cndmask_b32_e64 v13, v13, v42, s1
	v_cmp_eq_u32_e64 s1, 0, v42
	s_delay_alu instid0(VALU_DEP_2)
	v_lshlrev_b32_e32 v13, 2, v13
	ds_bpermute_b32 v29, v13, v17
	ds_bpermute_b32 v30, v13, v14
	s_and_saveexec_b32 s10, vcc_lo
	s_cbranch_execz .LBB61_88
; %bb.46:
	v_mov_b32_e32 v16, 0
	ds_load_b64 v[13:14], v16 offset:24
	s_and_saveexec_b32 s11, s1
	s_cbranch_execz .LBB61_48
; %bb.47:
	s_add_i32 s16, s9, 32
	s_mov_b32 s17, 0
	s_delay_alu instid0(SALU_CYCLE_1) | instskip(NEXT) | instid1(SALU_CYCLE_1)
	s_lshl_b64 s[16:17], s[16:17], 4
	s_add_u32 s16, s14, s16
	s_addc_u32 s17, s15, s17
	s_delay_alu instid0(SALU_CYCLE_1)
	v_dual_mov_b32 v15, 1 :: v_dual_mov_b32 v18, s17
	v_mov_b32_e32 v17, s16
	s_waitcnt lgkmcnt(0)
	;;#ASMSTART
	global_store_dwordx4 v[17:18], v[13:16] off	
s_waitcnt vmcnt(0)
	;;#ASMEND
.LBB61_48:
	s_or_b32 exec_lo, exec_lo, s11
	v_xad_u32 v25, v42, -1, s9
	s_mov_b32 s16, 0
	s_mov_b32 s11, exec_lo
	s_delay_alu instid0(VALU_DEP_1) | instskip(NEXT) | instid1(VALU_DEP_1)
	v_add_nc_u32_e32 v15, 32, v25
	v_lshlrev_b64 v[15:16], 4, v[15:16]
	s_delay_alu instid0(VALU_DEP_1) | instskip(NEXT) | instid1(VALU_DEP_2)
	v_add_co_u32 v15, vcc_lo, s14, v15
	v_add_co_ci_u32_e32 v16, vcc_lo, s15, v16, vcc_lo
	;;#ASMSTART
	global_load_dwordx4 v[17:20], v[15:16] off glc	
s_waitcnt vmcnt(0)
	;;#ASMEND
	v_and_b32_e32 v20, 0xff, v18
	v_and_b32_e32 v26, 0xff00, v18
	v_or3_b32 v17, v17, 0, 0
	v_and_b32_e32 v27, 0xff000000, v18
	v_and_b32_e32 v18, 0xff0000, v18
	s_delay_alu instid0(VALU_DEP_4) | instskip(SKIP_2) | instid1(VALU_DEP_3)
	v_or3_b32 v20, 0, v20, v26
	v_and_b32_e32 v26, 0xff, v19
	v_or3_b32 v17, v17, 0, 0
	v_or3_b32 v18, v20, v18, v27
	s_delay_alu instid0(VALU_DEP_3)
	v_cmpx_eq_u16_e32 0, v26
	s_cbranch_execz .LBB61_54
; %bb.49:
	s_mov_b32 s17, 1
	.p2align	6
.LBB61_50:                              ; =>This Loop Header: Depth=1
                                        ;     Child Loop BB61_51 Depth 2
	s_delay_alu instid0(SALU_CYCLE_1)
	s_max_u32 s18, s17, 1
.LBB61_51:                              ;   Parent Loop BB61_50 Depth=1
                                        ; =>  This Inner Loop Header: Depth=2
	s_delay_alu instid0(SALU_CYCLE_1)
	s_add_i32 s18, s18, -1
	s_sleep 1
	s_cmp_eq_u32 s18, 0
	s_cbranch_scc0 .LBB61_51
; %bb.52:                               ;   in Loop: Header=BB61_50 Depth=1
	;;#ASMSTART
	global_load_dwordx4 v[17:20], v[15:16] off glc	
s_waitcnt vmcnt(0)
	;;#ASMEND
	v_and_b32_e32 v20, 0xff, v19
	s_cmp_lt_u32 s17, 32
	s_cselect_b32 s18, -1, 0
	s_delay_alu instid0(SALU_CYCLE_1) | instskip(NEXT) | instid1(VALU_DEP_1)
	s_cmp_lg_u32 s18, 0
	v_cmp_ne_u16_e32 vcc_lo, 0, v20
	s_addc_u32 s17, s17, 0
	s_or_b32 s16, vcc_lo, s16
	s_delay_alu instid0(SALU_CYCLE_1)
	s_and_not1_b32 exec_lo, exec_lo, s16
	s_cbranch_execnz .LBB61_50
; %bb.53:
	s_or_b32 exec_lo, exec_lo, s16
.LBB61_54:
	s_delay_alu instid0(SALU_CYCLE_1)
	s_or_b32 exec_lo, exec_lo, s11
	v_cmp_ne_u32_e32 vcc_lo, 31, v42
	v_and_b32_e32 v16, 0xff, v19
	v_lshlrev_b32_e64 v46, v42, -1
	s_mov_b32 s11, exec_lo
	v_add_co_ci_u32_e32 v15, vcc_lo, 0, v42, vcc_lo
	s_delay_alu instid0(VALU_DEP_3) | instskip(NEXT) | instid1(VALU_DEP_2)
	v_cmp_eq_u16_e32 vcc_lo, 2, v16
	v_dual_mov_b32 v16, v17 :: v_dual_lshlrev_b32 v45, 2, v15
	v_and_or_b32 v15, vcc_lo, v46, 0x80000000
	ds_bpermute_b32 v26, v45, v17
	ds_bpermute_b32 v20, v45, v18
	v_ctz_i32_b32_e32 v15, v15
	s_delay_alu instid0(VALU_DEP_1)
	v_cmpx_lt_u32_e64 v42, v15
	s_cbranch_execz .LBB61_56
; %bb.55:
	s_waitcnt lgkmcnt(1)
	v_add_co_u32 v16, vcc_lo, v17, v26
	v_add_co_ci_u32_e32 v18, vcc_lo, 0, v18, vcc_lo
	s_delay_alu instid0(VALU_DEP_2) | instskip(SKIP_1) | instid1(VALU_DEP_2)
	v_add_co_u32 v17, vcc_lo, 0, v16
	s_waitcnt lgkmcnt(0)
	v_add_co_ci_u32_e32 v18, vcc_lo, v20, v18, vcc_lo
.LBB61_56:
	s_or_b32 exec_lo, exec_lo, s11
	v_cmp_gt_u32_e32 vcc_lo, 30, v42
	v_add_nc_u32_e32 v48, 2, v42
	s_mov_b32 s11, exec_lo
	s_waitcnt lgkmcnt(0)
	v_cndmask_b32_e64 v20, 0, 1, vcc_lo
	s_delay_alu instid0(VALU_DEP_1) | instskip(NEXT) | instid1(VALU_DEP_1)
	v_lshlrev_b32_e32 v20, 1, v20
	v_add_lshl_u32 v47, v20, v42, 2
	ds_bpermute_b32 v26, v47, v16
	ds_bpermute_b32 v20, v47, v18
	v_cmpx_le_u32_e64 v48, v15
	s_cbranch_execz .LBB61_58
; %bb.57:
	s_waitcnt lgkmcnt(1)
	v_add_co_u32 v16, vcc_lo, v17, v26
	v_add_co_ci_u32_e32 v18, vcc_lo, 0, v18, vcc_lo
	s_delay_alu instid0(VALU_DEP_2) | instskip(SKIP_1) | instid1(VALU_DEP_2)
	v_add_co_u32 v17, vcc_lo, 0, v16
	s_waitcnt lgkmcnt(0)
	v_add_co_ci_u32_e32 v18, vcc_lo, v20, v18, vcc_lo
.LBB61_58:
	s_or_b32 exec_lo, exec_lo, s11
	v_cmp_gt_u32_e32 vcc_lo, 28, v42
	v_add_nc_u32_e32 v50, 4, v42
	s_mov_b32 s11, exec_lo
	s_waitcnt lgkmcnt(0)
	v_cndmask_b32_e64 v20, 0, 1, vcc_lo
	s_delay_alu instid0(VALU_DEP_1) | instskip(NEXT) | instid1(VALU_DEP_1)
	v_lshlrev_b32_e32 v20, 2, v20
	v_add_lshl_u32 v49, v20, v42, 2
	ds_bpermute_b32 v26, v49, v16
	ds_bpermute_b32 v20, v49, v18
	v_cmpx_le_u32_e64 v50, v15
	;; [unrolled: 22-line block ×4, first 2 shown]
	s_cbranch_execz .LBB61_64
; %bb.63:
	s_waitcnt lgkmcnt(1)
	v_add_co_u32 v15, vcc_lo, v17, v20
	v_add_co_ci_u32_e32 v18, vcc_lo, 0, v18, vcc_lo
	s_delay_alu instid0(VALU_DEP_2) | instskip(SKIP_1) | instid1(VALU_DEP_2)
	v_add_co_u32 v17, vcc_lo, v15, 0
	s_waitcnt lgkmcnt(0)
	v_add_co_ci_u32_e32 v18, vcc_lo, v18, v16, vcc_lo
.LBB61_64:
	s_or_b32 exec_lo, exec_lo, s11
	v_mov_b32_e32 v26, 0
	s_branch .LBB61_66
.LBB61_65:                              ;   in Loop: Header=BB61_66 Depth=1
	s_or_b32 exec_lo, exec_lo, s11
	v_add_co_u32 v17, vcc_lo, v17, v15
	v_subrev_nc_u32_e32 v25, 32, v25
	v_add_co_ci_u32_e32 v18, vcc_lo, v18, v16, vcc_lo
.LBB61_66:                              ; =>This Loop Header: Depth=1
                                        ;     Child Loop BB61_69 Depth 2
                                        ;       Child Loop BB61_70 Depth 3
	v_and_b32_e32 v15, 0xff, v19
	s_delay_alu instid0(VALU_DEP_1) | instskip(SKIP_2) | instid1(VALU_DEP_1)
	v_cmp_ne_u16_e32 vcc_lo, 2, v15
	v_cndmask_b32_e64 v15, 0, 1, vcc_lo
	;;#ASMSTART
	;;#ASMEND
	v_cmp_ne_u32_e32 vcc_lo, 0, v15
	s_waitcnt lgkmcnt(0)
	v_dual_mov_b32 v15, v17 :: v_dual_mov_b32 v16, v18
	s_cmp_lg_u32 vcc_lo, exec_lo
	s_cbranch_scc1 .LBB61_83
; %bb.67:                               ;   in Loop: Header=BB61_66 Depth=1
	v_lshlrev_b64 v[17:18], 4, v[25:26]
	s_mov_b32 s11, exec_lo
	s_delay_alu instid0(VALU_DEP_1) | instskip(NEXT) | instid1(VALU_DEP_2)
	v_add_co_u32 v27, vcc_lo, s14, v17
	v_add_co_ci_u32_e32 v28, vcc_lo, s15, v18, vcc_lo
	;;#ASMSTART
	global_load_dwordx4 v[17:20], v[27:28] off glc	
s_waitcnt vmcnt(0)
	;;#ASMEND
	v_and_b32_e32 v20, 0xff, v18
	v_and_b32_e32 v55, 0xff00, v18
	v_or3_b32 v17, v17, 0, 0
	v_and_b32_e32 v56, 0xff000000, v18
	v_and_b32_e32 v18, 0xff0000, v18
	s_delay_alu instid0(VALU_DEP_4) | instskip(SKIP_2) | instid1(VALU_DEP_3)
	v_or3_b32 v20, 0, v20, v55
	v_and_b32_e32 v55, 0xff, v19
	v_or3_b32 v17, v17, 0, 0
	v_or3_b32 v18, v20, v18, v56
	s_delay_alu instid0(VALU_DEP_3)
	v_cmpx_eq_u16_e32 0, v55
	s_cbranch_execz .LBB61_73
; %bb.68:                               ;   in Loop: Header=BB61_66 Depth=1
	s_mov_b32 s17, 1
	s_mov_b32 s16, 0
	.p2align	6
.LBB61_69:                              ;   Parent Loop BB61_66 Depth=1
                                        ; =>  This Loop Header: Depth=2
                                        ;       Child Loop BB61_70 Depth 3
	s_max_u32 s18, s17, 1
.LBB61_70:                              ;   Parent Loop BB61_66 Depth=1
                                        ;     Parent Loop BB61_69 Depth=2
                                        ; =>    This Inner Loop Header: Depth=3
	s_delay_alu instid0(SALU_CYCLE_1)
	s_add_i32 s18, s18, -1
	s_sleep 1
	s_cmp_eq_u32 s18, 0
	s_cbranch_scc0 .LBB61_70
; %bb.71:                               ;   in Loop: Header=BB61_69 Depth=2
	;;#ASMSTART
	global_load_dwordx4 v[17:20], v[27:28] off glc	
s_waitcnt vmcnt(0)
	;;#ASMEND
	v_and_b32_e32 v20, 0xff, v19
	s_cmp_lt_u32 s17, 32
	s_cselect_b32 s18, -1, 0
	s_delay_alu instid0(SALU_CYCLE_1) | instskip(NEXT) | instid1(VALU_DEP_1)
	s_cmp_lg_u32 s18, 0
	v_cmp_ne_u16_e32 vcc_lo, 0, v20
	s_addc_u32 s17, s17, 0
	s_or_b32 s16, vcc_lo, s16
	s_delay_alu instid0(SALU_CYCLE_1)
	s_and_not1_b32 exec_lo, exec_lo, s16
	s_cbranch_execnz .LBB61_69
; %bb.72:                               ;   in Loop: Header=BB61_66 Depth=1
	s_or_b32 exec_lo, exec_lo, s16
.LBB61_73:                              ;   in Loop: Header=BB61_66 Depth=1
	s_delay_alu instid0(SALU_CYCLE_1)
	s_or_b32 exec_lo, exec_lo, s11
	v_dual_mov_b32 v27, v17 :: v_dual_and_b32 v20, 0xff, v19
	ds_bpermute_b32 v55, v45, v17
	ds_bpermute_b32 v28, v45, v18
	s_mov_b32 s11, exec_lo
	v_cmp_eq_u16_e32 vcc_lo, 2, v20
	v_and_or_b32 v20, vcc_lo, v46, 0x80000000
	s_delay_alu instid0(VALU_DEP_1) | instskip(NEXT) | instid1(VALU_DEP_1)
	v_ctz_i32_b32_e32 v20, v20
	v_cmpx_lt_u32_e64 v42, v20
	s_cbranch_execz .LBB61_75
; %bb.74:                               ;   in Loop: Header=BB61_66 Depth=1
	s_waitcnt lgkmcnt(1)
	v_add_co_u32 v27, vcc_lo, v17, v55
	v_add_co_ci_u32_e32 v18, vcc_lo, 0, v18, vcc_lo
	s_delay_alu instid0(VALU_DEP_2) | instskip(SKIP_1) | instid1(VALU_DEP_2)
	v_add_co_u32 v17, vcc_lo, 0, v27
	s_waitcnt lgkmcnt(0)
	v_add_co_ci_u32_e32 v18, vcc_lo, v28, v18, vcc_lo
.LBB61_75:                              ;   in Loop: Header=BB61_66 Depth=1
	s_or_b32 exec_lo, exec_lo, s11
	s_waitcnt lgkmcnt(1)
	ds_bpermute_b32 v55, v47, v27
	s_waitcnt lgkmcnt(1)
	ds_bpermute_b32 v28, v47, v18
	s_mov_b32 s11, exec_lo
	v_cmpx_le_u32_e64 v48, v20
	s_cbranch_execz .LBB61_77
; %bb.76:                               ;   in Loop: Header=BB61_66 Depth=1
	s_waitcnt lgkmcnt(1)
	v_add_co_u32 v27, vcc_lo, v17, v55
	v_add_co_ci_u32_e32 v18, vcc_lo, 0, v18, vcc_lo
	s_delay_alu instid0(VALU_DEP_2) | instskip(SKIP_1) | instid1(VALU_DEP_2)
	v_add_co_u32 v17, vcc_lo, 0, v27
	s_waitcnt lgkmcnt(0)
	v_add_co_ci_u32_e32 v18, vcc_lo, v28, v18, vcc_lo
.LBB61_77:                              ;   in Loop: Header=BB61_66 Depth=1
	s_or_b32 exec_lo, exec_lo, s11
	s_waitcnt lgkmcnt(1)
	ds_bpermute_b32 v55, v49, v27
	s_waitcnt lgkmcnt(1)
	ds_bpermute_b32 v28, v49, v18
	s_mov_b32 s11, exec_lo
	v_cmpx_le_u32_e64 v50, v20
	;; [unrolled: 17-line block ×3, first 2 shown]
	s_cbranch_execz .LBB61_81
; %bb.80:                               ;   in Loop: Header=BB61_66 Depth=1
	s_waitcnt lgkmcnt(1)
	v_add_co_u32 v27, vcc_lo, v17, v55
	v_add_co_ci_u32_e32 v18, vcc_lo, 0, v18, vcc_lo
	s_delay_alu instid0(VALU_DEP_2) | instskip(SKIP_1) | instid1(VALU_DEP_2)
	v_add_co_u32 v17, vcc_lo, 0, v27
	s_waitcnt lgkmcnt(0)
	v_add_co_ci_u32_e32 v18, vcc_lo, v28, v18, vcc_lo
.LBB61_81:                              ;   in Loop: Header=BB61_66 Depth=1
	s_or_b32 exec_lo, exec_lo, s11
	s_waitcnt lgkmcnt(0)
	ds_bpermute_b32 v28, v53, v27
	ds_bpermute_b32 v27, v53, v18
	s_mov_b32 s11, exec_lo
	v_cmpx_le_u32_e64 v54, v20
	s_cbranch_execz .LBB61_65
; %bb.82:                               ;   in Loop: Header=BB61_66 Depth=1
	s_waitcnt lgkmcnt(1)
	v_add_co_u32 v17, vcc_lo, v17, v28
	v_add_co_ci_u32_e32 v18, vcc_lo, 0, v18, vcc_lo
	s_delay_alu instid0(VALU_DEP_2) | instskip(SKIP_1) | instid1(VALU_DEP_2)
	v_add_co_u32 v17, vcc_lo, v17, 0
	s_waitcnt lgkmcnt(0)
	v_add_co_ci_u32_e32 v18, vcc_lo, v18, v27, vcc_lo
	s_branch .LBB61_65
.LBB61_83:                              ;   in Loop: Header=BB61_66 Depth=1
                                        ; implicit-def: $vgpr17_vgpr18
	s_cbranch_execz .LBB61_66
; %bb.84:
	s_and_saveexec_b32 s11, s1
	s_cbranch_execz .LBB61_86
; %bb.85:
	s_add_i32 s16, s9, 32
	s_mov_b32 s17, 0
	v_add_co_u32 v17, vcc_lo, v15, v13
	s_lshl_b64 s[16:17], s[16:17], 4
	v_dual_mov_b32 v19, 2 :: v_dual_mov_b32 v20, 0
	s_add_u32 s16, s14, s16
	s_addc_u32 s17, s15, s17
	v_add_co_ci_u32_e32 v18, vcc_lo, v16, v14, vcc_lo
	v_dual_mov_b32 v26, s17 :: v_dual_mov_b32 v25, s16
	;;#ASMSTART
	global_store_dwordx4 v[25:26], v[17:20] off	
s_waitcnt vmcnt(0)
	;;#ASMEND
	ds_store_b128 v20, v[13:16] offset:6144
.LBB61_86:
	s_or_b32 exec_lo, exec_lo, s11
	s_delay_alu instid0(SALU_CYCLE_1)
	s_and_b32 exec_lo, exec_lo, s2
	s_cbranch_execz .LBB61_88
; %bb.87:
	v_mov_b32_e32 v13, 0
	ds_store_b64 v13, v[15:16] offset:24
.LBB61_88:
	s_or_b32 exec_lo, exec_lo, s10
	v_mov_b32_e32 v15, 0
	s_waitcnt lgkmcnt(0)
	s_barrier
	buffer_gl0_inv
	v_cndmask_b32_e64 v16, v29, v23, s1
	ds_load_b64 v[13:14], v15 offset:24
	v_cndmask_b32_e64 v17, v30, v24, s1
	s_waitcnt lgkmcnt(0)
	s_barrier
	v_cndmask_b32_e64 v16, v16, 0, s2
	buffer_gl0_inv
	v_cndmask_b32_e64 v17, v17, 0, s2
	v_add_co_u32 v29, vcc_lo, v13, v16
	s_delay_alu instid0(VALU_DEP_2) | instskip(SKIP_3) | instid1(VALU_DEP_2)
	v_add_co_ci_u32_e32 v30, vcc_lo, v14, v17, vcc_lo
	ds_load_b128 v[13:16], v15 offset:6144
	v_add_co_u32 v27, vcc_lo, v29, v41
	v_add_co_ci_u32_e32 v28, vcc_lo, 0, v30, vcc_lo
	v_add_co_u32 v25, vcc_lo, v27, v40
	s_delay_alu instid0(VALU_DEP_2) | instskip(NEXT) | instid1(VALU_DEP_2)
	v_add_co_ci_u32_e32 v26, vcc_lo, 0, v28, vcc_lo
	v_add_co_u32 v23, vcc_lo, v25, v39
	s_delay_alu instid0(VALU_DEP_2) | instskip(NEXT) | instid1(VALU_DEP_2)
	;; [unrolled: 3-line block ×3, first 2 shown]
	v_add_co_ci_u32_e32 v20, vcc_lo, 0, v24, vcc_lo
	v_add_co_u32 v17, vcc_lo, v19, v37
	s_delay_alu instid0(VALU_DEP_2)
	v_add_co_ci_u32_e32 v18, vcc_lo, 0, v20, vcc_lo
.LBB61_89:
	s_waitcnt lgkmcnt(0)
	v_cmp_gt_u64_e32 vcc_lo, 0x81, v[13:14]
	s_mov_b32 s0, -1
	s_cbranch_vccnz .LBB61_117
.LBB61_90:
	s_and_b32 vcc_lo, exec_lo, s0
	s_cbranch_vccnz .LBB61_136
.LBB61_91:
	s_and_b32 s0, s2, s3
	s_delay_alu instid0(SALU_CYCLE_1)
	s_and_saveexec_b32 s1, s0
	s_cbranch_execnz .LBB61_152
.LBB61_92:
	s_nop 0
	s_sendmsg sendmsg(MSG_DEALLOC_VGPRS)
	s_endpgm
.LBB61_93:
                                        ; kill: def $vgpr13_vgpr14 killed $sgpr0_sgpr1 killed $exec
                                        ; implicit-def: $vgpr17_vgpr18
                                        ; implicit-def: $vgpr19_vgpr20
                                        ; implicit-def: $vgpr23_vgpr24
                                        ; implicit-def: $vgpr25_vgpr26
                                        ; implicit-def: $vgpr27_vgpr28
                                        ; implicit-def: $vgpr29_vgpr30
                                        ; implicit-def: $vgpr15_vgpr16
	s_and_b32 vcc_lo, exec_lo, s1
	s_cbranch_vccz .LBB61_89
; %bb.94:
	s_waitcnt lgkmcnt(0)
	v_dual_mov_b32 v14, 0 :: v_dual_mov_b32 v15, v21
	v_mov_b32_dpp v16, v21 row_shr:1 row_mask:0xf bank_mask:0xf
	s_delay_alu instid0(VALU_DEP_2)
	v_mov_b32_dpp v13, v14 row_shr:1 row_mask:0xf bank_mask:0xf
	s_and_saveexec_b32 s1, s0
; %bb.95:
	s_delay_alu instid0(VALU_DEP_2) | instskip(SKIP_1) | instid1(VALU_DEP_2)
	v_add_co_u32 v15, vcc_lo, v21, v16
	v_add_co_ci_u32_e32 v14, vcc_lo, 0, v22, vcc_lo
	v_add_co_u32 v21, vcc_lo, 0, v15
	s_delay_alu instid0(VALU_DEP_2) | instskip(NEXT) | instid1(VALU_DEP_1)
	v_add_co_ci_u32_e32 v22, vcc_lo, v13, v14, vcc_lo
	v_mov_b32_e32 v14, v22
; %bb.96:
	s_or_b32 exec_lo, exec_lo, s1
	v_mov_b32_dpp v13, v15 row_shr:2 row_mask:0xf bank_mask:0xf
	s_delay_alu instid0(VALU_DEP_2)
	v_mov_b32_dpp v16, v14 row_shr:2 row_mask:0xf bank_mask:0xf
	s_mov_b32 s0, exec_lo
	v_cmpx_lt_u32_e32 1, v44
; %bb.97:
	s_delay_alu instid0(VALU_DEP_3) | instskip(SKIP_1) | instid1(VALU_DEP_2)
	v_add_co_u32 v15, vcc_lo, v21, v13
	v_add_co_ci_u32_e32 v14, vcc_lo, 0, v22, vcc_lo
	v_add_co_u32 v13, vcc_lo, 0, v15
	s_delay_alu instid0(VALU_DEP_2) | instskip(NEXT) | instid1(VALU_DEP_1)
	v_add_co_ci_u32_e32 v14, vcc_lo, v16, v14, vcc_lo
	v_dual_mov_b32 v22, v14 :: v_dual_mov_b32 v21, v13
; %bb.98:
	s_or_b32 exec_lo, exec_lo, s0
	v_mov_b32_dpp v13, v15 row_shr:4 row_mask:0xf bank_mask:0xf
	v_mov_b32_dpp v16, v14 row_shr:4 row_mask:0xf bank_mask:0xf
	s_mov_b32 s0, exec_lo
	v_cmpx_lt_u32_e32 3, v44
; %bb.99:
	s_delay_alu instid0(VALU_DEP_3) | instskip(SKIP_1) | instid1(VALU_DEP_2)
	v_add_co_u32 v15, vcc_lo, v21, v13
	v_add_co_ci_u32_e32 v14, vcc_lo, 0, v22, vcc_lo
	v_add_co_u32 v13, vcc_lo, 0, v15
	s_delay_alu instid0(VALU_DEP_2) | instskip(NEXT) | instid1(VALU_DEP_1)
	v_add_co_ci_u32_e32 v14, vcc_lo, v16, v14, vcc_lo
	v_dual_mov_b32 v22, v14 :: v_dual_mov_b32 v21, v13
; %bb.100:
	s_or_b32 exec_lo, exec_lo, s0
	v_mov_b32_dpp v16, v15 row_shr:8 row_mask:0xf bank_mask:0xf
	v_mov_b32_dpp v13, v14 row_shr:8 row_mask:0xf bank_mask:0xf
	s_mov_b32 s0, exec_lo
	v_cmpx_lt_u32_e32 7, v44
; %bb.101:
	s_delay_alu instid0(VALU_DEP_3) | instskip(SKIP_1) | instid1(VALU_DEP_2)
	v_add_co_u32 v15, vcc_lo, v21, v16
	v_add_co_ci_u32_e32 v14, vcc_lo, 0, v22, vcc_lo
	v_add_co_u32 v21, vcc_lo, 0, v15
	s_delay_alu instid0(VALU_DEP_2) | instskip(NEXT) | instid1(VALU_DEP_1)
	v_add_co_ci_u32_e32 v22, vcc_lo, v13, v14, vcc_lo
	v_mov_b32_e32 v14, v22
; %bb.102:
	s_or_b32 exec_lo, exec_lo, s0
	ds_swizzle_b32 v15, v15 offset:swizzle(BROADCAST,32,15)
	ds_swizzle_b32 v13, v14 offset:swizzle(BROADCAST,32,15)
	v_and_b32_e32 v14, 16, v42
	s_mov_b32 s0, exec_lo
	s_delay_alu instid0(VALU_DEP_1)
	v_cmpx_ne_u32_e32 0, v14
	s_cbranch_execz .LBB61_104
; %bb.103:
	s_waitcnt lgkmcnt(1)
	v_add_co_u32 v14, vcc_lo, v21, v15
	v_add_co_ci_u32_e32 v15, vcc_lo, 0, v22, vcc_lo
	s_delay_alu instid0(VALU_DEP_2) | instskip(SKIP_1) | instid1(VALU_DEP_2)
	v_add_co_u32 v21, vcc_lo, v14, 0
	s_waitcnt lgkmcnt(0)
	v_add_co_ci_u32_e32 v22, vcc_lo, v15, v13, vcc_lo
.LBB61_104:
	s_or_b32 exec_lo, exec_lo, s0
	s_waitcnt lgkmcnt(0)
	v_or_b32_e32 v13, 31, v0
	v_lshrrev_b32_e32 v15, 5, v0
	s_mov_b32 s0, exec_lo
	s_delay_alu instid0(VALU_DEP_2)
	v_cmpx_eq_u32_e64 v13, v0
	s_cbranch_execz .LBB61_106
; %bb.105:
	s_delay_alu instid0(VALU_DEP_2)
	v_lshlrev_b32_e32 v13, 3, v15
	ds_store_b64 v13, v[21:22]
.LBB61_106:
	s_or_b32 exec_lo, exec_lo, s0
	s_delay_alu instid0(SALU_CYCLE_1)
	s_mov_b32 s0, exec_lo
	s_waitcnt lgkmcnt(0)
	s_barrier
	buffer_gl0_inv
	v_cmpx_gt_u32_e32 4, v0
	s_cbranch_execz .LBB61_112
; %bb.107:
	v_lshlrev_b32_e32 v13, 1, v0
	s_mov_b32 s1, exec_lo
	s_delay_alu instid0(VALU_DEP_1)
	v_add_nc_u32_e32 v16, v43, v13
	ds_load_b64 v[13:14], v16
	s_waitcnt lgkmcnt(0)
	v_dual_mov_b32 v18, v13 :: v_dual_and_b32 v17, 3, v42
	v_mov_b32_dpp v20, v13 row_shr:1 row_mask:0xf bank_mask:0xf
	v_mov_b32_dpp v19, v14 row_shr:1 row_mask:0xf bank_mask:0xf
	s_delay_alu instid0(VALU_DEP_3)
	v_cmpx_ne_u32_e32 0, v17
; %bb.108:
	s_delay_alu instid0(VALU_DEP_3) | instskip(SKIP_1) | instid1(VALU_DEP_2)
	v_add_co_u32 v18, vcc_lo, v13, v20
	v_add_co_ci_u32_e32 v14, vcc_lo, 0, v14, vcc_lo
	v_add_co_u32 v13, vcc_lo, 0, v18
	s_delay_alu instid0(VALU_DEP_2)
	v_add_co_ci_u32_e32 v14, vcc_lo, v19, v14, vcc_lo
; %bb.109:
	s_or_b32 exec_lo, exec_lo, s1
	v_mov_b32_dpp v19, v18 row_shr:2 row_mask:0xf bank_mask:0xf
	s_delay_alu instid0(VALU_DEP_2)
	v_mov_b32_dpp v18, v14 row_shr:2 row_mask:0xf bank_mask:0xf
	s_mov_b32 s1, exec_lo
	v_cmpx_lt_u32_e32 1, v17
; %bb.110:
	s_delay_alu instid0(VALU_DEP_3) | instskip(SKIP_1) | instid1(VALU_DEP_2)
	v_add_co_u32 v13, vcc_lo, v13, v19
	v_add_co_ci_u32_e32 v14, vcc_lo, 0, v14, vcc_lo
	v_add_co_u32 v13, vcc_lo, v13, 0
	s_delay_alu instid0(VALU_DEP_2)
	v_add_co_ci_u32_e32 v14, vcc_lo, v14, v18, vcc_lo
; %bb.111:
	s_or_b32 exec_lo, exec_lo, s1
	ds_store_b64 v16, v[13:14]
.LBB61_112:
	s_or_b32 exec_lo, exec_lo, s0
	v_mov_b32_e32 v17, 0
	v_mov_b32_e32 v18, 0
	s_mov_b32 s0, exec_lo
	s_waitcnt lgkmcnt(0)
	s_barrier
	buffer_gl0_inv
	v_cmpx_lt_u32_e32 31, v0
	s_cbranch_execz .LBB61_114
; %bb.113:
	v_lshl_add_u32 v13, v15, 3, -8
	ds_load_b64 v[17:18], v13
.LBB61_114:
	s_or_b32 exec_lo, exec_lo, s0
	v_dual_mov_b32 v16, 0 :: v_dual_add_nc_u32 v13, -1, v42
	s_delay_alu instid0(VALU_DEP_1) | instskip(SKIP_4) | instid1(VALU_DEP_3)
	v_cmp_gt_i32_e32 vcc_lo, 0, v13
	v_cndmask_b32_e32 v13, v13, v42, vcc_lo
	s_waitcnt lgkmcnt(0)
	v_add_co_u32 v14, vcc_lo, v17, v21
	v_add_co_ci_u32_e32 v15, vcc_lo, v18, v22, vcc_lo
	v_lshlrev_b32_e32 v13, 2, v13
	ds_bpermute_b32 v19, v13, v14
	ds_bpermute_b32 v20, v13, v15
	ds_load_b64 v[13:14], v16 offset:24
	s_and_saveexec_b32 s0, s2
	s_cbranch_execz .LBB61_116
; %bb.115:
	s_add_u32 s10, s14, 0x200
	s_addc_u32 s11, s15, 0
	s_delay_alu instid0(SALU_CYCLE_1)
	v_dual_mov_b32 v15, 2 :: v_dual_mov_b32 v22, s11
	v_mov_b32_e32 v21, s10
	s_waitcnt lgkmcnt(0)
	;;#ASMSTART
	global_store_dwordx4 v[21:22], v[13:16] off	
s_waitcnt vmcnt(0)
	;;#ASMEND
.LBB61_116:
	s_or_b32 exec_lo, exec_lo, s0
	v_cmp_eq_u32_e32 vcc_lo, 0, v42
	s_waitcnt lgkmcnt(0)
	s_barrier
	buffer_gl0_inv
	v_dual_cndmask_b32 v15, v19, v17 :: v_dual_cndmask_b32 v16, v20, v18
	s_delay_alu instid0(VALU_DEP_1) | instskip(NEXT) | instid1(VALU_DEP_2)
	v_cndmask_b32_e64 v29, v15, 0, s2
	v_cndmask_b32_e64 v30, v16, 0, s2
	v_mov_b32_e32 v15, 0
	v_mov_b32_e32 v16, 0
	s_delay_alu instid0(VALU_DEP_4) | instskip(NEXT) | instid1(VALU_DEP_4)
	v_add_co_u32 v27, vcc_lo, v29, v41
	v_add_co_ci_u32_e32 v28, vcc_lo, 0, v30, vcc_lo
	s_delay_alu instid0(VALU_DEP_2) | instskip(NEXT) | instid1(VALU_DEP_2)
	v_add_co_u32 v25, vcc_lo, v27, v40
	v_add_co_ci_u32_e32 v26, vcc_lo, 0, v28, vcc_lo
	s_delay_alu instid0(VALU_DEP_2) | instskip(NEXT) | instid1(VALU_DEP_2)
	v_add_co_u32 v23, vcc_lo, v25, v39
	v_add_co_ci_u32_e32 v24, vcc_lo, 0, v26, vcc_lo
	s_delay_alu instid0(VALU_DEP_2) | instskip(NEXT) | instid1(VALU_DEP_2)
	v_add_co_u32 v19, vcc_lo, v23, v38
	v_add_co_ci_u32_e32 v20, vcc_lo, 0, v24, vcc_lo
	s_delay_alu instid0(VALU_DEP_2) | instskip(NEXT) | instid1(VALU_DEP_2)
	v_add_co_u32 v17, vcc_lo, v19, v37
	v_add_co_ci_u32_e32 v18, vcc_lo, 0, v20, vcc_lo
	v_cmp_gt_u64_e32 vcc_lo, 0x81, v[13:14]
	s_mov_b32 s0, -1
	s_cbranch_vccz .LBB61_90
.LBB61_117:
	v_add_co_u32 v21, vcc_lo, v15, v13
	v_add_co_ci_u32_e32 v22, vcc_lo, v16, v14, vcc_lo
	s_delay_alu instid0(VALU_DEP_1) | instskip(SKIP_1) | instid1(SALU_CYCLE_1)
	v_cmp_lt_u64_e32 vcc_lo, v[29:30], v[21:22]
	s_or_b32 s1, s8, vcc_lo
	s_and_saveexec_b32 s0, s1
	s_cbranch_execz .LBB61_120
; %bb.118:
	v_and_b32_e32 v37, 1, v36
	s_delay_alu instid0(VALU_DEP_1)
	v_cmp_eq_u32_e32 vcc_lo, 1, v37
	s_and_b32 exec_lo, exec_lo, vcc_lo
	s_cbranch_execz .LBB61_120
; %bb.119:
	v_lshlrev_b64 v[37:38], 3, v[29:30]
	s_lshl_b64 s[10:11], s[6:7], 3
	s_delay_alu instid0(SALU_CYCLE_1) | instskip(SKIP_1) | instid1(VALU_DEP_1)
	s_add_u32 s1, s12, s10
	s_addc_u32 s9, s13, s11
	v_add_co_u32 v37, vcc_lo, s1, v37
	s_delay_alu instid0(VALU_DEP_2)
	v_add_co_ci_u32_e32 v38, vcc_lo, s9, v38, vcc_lo
	global_store_b64 v[37:38], v[9:10], off
.LBB61_120:
	s_or_b32 exec_lo, exec_lo, s0
	v_cmp_lt_u64_e32 vcc_lo, v[27:28], v[21:22]
	s_or_b32 s1, s8, vcc_lo
	s_delay_alu instid0(SALU_CYCLE_1)
	s_and_saveexec_b32 s0, s1
	s_cbranch_execz .LBB61_123
; %bb.121:
	v_and_b32_e32 v30, 1, v34
	s_delay_alu instid0(VALU_DEP_1)
	v_cmp_eq_u32_e32 vcc_lo, 1, v30
	s_and_b32 exec_lo, exec_lo, vcc_lo
	s_cbranch_execz .LBB61_123
; %bb.122:
	v_lshlrev_b64 v[37:38], 3, v[27:28]
	s_lshl_b64 s[10:11], s[6:7], 3
	s_delay_alu instid0(SALU_CYCLE_1) | instskip(SKIP_1) | instid1(VALU_DEP_1)
	s_add_u32 s1, s12, s10
	s_addc_u32 s9, s13, s11
	v_add_co_u32 v37, vcc_lo, s1, v37
	s_delay_alu instid0(VALU_DEP_2)
	v_add_co_ci_u32_e32 v38, vcc_lo, s9, v38, vcc_lo
	global_store_b64 v[37:38], v[11:12], off
.LBB61_123:
	s_or_b32 exec_lo, exec_lo, s0
	v_cmp_lt_u64_e32 vcc_lo, v[25:26], v[21:22]
	s_or_b32 s1, s8, vcc_lo
	s_delay_alu instid0(SALU_CYCLE_1)
	s_and_saveexec_b32 s0, s1
	s_cbranch_execz .LBB61_126
; %bb.124:
	v_and_b32_e32 v28, 1, v33
	s_delay_alu instid0(VALU_DEP_1)
	v_cmp_eq_u32_e32 vcc_lo, 1, v28
	s_and_b32 exec_lo, exec_lo, vcc_lo
	s_cbranch_execz .LBB61_126
; %bb.125:
	v_lshlrev_b64 v[37:38], 3, v[25:26]
	s_lshl_b64 s[10:11], s[6:7], 3
	s_delay_alu instid0(SALU_CYCLE_1) | instskip(SKIP_1) | instid1(VALU_DEP_1)
	s_add_u32 s1, s12, s10
	s_addc_u32 s9, s13, s11
	v_add_co_u32 v37, vcc_lo, s1, v37
	s_delay_alu instid0(VALU_DEP_2)
	v_add_co_ci_u32_e32 v38, vcc_lo, s9, v38, vcc_lo
	global_store_b64 v[37:38], v[5:6], off
.LBB61_126:
	s_or_b32 exec_lo, exec_lo, s0
	v_cmp_lt_u64_e32 vcc_lo, v[23:24], v[21:22]
	s_or_b32 s1, s8, vcc_lo
	s_delay_alu instid0(SALU_CYCLE_1)
	s_and_saveexec_b32 s0, s1
	s_cbranch_execz .LBB61_129
; %bb.127:
	v_and_b32_e32 v26, 1, v35
	s_delay_alu instid0(VALU_DEP_1)
	v_cmp_eq_u32_e32 vcc_lo, 1, v26
	s_and_b32 exec_lo, exec_lo, vcc_lo
	s_cbranch_execz .LBB61_129
; %bb.128:
	v_lshlrev_b64 v[37:38], 3, v[23:24]
	s_lshl_b64 s[10:11], s[6:7], 3
	s_delay_alu instid0(SALU_CYCLE_1) | instskip(SKIP_1) | instid1(VALU_DEP_1)
	s_add_u32 s1, s12, s10
	s_addc_u32 s9, s13, s11
	v_add_co_u32 v37, vcc_lo, s1, v37
	s_delay_alu instid0(VALU_DEP_2)
	v_add_co_ci_u32_e32 v38, vcc_lo, s9, v38, vcc_lo
	global_store_b64 v[37:38], v[7:8], off
.LBB61_129:
	s_or_b32 exec_lo, exec_lo, s0
	v_cmp_lt_u64_e32 vcc_lo, v[19:20], v[21:22]
	s_or_b32 s1, s8, vcc_lo
	s_delay_alu instid0(SALU_CYCLE_1)
	s_and_saveexec_b32 s0, s1
	s_cbranch_execz .LBB61_132
; %bb.130:
	v_and_b32_e32 v24, 1, v31
	s_delay_alu instid0(VALU_DEP_1)
	v_cmp_eq_u32_e32 vcc_lo, 1, v24
	s_and_b32 exec_lo, exec_lo, vcc_lo
	s_cbranch_execz .LBB61_132
; %bb.131:
	v_lshlrev_b64 v[37:38], 3, v[19:20]
	s_lshl_b64 s[10:11], s[6:7], 3
	s_delay_alu instid0(SALU_CYCLE_1) | instskip(SKIP_1) | instid1(VALU_DEP_1)
	s_add_u32 s1, s12, s10
	s_addc_u32 s9, s13, s11
	v_add_co_u32 v37, vcc_lo, s1, v37
	s_delay_alu instid0(VALU_DEP_2)
	v_add_co_ci_u32_e32 v38, vcc_lo, s9, v38, vcc_lo
	global_store_b64 v[37:38], v[1:2], off
.LBB61_132:
	s_or_b32 exec_lo, exec_lo, s0
	v_cmp_lt_u64_e32 vcc_lo, v[17:18], v[21:22]
	s_or_b32 s1, s8, vcc_lo
	s_delay_alu instid0(SALU_CYCLE_1)
	s_and_saveexec_b32 s0, s1
	s_cbranch_execz .LBB61_135
; %bb.133:
	v_and_b32_e32 v20, 1, v32
	s_delay_alu instid0(VALU_DEP_1)
	v_cmp_eq_u32_e32 vcc_lo, 1, v20
	s_and_b32 exec_lo, exec_lo, vcc_lo
	s_cbranch_execz .LBB61_135
; %bb.134:
	v_lshlrev_b64 v[20:21], 3, v[17:18]
	s_lshl_b64 s[8:9], s[6:7], 3
	s_delay_alu instid0(SALU_CYCLE_1) | instskip(SKIP_1) | instid1(VALU_DEP_1)
	s_add_u32 s1, s12, s8
	s_addc_u32 s8, s13, s9
	v_add_co_u32 v20, vcc_lo, s1, v20
	s_delay_alu instid0(VALU_DEP_2)
	v_add_co_ci_u32_e32 v21, vcc_lo, s8, v21, vcc_lo
	global_store_b64 v[20:21], v[3:4], off
.LBB61_135:
	s_or_b32 exec_lo, exec_lo, s0
	s_branch .LBB61_91
.LBB61_136:
	v_and_b32_e32 v18, 1, v36
	s_mov_b32 s0, exec_lo
	s_delay_alu instid0(VALU_DEP_1)
	v_cmpx_eq_u32_e32 1, v18
	s_cbranch_execz .LBB61_138
; %bb.137:
	v_sub_nc_u32_e32 v18, v29, v15
	s_delay_alu instid0(VALU_DEP_1)
	v_lshlrev_b32_e32 v18, 3, v18
	ds_store_b64 v18, v[9:10]
.LBB61_138:
	s_or_b32 exec_lo, exec_lo, s0
	v_and_b32_e32 v9, 1, v34
	s_mov_b32 s0, exec_lo
	s_delay_alu instid0(VALU_DEP_1)
	v_cmpx_eq_u32_e32 1, v9
	s_cbranch_execz .LBB61_140
; %bb.139:
	v_sub_nc_u32_e32 v9, v27, v15
	s_delay_alu instid0(VALU_DEP_1)
	v_lshlrev_b32_e32 v9, 3, v9
	ds_store_b64 v9, v[11:12]
.LBB61_140:
	s_or_b32 exec_lo, exec_lo, s0
	;; [unrolled: 12-line block ×6, first 2 shown]
	v_mov_b32_e32 v1, 0
	s_mov_b32 s1, exec_lo
	s_waitcnt lgkmcnt(0)
	s_waitcnt_vscnt null, 0x0
	s_barrier
	buffer_gl0_inv
	v_cmpx_gt_u64_e64 v[13:14], v[0:1]
	s_cbranch_execz .LBB61_151
; %bb.149:
	v_lshlrev_b64 v[4:5], 3, v[15:16]
	s_lshl_b64 s[8:9], s[6:7], 3
	v_dual_mov_b32 v3, v1 :: v_dual_mov_b32 v2, v0
	v_or_b32_e32 v0, 0x80, v0
	s_delay_alu instid0(VALU_DEP_3) | instskip(NEXT) | instid1(VALU_DEP_4)
	v_add_co_u32 v4, vcc_lo, s12, v4
	v_add_co_ci_u32_e32 v5, vcc_lo, s13, v5, vcc_lo
	s_delay_alu instid0(VALU_DEP_2) | instskip(NEXT) | instid1(VALU_DEP_2)
	v_add_co_u32 v4, vcc_lo, v4, s8
	v_add_co_ci_u32_e32 v5, vcc_lo, s9, v5, vcc_lo
	s_mov_b32 s8, 0
	.p2align	6
.LBB61_150:                             ; =>This Inner Loop Header: Depth=1
	v_lshlrev_b32_e32 v6, 3, v2
	v_lshlrev_b64 v[8:9], 3, v[2:3]
	v_mov_b32_e32 v3, v1
	v_cmp_le_u64_e32 vcc_lo, v[13:14], v[0:1]
	v_mov_b32_e32 v2, v0
	ds_load_b64 v[6:7], v6
	v_add_nc_u32_e32 v0, 0x80, v0
	v_add_co_u32 v8, s0, v4, v8
	s_delay_alu instid0(VALU_DEP_1)
	v_add_co_ci_u32_e64 v9, s0, v5, v9, s0
	s_or_b32 s8, vcc_lo, s8
	s_waitcnt lgkmcnt(0)
	global_store_b64 v[8:9], v[6:7], off
	s_and_not1_b32 exec_lo, exec_lo, s8
	s_cbranch_execnz .LBB61_150
.LBB61_151:
	s_or_b32 exec_lo, exec_lo, s1
	s_and_b32 s0, s2, s3
	s_delay_alu instid0(SALU_CYCLE_1)
	s_and_saveexec_b32 s1, s0
	s_cbranch_execz .LBB61_92
.LBB61_152:
	v_add_co_u32 v0, vcc_lo, v15, v13
	v_add_co_ci_u32_e32 v1, vcc_lo, v16, v14, vcc_lo
	v_mov_b32_e32 v2, 0
	s_delay_alu instid0(VALU_DEP_3) | instskip(NEXT) | instid1(VALU_DEP_3)
	v_add_co_u32 v0, vcc_lo, v0, s6
	v_add_co_ci_u32_e32 v1, vcc_lo, s7, v1, vcc_lo
	global_store_b64 v2, v[0:1], s[4:5]
	s_nop 0
	s_sendmsg sendmsg(MSG_DEALLOC_VGPRS)
	s_endpgm
	.section	.rodata,"a",@progbits
	.p2align	6, 0x0
	.amdhsa_kernel _ZN7rocprim17ROCPRIM_400000_NS6detail17trampoline_kernelINS0_14default_configENS1_25partition_config_selectorILNS1_17partition_subalgoE5ElNS0_10empty_typeEbEEZZNS1_14partition_implILS5_5ELb0ES3_mN6hipcub16HIPCUB_304000_NS21CountingInputIteratorIllEEPS6_NSA_22TransformInputIteratorIbN2at6native12_GLOBAL__N_19NonZeroOpIhEEPKhlEENS0_5tupleIJPlS6_EEENSN_IJSD_SD_EEES6_PiJS6_EEE10hipError_tPvRmT3_T4_T5_T6_T7_T9_mT8_P12ihipStream_tbDpT10_ENKUlT_T0_E_clISt17integral_constantIbLb1EES1B_EEDaS16_S17_EUlS16_E_NS1_11comp_targetILNS1_3genE9ELNS1_11target_archE1100ELNS1_3gpuE3ELNS1_3repE0EEENS1_30default_config_static_selectorELNS0_4arch9wavefront6targetE0EEEvT1_
		.amdhsa_group_segment_fixed_size 6160
		.amdhsa_private_segment_fixed_size 0
		.amdhsa_kernarg_size 136
		.amdhsa_user_sgpr_count 15
		.amdhsa_user_sgpr_dispatch_ptr 0
		.amdhsa_user_sgpr_queue_ptr 0
		.amdhsa_user_sgpr_kernarg_segment_ptr 1
		.amdhsa_user_sgpr_dispatch_id 0
		.amdhsa_user_sgpr_private_segment_size 0
		.amdhsa_wavefront_size32 1
		.amdhsa_uses_dynamic_stack 0
		.amdhsa_enable_private_segment 0
		.amdhsa_system_sgpr_workgroup_id_x 1
		.amdhsa_system_sgpr_workgroup_id_y 0
		.amdhsa_system_sgpr_workgroup_id_z 0
		.amdhsa_system_sgpr_workgroup_info 0
		.amdhsa_system_vgpr_workitem_id 0
		.amdhsa_next_free_vgpr 57
		.amdhsa_next_free_sgpr 23
		.amdhsa_reserve_vcc 1
		.amdhsa_float_round_mode_32 0
		.amdhsa_float_round_mode_16_64 0
		.amdhsa_float_denorm_mode_32 3
		.amdhsa_float_denorm_mode_16_64 3
		.amdhsa_dx10_clamp 1
		.amdhsa_ieee_mode 1
		.amdhsa_fp16_overflow 0
		.amdhsa_workgroup_processor_mode 1
		.amdhsa_memory_ordered 1
		.amdhsa_forward_progress 0
		.amdhsa_shared_vgpr_count 0
		.amdhsa_exception_fp_ieee_invalid_op 0
		.amdhsa_exception_fp_denorm_src 0
		.amdhsa_exception_fp_ieee_div_zero 0
		.amdhsa_exception_fp_ieee_overflow 0
		.amdhsa_exception_fp_ieee_underflow 0
		.amdhsa_exception_fp_ieee_inexact 0
		.amdhsa_exception_int_div_zero 0
	.end_amdhsa_kernel
	.section	.text._ZN7rocprim17ROCPRIM_400000_NS6detail17trampoline_kernelINS0_14default_configENS1_25partition_config_selectorILNS1_17partition_subalgoE5ElNS0_10empty_typeEbEEZZNS1_14partition_implILS5_5ELb0ES3_mN6hipcub16HIPCUB_304000_NS21CountingInputIteratorIllEEPS6_NSA_22TransformInputIteratorIbN2at6native12_GLOBAL__N_19NonZeroOpIhEEPKhlEENS0_5tupleIJPlS6_EEENSN_IJSD_SD_EEES6_PiJS6_EEE10hipError_tPvRmT3_T4_T5_T6_T7_T9_mT8_P12ihipStream_tbDpT10_ENKUlT_T0_E_clISt17integral_constantIbLb1EES1B_EEDaS16_S17_EUlS16_E_NS1_11comp_targetILNS1_3genE9ELNS1_11target_archE1100ELNS1_3gpuE3ELNS1_3repE0EEENS1_30default_config_static_selectorELNS0_4arch9wavefront6targetE0EEEvT1_,"axG",@progbits,_ZN7rocprim17ROCPRIM_400000_NS6detail17trampoline_kernelINS0_14default_configENS1_25partition_config_selectorILNS1_17partition_subalgoE5ElNS0_10empty_typeEbEEZZNS1_14partition_implILS5_5ELb0ES3_mN6hipcub16HIPCUB_304000_NS21CountingInputIteratorIllEEPS6_NSA_22TransformInputIteratorIbN2at6native12_GLOBAL__N_19NonZeroOpIhEEPKhlEENS0_5tupleIJPlS6_EEENSN_IJSD_SD_EEES6_PiJS6_EEE10hipError_tPvRmT3_T4_T5_T6_T7_T9_mT8_P12ihipStream_tbDpT10_ENKUlT_T0_E_clISt17integral_constantIbLb1EES1B_EEDaS16_S17_EUlS16_E_NS1_11comp_targetILNS1_3genE9ELNS1_11target_archE1100ELNS1_3gpuE3ELNS1_3repE0EEENS1_30default_config_static_selectorELNS0_4arch9wavefront6targetE0EEEvT1_,comdat
.Lfunc_end61:
	.size	_ZN7rocprim17ROCPRIM_400000_NS6detail17trampoline_kernelINS0_14default_configENS1_25partition_config_selectorILNS1_17partition_subalgoE5ElNS0_10empty_typeEbEEZZNS1_14partition_implILS5_5ELb0ES3_mN6hipcub16HIPCUB_304000_NS21CountingInputIteratorIllEEPS6_NSA_22TransformInputIteratorIbN2at6native12_GLOBAL__N_19NonZeroOpIhEEPKhlEENS0_5tupleIJPlS6_EEENSN_IJSD_SD_EEES6_PiJS6_EEE10hipError_tPvRmT3_T4_T5_T6_T7_T9_mT8_P12ihipStream_tbDpT10_ENKUlT_T0_E_clISt17integral_constantIbLb1EES1B_EEDaS16_S17_EUlS16_E_NS1_11comp_targetILNS1_3genE9ELNS1_11target_archE1100ELNS1_3gpuE3ELNS1_3repE0EEENS1_30default_config_static_selectorELNS0_4arch9wavefront6targetE0EEEvT1_, .Lfunc_end61-_ZN7rocprim17ROCPRIM_400000_NS6detail17trampoline_kernelINS0_14default_configENS1_25partition_config_selectorILNS1_17partition_subalgoE5ElNS0_10empty_typeEbEEZZNS1_14partition_implILS5_5ELb0ES3_mN6hipcub16HIPCUB_304000_NS21CountingInputIteratorIllEEPS6_NSA_22TransformInputIteratorIbN2at6native12_GLOBAL__N_19NonZeroOpIhEEPKhlEENS0_5tupleIJPlS6_EEENSN_IJSD_SD_EEES6_PiJS6_EEE10hipError_tPvRmT3_T4_T5_T6_T7_T9_mT8_P12ihipStream_tbDpT10_ENKUlT_T0_E_clISt17integral_constantIbLb1EES1B_EEDaS16_S17_EUlS16_E_NS1_11comp_targetILNS1_3genE9ELNS1_11target_archE1100ELNS1_3gpuE3ELNS1_3repE0EEENS1_30default_config_static_selectorELNS0_4arch9wavefront6targetE0EEEvT1_
                                        ; -- End function
	.section	.AMDGPU.csdata,"",@progbits
; Kernel info:
; codeLenInByte = 6568
; NumSgprs: 25
; NumVgprs: 57
; ScratchSize: 0
; MemoryBound: 0
; FloatMode: 240
; IeeeMode: 1
; LDSByteSize: 6160 bytes/workgroup (compile time only)
; SGPRBlocks: 3
; VGPRBlocks: 7
; NumSGPRsForWavesPerEU: 25
; NumVGPRsForWavesPerEU: 57
; Occupancy: 16
; WaveLimiterHint : 1
; COMPUTE_PGM_RSRC2:SCRATCH_EN: 0
; COMPUTE_PGM_RSRC2:USER_SGPR: 15
; COMPUTE_PGM_RSRC2:TRAP_HANDLER: 0
; COMPUTE_PGM_RSRC2:TGID_X_EN: 1
; COMPUTE_PGM_RSRC2:TGID_Y_EN: 0
; COMPUTE_PGM_RSRC2:TGID_Z_EN: 0
; COMPUTE_PGM_RSRC2:TIDIG_COMP_CNT: 0
	.section	.text._ZN7rocprim17ROCPRIM_400000_NS6detail17trampoline_kernelINS0_14default_configENS1_25partition_config_selectorILNS1_17partition_subalgoE5ElNS0_10empty_typeEbEEZZNS1_14partition_implILS5_5ELb0ES3_mN6hipcub16HIPCUB_304000_NS21CountingInputIteratorIllEEPS6_NSA_22TransformInputIteratorIbN2at6native12_GLOBAL__N_19NonZeroOpIhEEPKhlEENS0_5tupleIJPlS6_EEENSN_IJSD_SD_EEES6_PiJS6_EEE10hipError_tPvRmT3_T4_T5_T6_T7_T9_mT8_P12ihipStream_tbDpT10_ENKUlT_T0_E_clISt17integral_constantIbLb1EES1B_EEDaS16_S17_EUlS16_E_NS1_11comp_targetILNS1_3genE8ELNS1_11target_archE1030ELNS1_3gpuE2ELNS1_3repE0EEENS1_30default_config_static_selectorELNS0_4arch9wavefront6targetE0EEEvT1_,"axG",@progbits,_ZN7rocprim17ROCPRIM_400000_NS6detail17trampoline_kernelINS0_14default_configENS1_25partition_config_selectorILNS1_17partition_subalgoE5ElNS0_10empty_typeEbEEZZNS1_14partition_implILS5_5ELb0ES3_mN6hipcub16HIPCUB_304000_NS21CountingInputIteratorIllEEPS6_NSA_22TransformInputIteratorIbN2at6native12_GLOBAL__N_19NonZeroOpIhEEPKhlEENS0_5tupleIJPlS6_EEENSN_IJSD_SD_EEES6_PiJS6_EEE10hipError_tPvRmT3_T4_T5_T6_T7_T9_mT8_P12ihipStream_tbDpT10_ENKUlT_T0_E_clISt17integral_constantIbLb1EES1B_EEDaS16_S17_EUlS16_E_NS1_11comp_targetILNS1_3genE8ELNS1_11target_archE1030ELNS1_3gpuE2ELNS1_3repE0EEENS1_30default_config_static_selectorELNS0_4arch9wavefront6targetE0EEEvT1_,comdat
	.globl	_ZN7rocprim17ROCPRIM_400000_NS6detail17trampoline_kernelINS0_14default_configENS1_25partition_config_selectorILNS1_17partition_subalgoE5ElNS0_10empty_typeEbEEZZNS1_14partition_implILS5_5ELb0ES3_mN6hipcub16HIPCUB_304000_NS21CountingInputIteratorIllEEPS6_NSA_22TransformInputIteratorIbN2at6native12_GLOBAL__N_19NonZeroOpIhEEPKhlEENS0_5tupleIJPlS6_EEENSN_IJSD_SD_EEES6_PiJS6_EEE10hipError_tPvRmT3_T4_T5_T6_T7_T9_mT8_P12ihipStream_tbDpT10_ENKUlT_T0_E_clISt17integral_constantIbLb1EES1B_EEDaS16_S17_EUlS16_E_NS1_11comp_targetILNS1_3genE8ELNS1_11target_archE1030ELNS1_3gpuE2ELNS1_3repE0EEENS1_30default_config_static_selectorELNS0_4arch9wavefront6targetE0EEEvT1_ ; -- Begin function _ZN7rocprim17ROCPRIM_400000_NS6detail17trampoline_kernelINS0_14default_configENS1_25partition_config_selectorILNS1_17partition_subalgoE5ElNS0_10empty_typeEbEEZZNS1_14partition_implILS5_5ELb0ES3_mN6hipcub16HIPCUB_304000_NS21CountingInputIteratorIllEEPS6_NSA_22TransformInputIteratorIbN2at6native12_GLOBAL__N_19NonZeroOpIhEEPKhlEENS0_5tupleIJPlS6_EEENSN_IJSD_SD_EEES6_PiJS6_EEE10hipError_tPvRmT3_T4_T5_T6_T7_T9_mT8_P12ihipStream_tbDpT10_ENKUlT_T0_E_clISt17integral_constantIbLb1EES1B_EEDaS16_S17_EUlS16_E_NS1_11comp_targetILNS1_3genE8ELNS1_11target_archE1030ELNS1_3gpuE2ELNS1_3repE0EEENS1_30default_config_static_selectorELNS0_4arch9wavefront6targetE0EEEvT1_
	.p2align	8
	.type	_ZN7rocprim17ROCPRIM_400000_NS6detail17trampoline_kernelINS0_14default_configENS1_25partition_config_selectorILNS1_17partition_subalgoE5ElNS0_10empty_typeEbEEZZNS1_14partition_implILS5_5ELb0ES3_mN6hipcub16HIPCUB_304000_NS21CountingInputIteratorIllEEPS6_NSA_22TransformInputIteratorIbN2at6native12_GLOBAL__N_19NonZeroOpIhEEPKhlEENS0_5tupleIJPlS6_EEENSN_IJSD_SD_EEES6_PiJS6_EEE10hipError_tPvRmT3_T4_T5_T6_T7_T9_mT8_P12ihipStream_tbDpT10_ENKUlT_T0_E_clISt17integral_constantIbLb1EES1B_EEDaS16_S17_EUlS16_E_NS1_11comp_targetILNS1_3genE8ELNS1_11target_archE1030ELNS1_3gpuE2ELNS1_3repE0EEENS1_30default_config_static_selectorELNS0_4arch9wavefront6targetE0EEEvT1_,@function
_ZN7rocprim17ROCPRIM_400000_NS6detail17trampoline_kernelINS0_14default_configENS1_25partition_config_selectorILNS1_17partition_subalgoE5ElNS0_10empty_typeEbEEZZNS1_14partition_implILS5_5ELb0ES3_mN6hipcub16HIPCUB_304000_NS21CountingInputIteratorIllEEPS6_NSA_22TransformInputIteratorIbN2at6native12_GLOBAL__N_19NonZeroOpIhEEPKhlEENS0_5tupleIJPlS6_EEENSN_IJSD_SD_EEES6_PiJS6_EEE10hipError_tPvRmT3_T4_T5_T6_T7_T9_mT8_P12ihipStream_tbDpT10_ENKUlT_T0_E_clISt17integral_constantIbLb1EES1B_EEDaS16_S17_EUlS16_E_NS1_11comp_targetILNS1_3genE8ELNS1_11target_archE1030ELNS1_3gpuE2ELNS1_3repE0EEENS1_30default_config_static_selectorELNS0_4arch9wavefront6targetE0EEEvT1_: ; @_ZN7rocprim17ROCPRIM_400000_NS6detail17trampoline_kernelINS0_14default_configENS1_25partition_config_selectorILNS1_17partition_subalgoE5ElNS0_10empty_typeEbEEZZNS1_14partition_implILS5_5ELb0ES3_mN6hipcub16HIPCUB_304000_NS21CountingInputIteratorIllEEPS6_NSA_22TransformInputIteratorIbN2at6native12_GLOBAL__N_19NonZeroOpIhEEPKhlEENS0_5tupleIJPlS6_EEENSN_IJSD_SD_EEES6_PiJS6_EEE10hipError_tPvRmT3_T4_T5_T6_T7_T9_mT8_P12ihipStream_tbDpT10_ENKUlT_T0_E_clISt17integral_constantIbLb1EES1B_EEDaS16_S17_EUlS16_E_NS1_11comp_targetILNS1_3genE8ELNS1_11target_archE1030ELNS1_3gpuE2ELNS1_3repE0EEENS1_30default_config_static_selectorELNS0_4arch9wavefront6targetE0EEEvT1_
; %bb.0:
	.section	.rodata,"a",@progbits
	.p2align	6, 0x0
	.amdhsa_kernel _ZN7rocprim17ROCPRIM_400000_NS6detail17trampoline_kernelINS0_14default_configENS1_25partition_config_selectorILNS1_17partition_subalgoE5ElNS0_10empty_typeEbEEZZNS1_14partition_implILS5_5ELb0ES3_mN6hipcub16HIPCUB_304000_NS21CountingInputIteratorIllEEPS6_NSA_22TransformInputIteratorIbN2at6native12_GLOBAL__N_19NonZeroOpIhEEPKhlEENS0_5tupleIJPlS6_EEENSN_IJSD_SD_EEES6_PiJS6_EEE10hipError_tPvRmT3_T4_T5_T6_T7_T9_mT8_P12ihipStream_tbDpT10_ENKUlT_T0_E_clISt17integral_constantIbLb1EES1B_EEDaS16_S17_EUlS16_E_NS1_11comp_targetILNS1_3genE8ELNS1_11target_archE1030ELNS1_3gpuE2ELNS1_3repE0EEENS1_30default_config_static_selectorELNS0_4arch9wavefront6targetE0EEEvT1_
		.amdhsa_group_segment_fixed_size 0
		.amdhsa_private_segment_fixed_size 0
		.amdhsa_kernarg_size 136
		.amdhsa_user_sgpr_count 15
		.amdhsa_user_sgpr_dispatch_ptr 0
		.amdhsa_user_sgpr_queue_ptr 0
		.amdhsa_user_sgpr_kernarg_segment_ptr 1
		.amdhsa_user_sgpr_dispatch_id 0
		.amdhsa_user_sgpr_private_segment_size 0
		.amdhsa_wavefront_size32 1
		.amdhsa_uses_dynamic_stack 0
		.amdhsa_enable_private_segment 0
		.amdhsa_system_sgpr_workgroup_id_x 1
		.amdhsa_system_sgpr_workgroup_id_y 0
		.amdhsa_system_sgpr_workgroup_id_z 0
		.amdhsa_system_sgpr_workgroup_info 0
		.amdhsa_system_vgpr_workitem_id 0
		.amdhsa_next_free_vgpr 1
		.amdhsa_next_free_sgpr 1
		.amdhsa_reserve_vcc 0
		.amdhsa_float_round_mode_32 0
		.amdhsa_float_round_mode_16_64 0
		.amdhsa_float_denorm_mode_32 3
		.amdhsa_float_denorm_mode_16_64 3
		.amdhsa_dx10_clamp 1
		.amdhsa_ieee_mode 1
		.amdhsa_fp16_overflow 0
		.amdhsa_workgroup_processor_mode 1
		.amdhsa_memory_ordered 1
		.amdhsa_forward_progress 0
		.amdhsa_shared_vgpr_count 0
		.amdhsa_exception_fp_ieee_invalid_op 0
		.amdhsa_exception_fp_denorm_src 0
		.amdhsa_exception_fp_ieee_div_zero 0
		.amdhsa_exception_fp_ieee_overflow 0
		.amdhsa_exception_fp_ieee_underflow 0
		.amdhsa_exception_fp_ieee_inexact 0
		.amdhsa_exception_int_div_zero 0
	.end_amdhsa_kernel
	.section	.text._ZN7rocprim17ROCPRIM_400000_NS6detail17trampoline_kernelINS0_14default_configENS1_25partition_config_selectorILNS1_17partition_subalgoE5ElNS0_10empty_typeEbEEZZNS1_14partition_implILS5_5ELb0ES3_mN6hipcub16HIPCUB_304000_NS21CountingInputIteratorIllEEPS6_NSA_22TransformInputIteratorIbN2at6native12_GLOBAL__N_19NonZeroOpIhEEPKhlEENS0_5tupleIJPlS6_EEENSN_IJSD_SD_EEES6_PiJS6_EEE10hipError_tPvRmT3_T4_T5_T6_T7_T9_mT8_P12ihipStream_tbDpT10_ENKUlT_T0_E_clISt17integral_constantIbLb1EES1B_EEDaS16_S17_EUlS16_E_NS1_11comp_targetILNS1_3genE8ELNS1_11target_archE1030ELNS1_3gpuE2ELNS1_3repE0EEENS1_30default_config_static_selectorELNS0_4arch9wavefront6targetE0EEEvT1_,"axG",@progbits,_ZN7rocprim17ROCPRIM_400000_NS6detail17trampoline_kernelINS0_14default_configENS1_25partition_config_selectorILNS1_17partition_subalgoE5ElNS0_10empty_typeEbEEZZNS1_14partition_implILS5_5ELb0ES3_mN6hipcub16HIPCUB_304000_NS21CountingInputIteratorIllEEPS6_NSA_22TransformInputIteratorIbN2at6native12_GLOBAL__N_19NonZeroOpIhEEPKhlEENS0_5tupleIJPlS6_EEENSN_IJSD_SD_EEES6_PiJS6_EEE10hipError_tPvRmT3_T4_T5_T6_T7_T9_mT8_P12ihipStream_tbDpT10_ENKUlT_T0_E_clISt17integral_constantIbLb1EES1B_EEDaS16_S17_EUlS16_E_NS1_11comp_targetILNS1_3genE8ELNS1_11target_archE1030ELNS1_3gpuE2ELNS1_3repE0EEENS1_30default_config_static_selectorELNS0_4arch9wavefront6targetE0EEEvT1_,comdat
.Lfunc_end62:
	.size	_ZN7rocprim17ROCPRIM_400000_NS6detail17trampoline_kernelINS0_14default_configENS1_25partition_config_selectorILNS1_17partition_subalgoE5ElNS0_10empty_typeEbEEZZNS1_14partition_implILS5_5ELb0ES3_mN6hipcub16HIPCUB_304000_NS21CountingInputIteratorIllEEPS6_NSA_22TransformInputIteratorIbN2at6native12_GLOBAL__N_19NonZeroOpIhEEPKhlEENS0_5tupleIJPlS6_EEENSN_IJSD_SD_EEES6_PiJS6_EEE10hipError_tPvRmT3_T4_T5_T6_T7_T9_mT8_P12ihipStream_tbDpT10_ENKUlT_T0_E_clISt17integral_constantIbLb1EES1B_EEDaS16_S17_EUlS16_E_NS1_11comp_targetILNS1_3genE8ELNS1_11target_archE1030ELNS1_3gpuE2ELNS1_3repE0EEENS1_30default_config_static_selectorELNS0_4arch9wavefront6targetE0EEEvT1_, .Lfunc_end62-_ZN7rocprim17ROCPRIM_400000_NS6detail17trampoline_kernelINS0_14default_configENS1_25partition_config_selectorILNS1_17partition_subalgoE5ElNS0_10empty_typeEbEEZZNS1_14partition_implILS5_5ELb0ES3_mN6hipcub16HIPCUB_304000_NS21CountingInputIteratorIllEEPS6_NSA_22TransformInputIteratorIbN2at6native12_GLOBAL__N_19NonZeroOpIhEEPKhlEENS0_5tupleIJPlS6_EEENSN_IJSD_SD_EEES6_PiJS6_EEE10hipError_tPvRmT3_T4_T5_T6_T7_T9_mT8_P12ihipStream_tbDpT10_ENKUlT_T0_E_clISt17integral_constantIbLb1EES1B_EEDaS16_S17_EUlS16_E_NS1_11comp_targetILNS1_3genE8ELNS1_11target_archE1030ELNS1_3gpuE2ELNS1_3repE0EEENS1_30default_config_static_selectorELNS0_4arch9wavefront6targetE0EEEvT1_
                                        ; -- End function
	.section	.AMDGPU.csdata,"",@progbits
; Kernel info:
; codeLenInByte = 0
; NumSgprs: 0
; NumVgprs: 0
; ScratchSize: 0
; MemoryBound: 0
; FloatMode: 240
; IeeeMode: 1
; LDSByteSize: 0 bytes/workgroup (compile time only)
; SGPRBlocks: 0
; VGPRBlocks: 0
; NumSGPRsForWavesPerEU: 1
; NumVGPRsForWavesPerEU: 1
; Occupancy: 16
; WaveLimiterHint : 0
; COMPUTE_PGM_RSRC2:SCRATCH_EN: 0
; COMPUTE_PGM_RSRC2:USER_SGPR: 15
; COMPUTE_PGM_RSRC2:TRAP_HANDLER: 0
; COMPUTE_PGM_RSRC2:TGID_X_EN: 1
; COMPUTE_PGM_RSRC2:TGID_Y_EN: 0
; COMPUTE_PGM_RSRC2:TGID_Z_EN: 0
; COMPUTE_PGM_RSRC2:TIDIG_COMP_CNT: 0
	.section	.text._ZN7rocprim17ROCPRIM_400000_NS6detail31init_lookback_scan_state_kernelINS1_19lookback_scan_stateImLb1ELb1EEENS1_16block_id_wrapperIjLb0EEEEEvT_jT0_jPNS7_10value_typeE,"axG",@progbits,_ZN7rocprim17ROCPRIM_400000_NS6detail31init_lookback_scan_state_kernelINS1_19lookback_scan_stateImLb1ELb1EEENS1_16block_id_wrapperIjLb0EEEEEvT_jT0_jPNS7_10value_typeE,comdat
	.protected	_ZN7rocprim17ROCPRIM_400000_NS6detail31init_lookback_scan_state_kernelINS1_19lookback_scan_stateImLb1ELb1EEENS1_16block_id_wrapperIjLb0EEEEEvT_jT0_jPNS7_10value_typeE ; -- Begin function _ZN7rocprim17ROCPRIM_400000_NS6detail31init_lookback_scan_state_kernelINS1_19lookback_scan_stateImLb1ELb1EEENS1_16block_id_wrapperIjLb0EEEEEvT_jT0_jPNS7_10value_typeE
	.globl	_ZN7rocprim17ROCPRIM_400000_NS6detail31init_lookback_scan_state_kernelINS1_19lookback_scan_stateImLb1ELb1EEENS1_16block_id_wrapperIjLb0EEEEEvT_jT0_jPNS7_10value_typeE
	.p2align	8
	.type	_ZN7rocprim17ROCPRIM_400000_NS6detail31init_lookback_scan_state_kernelINS1_19lookback_scan_stateImLb1ELb1EEENS1_16block_id_wrapperIjLb0EEEEEvT_jT0_jPNS7_10value_typeE,@function
_ZN7rocprim17ROCPRIM_400000_NS6detail31init_lookback_scan_state_kernelINS1_19lookback_scan_stateImLb1ELb1EEENS1_16block_id_wrapperIjLb0EEEEEvT_jT0_jPNS7_10value_typeE: ; @_ZN7rocprim17ROCPRIM_400000_NS6detail31init_lookback_scan_state_kernelINS1_19lookback_scan_stateImLb1ELb1EEENS1_16block_id_wrapperIjLb0EEEEEvT_jT0_jPNS7_10value_typeE
; %bb.0:
	s_clause 0x3
	s_load_b32 s7, s[0:1], 0x2c
	s_load_b64 s[4:5], s[0:1], 0x18
	s_load_b64 s[2:3], s[0:1], 0x0
	s_load_b32 s6, s[0:1], 0x8
	s_waitcnt lgkmcnt(0)
	s_and_b32 s7, s7, 0xffff
	s_cmp_eq_u64 s[4:5], 0
	v_mad_u64_u32 v[1:2], null, s15, s7, v[0:1]
	s_cbranch_scc1 .LBB63_10
; %bb.1:
	s_load_b32 s0, s[0:1], 0x10
	s_waitcnt lgkmcnt(0)
	s_cmp_lt_u32 s0, s6
	s_cselect_b32 s1, s0, 0
	s_delay_alu instid0(VALU_DEP_1) | instid1(SALU_CYCLE_1)
	v_cmp_eq_u32_e32 vcc_lo, s1, v1
	s_mov_b32 s1, 0
	s_and_saveexec_b32 s7, vcc_lo
	s_cbranch_execz .LBB63_9
; %bb.2:
	s_add_i32 s0, s0, 32
	s_mov_b32 s8, exec_lo
	s_lshl_b64 s[0:1], s[0:1], 4
	v_mov_b32_e32 v6, 0
	s_add_u32 s0, s2, s0
	s_addc_u32 s1, s3, s1
	s_delay_alu instid0(SALU_CYCLE_1) | instskip(SKIP_2) | instid1(VALU_DEP_1)
	v_dual_mov_b32 v3, s1 :: v_dual_mov_b32 v2, s0
	;;#ASMSTART
	global_load_dwordx4 v[2:5], v[2:3] off glc	
s_waitcnt vmcnt(0)
	;;#ASMEND
	v_and_b32_e32 v5, 0xff, v4
	v_cmpx_eq_u64_e32 0, v[5:6]
	s_cbranch_execz .LBB63_8
; %bb.3:
	v_dual_mov_b32 v8, s1 :: v_dual_mov_b32 v7, s0
	s_mov_b32 s1, 1
	s_mov_b32 s0, 0
	.p2align	6
.LBB63_4:                               ; =>This Loop Header: Depth=1
                                        ;     Child Loop BB63_5 Depth 2
	s_max_u32 s9, s1, 1
.LBB63_5:                               ;   Parent Loop BB63_4 Depth=1
                                        ; =>  This Inner Loop Header: Depth=2
	s_delay_alu instid0(SALU_CYCLE_1)
	s_add_i32 s9, s9, -1
	s_sleep 1
	s_cmp_eq_u32 s9, 0
	s_cbranch_scc0 .LBB63_5
; %bb.6:                                ;   in Loop: Header=BB63_4 Depth=1
	;;#ASMSTART
	global_load_dwordx4 v[2:5], v[7:8] off glc	
s_waitcnt vmcnt(0)
	;;#ASMEND
	v_and_b32_e32 v5, 0xff, v4
	s_cmp_lt_u32 s1, 32
	s_cselect_b32 s9, -1, 0
	s_delay_alu instid0(SALU_CYCLE_1) | instskip(NEXT) | instid1(VALU_DEP_1)
	s_cmp_lg_u32 s9, 0
	v_cmp_ne_u64_e32 vcc_lo, 0, v[5:6]
	s_addc_u32 s1, s1, 0
	s_or_b32 s0, vcc_lo, s0
	s_delay_alu instid0(SALU_CYCLE_1)
	s_and_not1_b32 exec_lo, exec_lo, s0
	s_cbranch_execnz .LBB63_4
; %bb.7:
	s_or_b32 exec_lo, exec_lo, s0
.LBB63_8:
	s_delay_alu instid0(SALU_CYCLE_1)
	s_or_b32 exec_lo, exec_lo, s8
	v_mov_b32_e32 v0, 0
	global_store_b64 v0, v[2:3], s[4:5]
.LBB63_9:
	s_or_b32 exec_lo, exec_lo, s7
.LBB63_10:
	s_delay_alu instid0(SALU_CYCLE_1) | instskip(NEXT) | instid1(VALU_DEP_1)
	s_mov_b32 s0, exec_lo
	v_cmpx_gt_u32_e64 s6, v1
	s_cbranch_execz .LBB63_12
; %bb.11:
	v_dual_mov_b32 v3, 0 :: v_dual_add_nc_u32 v2, 32, v1
	s_delay_alu instid0(VALU_DEP_1) | instskip(SKIP_2) | instid1(VALU_DEP_3)
	v_lshlrev_b64 v[5:6], 4, v[2:3]
	v_mov_b32_e32 v2, v3
	v_mov_b32_e32 v4, v3
	v_add_co_u32 v7, vcc_lo, s2, v5
	s_delay_alu instid0(VALU_DEP_4)
	v_add_co_ci_u32_e32 v8, vcc_lo, s3, v6, vcc_lo
	v_mov_b32_e32 v5, v3
	global_store_b128 v[7:8], v[2:5], off
.LBB63_12:
	s_or_b32 exec_lo, exec_lo, s0
	s_delay_alu instid0(SALU_CYCLE_1)
	s_mov_b32 s0, exec_lo
	v_cmpx_gt_u32_e32 32, v1
	s_cbranch_execz .LBB63_14
; %bb.13:
	v_dual_mov_b32 v2, 0 :: v_dual_mov_b32 v3, 0xff
	s_delay_alu instid0(VALU_DEP_1) | instskip(SKIP_1) | instid1(VALU_DEP_2)
	v_lshlrev_b64 v[4:5], 4, v[1:2]
	v_mov_b32_e32 v1, v2
	v_add_co_u32 v6, vcc_lo, s2, v4
	s_delay_alu instid0(VALU_DEP_3)
	v_add_co_ci_u32_e32 v7, vcc_lo, s3, v5, vcc_lo
	v_mov_b32_e32 v4, v2
	global_store_b128 v[6:7], v[1:4], off
.LBB63_14:
	s_nop 0
	s_sendmsg sendmsg(MSG_DEALLOC_VGPRS)
	s_endpgm
	.section	.rodata,"a",@progbits
	.p2align	6, 0x0
	.amdhsa_kernel _ZN7rocprim17ROCPRIM_400000_NS6detail31init_lookback_scan_state_kernelINS1_19lookback_scan_stateImLb1ELb1EEENS1_16block_id_wrapperIjLb0EEEEEvT_jT0_jPNS7_10value_typeE
		.amdhsa_group_segment_fixed_size 0
		.amdhsa_private_segment_fixed_size 0
		.amdhsa_kernarg_size 288
		.amdhsa_user_sgpr_count 15
		.amdhsa_user_sgpr_dispatch_ptr 0
		.amdhsa_user_sgpr_queue_ptr 0
		.amdhsa_user_sgpr_kernarg_segment_ptr 1
		.amdhsa_user_sgpr_dispatch_id 0
		.amdhsa_user_sgpr_private_segment_size 0
		.amdhsa_wavefront_size32 1
		.amdhsa_uses_dynamic_stack 0
		.amdhsa_enable_private_segment 0
		.amdhsa_system_sgpr_workgroup_id_x 1
		.amdhsa_system_sgpr_workgroup_id_y 0
		.amdhsa_system_sgpr_workgroup_id_z 0
		.amdhsa_system_sgpr_workgroup_info 0
		.amdhsa_system_vgpr_workitem_id 0
		.amdhsa_next_free_vgpr 9
		.amdhsa_next_free_sgpr 16
		.amdhsa_reserve_vcc 1
		.amdhsa_float_round_mode_32 0
		.amdhsa_float_round_mode_16_64 0
		.amdhsa_float_denorm_mode_32 3
		.amdhsa_float_denorm_mode_16_64 3
		.amdhsa_dx10_clamp 1
		.amdhsa_ieee_mode 1
		.amdhsa_fp16_overflow 0
		.amdhsa_workgroup_processor_mode 1
		.amdhsa_memory_ordered 1
		.amdhsa_forward_progress 0
		.amdhsa_shared_vgpr_count 0
		.amdhsa_exception_fp_ieee_invalid_op 0
		.amdhsa_exception_fp_denorm_src 0
		.amdhsa_exception_fp_ieee_div_zero 0
		.amdhsa_exception_fp_ieee_overflow 0
		.amdhsa_exception_fp_ieee_underflow 0
		.amdhsa_exception_fp_ieee_inexact 0
		.amdhsa_exception_int_div_zero 0
	.end_amdhsa_kernel
	.section	.text._ZN7rocprim17ROCPRIM_400000_NS6detail31init_lookback_scan_state_kernelINS1_19lookback_scan_stateImLb1ELb1EEENS1_16block_id_wrapperIjLb0EEEEEvT_jT0_jPNS7_10value_typeE,"axG",@progbits,_ZN7rocprim17ROCPRIM_400000_NS6detail31init_lookback_scan_state_kernelINS1_19lookback_scan_stateImLb1ELb1EEENS1_16block_id_wrapperIjLb0EEEEEvT_jT0_jPNS7_10value_typeE,comdat
.Lfunc_end63:
	.size	_ZN7rocprim17ROCPRIM_400000_NS6detail31init_lookback_scan_state_kernelINS1_19lookback_scan_stateImLb1ELb1EEENS1_16block_id_wrapperIjLb0EEEEEvT_jT0_jPNS7_10value_typeE, .Lfunc_end63-_ZN7rocprim17ROCPRIM_400000_NS6detail31init_lookback_scan_state_kernelINS1_19lookback_scan_stateImLb1ELb1EEENS1_16block_id_wrapperIjLb0EEEEEvT_jT0_jPNS7_10value_typeE
                                        ; -- End function
	.section	.AMDGPU.csdata,"",@progbits
; Kernel info:
; codeLenInByte = 516
; NumSgprs: 18
; NumVgprs: 9
; ScratchSize: 0
; MemoryBound: 0
; FloatMode: 240
; IeeeMode: 1
; LDSByteSize: 0 bytes/workgroup (compile time only)
; SGPRBlocks: 2
; VGPRBlocks: 1
; NumSGPRsForWavesPerEU: 18
; NumVGPRsForWavesPerEU: 9
; Occupancy: 16
; WaveLimiterHint : 0
; COMPUTE_PGM_RSRC2:SCRATCH_EN: 0
; COMPUTE_PGM_RSRC2:USER_SGPR: 15
; COMPUTE_PGM_RSRC2:TRAP_HANDLER: 0
; COMPUTE_PGM_RSRC2:TGID_X_EN: 1
; COMPUTE_PGM_RSRC2:TGID_Y_EN: 0
; COMPUTE_PGM_RSRC2:TGID_Z_EN: 0
; COMPUTE_PGM_RSRC2:TIDIG_COMP_CNT: 0
	.section	.text._ZN7rocprim17ROCPRIM_400000_NS6detail17trampoline_kernelINS0_14default_configENS1_25partition_config_selectorILNS1_17partition_subalgoE5ElNS0_10empty_typeEbEEZZNS1_14partition_implILS5_5ELb0ES3_mN6hipcub16HIPCUB_304000_NS21CountingInputIteratorIllEEPS6_NSA_22TransformInputIteratorIbN2at6native12_GLOBAL__N_19NonZeroOpIhEEPKhlEENS0_5tupleIJPlS6_EEENSN_IJSD_SD_EEES6_PiJS6_EEE10hipError_tPvRmT3_T4_T5_T6_T7_T9_mT8_P12ihipStream_tbDpT10_ENKUlT_T0_E_clISt17integral_constantIbLb1EES1A_IbLb0EEEEDaS16_S17_EUlS16_E_NS1_11comp_targetILNS1_3genE0ELNS1_11target_archE4294967295ELNS1_3gpuE0ELNS1_3repE0EEENS1_30default_config_static_selectorELNS0_4arch9wavefront6targetE0EEEvT1_,"axG",@progbits,_ZN7rocprim17ROCPRIM_400000_NS6detail17trampoline_kernelINS0_14default_configENS1_25partition_config_selectorILNS1_17partition_subalgoE5ElNS0_10empty_typeEbEEZZNS1_14partition_implILS5_5ELb0ES3_mN6hipcub16HIPCUB_304000_NS21CountingInputIteratorIllEEPS6_NSA_22TransformInputIteratorIbN2at6native12_GLOBAL__N_19NonZeroOpIhEEPKhlEENS0_5tupleIJPlS6_EEENSN_IJSD_SD_EEES6_PiJS6_EEE10hipError_tPvRmT3_T4_T5_T6_T7_T9_mT8_P12ihipStream_tbDpT10_ENKUlT_T0_E_clISt17integral_constantIbLb1EES1A_IbLb0EEEEDaS16_S17_EUlS16_E_NS1_11comp_targetILNS1_3genE0ELNS1_11target_archE4294967295ELNS1_3gpuE0ELNS1_3repE0EEENS1_30default_config_static_selectorELNS0_4arch9wavefront6targetE0EEEvT1_,comdat
	.globl	_ZN7rocprim17ROCPRIM_400000_NS6detail17trampoline_kernelINS0_14default_configENS1_25partition_config_selectorILNS1_17partition_subalgoE5ElNS0_10empty_typeEbEEZZNS1_14partition_implILS5_5ELb0ES3_mN6hipcub16HIPCUB_304000_NS21CountingInputIteratorIllEEPS6_NSA_22TransformInputIteratorIbN2at6native12_GLOBAL__N_19NonZeroOpIhEEPKhlEENS0_5tupleIJPlS6_EEENSN_IJSD_SD_EEES6_PiJS6_EEE10hipError_tPvRmT3_T4_T5_T6_T7_T9_mT8_P12ihipStream_tbDpT10_ENKUlT_T0_E_clISt17integral_constantIbLb1EES1A_IbLb0EEEEDaS16_S17_EUlS16_E_NS1_11comp_targetILNS1_3genE0ELNS1_11target_archE4294967295ELNS1_3gpuE0ELNS1_3repE0EEENS1_30default_config_static_selectorELNS0_4arch9wavefront6targetE0EEEvT1_ ; -- Begin function _ZN7rocprim17ROCPRIM_400000_NS6detail17trampoline_kernelINS0_14default_configENS1_25partition_config_selectorILNS1_17partition_subalgoE5ElNS0_10empty_typeEbEEZZNS1_14partition_implILS5_5ELb0ES3_mN6hipcub16HIPCUB_304000_NS21CountingInputIteratorIllEEPS6_NSA_22TransformInputIteratorIbN2at6native12_GLOBAL__N_19NonZeroOpIhEEPKhlEENS0_5tupleIJPlS6_EEENSN_IJSD_SD_EEES6_PiJS6_EEE10hipError_tPvRmT3_T4_T5_T6_T7_T9_mT8_P12ihipStream_tbDpT10_ENKUlT_T0_E_clISt17integral_constantIbLb1EES1A_IbLb0EEEEDaS16_S17_EUlS16_E_NS1_11comp_targetILNS1_3genE0ELNS1_11target_archE4294967295ELNS1_3gpuE0ELNS1_3repE0EEENS1_30default_config_static_selectorELNS0_4arch9wavefront6targetE0EEEvT1_
	.p2align	8
	.type	_ZN7rocprim17ROCPRIM_400000_NS6detail17trampoline_kernelINS0_14default_configENS1_25partition_config_selectorILNS1_17partition_subalgoE5ElNS0_10empty_typeEbEEZZNS1_14partition_implILS5_5ELb0ES3_mN6hipcub16HIPCUB_304000_NS21CountingInputIteratorIllEEPS6_NSA_22TransformInputIteratorIbN2at6native12_GLOBAL__N_19NonZeroOpIhEEPKhlEENS0_5tupleIJPlS6_EEENSN_IJSD_SD_EEES6_PiJS6_EEE10hipError_tPvRmT3_T4_T5_T6_T7_T9_mT8_P12ihipStream_tbDpT10_ENKUlT_T0_E_clISt17integral_constantIbLb1EES1A_IbLb0EEEEDaS16_S17_EUlS16_E_NS1_11comp_targetILNS1_3genE0ELNS1_11target_archE4294967295ELNS1_3gpuE0ELNS1_3repE0EEENS1_30default_config_static_selectorELNS0_4arch9wavefront6targetE0EEEvT1_,@function
_ZN7rocprim17ROCPRIM_400000_NS6detail17trampoline_kernelINS0_14default_configENS1_25partition_config_selectorILNS1_17partition_subalgoE5ElNS0_10empty_typeEbEEZZNS1_14partition_implILS5_5ELb0ES3_mN6hipcub16HIPCUB_304000_NS21CountingInputIteratorIllEEPS6_NSA_22TransformInputIteratorIbN2at6native12_GLOBAL__N_19NonZeroOpIhEEPKhlEENS0_5tupleIJPlS6_EEENSN_IJSD_SD_EEES6_PiJS6_EEE10hipError_tPvRmT3_T4_T5_T6_T7_T9_mT8_P12ihipStream_tbDpT10_ENKUlT_T0_E_clISt17integral_constantIbLb1EES1A_IbLb0EEEEDaS16_S17_EUlS16_E_NS1_11comp_targetILNS1_3genE0ELNS1_11target_archE4294967295ELNS1_3gpuE0ELNS1_3repE0EEENS1_30default_config_static_selectorELNS0_4arch9wavefront6targetE0EEEvT1_: ; @_ZN7rocprim17ROCPRIM_400000_NS6detail17trampoline_kernelINS0_14default_configENS1_25partition_config_selectorILNS1_17partition_subalgoE5ElNS0_10empty_typeEbEEZZNS1_14partition_implILS5_5ELb0ES3_mN6hipcub16HIPCUB_304000_NS21CountingInputIteratorIllEEPS6_NSA_22TransformInputIteratorIbN2at6native12_GLOBAL__N_19NonZeroOpIhEEPKhlEENS0_5tupleIJPlS6_EEENSN_IJSD_SD_EEES6_PiJS6_EEE10hipError_tPvRmT3_T4_T5_T6_T7_T9_mT8_P12ihipStream_tbDpT10_ENKUlT_T0_E_clISt17integral_constantIbLb1EES1A_IbLb0EEEEDaS16_S17_EUlS16_E_NS1_11comp_targetILNS1_3genE0ELNS1_11target_archE4294967295ELNS1_3gpuE0ELNS1_3repE0EEENS1_30default_config_static_selectorELNS0_4arch9wavefront6targetE0EEEvT1_
; %bb.0:
	.section	.rodata,"a",@progbits
	.p2align	6, 0x0
	.amdhsa_kernel _ZN7rocprim17ROCPRIM_400000_NS6detail17trampoline_kernelINS0_14default_configENS1_25partition_config_selectorILNS1_17partition_subalgoE5ElNS0_10empty_typeEbEEZZNS1_14partition_implILS5_5ELb0ES3_mN6hipcub16HIPCUB_304000_NS21CountingInputIteratorIllEEPS6_NSA_22TransformInputIteratorIbN2at6native12_GLOBAL__N_19NonZeroOpIhEEPKhlEENS0_5tupleIJPlS6_EEENSN_IJSD_SD_EEES6_PiJS6_EEE10hipError_tPvRmT3_T4_T5_T6_T7_T9_mT8_P12ihipStream_tbDpT10_ENKUlT_T0_E_clISt17integral_constantIbLb1EES1A_IbLb0EEEEDaS16_S17_EUlS16_E_NS1_11comp_targetILNS1_3genE0ELNS1_11target_archE4294967295ELNS1_3gpuE0ELNS1_3repE0EEENS1_30default_config_static_selectorELNS0_4arch9wavefront6targetE0EEEvT1_
		.amdhsa_group_segment_fixed_size 0
		.amdhsa_private_segment_fixed_size 0
		.amdhsa_kernarg_size 120
		.amdhsa_user_sgpr_count 15
		.amdhsa_user_sgpr_dispatch_ptr 0
		.amdhsa_user_sgpr_queue_ptr 0
		.amdhsa_user_sgpr_kernarg_segment_ptr 1
		.amdhsa_user_sgpr_dispatch_id 0
		.amdhsa_user_sgpr_private_segment_size 0
		.amdhsa_wavefront_size32 1
		.amdhsa_uses_dynamic_stack 0
		.amdhsa_enable_private_segment 0
		.amdhsa_system_sgpr_workgroup_id_x 1
		.amdhsa_system_sgpr_workgroup_id_y 0
		.amdhsa_system_sgpr_workgroup_id_z 0
		.amdhsa_system_sgpr_workgroup_info 0
		.amdhsa_system_vgpr_workitem_id 0
		.amdhsa_next_free_vgpr 1
		.amdhsa_next_free_sgpr 1
		.amdhsa_reserve_vcc 0
		.amdhsa_float_round_mode_32 0
		.amdhsa_float_round_mode_16_64 0
		.amdhsa_float_denorm_mode_32 3
		.amdhsa_float_denorm_mode_16_64 3
		.amdhsa_dx10_clamp 1
		.amdhsa_ieee_mode 1
		.amdhsa_fp16_overflow 0
		.amdhsa_workgroup_processor_mode 1
		.amdhsa_memory_ordered 1
		.amdhsa_forward_progress 0
		.amdhsa_shared_vgpr_count 0
		.amdhsa_exception_fp_ieee_invalid_op 0
		.amdhsa_exception_fp_denorm_src 0
		.amdhsa_exception_fp_ieee_div_zero 0
		.amdhsa_exception_fp_ieee_overflow 0
		.amdhsa_exception_fp_ieee_underflow 0
		.amdhsa_exception_fp_ieee_inexact 0
		.amdhsa_exception_int_div_zero 0
	.end_amdhsa_kernel
	.section	.text._ZN7rocprim17ROCPRIM_400000_NS6detail17trampoline_kernelINS0_14default_configENS1_25partition_config_selectorILNS1_17partition_subalgoE5ElNS0_10empty_typeEbEEZZNS1_14partition_implILS5_5ELb0ES3_mN6hipcub16HIPCUB_304000_NS21CountingInputIteratorIllEEPS6_NSA_22TransformInputIteratorIbN2at6native12_GLOBAL__N_19NonZeroOpIhEEPKhlEENS0_5tupleIJPlS6_EEENSN_IJSD_SD_EEES6_PiJS6_EEE10hipError_tPvRmT3_T4_T5_T6_T7_T9_mT8_P12ihipStream_tbDpT10_ENKUlT_T0_E_clISt17integral_constantIbLb1EES1A_IbLb0EEEEDaS16_S17_EUlS16_E_NS1_11comp_targetILNS1_3genE0ELNS1_11target_archE4294967295ELNS1_3gpuE0ELNS1_3repE0EEENS1_30default_config_static_selectorELNS0_4arch9wavefront6targetE0EEEvT1_,"axG",@progbits,_ZN7rocprim17ROCPRIM_400000_NS6detail17trampoline_kernelINS0_14default_configENS1_25partition_config_selectorILNS1_17partition_subalgoE5ElNS0_10empty_typeEbEEZZNS1_14partition_implILS5_5ELb0ES3_mN6hipcub16HIPCUB_304000_NS21CountingInputIteratorIllEEPS6_NSA_22TransformInputIteratorIbN2at6native12_GLOBAL__N_19NonZeroOpIhEEPKhlEENS0_5tupleIJPlS6_EEENSN_IJSD_SD_EEES6_PiJS6_EEE10hipError_tPvRmT3_T4_T5_T6_T7_T9_mT8_P12ihipStream_tbDpT10_ENKUlT_T0_E_clISt17integral_constantIbLb1EES1A_IbLb0EEEEDaS16_S17_EUlS16_E_NS1_11comp_targetILNS1_3genE0ELNS1_11target_archE4294967295ELNS1_3gpuE0ELNS1_3repE0EEENS1_30default_config_static_selectorELNS0_4arch9wavefront6targetE0EEEvT1_,comdat
.Lfunc_end64:
	.size	_ZN7rocprim17ROCPRIM_400000_NS6detail17trampoline_kernelINS0_14default_configENS1_25partition_config_selectorILNS1_17partition_subalgoE5ElNS0_10empty_typeEbEEZZNS1_14partition_implILS5_5ELb0ES3_mN6hipcub16HIPCUB_304000_NS21CountingInputIteratorIllEEPS6_NSA_22TransformInputIteratorIbN2at6native12_GLOBAL__N_19NonZeroOpIhEEPKhlEENS0_5tupleIJPlS6_EEENSN_IJSD_SD_EEES6_PiJS6_EEE10hipError_tPvRmT3_T4_T5_T6_T7_T9_mT8_P12ihipStream_tbDpT10_ENKUlT_T0_E_clISt17integral_constantIbLb1EES1A_IbLb0EEEEDaS16_S17_EUlS16_E_NS1_11comp_targetILNS1_3genE0ELNS1_11target_archE4294967295ELNS1_3gpuE0ELNS1_3repE0EEENS1_30default_config_static_selectorELNS0_4arch9wavefront6targetE0EEEvT1_, .Lfunc_end64-_ZN7rocprim17ROCPRIM_400000_NS6detail17trampoline_kernelINS0_14default_configENS1_25partition_config_selectorILNS1_17partition_subalgoE5ElNS0_10empty_typeEbEEZZNS1_14partition_implILS5_5ELb0ES3_mN6hipcub16HIPCUB_304000_NS21CountingInputIteratorIllEEPS6_NSA_22TransformInputIteratorIbN2at6native12_GLOBAL__N_19NonZeroOpIhEEPKhlEENS0_5tupleIJPlS6_EEENSN_IJSD_SD_EEES6_PiJS6_EEE10hipError_tPvRmT3_T4_T5_T6_T7_T9_mT8_P12ihipStream_tbDpT10_ENKUlT_T0_E_clISt17integral_constantIbLb1EES1A_IbLb0EEEEDaS16_S17_EUlS16_E_NS1_11comp_targetILNS1_3genE0ELNS1_11target_archE4294967295ELNS1_3gpuE0ELNS1_3repE0EEENS1_30default_config_static_selectorELNS0_4arch9wavefront6targetE0EEEvT1_
                                        ; -- End function
	.section	.AMDGPU.csdata,"",@progbits
; Kernel info:
; codeLenInByte = 0
; NumSgprs: 0
; NumVgprs: 0
; ScratchSize: 0
; MemoryBound: 0
; FloatMode: 240
; IeeeMode: 1
; LDSByteSize: 0 bytes/workgroup (compile time only)
; SGPRBlocks: 0
; VGPRBlocks: 0
; NumSGPRsForWavesPerEU: 1
; NumVGPRsForWavesPerEU: 1
; Occupancy: 16
; WaveLimiterHint : 0
; COMPUTE_PGM_RSRC2:SCRATCH_EN: 0
; COMPUTE_PGM_RSRC2:USER_SGPR: 15
; COMPUTE_PGM_RSRC2:TRAP_HANDLER: 0
; COMPUTE_PGM_RSRC2:TGID_X_EN: 1
; COMPUTE_PGM_RSRC2:TGID_Y_EN: 0
; COMPUTE_PGM_RSRC2:TGID_Z_EN: 0
; COMPUTE_PGM_RSRC2:TIDIG_COMP_CNT: 0
	.section	.text._ZN7rocprim17ROCPRIM_400000_NS6detail17trampoline_kernelINS0_14default_configENS1_25partition_config_selectorILNS1_17partition_subalgoE5ElNS0_10empty_typeEbEEZZNS1_14partition_implILS5_5ELb0ES3_mN6hipcub16HIPCUB_304000_NS21CountingInputIteratorIllEEPS6_NSA_22TransformInputIteratorIbN2at6native12_GLOBAL__N_19NonZeroOpIhEEPKhlEENS0_5tupleIJPlS6_EEENSN_IJSD_SD_EEES6_PiJS6_EEE10hipError_tPvRmT3_T4_T5_T6_T7_T9_mT8_P12ihipStream_tbDpT10_ENKUlT_T0_E_clISt17integral_constantIbLb1EES1A_IbLb0EEEEDaS16_S17_EUlS16_E_NS1_11comp_targetILNS1_3genE5ELNS1_11target_archE942ELNS1_3gpuE9ELNS1_3repE0EEENS1_30default_config_static_selectorELNS0_4arch9wavefront6targetE0EEEvT1_,"axG",@progbits,_ZN7rocprim17ROCPRIM_400000_NS6detail17trampoline_kernelINS0_14default_configENS1_25partition_config_selectorILNS1_17partition_subalgoE5ElNS0_10empty_typeEbEEZZNS1_14partition_implILS5_5ELb0ES3_mN6hipcub16HIPCUB_304000_NS21CountingInputIteratorIllEEPS6_NSA_22TransformInputIteratorIbN2at6native12_GLOBAL__N_19NonZeroOpIhEEPKhlEENS0_5tupleIJPlS6_EEENSN_IJSD_SD_EEES6_PiJS6_EEE10hipError_tPvRmT3_T4_T5_T6_T7_T9_mT8_P12ihipStream_tbDpT10_ENKUlT_T0_E_clISt17integral_constantIbLb1EES1A_IbLb0EEEEDaS16_S17_EUlS16_E_NS1_11comp_targetILNS1_3genE5ELNS1_11target_archE942ELNS1_3gpuE9ELNS1_3repE0EEENS1_30default_config_static_selectorELNS0_4arch9wavefront6targetE0EEEvT1_,comdat
	.globl	_ZN7rocprim17ROCPRIM_400000_NS6detail17trampoline_kernelINS0_14default_configENS1_25partition_config_selectorILNS1_17partition_subalgoE5ElNS0_10empty_typeEbEEZZNS1_14partition_implILS5_5ELb0ES3_mN6hipcub16HIPCUB_304000_NS21CountingInputIteratorIllEEPS6_NSA_22TransformInputIteratorIbN2at6native12_GLOBAL__N_19NonZeroOpIhEEPKhlEENS0_5tupleIJPlS6_EEENSN_IJSD_SD_EEES6_PiJS6_EEE10hipError_tPvRmT3_T4_T5_T6_T7_T9_mT8_P12ihipStream_tbDpT10_ENKUlT_T0_E_clISt17integral_constantIbLb1EES1A_IbLb0EEEEDaS16_S17_EUlS16_E_NS1_11comp_targetILNS1_3genE5ELNS1_11target_archE942ELNS1_3gpuE9ELNS1_3repE0EEENS1_30default_config_static_selectorELNS0_4arch9wavefront6targetE0EEEvT1_ ; -- Begin function _ZN7rocprim17ROCPRIM_400000_NS6detail17trampoline_kernelINS0_14default_configENS1_25partition_config_selectorILNS1_17partition_subalgoE5ElNS0_10empty_typeEbEEZZNS1_14partition_implILS5_5ELb0ES3_mN6hipcub16HIPCUB_304000_NS21CountingInputIteratorIllEEPS6_NSA_22TransformInputIteratorIbN2at6native12_GLOBAL__N_19NonZeroOpIhEEPKhlEENS0_5tupleIJPlS6_EEENSN_IJSD_SD_EEES6_PiJS6_EEE10hipError_tPvRmT3_T4_T5_T6_T7_T9_mT8_P12ihipStream_tbDpT10_ENKUlT_T0_E_clISt17integral_constantIbLb1EES1A_IbLb0EEEEDaS16_S17_EUlS16_E_NS1_11comp_targetILNS1_3genE5ELNS1_11target_archE942ELNS1_3gpuE9ELNS1_3repE0EEENS1_30default_config_static_selectorELNS0_4arch9wavefront6targetE0EEEvT1_
	.p2align	8
	.type	_ZN7rocprim17ROCPRIM_400000_NS6detail17trampoline_kernelINS0_14default_configENS1_25partition_config_selectorILNS1_17partition_subalgoE5ElNS0_10empty_typeEbEEZZNS1_14partition_implILS5_5ELb0ES3_mN6hipcub16HIPCUB_304000_NS21CountingInputIteratorIllEEPS6_NSA_22TransformInputIteratorIbN2at6native12_GLOBAL__N_19NonZeroOpIhEEPKhlEENS0_5tupleIJPlS6_EEENSN_IJSD_SD_EEES6_PiJS6_EEE10hipError_tPvRmT3_T4_T5_T6_T7_T9_mT8_P12ihipStream_tbDpT10_ENKUlT_T0_E_clISt17integral_constantIbLb1EES1A_IbLb0EEEEDaS16_S17_EUlS16_E_NS1_11comp_targetILNS1_3genE5ELNS1_11target_archE942ELNS1_3gpuE9ELNS1_3repE0EEENS1_30default_config_static_selectorELNS0_4arch9wavefront6targetE0EEEvT1_,@function
_ZN7rocprim17ROCPRIM_400000_NS6detail17trampoline_kernelINS0_14default_configENS1_25partition_config_selectorILNS1_17partition_subalgoE5ElNS0_10empty_typeEbEEZZNS1_14partition_implILS5_5ELb0ES3_mN6hipcub16HIPCUB_304000_NS21CountingInputIteratorIllEEPS6_NSA_22TransformInputIteratorIbN2at6native12_GLOBAL__N_19NonZeroOpIhEEPKhlEENS0_5tupleIJPlS6_EEENSN_IJSD_SD_EEES6_PiJS6_EEE10hipError_tPvRmT3_T4_T5_T6_T7_T9_mT8_P12ihipStream_tbDpT10_ENKUlT_T0_E_clISt17integral_constantIbLb1EES1A_IbLb0EEEEDaS16_S17_EUlS16_E_NS1_11comp_targetILNS1_3genE5ELNS1_11target_archE942ELNS1_3gpuE9ELNS1_3repE0EEENS1_30default_config_static_selectorELNS0_4arch9wavefront6targetE0EEEvT1_: ; @_ZN7rocprim17ROCPRIM_400000_NS6detail17trampoline_kernelINS0_14default_configENS1_25partition_config_selectorILNS1_17partition_subalgoE5ElNS0_10empty_typeEbEEZZNS1_14partition_implILS5_5ELb0ES3_mN6hipcub16HIPCUB_304000_NS21CountingInputIteratorIllEEPS6_NSA_22TransformInputIteratorIbN2at6native12_GLOBAL__N_19NonZeroOpIhEEPKhlEENS0_5tupleIJPlS6_EEENSN_IJSD_SD_EEES6_PiJS6_EEE10hipError_tPvRmT3_T4_T5_T6_T7_T9_mT8_P12ihipStream_tbDpT10_ENKUlT_T0_E_clISt17integral_constantIbLb1EES1A_IbLb0EEEEDaS16_S17_EUlS16_E_NS1_11comp_targetILNS1_3genE5ELNS1_11target_archE942ELNS1_3gpuE9ELNS1_3repE0EEENS1_30default_config_static_selectorELNS0_4arch9wavefront6targetE0EEEvT1_
; %bb.0:
	.section	.rodata,"a",@progbits
	.p2align	6, 0x0
	.amdhsa_kernel _ZN7rocprim17ROCPRIM_400000_NS6detail17trampoline_kernelINS0_14default_configENS1_25partition_config_selectorILNS1_17partition_subalgoE5ElNS0_10empty_typeEbEEZZNS1_14partition_implILS5_5ELb0ES3_mN6hipcub16HIPCUB_304000_NS21CountingInputIteratorIllEEPS6_NSA_22TransformInputIteratorIbN2at6native12_GLOBAL__N_19NonZeroOpIhEEPKhlEENS0_5tupleIJPlS6_EEENSN_IJSD_SD_EEES6_PiJS6_EEE10hipError_tPvRmT3_T4_T5_T6_T7_T9_mT8_P12ihipStream_tbDpT10_ENKUlT_T0_E_clISt17integral_constantIbLb1EES1A_IbLb0EEEEDaS16_S17_EUlS16_E_NS1_11comp_targetILNS1_3genE5ELNS1_11target_archE942ELNS1_3gpuE9ELNS1_3repE0EEENS1_30default_config_static_selectorELNS0_4arch9wavefront6targetE0EEEvT1_
		.amdhsa_group_segment_fixed_size 0
		.amdhsa_private_segment_fixed_size 0
		.amdhsa_kernarg_size 120
		.amdhsa_user_sgpr_count 15
		.amdhsa_user_sgpr_dispatch_ptr 0
		.amdhsa_user_sgpr_queue_ptr 0
		.amdhsa_user_sgpr_kernarg_segment_ptr 1
		.amdhsa_user_sgpr_dispatch_id 0
		.amdhsa_user_sgpr_private_segment_size 0
		.amdhsa_wavefront_size32 1
		.amdhsa_uses_dynamic_stack 0
		.amdhsa_enable_private_segment 0
		.amdhsa_system_sgpr_workgroup_id_x 1
		.amdhsa_system_sgpr_workgroup_id_y 0
		.amdhsa_system_sgpr_workgroup_id_z 0
		.amdhsa_system_sgpr_workgroup_info 0
		.amdhsa_system_vgpr_workitem_id 0
		.amdhsa_next_free_vgpr 1
		.amdhsa_next_free_sgpr 1
		.amdhsa_reserve_vcc 0
		.amdhsa_float_round_mode_32 0
		.amdhsa_float_round_mode_16_64 0
		.amdhsa_float_denorm_mode_32 3
		.amdhsa_float_denorm_mode_16_64 3
		.amdhsa_dx10_clamp 1
		.amdhsa_ieee_mode 1
		.amdhsa_fp16_overflow 0
		.amdhsa_workgroup_processor_mode 1
		.amdhsa_memory_ordered 1
		.amdhsa_forward_progress 0
		.amdhsa_shared_vgpr_count 0
		.amdhsa_exception_fp_ieee_invalid_op 0
		.amdhsa_exception_fp_denorm_src 0
		.amdhsa_exception_fp_ieee_div_zero 0
		.amdhsa_exception_fp_ieee_overflow 0
		.amdhsa_exception_fp_ieee_underflow 0
		.amdhsa_exception_fp_ieee_inexact 0
		.amdhsa_exception_int_div_zero 0
	.end_amdhsa_kernel
	.section	.text._ZN7rocprim17ROCPRIM_400000_NS6detail17trampoline_kernelINS0_14default_configENS1_25partition_config_selectorILNS1_17partition_subalgoE5ElNS0_10empty_typeEbEEZZNS1_14partition_implILS5_5ELb0ES3_mN6hipcub16HIPCUB_304000_NS21CountingInputIteratorIllEEPS6_NSA_22TransformInputIteratorIbN2at6native12_GLOBAL__N_19NonZeroOpIhEEPKhlEENS0_5tupleIJPlS6_EEENSN_IJSD_SD_EEES6_PiJS6_EEE10hipError_tPvRmT3_T4_T5_T6_T7_T9_mT8_P12ihipStream_tbDpT10_ENKUlT_T0_E_clISt17integral_constantIbLb1EES1A_IbLb0EEEEDaS16_S17_EUlS16_E_NS1_11comp_targetILNS1_3genE5ELNS1_11target_archE942ELNS1_3gpuE9ELNS1_3repE0EEENS1_30default_config_static_selectorELNS0_4arch9wavefront6targetE0EEEvT1_,"axG",@progbits,_ZN7rocprim17ROCPRIM_400000_NS6detail17trampoline_kernelINS0_14default_configENS1_25partition_config_selectorILNS1_17partition_subalgoE5ElNS0_10empty_typeEbEEZZNS1_14partition_implILS5_5ELb0ES3_mN6hipcub16HIPCUB_304000_NS21CountingInputIteratorIllEEPS6_NSA_22TransformInputIteratorIbN2at6native12_GLOBAL__N_19NonZeroOpIhEEPKhlEENS0_5tupleIJPlS6_EEENSN_IJSD_SD_EEES6_PiJS6_EEE10hipError_tPvRmT3_T4_T5_T6_T7_T9_mT8_P12ihipStream_tbDpT10_ENKUlT_T0_E_clISt17integral_constantIbLb1EES1A_IbLb0EEEEDaS16_S17_EUlS16_E_NS1_11comp_targetILNS1_3genE5ELNS1_11target_archE942ELNS1_3gpuE9ELNS1_3repE0EEENS1_30default_config_static_selectorELNS0_4arch9wavefront6targetE0EEEvT1_,comdat
.Lfunc_end65:
	.size	_ZN7rocprim17ROCPRIM_400000_NS6detail17trampoline_kernelINS0_14default_configENS1_25partition_config_selectorILNS1_17partition_subalgoE5ElNS0_10empty_typeEbEEZZNS1_14partition_implILS5_5ELb0ES3_mN6hipcub16HIPCUB_304000_NS21CountingInputIteratorIllEEPS6_NSA_22TransformInputIteratorIbN2at6native12_GLOBAL__N_19NonZeroOpIhEEPKhlEENS0_5tupleIJPlS6_EEENSN_IJSD_SD_EEES6_PiJS6_EEE10hipError_tPvRmT3_T4_T5_T6_T7_T9_mT8_P12ihipStream_tbDpT10_ENKUlT_T0_E_clISt17integral_constantIbLb1EES1A_IbLb0EEEEDaS16_S17_EUlS16_E_NS1_11comp_targetILNS1_3genE5ELNS1_11target_archE942ELNS1_3gpuE9ELNS1_3repE0EEENS1_30default_config_static_selectorELNS0_4arch9wavefront6targetE0EEEvT1_, .Lfunc_end65-_ZN7rocprim17ROCPRIM_400000_NS6detail17trampoline_kernelINS0_14default_configENS1_25partition_config_selectorILNS1_17partition_subalgoE5ElNS0_10empty_typeEbEEZZNS1_14partition_implILS5_5ELb0ES3_mN6hipcub16HIPCUB_304000_NS21CountingInputIteratorIllEEPS6_NSA_22TransformInputIteratorIbN2at6native12_GLOBAL__N_19NonZeroOpIhEEPKhlEENS0_5tupleIJPlS6_EEENSN_IJSD_SD_EEES6_PiJS6_EEE10hipError_tPvRmT3_T4_T5_T6_T7_T9_mT8_P12ihipStream_tbDpT10_ENKUlT_T0_E_clISt17integral_constantIbLb1EES1A_IbLb0EEEEDaS16_S17_EUlS16_E_NS1_11comp_targetILNS1_3genE5ELNS1_11target_archE942ELNS1_3gpuE9ELNS1_3repE0EEENS1_30default_config_static_selectorELNS0_4arch9wavefront6targetE0EEEvT1_
                                        ; -- End function
	.section	.AMDGPU.csdata,"",@progbits
; Kernel info:
; codeLenInByte = 0
; NumSgprs: 0
; NumVgprs: 0
; ScratchSize: 0
; MemoryBound: 0
; FloatMode: 240
; IeeeMode: 1
; LDSByteSize: 0 bytes/workgroup (compile time only)
; SGPRBlocks: 0
; VGPRBlocks: 0
; NumSGPRsForWavesPerEU: 1
; NumVGPRsForWavesPerEU: 1
; Occupancy: 16
; WaveLimiterHint : 0
; COMPUTE_PGM_RSRC2:SCRATCH_EN: 0
; COMPUTE_PGM_RSRC2:USER_SGPR: 15
; COMPUTE_PGM_RSRC2:TRAP_HANDLER: 0
; COMPUTE_PGM_RSRC2:TGID_X_EN: 1
; COMPUTE_PGM_RSRC2:TGID_Y_EN: 0
; COMPUTE_PGM_RSRC2:TGID_Z_EN: 0
; COMPUTE_PGM_RSRC2:TIDIG_COMP_CNT: 0
	.section	.text._ZN7rocprim17ROCPRIM_400000_NS6detail17trampoline_kernelINS0_14default_configENS1_25partition_config_selectorILNS1_17partition_subalgoE5ElNS0_10empty_typeEbEEZZNS1_14partition_implILS5_5ELb0ES3_mN6hipcub16HIPCUB_304000_NS21CountingInputIteratorIllEEPS6_NSA_22TransformInputIteratorIbN2at6native12_GLOBAL__N_19NonZeroOpIhEEPKhlEENS0_5tupleIJPlS6_EEENSN_IJSD_SD_EEES6_PiJS6_EEE10hipError_tPvRmT3_T4_T5_T6_T7_T9_mT8_P12ihipStream_tbDpT10_ENKUlT_T0_E_clISt17integral_constantIbLb1EES1A_IbLb0EEEEDaS16_S17_EUlS16_E_NS1_11comp_targetILNS1_3genE4ELNS1_11target_archE910ELNS1_3gpuE8ELNS1_3repE0EEENS1_30default_config_static_selectorELNS0_4arch9wavefront6targetE0EEEvT1_,"axG",@progbits,_ZN7rocprim17ROCPRIM_400000_NS6detail17trampoline_kernelINS0_14default_configENS1_25partition_config_selectorILNS1_17partition_subalgoE5ElNS0_10empty_typeEbEEZZNS1_14partition_implILS5_5ELb0ES3_mN6hipcub16HIPCUB_304000_NS21CountingInputIteratorIllEEPS6_NSA_22TransformInputIteratorIbN2at6native12_GLOBAL__N_19NonZeroOpIhEEPKhlEENS0_5tupleIJPlS6_EEENSN_IJSD_SD_EEES6_PiJS6_EEE10hipError_tPvRmT3_T4_T5_T6_T7_T9_mT8_P12ihipStream_tbDpT10_ENKUlT_T0_E_clISt17integral_constantIbLb1EES1A_IbLb0EEEEDaS16_S17_EUlS16_E_NS1_11comp_targetILNS1_3genE4ELNS1_11target_archE910ELNS1_3gpuE8ELNS1_3repE0EEENS1_30default_config_static_selectorELNS0_4arch9wavefront6targetE0EEEvT1_,comdat
	.globl	_ZN7rocprim17ROCPRIM_400000_NS6detail17trampoline_kernelINS0_14default_configENS1_25partition_config_selectorILNS1_17partition_subalgoE5ElNS0_10empty_typeEbEEZZNS1_14partition_implILS5_5ELb0ES3_mN6hipcub16HIPCUB_304000_NS21CountingInputIteratorIllEEPS6_NSA_22TransformInputIteratorIbN2at6native12_GLOBAL__N_19NonZeroOpIhEEPKhlEENS0_5tupleIJPlS6_EEENSN_IJSD_SD_EEES6_PiJS6_EEE10hipError_tPvRmT3_T4_T5_T6_T7_T9_mT8_P12ihipStream_tbDpT10_ENKUlT_T0_E_clISt17integral_constantIbLb1EES1A_IbLb0EEEEDaS16_S17_EUlS16_E_NS1_11comp_targetILNS1_3genE4ELNS1_11target_archE910ELNS1_3gpuE8ELNS1_3repE0EEENS1_30default_config_static_selectorELNS0_4arch9wavefront6targetE0EEEvT1_ ; -- Begin function _ZN7rocprim17ROCPRIM_400000_NS6detail17trampoline_kernelINS0_14default_configENS1_25partition_config_selectorILNS1_17partition_subalgoE5ElNS0_10empty_typeEbEEZZNS1_14partition_implILS5_5ELb0ES3_mN6hipcub16HIPCUB_304000_NS21CountingInputIteratorIllEEPS6_NSA_22TransformInputIteratorIbN2at6native12_GLOBAL__N_19NonZeroOpIhEEPKhlEENS0_5tupleIJPlS6_EEENSN_IJSD_SD_EEES6_PiJS6_EEE10hipError_tPvRmT3_T4_T5_T6_T7_T9_mT8_P12ihipStream_tbDpT10_ENKUlT_T0_E_clISt17integral_constantIbLb1EES1A_IbLb0EEEEDaS16_S17_EUlS16_E_NS1_11comp_targetILNS1_3genE4ELNS1_11target_archE910ELNS1_3gpuE8ELNS1_3repE0EEENS1_30default_config_static_selectorELNS0_4arch9wavefront6targetE0EEEvT1_
	.p2align	8
	.type	_ZN7rocprim17ROCPRIM_400000_NS6detail17trampoline_kernelINS0_14default_configENS1_25partition_config_selectorILNS1_17partition_subalgoE5ElNS0_10empty_typeEbEEZZNS1_14partition_implILS5_5ELb0ES3_mN6hipcub16HIPCUB_304000_NS21CountingInputIteratorIllEEPS6_NSA_22TransformInputIteratorIbN2at6native12_GLOBAL__N_19NonZeroOpIhEEPKhlEENS0_5tupleIJPlS6_EEENSN_IJSD_SD_EEES6_PiJS6_EEE10hipError_tPvRmT3_T4_T5_T6_T7_T9_mT8_P12ihipStream_tbDpT10_ENKUlT_T0_E_clISt17integral_constantIbLb1EES1A_IbLb0EEEEDaS16_S17_EUlS16_E_NS1_11comp_targetILNS1_3genE4ELNS1_11target_archE910ELNS1_3gpuE8ELNS1_3repE0EEENS1_30default_config_static_selectorELNS0_4arch9wavefront6targetE0EEEvT1_,@function
_ZN7rocprim17ROCPRIM_400000_NS6detail17trampoline_kernelINS0_14default_configENS1_25partition_config_selectorILNS1_17partition_subalgoE5ElNS0_10empty_typeEbEEZZNS1_14partition_implILS5_5ELb0ES3_mN6hipcub16HIPCUB_304000_NS21CountingInputIteratorIllEEPS6_NSA_22TransformInputIteratorIbN2at6native12_GLOBAL__N_19NonZeroOpIhEEPKhlEENS0_5tupleIJPlS6_EEENSN_IJSD_SD_EEES6_PiJS6_EEE10hipError_tPvRmT3_T4_T5_T6_T7_T9_mT8_P12ihipStream_tbDpT10_ENKUlT_T0_E_clISt17integral_constantIbLb1EES1A_IbLb0EEEEDaS16_S17_EUlS16_E_NS1_11comp_targetILNS1_3genE4ELNS1_11target_archE910ELNS1_3gpuE8ELNS1_3repE0EEENS1_30default_config_static_selectorELNS0_4arch9wavefront6targetE0EEEvT1_: ; @_ZN7rocprim17ROCPRIM_400000_NS6detail17trampoline_kernelINS0_14default_configENS1_25partition_config_selectorILNS1_17partition_subalgoE5ElNS0_10empty_typeEbEEZZNS1_14partition_implILS5_5ELb0ES3_mN6hipcub16HIPCUB_304000_NS21CountingInputIteratorIllEEPS6_NSA_22TransformInputIteratorIbN2at6native12_GLOBAL__N_19NonZeroOpIhEEPKhlEENS0_5tupleIJPlS6_EEENSN_IJSD_SD_EEES6_PiJS6_EEE10hipError_tPvRmT3_T4_T5_T6_T7_T9_mT8_P12ihipStream_tbDpT10_ENKUlT_T0_E_clISt17integral_constantIbLb1EES1A_IbLb0EEEEDaS16_S17_EUlS16_E_NS1_11comp_targetILNS1_3genE4ELNS1_11target_archE910ELNS1_3gpuE8ELNS1_3repE0EEENS1_30default_config_static_selectorELNS0_4arch9wavefront6targetE0EEEvT1_
; %bb.0:
	.section	.rodata,"a",@progbits
	.p2align	6, 0x0
	.amdhsa_kernel _ZN7rocprim17ROCPRIM_400000_NS6detail17trampoline_kernelINS0_14default_configENS1_25partition_config_selectorILNS1_17partition_subalgoE5ElNS0_10empty_typeEbEEZZNS1_14partition_implILS5_5ELb0ES3_mN6hipcub16HIPCUB_304000_NS21CountingInputIteratorIllEEPS6_NSA_22TransformInputIteratorIbN2at6native12_GLOBAL__N_19NonZeroOpIhEEPKhlEENS0_5tupleIJPlS6_EEENSN_IJSD_SD_EEES6_PiJS6_EEE10hipError_tPvRmT3_T4_T5_T6_T7_T9_mT8_P12ihipStream_tbDpT10_ENKUlT_T0_E_clISt17integral_constantIbLb1EES1A_IbLb0EEEEDaS16_S17_EUlS16_E_NS1_11comp_targetILNS1_3genE4ELNS1_11target_archE910ELNS1_3gpuE8ELNS1_3repE0EEENS1_30default_config_static_selectorELNS0_4arch9wavefront6targetE0EEEvT1_
		.amdhsa_group_segment_fixed_size 0
		.amdhsa_private_segment_fixed_size 0
		.amdhsa_kernarg_size 120
		.amdhsa_user_sgpr_count 15
		.amdhsa_user_sgpr_dispatch_ptr 0
		.amdhsa_user_sgpr_queue_ptr 0
		.amdhsa_user_sgpr_kernarg_segment_ptr 1
		.amdhsa_user_sgpr_dispatch_id 0
		.amdhsa_user_sgpr_private_segment_size 0
		.amdhsa_wavefront_size32 1
		.amdhsa_uses_dynamic_stack 0
		.amdhsa_enable_private_segment 0
		.amdhsa_system_sgpr_workgroup_id_x 1
		.amdhsa_system_sgpr_workgroup_id_y 0
		.amdhsa_system_sgpr_workgroup_id_z 0
		.amdhsa_system_sgpr_workgroup_info 0
		.amdhsa_system_vgpr_workitem_id 0
		.amdhsa_next_free_vgpr 1
		.amdhsa_next_free_sgpr 1
		.amdhsa_reserve_vcc 0
		.amdhsa_float_round_mode_32 0
		.amdhsa_float_round_mode_16_64 0
		.amdhsa_float_denorm_mode_32 3
		.amdhsa_float_denorm_mode_16_64 3
		.amdhsa_dx10_clamp 1
		.amdhsa_ieee_mode 1
		.amdhsa_fp16_overflow 0
		.amdhsa_workgroup_processor_mode 1
		.amdhsa_memory_ordered 1
		.amdhsa_forward_progress 0
		.amdhsa_shared_vgpr_count 0
		.amdhsa_exception_fp_ieee_invalid_op 0
		.amdhsa_exception_fp_denorm_src 0
		.amdhsa_exception_fp_ieee_div_zero 0
		.amdhsa_exception_fp_ieee_overflow 0
		.amdhsa_exception_fp_ieee_underflow 0
		.amdhsa_exception_fp_ieee_inexact 0
		.amdhsa_exception_int_div_zero 0
	.end_amdhsa_kernel
	.section	.text._ZN7rocprim17ROCPRIM_400000_NS6detail17trampoline_kernelINS0_14default_configENS1_25partition_config_selectorILNS1_17partition_subalgoE5ElNS0_10empty_typeEbEEZZNS1_14partition_implILS5_5ELb0ES3_mN6hipcub16HIPCUB_304000_NS21CountingInputIteratorIllEEPS6_NSA_22TransformInputIteratorIbN2at6native12_GLOBAL__N_19NonZeroOpIhEEPKhlEENS0_5tupleIJPlS6_EEENSN_IJSD_SD_EEES6_PiJS6_EEE10hipError_tPvRmT3_T4_T5_T6_T7_T9_mT8_P12ihipStream_tbDpT10_ENKUlT_T0_E_clISt17integral_constantIbLb1EES1A_IbLb0EEEEDaS16_S17_EUlS16_E_NS1_11comp_targetILNS1_3genE4ELNS1_11target_archE910ELNS1_3gpuE8ELNS1_3repE0EEENS1_30default_config_static_selectorELNS0_4arch9wavefront6targetE0EEEvT1_,"axG",@progbits,_ZN7rocprim17ROCPRIM_400000_NS6detail17trampoline_kernelINS0_14default_configENS1_25partition_config_selectorILNS1_17partition_subalgoE5ElNS0_10empty_typeEbEEZZNS1_14partition_implILS5_5ELb0ES3_mN6hipcub16HIPCUB_304000_NS21CountingInputIteratorIllEEPS6_NSA_22TransformInputIteratorIbN2at6native12_GLOBAL__N_19NonZeroOpIhEEPKhlEENS0_5tupleIJPlS6_EEENSN_IJSD_SD_EEES6_PiJS6_EEE10hipError_tPvRmT3_T4_T5_T6_T7_T9_mT8_P12ihipStream_tbDpT10_ENKUlT_T0_E_clISt17integral_constantIbLb1EES1A_IbLb0EEEEDaS16_S17_EUlS16_E_NS1_11comp_targetILNS1_3genE4ELNS1_11target_archE910ELNS1_3gpuE8ELNS1_3repE0EEENS1_30default_config_static_selectorELNS0_4arch9wavefront6targetE0EEEvT1_,comdat
.Lfunc_end66:
	.size	_ZN7rocprim17ROCPRIM_400000_NS6detail17trampoline_kernelINS0_14default_configENS1_25partition_config_selectorILNS1_17partition_subalgoE5ElNS0_10empty_typeEbEEZZNS1_14partition_implILS5_5ELb0ES3_mN6hipcub16HIPCUB_304000_NS21CountingInputIteratorIllEEPS6_NSA_22TransformInputIteratorIbN2at6native12_GLOBAL__N_19NonZeroOpIhEEPKhlEENS0_5tupleIJPlS6_EEENSN_IJSD_SD_EEES6_PiJS6_EEE10hipError_tPvRmT3_T4_T5_T6_T7_T9_mT8_P12ihipStream_tbDpT10_ENKUlT_T0_E_clISt17integral_constantIbLb1EES1A_IbLb0EEEEDaS16_S17_EUlS16_E_NS1_11comp_targetILNS1_3genE4ELNS1_11target_archE910ELNS1_3gpuE8ELNS1_3repE0EEENS1_30default_config_static_selectorELNS0_4arch9wavefront6targetE0EEEvT1_, .Lfunc_end66-_ZN7rocprim17ROCPRIM_400000_NS6detail17trampoline_kernelINS0_14default_configENS1_25partition_config_selectorILNS1_17partition_subalgoE5ElNS0_10empty_typeEbEEZZNS1_14partition_implILS5_5ELb0ES3_mN6hipcub16HIPCUB_304000_NS21CountingInputIteratorIllEEPS6_NSA_22TransformInputIteratorIbN2at6native12_GLOBAL__N_19NonZeroOpIhEEPKhlEENS0_5tupleIJPlS6_EEENSN_IJSD_SD_EEES6_PiJS6_EEE10hipError_tPvRmT3_T4_T5_T6_T7_T9_mT8_P12ihipStream_tbDpT10_ENKUlT_T0_E_clISt17integral_constantIbLb1EES1A_IbLb0EEEEDaS16_S17_EUlS16_E_NS1_11comp_targetILNS1_3genE4ELNS1_11target_archE910ELNS1_3gpuE8ELNS1_3repE0EEENS1_30default_config_static_selectorELNS0_4arch9wavefront6targetE0EEEvT1_
                                        ; -- End function
	.section	.AMDGPU.csdata,"",@progbits
; Kernel info:
; codeLenInByte = 0
; NumSgprs: 0
; NumVgprs: 0
; ScratchSize: 0
; MemoryBound: 0
; FloatMode: 240
; IeeeMode: 1
; LDSByteSize: 0 bytes/workgroup (compile time only)
; SGPRBlocks: 0
; VGPRBlocks: 0
; NumSGPRsForWavesPerEU: 1
; NumVGPRsForWavesPerEU: 1
; Occupancy: 15
; WaveLimiterHint : 0
; COMPUTE_PGM_RSRC2:SCRATCH_EN: 0
; COMPUTE_PGM_RSRC2:USER_SGPR: 15
; COMPUTE_PGM_RSRC2:TRAP_HANDLER: 0
; COMPUTE_PGM_RSRC2:TGID_X_EN: 1
; COMPUTE_PGM_RSRC2:TGID_Y_EN: 0
; COMPUTE_PGM_RSRC2:TGID_Z_EN: 0
; COMPUTE_PGM_RSRC2:TIDIG_COMP_CNT: 0
	.section	.text._ZN7rocprim17ROCPRIM_400000_NS6detail17trampoline_kernelINS0_14default_configENS1_25partition_config_selectorILNS1_17partition_subalgoE5ElNS0_10empty_typeEbEEZZNS1_14partition_implILS5_5ELb0ES3_mN6hipcub16HIPCUB_304000_NS21CountingInputIteratorIllEEPS6_NSA_22TransformInputIteratorIbN2at6native12_GLOBAL__N_19NonZeroOpIhEEPKhlEENS0_5tupleIJPlS6_EEENSN_IJSD_SD_EEES6_PiJS6_EEE10hipError_tPvRmT3_T4_T5_T6_T7_T9_mT8_P12ihipStream_tbDpT10_ENKUlT_T0_E_clISt17integral_constantIbLb1EES1A_IbLb0EEEEDaS16_S17_EUlS16_E_NS1_11comp_targetILNS1_3genE3ELNS1_11target_archE908ELNS1_3gpuE7ELNS1_3repE0EEENS1_30default_config_static_selectorELNS0_4arch9wavefront6targetE0EEEvT1_,"axG",@progbits,_ZN7rocprim17ROCPRIM_400000_NS6detail17trampoline_kernelINS0_14default_configENS1_25partition_config_selectorILNS1_17partition_subalgoE5ElNS0_10empty_typeEbEEZZNS1_14partition_implILS5_5ELb0ES3_mN6hipcub16HIPCUB_304000_NS21CountingInputIteratorIllEEPS6_NSA_22TransformInputIteratorIbN2at6native12_GLOBAL__N_19NonZeroOpIhEEPKhlEENS0_5tupleIJPlS6_EEENSN_IJSD_SD_EEES6_PiJS6_EEE10hipError_tPvRmT3_T4_T5_T6_T7_T9_mT8_P12ihipStream_tbDpT10_ENKUlT_T0_E_clISt17integral_constantIbLb1EES1A_IbLb0EEEEDaS16_S17_EUlS16_E_NS1_11comp_targetILNS1_3genE3ELNS1_11target_archE908ELNS1_3gpuE7ELNS1_3repE0EEENS1_30default_config_static_selectorELNS0_4arch9wavefront6targetE0EEEvT1_,comdat
	.globl	_ZN7rocprim17ROCPRIM_400000_NS6detail17trampoline_kernelINS0_14default_configENS1_25partition_config_selectorILNS1_17partition_subalgoE5ElNS0_10empty_typeEbEEZZNS1_14partition_implILS5_5ELb0ES3_mN6hipcub16HIPCUB_304000_NS21CountingInputIteratorIllEEPS6_NSA_22TransformInputIteratorIbN2at6native12_GLOBAL__N_19NonZeroOpIhEEPKhlEENS0_5tupleIJPlS6_EEENSN_IJSD_SD_EEES6_PiJS6_EEE10hipError_tPvRmT3_T4_T5_T6_T7_T9_mT8_P12ihipStream_tbDpT10_ENKUlT_T0_E_clISt17integral_constantIbLb1EES1A_IbLb0EEEEDaS16_S17_EUlS16_E_NS1_11comp_targetILNS1_3genE3ELNS1_11target_archE908ELNS1_3gpuE7ELNS1_3repE0EEENS1_30default_config_static_selectorELNS0_4arch9wavefront6targetE0EEEvT1_ ; -- Begin function _ZN7rocprim17ROCPRIM_400000_NS6detail17trampoline_kernelINS0_14default_configENS1_25partition_config_selectorILNS1_17partition_subalgoE5ElNS0_10empty_typeEbEEZZNS1_14partition_implILS5_5ELb0ES3_mN6hipcub16HIPCUB_304000_NS21CountingInputIteratorIllEEPS6_NSA_22TransformInputIteratorIbN2at6native12_GLOBAL__N_19NonZeroOpIhEEPKhlEENS0_5tupleIJPlS6_EEENSN_IJSD_SD_EEES6_PiJS6_EEE10hipError_tPvRmT3_T4_T5_T6_T7_T9_mT8_P12ihipStream_tbDpT10_ENKUlT_T0_E_clISt17integral_constantIbLb1EES1A_IbLb0EEEEDaS16_S17_EUlS16_E_NS1_11comp_targetILNS1_3genE3ELNS1_11target_archE908ELNS1_3gpuE7ELNS1_3repE0EEENS1_30default_config_static_selectorELNS0_4arch9wavefront6targetE0EEEvT1_
	.p2align	8
	.type	_ZN7rocprim17ROCPRIM_400000_NS6detail17trampoline_kernelINS0_14default_configENS1_25partition_config_selectorILNS1_17partition_subalgoE5ElNS0_10empty_typeEbEEZZNS1_14partition_implILS5_5ELb0ES3_mN6hipcub16HIPCUB_304000_NS21CountingInputIteratorIllEEPS6_NSA_22TransformInputIteratorIbN2at6native12_GLOBAL__N_19NonZeroOpIhEEPKhlEENS0_5tupleIJPlS6_EEENSN_IJSD_SD_EEES6_PiJS6_EEE10hipError_tPvRmT3_T4_T5_T6_T7_T9_mT8_P12ihipStream_tbDpT10_ENKUlT_T0_E_clISt17integral_constantIbLb1EES1A_IbLb0EEEEDaS16_S17_EUlS16_E_NS1_11comp_targetILNS1_3genE3ELNS1_11target_archE908ELNS1_3gpuE7ELNS1_3repE0EEENS1_30default_config_static_selectorELNS0_4arch9wavefront6targetE0EEEvT1_,@function
_ZN7rocprim17ROCPRIM_400000_NS6detail17trampoline_kernelINS0_14default_configENS1_25partition_config_selectorILNS1_17partition_subalgoE5ElNS0_10empty_typeEbEEZZNS1_14partition_implILS5_5ELb0ES3_mN6hipcub16HIPCUB_304000_NS21CountingInputIteratorIllEEPS6_NSA_22TransformInputIteratorIbN2at6native12_GLOBAL__N_19NonZeroOpIhEEPKhlEENS0_5tupleIJPlS6_EEENSN_IJSD_SD_EEES6_PiJS6_EEE10hipError_tPvRmT3_T4_T5_T6_T7_T9_mT8_P12ihipStream_tbDpT10_ENKUlT_T0_E_clISt17integral_constantIbLb1EES1A_IbLb0EEEEDaS16_S17_EUlS16_E_NS1_11comp_targetILNS1_3genE3ELNS1_11target_archE908ELNS1_3gpuE7ELNS1_3repE0EEENS1_30default_config_static_selectorELNS0_4arch9wavefront6targetE0EEEvT1_: ; @_ZN7rocprim17ROCPRIM_400000_NS6detail17trampoline_kernelINS0_14default_configENS1_25partition_config_selectorILNS1_17partition_subalgoE5ElNS0_10empty_typeEbEEZZNS1_14partition_implILS5_5ELb0ES3_mN6hipcub16HIPCUB_304000_NS21CountingInputIteratorIllEEPS6_NSA_22TransformInputIteratorIbN2at6native12_GLOBAL__N_19NonZeroOpIhEEPKhlEENS0_5tupleIJPlS6_EEENSN_IJSD_SD_EEES6_PiJS6_EEE10hipError_tPvRmT3_T4_T5_T6_T7_T9_mT8_P12ihipStream_tbDpT10_ENKUlT_T0_E_clISt17integral_constantIbLb1EES1A_IbLb0EEEEDaS16_S17_EUlS16_E_NS1_11comp_targetILNS1_3genE3ELNS1_11target_archE908ELNS1_3gpuE7ELNS1_3repE0EEENS1_30default_config_static_selectorELNS0_4arch9wavefront6targetE0EEEvT1_
; %bb.0:
	.section	.rodata,"a",@progbits
	.p2align	6, 0x0
	.amdhsa_kernel _ZN7rocprim17ROCPRIM_400000_NS6detail17trampoline_kernelINS0_14default_configENS1_25partition_config_selectorILNS1_17partition_subalgoE5ElNS0_10empty_typeEbEEZZNS1_14partition_implILS5_5ELb0ES3_mN6hipcub16HIPCUB_304000_NS21CountingInputIteratorIllEEPS6_NSA_22TransformInputIteratorIbN2at6native12_GLOBAL__N_19NonZeroOpIhEEPKhlEENS0_5tupleIJPlS6_EEENSN_IJSD_SD_EEES6_PiJS6_EEE10hipError_tPvRmT3_T4_T5_T6_T7_T9_mT8_P12ihipStream_tbDpT10_ENKUlT_T0_E_clISt17integral_constantIbLb1EES1A_IbLb0EEEEDaS16_S17_EUlS16_E_NS1_11comp_targetILNS1_3genE3ELNS1_11target_archE908ELNS1_3gpuE7ELNS1_3repE0EEENS1_30default_config_static_selectorELNS0_4arch9wavefront6targetE0EEEvT1_
		.amdhsa_group_segment_fixed_size 0
		.amdhsa_private_segment_fixed_size 0
		.amdhsa_kernarg_size 120
		.amdhsa_user_sgpr_count 15
		.amdhsa_user_sgpr_dispatch_ptr 0
		.amdhsa_user_sgpr_queue_ptr 0
		.amdhsa_user_sgpr_kernarg_segment_ptr 1
		.amdhsa_user_sgpr_dispatch_id 0
		.amdhsa_user_sgpr_private_segment_size 0
		.amdhsa_wavefront_size32 1
		.amdhsa_uses_dynamic_stack 0
		.amdhsa_enable_private_segment 0
		.amdhsa_system_sgpr_workgroup_id_x 1
		.amdhsa_system_sgpr_workgroup_id_y 0
		.amdhsa_system_sgpr_workgroup_id_z 0
		.amdhsa_system_sgpr_workgroup_info 0
		.amdhsa_system_vgpr_workitem_id 0
		.amdhsa_next_free_vgpr 1
		.amdhsa_next_free_sgpr 1
		.amdhsa_reserve_vcc 0
		.amdhsa_float_round_mode_32 0
		.amdhsa_float_round_mode_16_64 0
		.amdhsa_float_denorm_mode_32 3
		.amdhsa_float_denorm_mode_16_64 3
		.amdhsa_dx10_clamp 1
		.amdhsa_ieee_mode 1
		.amdhsa_fp16_overflow 0
		.amdhsa_workgroup_processor_mode 1
		.amdhsa_memory_ordered 1
		.amdhsa_forward_progress 0
		.amdhsa_shared_vgpr_count 0
		.amdhsa_exception_fp_ieee_invalid_op 0
		.amdhsa_exception_fp_denorm_src 0
		.amdhsa_exception_fp_ieee_div_zero 0
		.amdhsa_exception_fp_ieee_overflow 0
		.amdhsa_exception_fp_ieee_underflow 0
		.amdhsa_exception_fp_ieee_inexact 0
		.amdhsa_exception_int_div_zero 0
	.end_amdhsa_kernel
	.section	.text._ZN7rocprim17ROCPRIM_400000_NS6detail17trampoline_kernelINS0_14default_configENS1_25partition_config_selectorILNS1_17partition_subalgoE5ElNS0_10empty_typeEbEEZZNS1_14partition_implILS5_5ELb0ES3_mN6hipcub16HIPCUB_304000_NS21CountingInputIteratorIllEEPS6_NSA_22TransformInputIteratorIbN2at6native12_GLOBAL__N_19NonZeroOpIhEEPKhlEENS0_5tupleIJPlS6_EEENSN_IJSD_SD_EEES6_PiJS6_EEE10hipError_tPvRmT3_T4_T5_T6_T7_T9_mT8_P12ihipStream_tbDpT10_ENKUlT_T0_E_clISt17integral_constantIbLb1EES1A_IbLb0EEEEDaS16_S17_EUlS16_E_NS1_11comp_targetILNS1_3genE3ELNS1_11target_archE908ELNS1_3gpuE7ELNS1_3repE0EEENS1_30default_config_static_selectorELNS0_4arch9wavefront6targetE0EEEvT1_,"axG",@progbits,_ZN7rocprim17ROCPRIM_400000_NS6detail17trampoline_kernelINS0_14default_configENS1_25partition_config_selectorILNS1_17partition_subalgoE5ElNS0_10empty_typeEbEEZZNS1_14partition_implILS5_5ELb0ES3_mN6hipcub16HIPCUB_304000_NS21CountingInputIteratorIllEEPS6_NSA_22TransformInputIteratorIbN2at6native12_GLOBAL__N_19NonZeroOpIhEEPKhlEENS0_5tupleIJPlS6_EEENSN_IJSD_SD_EEES6_PiJS6_EEE10hipError_tPvRmT3_T4_T5_T6_T7_T9_mT8_P12ihipStream_tbDpT10_ENKUlT_T0_E_clISt17integral_constantIbLb1EES1A_IbLb0EEEEDaS16_S17_EUlS16_E_NS1_11comp_targetILNS1_3genE3ELNS1_11target_archE908ELNS1_3gpuE7ELNS1_3repE0EEENS1_30default_config_static_selectorELNS0_4arch9wavefront6targetE0EEEvT1_,comdat
.Lfunc_end67:
	.size	_ZN7rocprim17ROCPRIM_400000_NS6detail17trampoline_kernelINS0_14default_configENS1_25partition_config_selectorILNS1_17partition_subalgoE5ElNS0_10empty_typeEbEEZZNS1_14partition_implILS5_5ELb0ES3_mN6hipcub16HIPCUB_304000_NS21CountingInputIteratorIllEEPS6_NSA_22TransformInputIteratorIbN2at6native12_GLOBAL__N_19NonZeroOpIhEEPKhlEENS0_5tupleIJPlS6_EEENSN_IJSD_SD_EEES6_PiJS6_EEE10hipError_tPvRmT3_T4_T5_T6_T7_T9_mT8_P12ihipStream_tbDpT10_ENKUlT_T0_E_clISt17integral_constantIbLb1EES1A_IbLb0EEEEDaS16_S17_EUlS16_E_NS1_11comp_targetILNS1_3genE3ELNS1_11target_archE908ELNS1_3gpuE7ELNS1_3repE0EEENS1_30default_config_static_selectorELNS0_4arch9wavefront6targetE0EEEvT1_, .Lfunc_end67-_ZN7rocprim17ROCPRIM_400000_NS6detail17trampoline_kernelINS0_14default_configENS1_25partition_config_selectorILNS1_17partition_subalgoE5ElNS0_10empty_typeEbEEZZNS1_14partition_implILS5_5ELb0ES3_mN6hipcub16HIPCUB_304000_NS21CountingInputIteratorIllEEPS6_NSA_22TransformInputIteratorIbN2at6native12_GLOBAL__N_19NonZeroOpIhEEPKhlEENS0_5tupleIJPlS6_EEENSN_IJSD_SD_EEES6_PiJS6_EEE10hipError_tPvRmT3_T4_T5_T6_T7_T9_mT8_P12ihipStream_tbDpT10_ENKUlT_T0_E_clISt17integral_constantIbLb1EES1A_IbLb0EEEEDaS16_S17_EUlS16_E_NS1_11comp_targetILNS1_3genE3ELNS1_11target_archE908ELNS1_3gpuE7ELNS1_3repE0EEENS1_30default_config_static_selectorELNS0_4arch9wavefront6targetE0EEEvT1_
                                        ; -- End function
	.section	.AMDGPU.csdata,"",@progbits
; Kernel info:
; codeLenInByte = 0
; NumSgprs: 0
; NumVgprs: 0
; ScratchSize: 0
; MemoryBound: 0
; FloatMode: 240
; IeeeMode: 1
; LDSByteSize: 0 bytes/workgroup (compile time only)
; SGPRBlocks: 0
; VGPRBlocks: 0
; NumSGPRsForWavesPerEU: 1
; NumVGPRsForWavesPerEU: 1
; Occupancy: 16
; WaveLimiterHint : 0
; COMPUTE_PGM_RSRC2:SCRATCH_EN: 0
; COMPUTE_PGM_RSRC2:USER_SGPR: 15
; COMPUTE_PGM_RSRC2:TRAP_HANDLER: 0
; COMPUTE_PGM_RSRC2:TGID_X_EN: 1
; COMPUTE_PGM_RSRC2:TGID_Y_EN: 0
; COMPUTE_PGM_RSRC2:TGID_Z_EN: 0
; COMPUTE_PGM_RSRC2:TIDIG_COMP_CNT: 0
	.section	.text._ZN7rocprim17ROCPRIM_400000_NS6detail17trampoline_kernelINS0_14default_configENS1_25partition_config_selectorILNS1_17partition_subalgoE5ElNS0_10empty_typeEbEEZZNS1_14partition_implILS5_5ELb0ES3_mN6hipcub16HIPCUB_304000_NS21CountingInputIteratorIllEEPS6_NSA_22TransformInputIteratorIbN2at6native12_GLOBAL__N_19NonZeroOpIhEEPKhlEENS0_5tupleIJPlS6_EEENSN_IJSD_SD_EEES6_PiJS6_EEE10hipError_tPvRmT3_T4_T5_T6_T7_T9_mT8_P12ihipStream_tbDpT10_ENKUlT_T0_E_clISt17integral_constantIbLb1EES1A_IbLb0EEEEDaS16_S17_EUlS16_E_NS1_11comp_targetILNS1_3genE2ELNS1_11target_archE906ELNS1_3gpuE6ELNS1_3repE0EEENS1_30default_config_static_selectorELNS0_4arch9wavefront6targetE0EEEvT1_,"axG",@progbits,_ZN7rocprim17ROCPRIM_400000_NS6detail17trampoline_kernelINS0_14default_configENS1_25partition_config_selectorILNS1_17partition_subalgoE5ElNS0_10empty_typeEbEEZZNS1_14partition_implILS5_5ELb0ES3_mN6hipcub16HIPCUB_304000_NS21CountingInputIteratorIllEEPS6_NSA_22TransformInputIteratorIbN2at6native12_GLOBAL__N_19NonZeroOpIhEEPKhlEENS0_5tupleIJPlS6_EEENSN_IJSD_SD_EEES6_PiJS6_EEE10hipError_tPvRmT3_T4_T5_T6_T7_T9_mT8_P12ihipStream_tbDpT10_ENKUlT_T0_E_clISt17integral_constantIbLb1EES1A_IbLb0EEEEDaS16_S17_EUlS16_E_NS1_11comp_targetILNS1_3genE2ELNS1_11target_archE906ELNS1_3gpuE6ELNS1_3repE0EEENS1_30default_config_static_selectorELNS0_4arch9wavefront6targetE0EEEvT1_,comdat
	.globl	_ZN7rocprim17ROCPRIM_400000_NS6detail17trampoline_kernelINS0_14default_configENS1_25partition_config_selectorILNS1_17partition_subalgoE5ElNS0_10empty_typeEbEEZZNS1_14partition_implILS5_5ELb0ES3_mN6hipcub16HIPCUB_304000_NS21CountingInputIteratorIllEEPS6_NSA_22TransformInputIteratorIbN2at6native12_GLOBAL__N_19NonZeroOpIhEEPKhlEENS0_5tupleIJPlS6_EEENSN_IJSD_SD_EEES6_PiJS6_EEE10hipError_tPvRmT3_T4_T5_T6_T7_T9_mT8_P12ihipStream_tbDpT10_ENKUlT_T0_E_clISt17integral_constantIbLb1EES1A_IbLb0EEEEDaS16_S17_EUlS16_E_NS1_11comp_targetILNS1_3genE2ELNS1_11target_archE906ELNS1_3gpuE6ELNS1_3repE0EEENS1_30default_config_static_selectorELNS0_4arch9wavefront6targetE0EEEvT1_ ; -- Begin function _ZN7rocprim17ROCPRIM_400000_NS6detail17trampoline_kernelINS0_14default_configENS1_25partition_config_selectorILNS1_17partition_subalgoE5ElNS0_10empty_typeEbEEZZNS1_14partition_implILS5_5ELb0ES3_mN6hipcub16HIPCUB_304000_NS21CountingInputIteratorIllEEPS6_NSA_22TransformInputIteratorIbN2at6native12_GLOBAL__N_19NonZeroOpIhEEPKhlEENS0_5tupleIJPlS6_EEENSN_IJSD_SD_EEES6_PiJS6_EEE10hipError_tPvRmT3_T4_T5_T6_T7_T9_mT8_P12ihipStream_tbDpT10_ENKUlT_T0_E_clISt17integral_constantIbLb1EES1A_IbLb0EEEEDaS16_S17_EUlS16_E_NS1_11comp_targetILNS1_3genE2ELNS1_11target_archE906ELNS1_3gpuE6ELNS1_3repE0EEENS1_30default_config_static_selectorELNS0_4arch9wavefront6targetE0EEEvT1_
	.p2align	8
	.type	_ZN7rocprim17ROCPRIM_400000_NS6detail17trampoline_kernelINS0_14default_configENS1_25partition_config_selectorILNS1_17partition_subalgoE5ElNS0_10empty_typeEbEEZZNS1_14partition_implILS5_5ELb0ES3_mN6hipcub16HIPCUB_304000_NS21CountingInputIteratorIllEEPS6_NSA_22TransformInputIteratorIbN2at6native12_GLOBAL__N_19NonZeroOpIhEEPKhlEENS0_5tupleIJPlS6_EEENSN_IJSD_SD_EEES6_PiJS6_EEE10hipError_tPvRmT3_T4_T5_T6_T7_T9_mT8_P12ihipStream_tbDpT10_ENKUlT_T0_E_clISt17integral_constantIbLb1EES1A_IbLb0EEEEDaS16_S17_EUlS16_E_NS1_11comp_targetILNS1_3genE2ELNS1_11target_archE906ELNS1_3gpuE6ELNS1_3repE0EEENS1_30default_config_static_selectorELNS0_4arch9wavefront6targetE0EEEvT1_,@function
_ZN7rocprim17ROCPRIM_400000_NS6detail17trampoline_kernelINS0_14default_configENS1_25partition_config_selectorILNS1_17partition_subalgoE5ElNS0_10empty_typeEbEEZZNS1_14partition_implILS5_5ELb0ES3_mN6hipcub16HIPCUB_304000_NS21CountingInputIteratorIllEEPS6_NSA_22TransformInputIteratorIbN2at6native12_GLOBAL__N_19NonZeroOpIhEEPKhlEENS0_5tupleIJPlS6_EEENSN_IJSD_SD_EEES6_PiJS6_EEE10hipError_tPvRmT3_T4_T5_T6_T7_T9_mT8_P12ihipStream_tbDpT10_ENKUlT_T0_E_clISt17integral_constantIbLb1EES1A_IbLb0EEEEDaS16_S17_EUlS16_E_NS1_11comp_targetILNS1_3genE2ELNS1_11target_archE906ELNS1_3gpuE6ELNS1_3repE0EEENS1_30default_config_static_selectorELNS0_4arch9wavefront6targetE0EEEvT1_: ; @_ZN7rocprim17ROCPRIM_400000_NS6detail17trampoline_kernelINS0_14default_configENS1_25partition_config_selectorILNS1_17partition_subalgoE5ElNS0_10empty_typeEbEEZZNS1_14partition_implILS5_5ELb0ES3_mN6hipcub16HIPCUB_304000_NS21CountingInputIteratorIllEEPS6_NSA_22TransformInputIteratorIbN2at6native12_GLOBAL__N_19NonZeroOpIhEEPKhlEENS0_5tupleIJPlS6_EEENSN_IJSD_SD_EEES6_PiJS6_EEE10hipError_tPvRmT3_T4_T5_T6_T7_T9_mT8_P12ihipStream_tbDpT10_ENKUlT_T0_E_clISt17integral_constantIbLb1EES1A_IbLb0EEEEDaS16_S17_EUlS16_E_NS1_11comp_targetILNS1_3genE2ELNS1_11target_archE906ELNS1_3gpuE6ELNS1_3repE0EEENS1_30default_config_static_selectorELNS0_4arch9wavefront6targetE0EEEvT1_
; %bb.0:
	.section	.rodata,"a",@progbits
	.p2align	6, 0x0
	.amdhsa_kernel _ZN7rocprim17ROCPRIM_400000_NS6detail17trampoline_kernelINS0_14default_configENS1_25partition_config_selectorILNS1_17partition_subalgoE5ElNS0_10empty_typeEbEEZZNS1_14partition_implILS5_5ELb0ES3_mN6hipcub16HIPCUB_304000_NS21CountingInputIteratorIllEEPS6_NSA_22TransformInputIteratorIbN2at6native12_GLOBAL__N_19NonZeroOpIhEEPKhlEENS0_5tupleIJPlS6_EEENSN_IJSD_SD_EEES6_PiJS6_EEE10hipError_tPvRmT3_T4_T5_T6_T7_T9_mT8_P12ihipStream_tbDpT10_ENKUlT_T0_E_clISt17integral_constantIbLb1EES1A_IbLb0EEEEDaS16_S17_EUlS16_E_NS1_11comp_targetILNS1_3genE2ELNS1_11target_archE906ELNS1_3gpuE6ELNS1_3repE0EEENS1_30default_config_static_selectorELNS0_4arch9wavefront6targetE0EEEvT1_
		.amdhsa_group_segment_fixed_size 0
		.amdhsa_private_segment_fixed_size 0
		.amdhsa_kernarg_size 120
		.amdhsa_user_sgpr_count 15
		.amdhsa_user_sgpr_dispatch_ptr 0
		.amdhsa_user_sgpr_queue_ptr 0
		.amdhsa_user_sgpr_kernarg_segment_ptr 1
		.amdhsa_user_sgpr_dispatch_id 0
		.amdhsa_user_sgpr_private_segment_size 0
		.amdhsa_wavefront_size32 1
		.amdhsa_uses_dynamic_stack 0
		.amdhsa_enable_private_segment 0
		.amdhsa_system_sgpr_workgroup_id_x 1
		.amdhsa_system_sgpr_workgroup_id_y 0
		.amdhsa_system_sgpr_workgroup_id_z 0
		.amdhsa_system_sgpr_workgroup_info 0
		.amdhsa_system_vgpr_workitem_id 0
		.amdhsa_next_free_vgpr 1
		.amdhsa_next_free_sgpr 1
		.amdhsa_reserve_vcc 0
		.amdhsa_float_round_mode_32 0
		.amdhsa_float_round_mode_16_64 0
		.amdhsa_float_denorm_mode_32 3
		.amdhsa_float_denorm_mode_16_64 3
		.amdhsa_dx10_clamp 1
		.amdhsa_ieee_mode 1
		.amdhsa_fp16_overflow 0
		.amdhsa_workgroup_processor_mode 1
		.amdhsa_memory_ordered 1
		.amdhsa_forward_progress 0
		.amdhsa_shared_vgpr_count 0
		.amdhsa_exception_fp_ieee_invalid_op 0
		.amdhsa_exception_fp_denorm_src 0
		.amdhsa_exception_fp_ieee_div_zero 0
		.amdhsa_exception_fp_ieee_overflow 0
		.amdhsa_exception_fp_ieee_underflow 0
		.amdhsa_exception_fp_ieee_inexact 0
		.amdhsa_exception_int_div_zero 0
	.end_amdhsa_kernel
	.section	.text._ZN7rocprim17ROCPRIM_400000_NS6detail17trampoline_kernelINS0_14default_configENS1_25partition_config_selectorILNS1_17partition_subalgoE5ElNS0_10empty_typeEbEEZZNS1_14partition_implILS5_5ELb0ES3_mN6hipcub16HIPCUB_304000_NS21CountingInputIteratorIllEEPS6_NSA_22TransformInputIteratorIbN2at6native12_GLOBAL__N_19NonZeroOpIhEEPKhlEENS0_5tupleIJPlS6_EEENSN_IJSD_SD_EEES6_PiJS6_EEE10hipError_tPvRmT3_T4_T5_T6_T7_T9_mT8_P12ihipStream_tbDpT10_ENKUlT_T0_E_clISt17integral_constantIbLb1EES1A_IbLb0EEEEDaS16_S17_EUlS16_E_NS1_11comp_targetILNS1_3genE2ELNS1_11target_archE906ELNS1_3gpuE6ELNS1_3repE0EEENS1_30default_config_static_selectorELNS0_4arch9wavefront6targetE0EEEvT1_,"axG",@progbits,_ZN7rocprim17ROCPRIM_400000_NS6detail17trampoline_kernelINS0_14default_configENS1_25partition_config_selectorILNS1_17partition_subalgoE5ElNS0_10empty_typeEbEEZZNS1_14partition_implILS5_5ELb0ES3_mN6hipcub16HIPCUB_304000_NS21CountingInputIteratorIllEEPS6_NSA_22TransformInputIteratorIbN2at6native12_GLOBAL__N_19NonZeroOpIhEEPKhlEENS0_5tupleIJPlS6_EEENSN_IJSD_SD_EEES6_PiJS6_EEE10hipError_tPvRmT3_T4_T5_T6_T7_T9_mT8_P12ihipStream_tbDpT10_ENKUlT_T0_E_clISt17integral_constantIbLb1EES1A_IbLb0EEEEDaS16_S17_EUlS16_E_NS1_11comp_targetILNS1_3genE2ELNS1_11target_archE906ELNS1_3gpuE6ELNS1_3repE0EEENS1_30default_config_static_selectorELNS0_4arch9wavefront6targetE0EEEvT1_,comdat
.Lfunc_end68:
	.size	_ZN7rocprim17ROCPRIM_400000_NS6detail17trampoline_kernelINS0_14default_configENS1_25partition_config_selectorILNS1_17partition_subalgoE5ElNS0_10empty_typeEbEEZZNS1_14partition_implILS5_5ELb0ES3_mN6hipcub16HIPCUB_304000_NS21CountingInputIteratorIllEEPS6_NSA_22TransformInputIteratorIbN2at6native12_GLOBAL__N_19NonZeroOpIhEEPKhlEENS0_5tupleIJPlS6_EEENSN_IJSD_SD_EEES6_PiJS6_EEE10hipError_tPvRmT3_T4_T5_T6_T7_T9_mT8_P12ihipStream_tbDpT10_ENKUlT_T0_E_clISt17integral_constantIbLb1EES1A_IbLb0EEEEDaS16_S17_EUlS16_E_NS1_11comp_targetILNS1_3genE2ELNS1_11target_archE906ELNS1_3gpuE6ELNS1_3repE0EEENS1_30default_config_static_selectorELNS0_4arch9wavefront6targetE0EEEvT1_, .Lfunc_end68-_ZN7rocprim17ROCPRIM_400000_NS6detail17trampoline_kernelINS0_14default_configENS1_25partition_config_selectorILNS1_17partition_subalgoE5ElNS0_10empty_typeEbEEZZNS1_14partition_implILS5_5ELb0ES3_mN6hipcub16HIPCUB_304000_NS21CountingInputIteratorIllEEPS6_NSA_22TransformInputIteratorIbN2at6native12_GLOBAL__N_19NonZeroOpIhEEPKhlEENS0_5tupleIJPlS6_EEENSN_IJSD_SD_EEES6_PiJS6_EEE10hipError_tPvRmT3_T4_T5_T6_T7_T9_mT8_P12ihipStream_tbDpT10_ENKUlT_T0_E_clISt17integral_constantIbLb1EES1A_IbLb0EEEEDaS16_S17_EUlS16_E_NS1_11comp_targetILNS1_3genE2ELNS1_11target_archE906ELNS1_3gpuE6ELNS1_3repE0EEENS1_30default_config_static_selectorELNS0_4arch9wavefront6targetE0EEEvT1_
                                        ; -- End function
	.section	.AMDGPU.csdata,"",@progbits
; Kernel info:
; codeLenInByte = 0
; NumSgprs: 0
; NumVgprs: 0
; ScratchSize: 0
; MemoryBound: 0
; FloatMode: 240
; IeeeMode: 1
; LDSByteSize: 0 bytes/workgroup (compile time only)
; SGPRBlocks: 0
; VGPRBlocks: 0
; NumSGPRsForWavesPerEU: 1
; NumVGPRsForWavesPerEU: 1
; Occupancy: 16
; WaveLimiterHint : 0
; COMPUTE_PGM_RSRC2:SCRATCH_EN: 0
; COMPUTE_PGM_RSRC2:USER_SGPR: 15
; COMPUTE_PGM_RSRC2:TRAP_HANDLER: 0
; COMPUTE_PGM_RSRC2:TGID_X_EN: 1
; COMPUTE_PGM_RSRC2:TGID_Y_EN: 0
; COMPUTE_PGM_RSRC2:TGID_Z_EN: 0
; COMPUTE_PGM_RSRC2:TIDIG_COMP_CNT: 0
	.section	.text._ZN7rocprim17ROCPRIM_400000_NS6detail17trampoline_kernelINS0_14default_configENS1_25partition_config_selectorILNS1_17partition_subalgoE5ElNS0_10empty_typeEbEEZZNS1_14partition_implILS5_5ELb0ES3_mN6hipcub16HIPCUB_304000_NS21CountingInputIteratorIllEEPS6_NSA_22TransformInputIteratorIbN2at6native12_GLOBAL__N_19NonZeroOpIhEEPKhlEENS0_5tupleIJPlS6_EEENSN_IJSD_SD_EEES6_PiJS6_EEE10hipError_tPvRmT3_T4_T5_T6_T7_T9_mT8_P12ihipStream_tbDpT10_ENKUlT_T0_E_clISt17integral_constantIbLb1EES1A_IbLb0EEEEDaS16_S17_EUlS16_E_NS1_11comp_targetILNS1_3genE10ELNS1_11target_archE1200ELNS1_3gpuE4ELNS1_3repE0EEENS1_30default_config_static_selectorELNS0_4arch9wavefront6targetE0EEEvT1_,"axG",@progbits,_ZN7rocprim17ROCPRIM_400000_NS6detail17trampoline_kernelINS0_14default_configENS1_25partition_config_selectorILNS1_17partition_subalgoE5ElNS0_10empty_typeEbEEZZNS1_14partition_implILS5_5ELb0ES3_mN6hipcub16HIPCUB_304000_NS21CountingInputIteratorIllEEPS6_NSA_22TransformInputIteratorIbN2at6native12_GLOBAL__N_19NonZeroOpIhEEPKhlEENS0_5tupleIJPlS6_EEENSN_IJSD_SD_EEES6_PiJS6_EEE10hipError_tPvRmT3_T4_T5_T6_T7_T9_mT8_P12ihipStream_tbDpT10_ENKUlT_T0_E_clISt17integral_constantIbLb1EES1A_IbLb0EEEEDaS16_S17_EUlS16_E_NS1_11comp_targetILNS1_3genE10ELNS1_11target_archE1200ELNS1_3gpuE4ELNS1_3repE0EEENS1_30default_config_static_selectorELNS0_4arch9wavefront6targetE0EEEvT1_,comdat
	.globl	_ZN7rocprim17ROCPRIM_400000_NS6detail17trampoline_kernelINS0_14default_configENS1_25partition_config_selectorILNS1_17partition_subalgoE5ElNS0_10empty_typeEbEEZZNS1_14partition_implILS5_5ELb0ES3_mN6hipcub16HIPCUB_304000_NS21CountingInputIteratorIllEEPS6_NSA_22TransformInputIteratorIbN2at6native12_GLOBAL__N_19NonZeroOpIhEEPKhlEENS0_5tupleIJPlS6_EEENSN_IJSD_SD_EEES6_PiJS6_EEE10hipError_tPvRmT3_T4_T5_T6_T7_T9_mT8_P12ihipStream_tbDpT10_ENKUlT_T0_E_clISt17integral_constantIbLb1EES1A_IbLb0EEEEDaS16_S17_EUlS16_E_NS1_11comp_targetILNS1_3genE10ELNS1_11target_archE1200ELNS1_3gpuE4ELNS1_3repE0EEENS1_30default_config_static_selectorELNS0_4arch9wavefront6targetE0EEEvT1_ ; -- Begin function _ZN7rocprim17ROCPRIM_400000_NS6detail17trampoline_kernelINS0_14default_configENS1_25partition_config_selectorILNS1_17partition_subalgoE5ElNS0_10empty_typeEbEEZZNS1_14partition_implILS5_5ELb0ES3_mN6hipcub16HIPCUB_304000_NS21CountingInputIteratorIllEEPS6_NSA_22TransformInputIteratorIbN2at6native12_GLOBAL__N_19NonZeroOpIhEEPKhlEENS0_5tupleIJPlS6_EEENSN_IJSD_SD_EEES6_PiJS6_EEE10hipError_tPvRmT3_T4_T5_T6_T7_T9_mT8_P12ihipStream_tbDpT10_ENKUlT_T0_E_clISt17integral_constantIbLb1EES1A_IbLb0EEEEDaS16_S17_EUlS16_E_NS1_11comp_targetILNS1_3genE10ELNS1_11target_archE1200ELNS1_3gpuE4ELNS1_3repE0EEENS1_30default_config_static_selectorELNS0_4arch9wavefront6targetE0EEEvT1_
	.p2align	8
	.type	_ZN7rocprim17ROCPRIM_400000_NS6detail17trampoline_kernelINS0_14default_configENS1_25partition_config_selectorILNS1_17partition_subalgoE5ElNS0_10empty_typeEbEEZZNS1_14partition_implILS5_5ELb0ES3_mN6hipcub16HIPCUB_304000_NS21CountingInputIteratorIllEEPS6_NSA_22TransformInputIteratorIbN2at6native12_GLOBAL__N_19NonZeroOpIhEEPKhlEENS0_5tupleIJPlS6_EEENSN_IJSD_SD_EEES6_PiJS6_EEE10hipError_tPvRmT3_T4_T5_T6_T7_T9_mT8_P12ihipStream_tbDpT10_ENKUlT_T0_E_clISt17integral_constantIbLb1EES1A_IbLb0EEEEDaS16_S17_EUlS16_E_NS1_11comp_targetILNS1_3genE10ELNS1_11target_archE1200ELNS1_3gpuE4ELNS1_3repE0EEENS1_30default_config_static_selectorELNS0_4arch9wavefront6targetE0EEEvT1_,@function
_ZN7rocprim17ROCPRIM_400000_NS6detail17trampoline_kernelINS0_14default_configENS1_25partition_config_selectorILNS1_17partition_subalgoE5ElNS0_10empty_typeEbEEZZNS1_14partition_implILS5_5ELb0ES3_mN6hipcub16HIPCUB_304000_NS21CountingInputIteratorIllEEPS6_NSA_22TransformInputIteratorIbN2at6native12_GLOBAL__N_19NonZeroOpIhEEPKhlEENS0_5tupleIJPlS6_EEENSN_IJSD_SD_EEES6_PiJS6_EEE10hipError_tPvRmT3_T4_T5_T6_T7_T9_mT8_P12ihipStream_tbDpT10_ENKUlT_T0_E_clISt17integral_constantIbLb1EES1A_IbLb0EEEEDaS16_S17_EUlS16_E_NS1_11comp_targetILNS1_3genE10ELNS1_11target_archE1200ELNS1_3gpuE4ELNS1_3repE0EEENS1_30default_config_static_selectorELNS0_4arch9wavefront6targetE0EEEvT1_: ; @_ZN7rocprim17ROCPRIM_400000_NS6detail17trampoline_kernelINS0_14default_configENS1_25partition_config_selectorILNS1_17partition_subalgoE5ElNS0_10empty_typeEbEEZZNS1_14partition_implILS5_5ELb0ES3_mN6hipcub16HIPCUB_304000_NS21CountingInputIteratorIllEEPS6_NSA_22TransformInputIteratorIbN2at6native12_GLOBAL__N_19NonZeroOpIhEEPKhlEENS0_5tupleIJPlS6_EEENSN_IJSD_SD_EEES6_PiJS6_EEE10hipError_tPvRmT3_T4_T5_T6_T7_T9_mT8_P12ihipStream_tbDpT10_ENKUlT_T0_E_clISt17integral_constantIbLb1EES1A_IbLb0EEEEDaS16_S17_EUlS16_E_NS1_11comp_targetILNS1_3genE10ELNS1_11target_archE1200ELNS1_3gpuE4ELNS1_3repE0EEENS1_30default_config_static_selectorELNS0_4arch9wavefront6targetE0EEEvT1_
; %bb.0:
	.section	.rodata,"a",@progbits
	.p2align	6, 0x0
	.amdhsa_kernel _ZN7rocprim17ROCPRIM_400000_NS6detail17trampoline_kernelINS0_14default_configENS1_25partition_config_selectorILNS1_17partition_subalgoE5ElNS0_10empty_typeEbEEZZNS1_14partition_implILS5_5ELb0ES3_mN6hipcub16HIPCUB_304000_NS21CountingInputIteratorIllEEPS6_NSA_22TransformInputIteratorIbN2at6native12_GLOBAL__N_19NonZeroOpIhEEPKhlEENS0_5tupleIJPlS6_EEENSN_IJSD_SD_EEES6_PiJS6_EEE10hipError_tPvRmT3_T4_T5_T6_T7_T9_mT8_P12ihipStream_tbDpT10_ENKUlT_T0_E_clISt17integral_constantIbLb1EES1A_IbLb0EEEEDaS16_S17_EUlS16_E_NS1_11comp_targetILNS1_3genE10ELNS1_11target_archE1200ELNS1_3gpuE4ELNS1_3repE0EEENS1_30default_config_static_selectorELNS0_4arch9wavefront6targetE0EEEvT1_
		.amdhsa_group_segment_fixed_size 0
		.amdhsa_private_segment_fixed_size 0
		.amdhsa_kernarg_size 120
		.amdhsa_user_sgpr_count 15
		.amdhsa_user_sgpr_dispatch_ptr 0
		.amdhsa_user_sgpr_queue_ptr 0
		.amdhsa_user_sgpr_kernarg_segment_ptr 1
		.amdhsa_user_sgpr_dispatch_id 0
		.amdhsa_user_sgpr_private_segment_size 0
		.amdhsa_wavefront_size32 1
		.amdhsa_uses_dynamic_stack 0
		.amdhsa_enable_private_segment 0
		.amdhsa_system_sgpr_workgroup_id_x 1
		.amdhsa_system_sgpr_workgroup_id_y 0
		.amdhsa_system_sgpr_workgroup_id_z 0
		.amdhsa_system_sgpr_workgroup_info 0
		.amdhsa_system_vgpr_workitem_id 0
		.amdhsa_next_free_vgpr 1
		.amdhsa_next_free_sgpr 1
		.amdhsa_reserve_vcc 0
		.amdhsa_float_round_mode_32 0
		.amdhsa_float_round_mode_16_64 0
		.amdhsa_float_denorm_mode_32 3
		.amdhsa_float_denorm_mode_16_64 3
		.amdhsa_dx10_clamp 1
		.amdhsa_ieee_mode 1
		.amdhsa_fp16_overflow 0
		.amdhsa_workgroup_processor_mode 1
		.amdhsa_memory_ordered 1
		.amdhsa_forward_progress 0
		.amdhsa_shared_vgpr_count 0
		.amdhsa_exception_fp_ieee_invalid_op 0
		.amdhsa_exception_fp_denorm_src 0
		.amdhsa_exception_fp_ieee_div_zero 0
		.amdhsa_exception_fp_ieee_overflow 0
		.amdhsa_exception_fp_ieee_underflow 0
		.amdhsa_exception_fp_ieee_inexact 0
		.amdhsa_exception_int_div_zero 0
	.end_amdhsa_kernel
	.section	.text._ZN7rocprim17ROCPRIM_400000_NS6detail17trampoline_kernelINS0_14default_configENS1_25partition_config_selectorILNS1_17partition_subalgoE5ElNS0_10empty_typeEbEEZZNS1_14partition_implILS5_5ELb0ES3_mN6hipcub16HIPCUB_304000_NS21CountingInputIteratorIllEEPS6_NSA_22TransformInputIteratorIbN2at6native12_GLOBAL__N_19NonZeroOpIhEEPKhlEENS0_5tupleIJPlS6_EEENSN_IJSD_SD_EEES6_PiJS6_EEE10hipError_tPvRmT3_T4_T5_T6_T7_T9_mT8_P12ihipStream_tbDpT10_ENKUlT_T0_E_clISt17integral_constantIbLb1EES1A_IbLb0EEEEDaS16_S17_EUlS16_E_NS1_11comp_targetILNS1_3genE10ELNS1_11target_archE1200ELNS1_3gpuE4ELNS1_3repE0EEENS1_30default_config_static_selectorELNS0_4arch9wavefront6targetE0EEEvT1_,"axG",@progbits,_ZN7rocprim17ROCPRIM_400000_NS6detail17trampoline_kernelINS0_14default_configENS1_25partition_config_selectorILNS1_17partition_subalgoE5ElNS0_10empty_typeEbEEZZNS1_14partition_implILS5_5ELb0ES3_mN6hipcub16HIPCUB_304000_NS21CountingInputIteratorIllEEPS6_NSA_22TransformInputIteratorIbN2at6native12_GLOBAL__N_19NonZeroOpIhEEPKhlEENS0_5tupleIJPlS6_EEENSN_IJSD_SD_EEES6_PiJS6_EEE10hipError_tPvRmT3_T4_T5_T6_T7_T9_mT8_P12ihipStream_tbDpT10_ENKUlT_T0_E_clISt17integral_constantIbLb1EES1A_IbLb0EEEEDaS16_S17_EUlS16_E_NS1_11comp_targetILNS1_3genE10ELNS1_11target_archE1200ELNS1_3gpuE4ELNS1_3repE0EEENS1_30default_config_static_selectorELNS0_4arch9wavefront6targetE0EEEvT1_,comdat
.Lfunc_end69:
	.size	_ZN7rocprim17ROCPRIM_400000_NS6detail17trampoline_kernelINS0_14default_configENS1_25partition_config_selectorILNS1_17partition_subalgoE5ElNS0_10empty_typeEbEEZZNS1_14partition_implILS5_5ELb0ES3_mN6hipcub16HIPCUB_304000_NS21CountingInputIteratorIllEEPS6_NSA_22TransformInputIteratorIbN2at6native12_GLOBAL__N_19NonZeroOpIhEEPKhlEENS0_5tupleIJPlS6_EEENSN_IJSD_SD_EEES6_PiJS6_EEE10hipError_tPvRmT3_T4_T5_T6_T7_T9_mT8_P12ihipStream_tbDpT10_ENKUlT_T0_E_clISt17integral_constantIbLb1EES1A_IbLb0EEEEDaS16_S17_EUlS16_E_NS1_11comp_targetILNS1_3genE10ELNS1_11target_archE1200ELNS1_3gpuE4ELNS1_3repE0EEENS1_30default_config_static_selectorELNS0_4arch9wavefront6targetE0EEEvT1_, .Lfunc_end69-_ZN7rocprim17ROCPRIM_400000_NS6detail17trampoline_kernelINS0_14default_configENS1_25partition_config_selectorILNS1_17partition_subalgoE5ElNS0_10empty_typeEbEEZZNS1_14partition_implILS5_5ELb0ES3_mN6hipcub16HIPCUB_304000_NS21CountingInputIteratorIllEEPS6_NSA_22TransformInputIteratorIbN2at6native12_GLOBAL__N_19NonZeroOpIhEEPKhlEENS0_5tupleIJPlS6_EEENSN_IJSD_SD_EEES6_PiJS6_EEE10hipError_tPvRmT3_T4_T5_T6_T7_T9_mT8_P12ihipStream_tbDpT10_ENKUlT_T0_E_clISt17integral_constantIbLb1EES1A_IbLb0EEEEDaS16_S17_EUlS16_E_NS1_11comp_targetILNS1_3genE10ELNS1_11target_archE1200ELNS1_3gpuE4ELNS1_3repE0EEENS1_30default_config_static_selectorELNS0_4arch9wavefront6targetE0EEEvT1_
                                        ; -- End function
	.section	.AMDGPU.csdata,"",@progbits
; Kernel info:
; codeLenInByte = 0
; NumSgprs: 0
; NumVgprs: 0
; ScratchSize: 0
; MemoryBound: 0
; FloatMode: 240
; IeeeMode: 1
; LDSByteSize: 0 bytes/workgroup (compile time only)
; SGPRBlocks: 0
; VGPRBlocks: 0
; NumSGPRsForWavesPerEU: 1
; NumVGPRsForWavesPerEU: 1
; Occupancy: 16
; WaveLimiterHint : 0
; COMPUTE_PGM_RSRC2:SCRATCH_EN: 0
; COMPUTE_PGM_RSRC2:USER_SGPR: 15
; COMPUTE_PGM_RSRC2:TRAP_HANDLER: 0
; COMPUTE_PGM_RSRC2:TGID_X_EN: 1
; COMPUTE_PGM_RSRC2:TGID_Y_EN: 0
; COMPUTE_PGM_RSRC2:TGID_Z_EN: 0
; COMPUTE_PGM_RSRC2:TIDIG_COMP_CNT: 0
	.section	.text._ZN7rocprim17ROCPRIM_400000_NS6detail17trampoline_kernelINS0_14default_configENS1_25partition_config_selectorILNS1_17partition_subalgoE5ElNS0_10empty_typeEbEEZZNS1_14partition_implILS5_5ELb0ES3_mN6hipcub16HIPCUB_304000_NS21CountingInputIteratorIllEEPS6_NSA_22TransformInputIteratorIbN2at6native12_GLOBAL__N_19NonZeroOpIhEEPKhlEENS0_5tupleIJPlS6_EEENSN_IJSD_SD_EEES6_PiJS6_EEE10hipError_tPvRmT3_T4_T5_T6_T7_T9_mT8_P12ihipStream_tbDpT10_ENKUlT_T0_E_clISt17integral_constantIbLb1EES1A_IbLb0EEEEDaS16_S17_EUlS16_E_NS1_11comp_targetILNS1_3genE9ELNS1_11target_archE1100ELNS1_3gpuE3ELNS1_3repE0EEENS1_30default_config_static_selectorELNS0_4arch9wavefront6targetE0EEEvT1_,"axG",@progbits,_ZN7rocprim17ROCPRIM_400000_NS6detail17trampoline_kernelINS0_14default_configENS1_25partition_config_selectorILNS1_17partition_subalgoE5ElNS0_10empty_typeEbEEZZNS1_14partition_implILS5_5ELb0ES3_mN6hipcub16HIPCUB_304000_NS21CountingInputIteratorIllEEPS6_NSA_22TransformInputIteratorIbN2at6native12_GLOBAL__N_19NonZeroOpIhEEPKhlEENS0_5tupleIJPlS6_EEENSN_IJSD_SD_EEES6_PiJS6_EEE10hipError_tPvRmT3_T4_T5_T6_T7_T9_mT8_P12ihipStream_tbDpT10_ENKUlT_T0_E_clISt17integral_constantIbLb1EES1A_IbLb0EEEEDaS16_S17_EUlS16_E_NS1_11comp_targetILNS1_3genE9ELNS1_11target_archE1100ELNS1_3gpuE3ELNS1_3repE0EEENS1_30default_config_static_selectorELNS0_4arch9wavefront6targetE0EEEvT1_,comdat
	.globl	_ZN7rocprim17ROCPRIM_400000_NS6detail17trampoline_kernelINS0_14default_configENS1_25partition_config_selectorILNS1_17partition_subalgoE5ElNS0_10empty_typeEbEEZZNS1_14partition_implILS5_5ELb0ES3_mN6hipcub16HIPCUB_304000_NS21CountingInputIteratorIllEEPS6_NSA_22TransformInputIteratorIbN2at6native12_GLOBAL__N_19NonZeroOpIhEEPKhlEENS0_5tupleIJPlS6_EEENSN_IJSD_SD_EEES6_PiJS6_EEE10hipError_tPvRmT3_T4_T5_T6_T7_T9_mT8_P12ihipStream_tbDpT10_ENKUlT_T0_E_clISt17integral_constantIbLb1EES1A_IbLb0EEEEDaS16_S17_EUlS16_E_NS1_11comp_targetILNS1_3genE9ELNS1_11target_archE1100ELNS1_3gpuE3ELNS1_3repE0EEENS1_30default_config_static_selectorELNS0_4arch9wavefront6targetE0EEEvT1_ ; -- Begin function _ZN7rocprim17ROCPRIM_400000_NS6detail17trampoline_kernelINS0_14default_configENS1_25partition_config_selectorILNS1_17partition_subalgoE5ElNS0_10empty_typeEbEEZZNS1_14partition_implILS5_5ELb0ES3_mN6hipcub16HIPCUB_304000_NS21CountingInputIteratorIllEEPS6_NSA_22TransformInputIteratorIbN2at6native12_GLOBAL__N_19NonZeroOpIhEEPKhlEENS0_5tupleIJPlS6_EEENSN_IJSD_SD_EEES6_PiJS6_EEE10hipError_tPvRmT3_T4_T5_T6_T7_T9_mT8_P12ihipStream_tbDpT10_ENKUlT_T0_E_clISt17integral_constantIbLb1EES1A_IbLb0EEEEDaS16_S17_EUlS16_E_NS1_11comp_targetILNS1_3genE9ELNS1_11target_archE1100ELNS1_3gpuE3ELNS1_3repE0EEENS1_30default_config_static_selectorELNS0_4arch9wavefront6targetE0EEEvT1_
	.p2align	8
	.type	_ZN7rocprim17ROCPRIM_400000_NS6detail17trampoline_kernelINS0_14default_configENS1_25partition_config_selectorILNS1_17partition_subalgoE5ElNS0_10empty_typeEbEEZZNS1_14partition_implILS5_5ELb0ES3_mN6hipcub16HIPCUB_304000_NS21CountingInputIteratorIllEEPS6_NSA_22TransformInputIteratorIbN2at6native12_GLOBAL__N_19NonZeroOpIhEEPKhlEENS0_5tupleIJPlS6_EEENSN_IJSD_SD_EEES6_PiJS6_EEE10hipError_tPvRmT3_T4_T5_T6_T7_T9_mT8_P12ihipStream_tbDpT10_ENKUlT_T0_E_clISt17integral_constantIbLb1EES1A_IbLb0EEEEDaS16_S17_EUlS16_E_NS1_11comp_targetILNS1_3genE9ELNS1_11target_archE1100ELNS1_3gpuE3ELNS1_3repE0EEENS1_30default_config_static_selectorELNS0_4arch9wavefront6targetE0EEEvT1_,@function
_ZN7rocprim17ROCPRIM_400000_NS6detail17trampoline_kernelINS0_14default_configENS1_25partition_config_selectorILNS1_17partition_subalgoE5ElNS0_10empty_typeEbEEZZNS1_14partition_implILS5_5ELb0ES3_mN6hipcub16HIPCUB_304000_NS21CountingInputIteratorIllEEPS6_NSA_22TransformInputIteratorIbN2at6native12_GLOBAL__N_19NonZeroOpIhEEPKhlEENS0_5tupleIJPlS6_EEENSN_IJSD_SD_EEES6_PiJS6_EEE10hipError_tPvRmT3_T4_T5_T6_T7_T9_mT8_P12ihipStream_tbDpT10_ENKUlT_T0_E_clISt17integral_constantIbLb1EES1A_IbLb0EEEEDaS16_S17_EUlS16_E_NS1_11comp_targetILNS1_3genE9ELNS1_11target_archE1100ELNS1_3gpuE3ELNS1_3repE0EEENS1_30default_config_static_selectorELNS0_4arch9wavefront6targetE0EEEvT1_: ; @_ZN7rocprim17ROCPRIM_400000_NS6detail17trampoline_kernelINS0_14default_configENS1_25partition_config_selectorILNS1_17partition_subalgoE5ElNS0_10empty_typeEbEEZZNS1_14partition_implILS5_5ELb0ES3_mN6hipcub16HIPCUB_304000_NS21CountingInputIteratorIllEEPS6_NSA_22TransformInputIteratorIbN2at6native12_GLOBAL__N_19NonZeroOpIhEEPKhlEENS0_5tupleIJPlS6_EEENSN_IJSD_SD_EEES6_PiJS6_EEE10hipError_tPvRmT3_T4_T5_T6_T7_T9_mT8_P12ihipStream_tbDpT10_ENKUlT_T0_E_clISt17integral_constantIbLb1EES1A_IbLb0EEEEDaS16_S17_EUlS16_E_NS1_11comp_targetILNS1_3genE9ELNS1_11target_archE1100ELNS1_3gpuE3ELNS1_3repE0EEENS1_30default_config_static_selectorELNS0_4arch9wavefront6targetE0EEEvT1_
; %bb.0:
	s_clause 0x4
	s_load_b128 s[8:11], s[0:1], 0x8
	s_load_b128 s[4:7], s[0:1], 0x48
	s_load_b32 s14, s[0:1], 0x70
	s_load_b64 s[2:3], s[0:1], 0x58
	s_load_b64 s[12:13], s[0:1], 0x20
	s_waitcnt lgkmcnt(0)
	s_add_u32 s8, s10, s8
	s_load_b64 s[6:7], s[6:7], 0x0
	s_mul_i32 s17, s14, 0x300
	s_addc_u32 s9, s11, s9
	s_add_i32 s14, s14, -1
	s_add_u32 s18, s10, s17
	s_addc_u32 s19, s11, 0
	s_cmp_eq_u32 s15, s14
	v_cmp_ge_u64_e64 s3, s[18:19], s[2:3]
	s_cselect_b32 s14, -1, 0
	s_mov_b32 s18, -1
	s_delay_alu instid0(VALU_DEP_1) | instskip(NEXT) | instid1(SALU_CYCLE_1)
	s_and_b32 s3, s14, s3
	s_xor_b32 s16, s3, -1
	s_mul_i32 s3, s15, 0x300
	s_and_b32 vcc_lo, exec_lo, s16
	s_cbranch_vccz .LBB70_2
; %bb.1:
	s_add_u32 s18, s8, s3
	s_addc_u32 s19, s9, 0
	v_add_co_u32 v1, s18, s18, v0
	s_delay_alu instid0(VALU_DEP_1) | instskip(SKIP_1) | instid1(VALU_DEP_3)
	v_add_co_ci_u32_e64 v2, null, s19, 0, s18
	v_lshlrev_b32_e32 v13, 3, v0
	v_add_co_u32 v3, vcc_lo, 0x80, v1
	s_delay_alu instid0(VALU_DEP_3)
	v_add_co_ci_u32_e32 v4, vcc_lo, 0, v2, vcc_lo
	v_add_co_u32 v5, vcc_lo, 0x100, v1
	v_add_co_ci_u32_e32 v6, vcc_lo, 0, v2, vcc_lo
	v_add_co_u32 v7, vcc_lo, 0x180, v1
	;; [unrolled: 2-line block ×4, first 2 shown]
	v_add_co_ci_u32_e32 v12, vcc_lo, 0, v2, vcc_lo
	ds_store_2addr_stride64_b64 v13, v[1:2], v[3:4] offset1:2
	ds_store_2addr_stride64_b64 v13, v[5:6], v[7:8] offset0:4 offset1:6
	ds_store_2addr_stride64_b64 v13, v[9:10], v[11:12] offset0:8 offset1:10
	s_waitcnt lgkmcnt(0)
	s_mov_b32 s18, 0
	s_barrier
.LBB70_2:
	v_or_b32_e32 v17, 0x100, v0
	v_or_b32_e32 v16, 0x180, v0
	;; [unrolled: 1-line block ×4, first 2 shown]
	s_and_not1_b32 vcc_lo, exec_lo, s18
	s_cbranch_vccnz .LBB70_4
; %bb.3:
	v_or_b32_e32 v3, 0x80, v0
	s_add_u32 s8, s8, s3
	s_addc_u32 s9, s9, 0
	v_add_co_u32 v1, s18, s8, v0
	s_delay_alu instid0(VALU_DEP_1) | instskip(SKIP_1) | instid1(VALU_DEP_1)
	v_add_co_ci_u32_e64 v2, null, s9, 0, s18
	v_add_co_u32 v3, s18, s8, v3
	v_add_co_ci_u32_e64 v4, null, s9, 0, s18
	v_add_co_u32 v5, s18, s8, v17
	s_delay_alu instid0(VALU_DEP_1) | instskip(SKIP_1) | instid1(VALU_DEP_1)
	v_add_co_ci_u32_e64 v6, null, s9, 0, s18
	v_add_co_u32 v7, s18, s8, v16
	v_add_co_ci_u32_e64 v8, null, s9, 0, s18
	v_add_co_u32 v9, s18, s8, v14
	v_lshlrev_b32_e32 v15, 3, v0
	v_add_co_u32 v11, s8, s8, v13
	v_add_co_ci_u32_e64 v10, null, s9, 0, s18
	v_add_co_ci_u32_e64 v12, null, s9, 0, s8
	ds_store_2addr_stride64_b64 v15, v[1:2], v[3:4] offset1:2
	ds_store_2addr_stride64_b64 v15, v[5:6], v[7:8] offset0:4 offset1:6
	ds_store_2addr_stride64_b64 v15, v[9:10], v[11:12] offset0:8 offset1:10
	s_waitcnt lgkmcnt(0)
	s_barrier
.LBB70_4:
	v_mul_u32_u24_e32 v1, 6, v0
	s_waitcnt lgkmcnt(0)
	buffer_gl0_inv
	s_add_u32 s8, s12, s10
	s_addc_u32 s9, s13, s11
	s_add_u32 s12, s8, s3
	v_lshlrev_b32_e32 v15, 3, v1
	s_addc_u32 s13, s9, 0
	s_and_b32 vcc_lo, exec_lo, s16
	s_mov_b32 s3, -1
	ds_load_b128 v[9:12], v15
	ds_load_b128 v[5:8], v15 offset:16
	ds_load_b128 v[1:4], v15 offset:32
	s_waitcnt lgkmcnt(0)
	s_barrier
	buffer_gl0_inv
	s_cbranch_vccz .LBB70_6
; %bb.5:
	s_clause 0x5
	global_load_u8 v18, v0, s[12:13]
	global_load_u8 v19, v0, s[12:13] offset:128
	global_load_u8 v20, v0, s[12:13] offset:256
	global_load_u8 v21, v0, s[12:13] offset:384
	global_load_u8 v22, v0, s[12:13] offset:512
	global_load_u8 v23, v0, s[12:13] offset:640
	s_mov_b32 s3, 0
	s_waitcnt vmcnt(5)
	v_cmp_ne_u16_e32 vcc_lo, 0, v18
	v_cndmask_b32_e64 v18, 0, 1, vcc_lo
	s_waitcnt vmcnt(4)
	v_cmp_ne_u16_e32 vcc_lo, 0, v19
	v_cndmask_b32_e64 v19, 0, 1, vcc_lo
	;; [unrolled: 3-line block ×6, first 2 shown]
	ds_store_b8 v0, v18
	ds_store_b8 v0, v19 offset:128
	ds_store_b8 v0, v20 offset:256
	ds_store_b8 v0, v21 offset:384
	ds_store_b8 v0, v22 offset:512
	ds_store_b8 v0, v23 offset:640
	s_waitcnt lgkmcnt(0)
	s_barrier
.LBB70_6:
	s_load_b64 s[8:9], s[0:1], 0x68
	s_and_not1_b32 vcc_lo, exec_lo, s3
	s_cbranch_vccnz .LBB70_20
; %bb.7:
	s_add_i32 s17, s17, s10
	v_dual_mov_b32 v18, 0 :: v_dual_mov_b32 v19, 0
	s_sub_i32 s2, s2, s17
	s_mov_b32 s3, exec_lo
	s_addk_i32 s2, 0x300
	s_delay_alu instid0(SALU_CYCLE_1)
	v_cmpx_gt_u32_e64 s2, v0
	s_cbranch_execz .LBB70_9
; %bb.8:
	global_load_u8 v19, v0, s[12:13]
	s_waitcnt vmcnt(0)
	v_cmp_ne_u16_e32 vcc_lo, 0, v19
	v_cndmask_b32_e64 v19, 0, 1, vcc_lo
.LBB70_9:
	s_or_b32 exec_lo, exec_lo, s3
	v_or_b32_e32 v20, 0x80, v0
	s_mov_b32 s3, exec_lo
	s_delay_alu instid0(VALU_DEP_1)
	v_cmpx_gt_u32_e64 s2, v20
	s_cbranch_execz .LBB70_11
; %bb.10:
	global_load_u8 v18, v0, s[12:13] offset:128
	s_waitcnt vmcnt(0)
	v_cmp_ne_u16_e32 vcc_lo, 0, v18
	v_cndmask_b32_e64 v18, 0, 1, vcc_lo
.LBB70_11:
	s_or_b32 exec_lo, exec_lo, s3
	v_cmp_gt_u32_e32 vcc_lo, s2, v17
	v_dual_mov_b32 v17, 0 :: v_dual_mov_b32 v20, 0
	s_and_saveexec_b32 s3, vcc_lo
	s_cbranch_execz .LBB70_13
; %bb.12:
	global_load_u8 v20, v0, s[12:13] offset:256
	s_waitcnt vmcnt(0)
	v_cmp_ne_u16_e32 vcc_lo, 0, v20
	v_cndmask_b32_e64 v20, 0, 1, vcc_lo
.LBB70_13:
	s_or_b32 exec_lo, exec_lo, s3
	s_delay_alu instid0(SALU_CYCLE_1)
	s_mov_b32 s3, exec_lo
	v_cmpx_gt_u32_e64 s2, v16
	s_cbranch_execz .LBB70_15
; %bb.14:
	global_load_u8 v16, v0, s[12:13] offset:384
	s_waitcnt vmcnt(0)
	v_cmp_ne_u16_e32 vcc_lo, 0, v16
	v_cndmask_b32_e64 v17, 0, 1, vcc_lo
.LBB70_15:
	s_or_b32 exec_lo, exec_lo, s3
	v_cmp_gt_u32_e32 vcc_lo, s2, v14
	v_mov_b32_e32 v14, 0
	v_mov_b32_e32 v16, 0
	s_and_saveexec_b32 s3, vcc_lo
	s_cbranch_execz .LBB70_17
; %bb.16:
	global_load_u8 v16, v0, s[12:13] offset:512
	s_waitcnt vmcnt(0)
	v_cmp_ne_u16_e32 vcc_lo, 0, v16
	v_cndmask_b32_e64 v16, 0, 1, vcc_lo
.LBB70_17:
	s_or_b32 exec_lo, exec_lo, s3
	v_cmp_gt_u32_e32 vcc_lo, s2, v13
	s_and_saveexec_b32 s2, vcc_lo
	s_cbranch_execz .LBB70_19
; %bb.18:
	global_load_u8 v13, v0, s[12:13] offset:640
	s_waitcnt vmcnt(0)
	v_cmp_ne_u16_e32 vcc_lo, 0, v13
	v_cndmask_b32_e64 v14, 0, 1, vcc_lo
.LBB70_19:
	s_or_b32 exec_lo, exec_lo, s2
	ds_store_b8 v0, v19
	ds_store_b8 v0, v18 offset:128
	ds_store_b8 v0, v20 offset:256
	;; [unrolled: 1-line block ×5, first 2 shown]
	s_waitcnt lgkmcnt(0)
	s_barrier
.LBB70_20:
	v_mad_i32_i24 v43, 0xffffffd6, v0, v15
	s_waitcnt lgkmcnt(0)
	buffer_gl0_inv
	v_mbcnt_lo_u32_b32 v42, -1, 0
	s_cmp_lg_u32 s15, 0
	s_mov_b32 s3, -1
	ds_load_u16 v36, v43
	ds_load_u16 v33, v43 offset:2
	ds_load_u16 v31, v43 offset:4
	v_mov_b32_e32 v14, 0
	v_and_b32_e32 v44, 15, v42
	s_waitcnt lgkmcnt(0)
	s_barrier
	buffer_gl0_inv
	v_and_b32_e32 v41, 0xff, v36
	v_lshrrev_b16 v34, 8, v36
	v_lshrrev_b16 v35, 8, v33
	v_and_b32_e32 v39, 0xff, v33
	v_lshrrev_b16 v32, 8, v31
	v_and_b32_e32 v37, 0xff, v31
	v_and_b32_e32 v40, 0xffff, v34
	;; [unrolled: 1-line block ×3, first 2 shown]
	s_delay_alu instid0(VALU_DEP_4) | instskip(NEXT) | instid1(VALU_DEP_3)
	v_and_b32_e32 v16, 0xffff, v32
	v_add_co_u32 v13, s2, v40, v41
	s_delay_alu instid0(VALU_DEP_1) | instskip(SKIP_1) | instid1(VALU_DEP_3)
	v_add_co_ci_u32_e64 v15, null, 0, 0, s2
	v_cmp_ne_u32_e64 s2, 0, v44
	v_add_co_u32 v13, vcc_lo, v13, v39
	s_delay_alu instid0(VALU_DEP_3) | instskip(NEXT) | instid1(VALU_DEP_2)
	v_add_co_ci_u32_e32 v15, vcc_lo, 0, v15, vcc_lo
	v_add_co_u32 v13, vcc_lo, v13, v38
	s_delay_alu instid0(VALU_DEP_2) | instskip(NEXT) | instid1(VALU_DEP_2)
	v_add_co_ci_u32_e32 v15, vcc_lo, 0, v15, vcc_lo
	v_add_co_u32 v13, vcc_lo, v13, v37
	s_delay_alu instid0(VALU_DEP_2) | instskip(NEXT) | instid1(VALU_DEP_2)
	v_add_co_ci_u32_e32 v15, vcc_lo, 0, v15, vcc_lo
	v_add_co_u32 v21, vcc_lo, v13, v16
	s_delay_alu instid0(VALU_DEP_2)
	v_add_co_ci_u32_e32 v22, vcc_lo, 0, v15, vcc_lo
	s_cbranch_scc0 .LBB70_89
; %bb.21:
	s_delay_alu instid0(VALU_DEP_2)
	v_mov_b32_e32 v15, v21
	v_mov_b32_dpp v13, v21 row_shr:1 row_mask:0xf bank_mask:0xf
	v_mov_b32_dpp v18, v14 row_shr:1 row_mask:0xf bank_mask:0xf
	v_dual_mov_b32 v17, v21 :: v_dual_mov_b32 v16, v22
	s_and_saveexec_b32 s3, s2
; %bb.22:
	s_delay_alu instid0(VALU_DEP_3) | instskip(SKIP_1) | instid1(VALU_DEP_2)
	v_add_co_u32 v17, vcc_lo, v21, v13
	v_add_co_ci_u32_e32 v14, vcc_lo, 0, v22, vcc_lo
	v_add_co_u32 v13, vcc_lo, 0, v17
	s_delay_alu instid0(VALU_DEP_2) | instskip(NEXT) | instid1(VALU_DEP_1)
	v_add_co_ci_u32_e32 v14, vcc_lo, v18, v14, vcc_lo
	v_dual_mov_b32 v16, v14 :: v_dual_mov_b32 v15, v13
; %bb.23:
	s_or_b32 exec_lo, exec_lo, s3
	v_mov_b32_dpp v13, v17 row_shr:2 row_mask:0xf bank_mask:0xf
	v_mov_b32_dpp v18, v14 row_shr:2 row_mask:0xf bank_mask:0xf
	s_mov_b32 s3, exec_lo
	v_cmpx_lt_u32_e32 1, v44
; %bb.24:
	s_delay_alu instid0(VALU_DEP_3) | instskip(SKIP_1) | instid1(VALU_DEP_2)
	v_add_co_u32 v17, vcc_lo, v15, v13
	v_add_co_ci_u32_e32 v14, vcc_lo, 0, v16, vcc_lo
	v_add_co_u32 v13, vcc_lo, 0, v17
	s_delay_alu instid0(VALU_DEP_2) | instskip(NEXT) | instid1(VALU_DEP_1)
	v_add_co_ci_u32_e32 v14, vcc_lo, v18, v14, vcc_lo
	v_dual_mov_b32 v16, v14 :: v_dual_mov_b32 v15, v13
; %bb.25:
	s_or_b32 exec_lo, exec_lo, s3
	v_mov_b32_dpp v13, v17 row_shr:4 row_mask:0xf bank_mask:0xf
	v_mov_b32_dpp v18, v14 row_shr:4 row_mask:0xf bank_mask:0xf
	s_mov_b32 s3, exec_lo
	v_cmpx_lt_u32_e32 3, v44
	;; [unrolled: 14-line block ×3, first 2 shown]
; %bb.28:
	s_delay_alu instid0(VALU_DEP_3) | instskip(SKIP_1) | instid1(VALU_DEP_2)
	v_add_co_u32 v17, vcc_lo, v15, v18
	v_add_co_ci_u32_e32 v14, vcc_lo, 0, v16, vcc_lo
	v_add_co_u32 v15, vcc_lo, 0, v17
	s_delay_alu instid0(VALU_DEP_2) | instskip(NEXT) | instid1(VALU_DEP_1)
	v_add_co_ci_u32_e32 v16, vcc_lo, v13, v14, vcc_lo
	v_mov_b32_e32 v14, v16
; %bb.29:
	s_or_b32 exec_lo, exec_lo, s3
	ds_swizzle_b32 v13, v17 offset:swizzle(BROADCAST,32,15)
	ds_swizzle_b32 v18, v14 offset:swizzle(BROADCAST,32,15)
	v_and_b32_e32 v19, 16, v42
	s_mov_b32 s3, exec_lo
	s_delay_alu instid0(VALU_DEP_1)
	v_cmpx_ne_u32_e32 0, v19
	s_cbranch_execz .LBB70_31
; %bb.30:
	s_waitcnt lgkmcnt(1)
	v_add_co_u32 v17, vcc_lo, v15, v13
	v_add_co_ci_u32_e32 v14, vcc_lo, 0, v16, vcc_lo
	s_delay_alu instid0(VALU_DEP_2) | instskip(SKIP_1) | instid1(VALU_DEP_2)
	v_add_co_u32 v13, vcc_lo, 0, v17
	s_waitcnt lgkmcnt(0)
	v_add_co_ci_u32_e32 v14, vcc_lo, v18, v14, vcc_lo
	s_delay_alu instid0(VALU_DEP_1)
	v_dual_mov_b32 v16, v14 :: v_dual_mov_b32 v15, v13
.LBB70_31:
	s_or_b32 exec_lo, exec_lo, s3
	s_waitcnt lgkmcnt(0)
	v_or_b32_e32 v18, 31, v0
	v_lshrrev_b32_e32 v13, 5, v0
	s_mov_b32 s3, exec_lo
	s_delay_alu instid0(VALU_DEP_2)
	v_cmpx_eq_u32_e64 v18, v0
	s_cbranch_execz .LBB70_33
; %bb.32:
	s_delay_alu instid0(VALU_DEP_2)
	v_lshlrev_b32_e32 v18, 3, v13
	ds_store_b64 v18, v[15:16]
.LBB70_33:
	s_or_b32 exec_lo, exec_lo, s3
	s_delay_alu instid0(SALU_CYCLE_1)
	s_mov_b32 s3, exec_lo
	s_waitcnt lgkmcnt(0)
	s_barrier
	buffer_gl0_inv
	v_cmpx_gt_u32_e32 4, v0
	s_cbranch_execz .LBB70_39
; %bb.34:
	v_lshlrev_b32_e32 v18, 3, v0
	s_mov_b32 s10, exec_lo
	ds_load_b64 v[15:16], v18
	s_waitcnt lgkmcnt(0)
	v_dual_mov_b32 v20, v15 :: v_dual_and_b32 v19, 3, v42
	v_mov_b32_dpp v24, v15 row_shr:1 row_mask:0xf bank_mask:0xf
	v_mov_b32_dpp v23, v16 row_shr:1 row_mask:0xf bank_mask:0xf
	s_delay_alu instid0(VALU_DEP_3)
	v_cmpx_ne_u32_e32 0, v19
; %bb.35:
	s_delay_alu instid0(VALU_DEP_3) | instskip(SKIP_1) | instid1(VALU_DEP_2)
	v_add_co_u32 v20, vcc_lo, v15, v24
	v_add_co_ci_u32_e32 v16, vcc_lo, 0, v16, vcc_lo
	v_add_co_u32 v15, vcc_lo, 0, v20
	s_delay_alu instid0(VALU_DEP_2)
	v_add_co_ci_u32_e32 v16, vcc_lo, v23, v16, vcc_lo
; %bb.36:
	s_or_b32 exec_lo, exec_lo, s10
	v_mov_b32_dpp v23, v20 row_shr:2 row_mask:0xf bank_mask:0xf
	s_delay_alu instid0(VALU_DEP_2)
	v_mov_b32_dpp v20, v16 row_shr:2 row_mask:0xf bank_mask:0xf
	s_mov_b32 s10, exec_lo
	v_cmpx_lt_u32_e32 1, v19
; %bb.37:
	s_delay_alu instid0(VALU_DEP_3) | instskip(SKIP_1) | instid1(VALU_DEP_2)
	v_add_co_u32 v15, vcc_lo, v15, v23
	v_add_co_ci_u32_e32 v16, vcc_lo, 0, v16, vcc_lo
	v_add_co_u32 v15, vcc_lo, v15, 0
	s_delay_alu instid0(VALU_DEP_2)
	v_add_co_ci_u32_e32 v16, vcc_lo, v16, v20, vcc_lo
; %bb.38:
	s_or_b32 exec_lo, exec_lo, s10
	ds_store_b64 v18, v[15:16]
.LBB70_39:
	s_or_b32 exec_lo, exec_lo, s3
	v_cmp_gt_u32_e32 vcc_lo, 32, v0
	s_mov_b32 s10, exec_lo
	s_waitcnt lgkmcnt(0)
	s_barrier
	buffer_gl0_inv
                                        ; implicit-def: $vgpr23_vgpr24
	v_cmpx_lt_u32_e32 31, v0
	s_cbranch_execz .LBB70_41
; %bb.40:
	v_lshl_add_u32 v13, v13, 3, -8
	ds_load_b64 v[23:24], v13
	s_waitcnt lgkmcnt(0)
	v_add_co_u32 v17, s3, v17, v23
	s_delay_alu instid0(VALU_DEP_1)
	v_add_co_ci_u32_e64 v14, s3, v14, v24, s3
.LBB70_41:
	s_or_b32 exec_lo, exec_lo, s10
	v_add_nc_u32_e32 v13, -1, v42
	s_delay_alu instid0(VALU_DEP_1) | instskip(NEXT) | instid1(VALU_DEP_1)
	v_cmp_gt_i32_e64 s3, 0, v13
	v_cndmask_b32_e64 v13, v13, v42, s3
	v_cmp_eq_u32_e64 s3, 0, v42
	s_delay_alu instid0(VALU_DEP_2)
	v_lshlrev_b32_e32 v13, 2, v13
	ds_bpermute_b32 v29, v13, v17
	ds_bpermute_b32 v30, v13, v14
	s_and_saveexec_b32 s10, vcc_lo
	s_cbranch_execz .LBB70_84
; %bb.42:
	v_mov_b32_e32 v16, 0
	ds_load_b64 v[13:14], v16 offset:24
	s_and_saveexec_b32 s11, s3
	s_cbranch_execz .LBB70_44
; %bb.43:
	s_add_i32 s12, s15, 32
	s_mov_b32 s13, 0
	s_delay_alu instid0(SALU_CYCLE_1) | instskip(NEXT) | instid1(SALU_CYCLE_1)
	s_lshl_b64 s[12:13], s[12:13], 4
	s_add_u32 s12, s8, s12
	s_addc_u32 s13, s9, s13
	s_delay_alu instid0(SALU_CYCLE_1)
	v_dual_mov_b32 v15, 1 :: v_dual_mov_b32 v18, s13
	v_mov_b32_e32 v17, s12
	s_waitcnt lgkmcnt(0)
	;;#ASMSTART
	global_store_dwordx4 v[17:18], v[13:16] off	
s_waitcnt vmcnt(0)
	;;#ASMEND
.LBB70_44:
	s_or_b32 exec_lo, exec_lo, s11
	v_xad_u32 v25, v42, -1, s15
	s_mov_b32 s12, 0
	s_mov_b32 s11, exec_lo
	s_delay_alu instid0(VALU_DEP_1) | instskip(NEXT) | instid1(VALU_DEP_1)
	v_add_nc_u32_e32 v15, 32, v25
	v_lshlrev_b64 v[15:16], 4, v[15:16]
	s_delay_alu instid0(VALU_DEP_1) | instskip(NEXT) | instid1(VALU_DEP_2)
	v_add_co_u32 v15, vcc_lo, s8, v15
	v_add_co_ci_u32_e32 v16, vcc_lo, s9, v16, vcc_lo
	;;#ASMSTART
	global_load_dwordx4 v[17:20], v[15:16] off glc	
s_waitcnt vmcnt(0)
	;;#ASMEND
	v_and_b32_e32 v20, 0xff, v18
	v_and_b32_e32 v26, 0xff00, v18
	v_or3_b32 v17, v17, 0, 0
	v_and_b32_e32 v27, 0xff000000, v18
	v_and_b32_e32 v18, 0xff0000, v18
	s_delay_alu instid0(VALU_DEP_4) | instskip(SKIP_2) | instid1(VALU_DEP_3)
	v_or3_b32 v20, 0, v20, v26
	v_and_b32_e32 v26, 0xff, v19
	v_or3_b32 v17, v17, 0, 0
	v_or3_b32 v18, v20, v18, v27
	s_delay_alu instid0(VALU_DEP_3)
	v_cmpx_eq_u16_e32 0, v26
	s_cbranch_execz .LBB70_50
; %bb.45:
	s_mov_b32 s13, 1
	.p2align	6
.LBB70_46:                              ; =>This Loop Header: Depth=1
                                        ;     Child Loop BB70_47 Depth 2
	s_delay_alu instid0(SALU_CYCLE_1)
	s_max_u32 s17, s13, 1
.LBB70_47:                              ;   Parent Loop BB70_46 Depth=1
                                        ; =>  This Inner Loop Header: Depth=2
	s_delay_alu instid0(SALU_CYCLE_1)
	s_add_i32 s17, s17, -1
	s_sleep 1
	s_cmp_eq_u32 s17, 0
	s_cbranch_scc0 .LBB70_47
; %bb.48:                               ;   in Loop: Header=BB70_46 Depth=1
	;;#ASMSTART
	global_load_dwordx4 v[17:20], v[15:16] off glc	
s_waitcnt vmcnt(0)
	;;#ASMEND
	v_and_b32_e32 v20, 0xff, v19
	s_cmp_lt_u32 s13, 32
	s_cselect_b32 s17, -1, 0
	s_delay_alu instid0(SALU_CYCLE_1) | instskip(NEXT) | instid1(VALU_DEP_1)
	s_cmp_lg_u32 s17, 0
	v_cmp_ne_u16_e32 vcc_lo, 0, v20
	s_addc_u32 s13, s13, 0
	s_or_b32 s12, vcc_lo, s12
	s_delay_alu instid0(SALU_CYCLE_1)
	s_and_not1_b32 exec_lo, exec_lo, s12
	s_cbranch_execnz .LBB70_46
; %bb.49:
	s_or_b32 exec_lo, exec_lo, s12
.LBB70_50:
	s_delay_alu instid0(SALU_CYCLE_1)
	s_or_b32 exec_lo, exec_lo, s11
	v_cmp_ne_u32_e32 vcc_lo, 31, v42
	v_and_b32_e32 v16, 0xff, v19
	v_lshlrev_b32_e64 v46, v42, -1
	s_mov_b32 s11, exec_lo
	v_add_co_ci_u32_e32 v15, vcc_lo, 0, v42, vcc_lo
	s_delay_alu instid0(VALU_DEP_3) | instskip(NEXT) | instid1(VALU_DEP_2)
	v_cmp_eq_u16_e32 vcc_lo, 2, v16
	v_dual_mov_b32 v16, v17 :: v_dual_lshlrev_b32 v45, 2, v15
	v_and_or_b32 v15, vcc_lo, v46, 0x80000000
	ds_bpermute_b32 v26, v45, v17
	ds_bpermute_b32 v20, v45, v18
	v_ctz_i32_b32_e32 v15, v15
	s_delay_alu instid0(VALU_DEP_1)
	v_cmpx_lt_u32_e64 v42, v15
	s_cbranch_execz .LBB70_52
; %bb.51:
	s_waitcnt lgkmcnt(1)
	v_add_co_u32 v16, vcc_lo, v17, v26
	v_add_co_ci_u32_e32 v18, vcc_lo, 0, v18, vcc_lo
	s_delay_alu instid0(VALU_DEP_2) | instskip(SKIP_1) | instid1(VALU_DEP_2)
	v_add_co_u32 v17, vcc_lo, 0, v16
	s_waitcnt lgkmcnt(0)
	v_add_co_ci_u32_e32 v18, vcc_lo, v20, v18, vcc_lo
.LBB70_52:
	s_or_b32 exec_lo, exec_lo, s11
	v_cmp_gt_u32_e32 vcc_lo, 30, v42
	v_add_nc_u32_e32 v48, 2, v42
	s_mov_b32 s11, exec_lo
	s_waitcnt lgkmcnt(0)
	v_cndmask_b32_e64 v20, 0, 1, vcc_lo
	s_delay_alu instid0(VALU_DEP_1) | instskip(NEXT) | instid1(VALU_DEP_1)
	v_lshlrev_b32_e32 v20, 1, v20
	v_add_lshl_u32 v47, v20, v42, 2
	ds_bpermute_b32 v26, v47, v16
	ds_bpermute_b32 v20, v47, v18
	v_cmpx_le_u32_e64 v48, v15
	s_cbranch_execz .LBB70_54
; %bb.53:
	s_waitcnt lgkmcnt(1)
	v_add_co_u32 v16, vcc_lo, v17, v26
	v_add_co_ci_u32_e32 v18, vcc_lo, 0, v18, vcc_lo
	s_delay_alu instid0(VALU_DEP_2) | instskip(SKIP_1) | instid1(VALU_DEP_2)
	v_add_co_u32 v17, vcc_lo, 0, v16
	s_waitcnt lgkmcnt(0)
	v_add_co_ci_u32_e32 v18, vcc_lo, v20, v18, vcc_lo
.LBB70_54:
	s_or_b32 exec_lo, exec_lo, s11
	v_cmp_gt_u32_e32 vcc_lo, 28, v42
	v_add_nc_u32_e32 v50, 4, v42
	s_mov_b32 s11, exec_lo
	s_waitcnt lgkmcnt(0)
	v_cndmask_b32_e64 v20, 0, 1, vcc_lo
	s_delay_alu instid0(VALU_DEP_1) | instskip(NEXT) | instid1(VALU_DEP_1)
	v_lshlrev_b32_e32 v20, 2, v20
	v_add_lshl_u32 v49, v20, v42, 2
	ds_bpermute_b32 v26, v49, v16
	ds_bpermute_b32 v20, v49, v18
	v_cmpx_le_u32_e64 v50, v15
	;; [unrolled: 22-line block ×4, first 2 shown]
	s_cbranch_execz .LBB70_60
; %bb.59:
	s_waitcnt lgkmcnt(1)
	v_add_co_u32 v15, vcc_lo, v17, v20
	v_add_co_ci_u32_e32 v18, vcc_lo, 0, v18, vcc_lo
	s_delay_alu instid0(VALU_DEP_2) | instskip(SKIP_1) | instid1(VALU_DEP_2)
	v_add_co_u32 v17, vcc_lo, v15, 0
	s_waitcnt lgkmcnt(0)
	v_add_co_ci_u32_e32 v18, vcc_lo, v18, v16, vcc_lo
.LBB70_60:
	s_or_b32 exec_lo, exec_lo, s11
	v_mov_b32_e32 v26, 0
	s_branch .LBB70_62
.LBB70_61:                              ;   in Loop: Header=BB70_62 Depth=1
	s_or_b32 exec_lo, exec_lo, s11
	v_add_co_u32 v17, vcc_lo, v17, v15
	v_subrev_nc_u32_e32 v25, 32, v25
	v_add_co_ci_u32_e32 v18, vcc_lo, v18, v16, vcc_lo
.LBB70_62:                              ; =>This Loop Header: Depth=1
                                        ;     Child Loop BB70_65 Depth 2
                                        ;       Child Loop BB70_66 Depth 3
	v_and_b32_e32 v15, 0xff, v19
	s_delay_alu instid0(VALU_DEP_1) | instskip(SKIP_2) | instid1(VALU_DEP_1)
	v_cmp_ne_u16_e32 vcc_lo, 2, v15
	v_cndmask_b32_e64 v15, 0, 1, vcc_lo
	;;#ASMSTART
	;;#ASMEND
	v_cmp_ne_u32_e32 vcc_lo, 0, v15
	s_waitcnt lgkmcnt(0)
	v_dual_mov_b32 v15, v17 :: v_dual_mov_b32 v16, v18
	s_cmp_lg_u32 vcc_lo, exec_lo
	s_cbranch_scc1 .LBB70_79
; %bb.63:                               ;   in Loop: Header=BB70_62 Depth=1
	v_lshlrev_b64 v[17:18], 4, v[25:26]
	s_mov_b32 s11, exec_lo
	s_delay_alu instid0(VALU_DEP_1) | instskip(NEXT) | instid1(VALU_DEP_2)
	v_add_co_u32 v27, vcc_lo, s8, v17
	v_add_co_ci_u32_e32 v28, vcc_lo, s9, v18, vcc_lo
	;;#ASMSTART
	global_load_dwordx4 v[17:20], v[27:28] off glc	
s_waitcnt vmcnt(0)
	;;#ASMEND
	v_and_b32_e32 v20, 0xff, v18
	v_and_b32_e32 v55, 0xff00, v18
	v_or3_b32 v17, v17, 0, 0
	v_and_b32_e32 v56, 0xff000000, v18
	v_and_b32_e32 v18, 0xff0000, v18
	s_delay_alu instid0(VALU_DEP_4) | instskip(SKIP_2) | instid1(VALU_DEP_3)
	v_or3_b32 v20, 0, v20, v55
	v_and_b32_e32 v55, 0xff, v19
	v_or3_b32 v17, v17, 0, 0
	v_or3_b32 v18, v20, v18, v56
	s_delay_alu instid0(VALU_DEP_3)
	v_cmpx_eq_u16_e32 0, v55
	s_cbranch_execz .LBB70_69
; %bb.64:                               ;   in Loop: Header=BB70_62 Depth=1
	s_mov_b32 s13, 1
	s_mov_b32 s12, 0
	.p2align	6
.LBB70_65:                              ;   Parent Loop BB70_62 Depth=1
                                        ; =>  This Loop Header: Depth=2
                                        ;       Child Loop BB70_66 Depth 3
	s_max_u32 s17, s13, 1
.LBB70_66:                              ;   Parent Loop BB70_62 Depth=1
                                        ;     Parent Loop BB70_65 Depth=2
                                        ; =>    This Inner Loop Header: Depth=3
	s_delay_alu instid0(SALU_CYCLE_1)
	s_add_i32 s17, s17, -1
	s_sleep 1
	s_cmp_eq_u32 s17, 0
	s_cbranch_scc0 .LBB70_66
; %bb.67:                               ;   in Loop: Header=BB70_65 Depth=2
	;;#ASMSTART
	global_load_dwordx4 v[17:20], v[27:28] off glc	
s_waitcnt vmcnt(0)
	;;#ASMEND
	v_and_b32_e32 v20, 0xff, v19
	s_cmp_lt_u32 s13, 32
	s_cselect_b32 s17, -1, 0
	s_delay_alu instid0(SALU_CYCLE_1) | instskip(NEXT) | instid1(VALU_DEP_1)
	s_cmp_lg_u32 s17, 0
	v_cmp_ne_u16_e32 vcc_lo, 0, v20
	s_addc_u32 s13, s13, 0
	s_or_b32 s12, vcc_lo, s12
	s_delay_alu instid0(SALU_CYCLE_1)
	s_and_not1_b32 exec_lo, exec_lo, s12
	s_cbranch_execnz .LBB70_65
; %bb.68:                               ;   in Loop: Header=BB70_62 Depth=1
	s_or_b32 exec_lo, exec_lo, s12
.LBB70_69:                              ;   in Loop: Header=BB70_62 Depth=1
	s_delay_alu instid0(SALU_CYCLE_1)
	s_or_b32 exec_lo, exec_lo, s11
	v_dual_mov_b32 v27, v17 :: v_dual_and_b32 v20, 0xff, v19
	ds_bpermute_b32 v55, v45, v17
	ds_bpermute_b32 v28, v45, v18
	s_mov_b32 s11, exec_lo
	v_cmp_eq_u16_e32 vcc_lo, 2, v20
	v_and_or_b32 v20, vcc_lo, v46, 0x80000000
	s_delay_alu instid0(VALU_DEP_1) | instskip(NEXT) | instid1(VALU_DEP_1)
	v_ctz_i32_b32_e32 v20, v20
	v_cmpx_lt_u32_e64 v42, v20
	s_cbranch_execz .LBB70_71
; %bb.70:                               ;   in Loop: Header=BB70_62 Depth=1
	s_waitcnt lgkmcnt(1)
	v_add_co_u32 v27, vcc_lo, v17, v55
	v_add_co_ci_u32_e32 v18, vcc_lo, 0, v18, vcc_lo
	s_delay_alu instid0(VALU_DEP_2) | instskip(SKIP_1) | instid1(VALU_DEP_2)
	v_add_co_u32 v17, vcc_lo, 0, v27
	s_waitcnt lgkmcnt(0)
	v_add_co_ci_u32_e32 v18, vcc_lo, v28, v18, vcc_lo
.LBB70_71:                              ;   in Loop: Header=BB70_62 Depth=1
	s_or_b32 exec_lo, exec_lo, s11
	s_waitcnt lgkmcnt(1)
	ds_bpermute_b32 v55, v47, v27
	s_waitcnt lgkmcnt(1)
	ds_bpermute_b32 v28, v47, v18
	s_mov_b32 s11, exec_lo
	v_cmpx_le_u32_e64 v48, v20
	s_cbranch_execz .LBB70_73
; %bb.72:                               ;   in Loop: Header=BB70_62 Depth=1
	s_waitcnt lgkmcnt(1)
	v_add_co_u32 v27, vcc_lo, v17, v55
	v_add_co_ci_u32_e32 v18, vcc_lo, 0, v18, vcc_lo
	s_delay_alu instid0(VALU_DEP_2) | instskip(SKIP_1) | instid1(VALU_DEP_2)
	v_add_co_u32 v17, vcc_lo, 0, v27
	s_waitcnt lgkmcnt(0)
	v_add_co_ci_u32_e32 v18, vcc_lo, v28, v18, vcc_lo
.LBB70_73:                              ;   in Loop: Header=BB70_62 Depth=1
	s_or_b32 exec_lo, exec_lo, s11
	s_waitcnt lgkmcnt(1)
	ds_bpermute_b32 v55, v49, v27
	s_waitcnt lgkmcnt(1)
	ds_bpermute_b32 v28, v49, v18
	s_mov_b32 s11, exec_lo
	v_cmpx_le_u32_e64 v50, v20
	;; [unrolled: 17-line block ×3, first 2 shown]
	s_cbranch_execz .LBB70_77
; %bb.76:                               ;   in Loop: Header=BB70_62 Depth=1
	s_waitcnt lgkmcnt(1)
	v_add_co_u32 v27, vcc_lo, v17, v55
	v_add_co_ci_u32_e32 v18, vcc_lo, 0, v18, vcc_lo
	s_delay_alu instid0(VALU_DEP_2) | instskip(SKIP_1) | instid1(VALU_DEP_2)
	v_add_co_u32 v17, vcc_lo, 0, v27
	s_waitcnt lgkmcnt(0)
	v_add_co_ci_u32_e32 v18, vcc_lo, v28, v18, vcc_lo
.LBB70_77:                              ;   in Loop: Header=BB70_62 Depth=1
	s_or_b32 exec_lo, exec_lo, s11
	s_waitcnt lgkmcnt(0)
	ds_bpermute_b32 v28, v53, v27
	ds_bpermute_b32 v27, v53, v18
	s_mov_b32 s11, exec_lo
	v_cmpx_le_u32_e64 v54, v20
	s_cbranch_execz .LBB70_61
; %bb.78:                               ;   in Loop: Header=BB70_62 Depth=1
	s_waitcnt lgkmcnt(1)
	v_add_co_u32 v17, vcc_lo, v17, v28
	v_add_co_ci_u32_e32 v18, vcc_lo, 0, v18, vcc_lo
	s_delay_alu instid0(VALU_DEP_2) | instskip(SKIP_1) | instid1(VALU_DEP_2)
	v_add_co_u32 v17, vcc_lo, v17, 0
	s_waitcnt lgkmcnt(0)
	v_add_co_ci_u32_e32 v18, vcc_lo, v18, v27, vcc_lo
	s_branch .LBB70_61
.LBB70_79:                              ;   in Loop: Header=BB70_62 Depth=1
                                        ; implicit-def: $vgpr17_vgpr18
	s_cbranch_execz .LBB70_62
; %bb.80:
	s_and_saveexec_b32 s11, s3
	s_cbranch_execz .LBB70_82
; %bb.81:
	s_add_i32 s12, s15, 32
	s_mov_b32 s13, 0
	v_add_co_u32 v17, vcc_lo, v15, v13
	s_lshl_b64 s[12:13], s[12:13], 4
	v_dual_mov_b32 v19, 2 :: v_dual_mov_b32 v20, 0
	s_add_u32 s12, s8, s12
	s_addc_u32 s13, s9, s13
	v_add_co_ci_u32_e32 v18, vcc_lo, v16, v14, vcc_lo
	v_dual_mov_b32 v26, s13 :: v_dual_mov_b32 v25, s12
	;;#ASMSTART
	global_store_dwordx4 v[25:26], v[17:20] off	
s_waitcnt vmcnt(0)
	;;#ASMEND
	ds_store_b128 v20, v[13:16] offset:6144
.LBB70_82:
	s_or_b32 exec_lo, exec_lo, s11
	v_cmp_eq_u32_e32 vcc_lo, 0, v0
	s_and_b32 exec_lo, exec_lo, vcc_lo
	s_cbranch_execz .LBB70_84
; %bb.83:
	v_mov_b32_e32 v13, 0
	ds_store_b64 v13, v[15:16] offset:24
.LBB70_84:
	s_or_b32 exec_lo, exec_lo, s10
	s_waitcnt lgkmcnt(1)
	v_cndmask_b32_e64 v16, v29, v23, s3
	v_cmp_ne_u32_e32 vcc_lo, 0, v0
	v_mov_b32_e32 v15, 0
	s_waitcnt lgkmcnt(0)
	s_barrier
	buffer_gl0_inv
	v_cndmask_b32_e32 v16, 0, v16, vcc_lo
	ds_load_b64 v[13:14], v15 offset:24
	v_cndmask_b32_e64 v17, v30, v24, s3
	s_waitcnt lgkmcnt(0)
	s_barrier
	buffer_gl0_inv
	v_cndmask_b32_e32 v17, 0, v17, vcc_lo
	v_add_co_u32 v29, vcc_lo, v13, v16
	s_delay_alu instid0(VALU_DEP_2) | instskip(SKIP_3) | instid1(VALU_DEP_2)
	v_add_co_ci_u32_e32 v30, vcc_lo, v14, v17, vcc_lo
	ds_load_b128 v[13:16], v15 offset:6144
	v_add_co_u32 v27, vcc_lo, v29, v41
	v_add_co_ci_u32_e32 v28, vcc_lo, 0, v30, vcc_lo
	v_add_co_u32 v25, vcc_lo, v27, v40
	s_delay_alu instid0(VALU_DEP_2) | instskip(NEXT) | instid1(VALU_DEP_2)
	v_add_co_ci_u32_e32 v26, vcc_lo, 0, v28, vcc_lo
	v_add_co_u32 v23, vcc_lo, v25, v39
	s_delay_alu instid0(VALU_DEP_2) | instskip(NEXT) | instid1(VALU_DEP_2)
	;; [unrolled: 3-line block ×3, first 2 shown]
	v_add_co_ci_u32_e32 v20, vcc_lo, 0, v24, vcc_lo
	v_add_co_u32 v17, vcc_lo, v19, v37
	s_delay_alu instid0(VALU_DEP_2)
	v_add_co_ci_u32_e32 v18, vcc_lo, 0, v20, vcc_lo
	s_load_b64 s[10:11], s[0:1], 0x30
.LBB70_85:
	s_waitcnt lgkmcnt(0)
	v_cmp_gt_u64_e32 vcc_lo, 0x81, v[13:14]
	s_mov_b32 s0, -1
	s_cbranch_vccnz .LBB70_113
.LBB70_86:
	s_and_b32 vcc_lo, exec_lo, s0
	s_cbranch_vccnz .LBB70_132
.LBB70_87:
	v_cmp_eq_u32_e32 vcc_lo, 0, v0
	s_and_b32 s0, vcc_lo, s14
	s_delay_alu instid0(SALU_CYCLE_1)
	s_and_saveexec_b32 s1, s0
	s_cbranch_execnz .LBB70_148
.LBB70_88:
	s_nop 0
	s_sendmsg sendmsg(MSG_DEALLOC_VGPRS)
	s_endpgm
.LBB70_89:
                                        ; kill: def $vgpr13_vgpr14 killed $sgpr0_sgpr1 killed $exec
                                        ; implicit-def: $vgpr17_vgpr18
                                        ; implicit-def: $vgpr19_vgpr20
                                        ; implicit-def: $vgpr23_vgpr24
                                        ; implicit-def: $vgpr25_vgpr26
                                        ; implicit-def: $vgpr27_vgpr28
                                        ; implicit-def: $vgpr29_vgpr30
                                        ; implicit-def: $vgpr15_vgpr16
	s_load_b64 s[10:11], s[0:1], 0x30
	s_and_b32 vcc_lo, exec_lo, s3
	s_cbranch_vccz .LBB70_85
; %bb.90:
	s_waitcnt lgkmcnt(0)
	v_dual_mov_b32 v14, 0 :: v_dual_mov_b32 v15, v21
	v_mov_b32_dpp v16, v21 row_shr:1 row_mask:0xf bank_mask:0xf
	s_delay_alu instid0(VALU_DEP_2)
	v_mov_b32_dpp v13, v14 row_shr:1 row_mask:0xf bank_mask:0xf
	s_and_saveexec_b32 s0, s2
; %bb.91:
	s_delay_alu instid0(VALU_DEP_2) | instskip(SKIP_1) | instid1(VALU_DEP_2)
	v_add_co_u32 v15, vcc_lo, v21, v16
	v_add_co_ci_u32_e32 v14, vcc_lo, 0, v22, vcc_lo
	v_add_co_u32 v21, vcc_lo, 0, v15
	s_delay_alu instid0(VALU_DEP_2) | instskip(NEXT) | instid1(VALU_DEP_1)
	v_add_co_ci_u32_e32 v22, vcc_lo, v13, v14, vcc_lo
	v_mov_b32_e32 v14, v22
; %bb.92:
	s_or_b32 exec_lo, exec_lo, s0
	v_mov_b32_dpp v13, v15 row_shr:2 row_mask:0xf bank_mask:0xf
	s_delay_alu instid0(VALU_DEP_2)
	v_mov_b32_dpp v16, v14 row_shr:2 row_mask:0xf bank_mask:0xf
	s_mov_b32 s0, exec_lo
	v_cmpx_lt_u32_e32 1, v44
; %bb.93:
	s_delay_alu instid0(VALU_DEP_3) | instskip(SKIP_1) | instid1(VALU_DEP_2)
	v_add_co_u32 v15, vcc_lo, v21, v13
	v_add_co_ci_u32_e32 v14, vcc_lo, 0, v22, vcc_lo
	v_add_co_u32 v13, vcc_lo, 0, v15
	s_delay_alu instid0(VALU_DEP_2) | instskip(NEXT) | instid1(VALU_DEP_1)
	v_add_co_ci_u32_e32 v14, vcc_lo, v16, v14, vcc_lo
	v_dual_mov_b32 v22, v14 :: v_dual_mov_b32 v21, v13
; %bb.94:
	s_or_b32 exec_lo, exec_lo, s0
	v_mov_b32_dpp v13, v15 row_shr:4 row_mask:0xf bank_mask:0xf
	v_mov_b32_dpp v16, v14 row_shr:4 row_mask:0xf bank_mask:0xf
	s_mov_b32 s0, exec_lo
	v_cmpx_lt_u32_e32 3, v44
; %bb.95:
	s_delay_alu instid0(VALU_DEP_3) | instskip(SKIP_1) | instid1(VALU_DEP_2)
	v_add_co_u32 v15, vcc_lo, v21, v13
	v_add_co_ci_u32_e32 v14, vcc_lo, 0, v22, vcc_lo
	v_add_co_u32 v13, vcc_lo, 0, v15
	s_delay_alu instid0(VALU_DEP_2) | instskip(NEXT) | instid1(VALU_DEP_1)
	v_add_co_ci_u32_e32 v14, vcc_lo, v16, v14, vcc_lo
	v_dual_mov_b32 v22, v14 :: v_dual_mov_b32 v21, v13
; %bb.96:
	s_or_b32 exec_lo, exec_lo, s0
	v_mov_b32_dpp v16, v15 row_shr:8 row_mask:0xf bank_mask:0xf
	v_mov_b32_dpp v13, v14 row_shr:8 row_mask:0xf bank_mask:0xf
	s_mov_b32 s0, exec_lo
	v_cmpx_lt_u32_e32 7, v44
; %bb.97:
	s_delay_alu instid0(VALU_DEP_3) | instskip(SKIP_1) | instid1(VALU_DEP_2)
	v_add_co_u32 v15, vcc_lo, v21, v16
	v_add_co_ci_u32_e32 v14, vcc_lo, 0, v22, vcc_lo
	v_add_co_u32 v21, vcc_lo, 0, v15
	s_delay_alu instid0(VALU_DEP_2) | instskip(NEXT) | instid1(VALU_DEP_1)
	v_add_co_ci_u32_e32 v22, vcc_lo, v13, v14, vcc_lo
	v_mov_b32_e32 v14, v22
; %bb.98:
	s_or_b32 exec_lo, exec_lo, s0
	ds_swizzle_b32 v15, v15 offset:swizzle(BROADCAST,32,15)
	ds_swizzle_b32 v13, v14 offset:swizzle(BROADCAST,32,15)
	v_and_b32_e32 v14, 16, v42
	s_mov_b32 s0, exec_lo
	s_delay_alu instid0(VALU_DEP_1)
	v_cmpx_ne_u32_e32 0, v14
	s_cbranch_execz .LBB70_100
; %bb.99:
	s_waitcnt lgkmcnt(1)
	v_add_co_u32 v14, vcc_lo, v21, v15
	v_add_co_ci_u32_e32 v15, vcc_lo, 0, v22, vcc_lo
	s_delay_alu instid0(VALU_DEP_2) | instskip(SKIP_1) | instid1(VALU_DEP_2)
	v_add_co_u32 v21, vcc_lo, v14, 0
	s_waitcnt lgkmcnt(0)
	v_add_co_ci_u32_e32 v22, vcc_lo, v15, v13, vcc_lo
.LBB70_100:
	s_or_b32 exec_lo, exec_lo, s0
	s_waitcnt lgkmcnt(0)
	v_or_b32_e32 v13, 31, v0
	v_lshrrev_b32_e32 v15, 5, v0
	s_mov_b32 s0, exec_lo
	s_delay_alu instid0(VALU_DEP_2)
	v_cmpx_eq_u32_e64 v13, v0
	s_cbranch_execz .LBB70_102
; %bb.101:
	s_delay_alu instid0(VALU_DEP_2)
	v_lshlrev_b32_e32 v13, 3, v15
	ds_store_b64 v13, v[21:22]
.LBB70_102:
	s_or_b32 exec_lo, exec_lo, s0
	s_delay_alu instid0(SALU_CYCLE_1)
	s_mov_b32 s0, exec_lo
	s_waitcnt lgkmcnt(0)
	s_barrier
	buffer_gl0_inv
	v_cmpx_gt_u32_e32 4, v0
	s_cbranch_execz .LBB70_108
; %bb.103:
	v_lshlrev_b32_e32 v13, 1, v0
	s_mov_b32 s1, exec_lo
	s_delay_alu instid0(VALU_DEP_1)
	v_add_nc_u32_e32 v16, v43, v13
	ds_load_b64 v[13:14], v16
	s_waitcnt lgkmcnt(0)
	v_dual_mov_b32 v18, v13 :: v_dual_and_b32 v17, 3, v42
	v_mov_b32_dpp v20, v13 row_shr:1 row_mask:0xf bank_mask:0xf
	v_mov_b32_dpp v19, v14 row_shr:1 row_mask:0xf bank_mask:0xf
	s_delay_alu instid0(VALU_DEP_3)
	v_cmpx_ne_u32_e32 0, v17
; %bb.104:
	s_delay_alu instid0(VALU_DEP_3) | instskip(SKIP_1) | instid1(VALU_DEP_2)
	v_add_co_u32 v18, vcc_lo, v13, v20
	v_add_co_ci_u32_e32 v14, vcc_lo, 0, v14, vcc_lo
	v_add_co_u32 v13, vcc_lo, 0, v18
	s_delay_alu instid0(VALU_DEP_2)
	v_add_co_ci_u32_e32 v14, vcc_lo, v19, v14, vcc_lo
; %bb.105:
	s_or_b32 exec_lo, exec_lo, s1
	v_mov_b32_dpp v19, v18 row_shr:2 row_mask:0xf bank_mask:0xf
	s_delay_alu instid0(VALU_DEP_2)
	v_mov_b32_dpp v18, v14 row_shr:2 row_mask:0xf bank_mask:0xf
	s_mov_b32 s1, exec_lo
	v_cmpx_lt_u32_e32 1, v17
; %bb.106:
	s_delay_alu instid0(VALU_DEP_3) | instskip(SKIP_1) | instid1(VALU_DEP_2)
	v_add_co_u32 v13, vcc_lo, v13, v19
	v_add_co_ci_u32_e32 v14, vcc_lo, 0, v14, vcc_lo
	v_add_co_u32 v13, vcc_lo, v13, 0
	s_delay_alu instid0(VALU_DEP_2)
	v_add_co_ci_u32_e32 v14, vcc_lo, v14, v18, vcc_lo
; %bb.107:
	s_or_b32 exec_lo, exec_lo, s1
	ds_store_b64 v16, v[13:14]
.LBB70_108:
	s_or_b32 exec_lo, exec_lo, s0
	v_mov_b32_e32 v17, 0
	v_mov_b32_e32 v18, 0
	s_mov_b32 s0, exec_lo
	s_waitcnt lgkmcnt(0)
	s_barrier
	buffer_gl0_inv
	v_cmpx_lt_u32_e32 31, v0
	s_cbranch_execz .LBB70_110
; %bb.109:
	v_lshl_add_u32 v13, v15, 3, -8
	ds_load_b64 v[17:18], v13
.LBB70_110:
	s_or_b32 exec_lo, exec_lo, s0
	v_dual_mov_b32 v16, 0 :: v_dual_add_nc_u32 v13, -1, v42
	s_delay_alu instid0(VALU_DEP_1) | instskip(SKIP_4) | instid1(VALU_DEP_3)
	v_cmp_gt_i32_e32 vcc_lo, 0, v13
	v_cndmask_b32_e32 v13, v13, v42, vcc_lo
	s_waitcnt lgkmcnt(0)
	v_add_co_u32 v14, vcc_lo, v17, v21
	v_add_co_ci_u32_e32 v15, vcc_lo, v18, v22, vcc_lo
	v_lshlrev_b32_e32 v13, 2, v13
	v_cmp_eq_u32_e32 vcc_lo, 0, v0
	ds_bpermute_b32 v19, v13, v14
	ds_bpermute_b32 v20, v13, v15
	ds_load_b64 v[13:14], v16 offset:24
	s_and_saveexec_b32 s0, vcc_lo
	s_cbranch_execz .LBB70_112
; %bb.111:
	s_add_u32 s2, s8, 0x200
	s_addc_u32 s3, s9, 0
	s_delay_alu instid0(SALU_CYCLE_1)
	v_dual_mov_b32 v15, 2 :: v_dual_mov_b32 v22, s3
	v_mov_b32_e32 v21, s2
	s_waitcnt lgkmcnt(0)
	;;#ASMSTART
	global_store_dwordx4 v[21:22], v[13:16] off	
s_waitcnt vmcnt(0)
	;;#ASMEND
.LBB70_112:
	s_or_b32 exec_lo, exec_lo, s0
	v_cmp_eq_u32_e64 s0, 0, v42
	s_waitcnt lgkmcnt(0)
	s_barrier
	buffer_gl0_inv
	v_cndmask_b32_e64 v15, v19, v17, s0
	v_cndmask_b32_e64 v16, v20, v18, s0
	s_delay_alu instid0(VALU_DEP_2) | instskip(NEXT) | instid1(VALU_DEP_2)
	v_cndmask_b32_e64 v29, v15, 0, vcc_lo
	v_cndmask_b32_e64 v30, v16, 0, vcc_lo
	v_mov_b32_e32 v15, 0
	v_mov_b32_e32 v16, 0
	s_delay_alu instid0(VALU_DEP_4) | instskip(NEXT) | instid1(VALU_DEP_4)
	v_add_co_u32 v27, vcc_lo, v29, v41
	v_add_co_ci_u32_e32 v28, vcc_lo, 0, v30, vcc_lo
	s_delay_alu instid0(VALU_DEP_2) | instskip(NEXT) | instid1(VALU_DEP_2)
	v_add_co_u32 v25, vcc_lo, v27, v40
	v_add_co_ci_u32_e32 v26, vcc_lo, 0, v28, vcc_lo
	s_delay_alu instid0(VALU_DEP_2) | instskip(NEXT) | instid1(VALU_DEP_2)
	;; [unrolled: 3-line block ×4, first 2 shown]
	v_add_co_u32 v17, vcc_lo, v19, v37
	v_add_co_ci_u32_e32 v18, vcc_lo, 0, v20, vcc_lo
	v_cmp_gt_u64_e32 vcc_lo, 0x81, v[13:14]
	s_mov_b32 s0, -1
	s_cbranch_vccz .LBB70_86
.LBB70_113:
	v_add_co_u32 v21, vcc_lo, v15, v13
	v_add_co_ci_u32_e32 v22, vcc_lo, v16, v14, vcc_lo
	s_delay_alu instid0(VALU_DEP_1) | instskip(SKIP_1) | instid1(SALU_CYCLE_1)
	v_cmp_lt_u64_e32 vcc_lo, v[29:30], v[21:22]
	s_or_b32 s1, s16, vcc_lo
	s_and_saveexec_b32 s0, s1
	s_cbranch_execz .LBB70_116
; %bb.114:
	v_and_b32_e32 v37, 1, v36
	s_delay_alu instid0(VALU_DEP_1)
	v_cmp_eq_u32_e32 vcc_lo, 1, v37
	s_and_b32 exec_lo, exec_lo, vcc_lo
	s_cbranch_execz .LBB70_116
; %bb.115:
	v_lshlrev_b64 v[37:38], 3, v[29:30]
	s_lshl_b64 s[2:3], s[6:7], 3
	s_delay_alu instid0(SALU_CYCLE_1) | instskip(SKIP_1) | instid1(VALU_DEP_1)
	s_add_u32 s1, s10, s2
	s_addc_u32 s2, s11, s3
	v_add_co_u32 v37, vcc_lo, s1, v37
	s_delay_alu instid0(VALU_DEP_2)
	v_add_co_ci_u32_e32 v38, vcc_lo, s2, v38, vcc_lo
	global_store_b64 v[37:38], v[9:10], off
.LBB70_116:
	s_or_b32 exec_lo, exec_lo, s0
	v_cmp_lt_u64_e32 vcc_lo, v[27:28], v[21:22]
	s_or_b32 s1, s16, vcc_lo
	s_delay_alu instid0(SALU_CYCLE_1)
	s_and_saveexec_b32 s0, s1
	s_cbranch_execz .LBB70_119
; %bb.117:
	v_and_b32_e32 v30, 1, v34
	s_delay_alu instid0(VALU_DEP_1)
	v_cmp_eq_u32_e32 vcc_lo, 1, v30
	s_and_b32 exec_lo, exec_lo, vcc_lo
	s_cbranch_execz .LBB70_119
; %bb.118:
	v_lshlrev_b64 v[37:38], 3, v[27:28]
	s_lshl_b64 s[2:3], s[6:7], 3
	s_delay_alu instid0(SALU_CYCLE_1) | instskip(SKIP_1) | instid1(VALU_DEP_1)
	s_add_u32 s1, s10, s2
	s_addc_u32 s2, s11, s3
	v_add_co_u32 v37, vcc_lo, s1, v37
	s_delay_alu instid0(VALU_DEP_2)
	v_add_co_ci_u32_e32 v38, vcc_lo, s2, v38, vcc_lo
	global_store_b64 v[37:38], v[11:12], off
.LBB70_119:
	s_or_b32 exec_lo, exec_lo, s0
	v_cmp_lt_u64_e32 vcc_lo, v[25:26], v[21:22]
	s_or_b32 s1, s16, vcc_lo
	s_delay_alu instid0(SALU_CYCLE_1)
	;; [unrolled: 23-line block ×5, first 2 shown]
	s_and_saveexec_b32 s0, s1
	s_cbranch_execz .LBB70_131
; %bb.129:
	v_and_b32_e32 v20, 1, v32
	s_delay_alu instid0(VALU_DEP_1)
	v_cmp_eq_u32_e32 vcc_lo, 1, v20
	s_and_b32 exec_lo, exec_lo, vcc_lo
	s_cbranch_execz .LBB70_131
; %bb.130:
	v_lshlrev_b64 v[20:21], 3, v[17:18]
	s_lshl_b64 s[2:3], s[6:7], 3
	s_delay_alu instid0(SALU_CYCLE_1) | instskip(SKIP_1) | instid1(VALU_DEP_1)
	s_add_u32 s1, s10, s2
	s_addc_u32 s2, s11, s3
	v_add_co_u32 v20, vcc_lo, s1, v20
	s_delay_alu instid0(VALU_DEP_2)
	v_add_co_ci_u32_e32 v21, vcc_lo, s2, v21, vcc_lo
	global_store_b64 v[20:21], v[3:4], off
.LBB70_131:
	s_or_b32 exec_lo, exec_lo, s0
	s_branch .LBB70_87
.LBB70_132:
	v_and_b32_e32 v18, 1, v36
	s_mov_b32 s0, exec_lo
	s_delay_alu instid0(VALU_DEP_1)
	v_cmpx_eq_u32_e32 1, v18
	s_cbranch_execz .LBB70_134
; %bb.133:
	v_sub_nc_u32_e32 v18, v29, v15
	s_delay_alu instid0(VALU_DEP_1)
	v_lshlrev_b32_e32 v18, 3, v18
	ds_store_b64 v18, v[9:10]
.LBB70_134:
	s_or_b32 exec_lo, exec_lo, s0
	v_and_b32_e32 v9, 1, v34
	s_mov_b32 s0, exec_lo
	s_delay_alu instid0(VALU_DEP_1)
	v_cmpx_eq_u32_e32 1, v9
	s_cbranch_execz .LBB70_136
; %bb.135:
	v_sub_nc_u32_e32 v9, v27, v15
	s_delay_alu instid0(VALU_DEP_1)
	v_lshlrev_b32_e32 v9, 3, v9
	ds_store_b64 v9, v[11:12]
.LBB70_136:
	s_or_b32 exec_lo, exec_lo, s0
	;; [unrolled: 12-line block ×6, first 2 shown]
	v_mov_b32_e32 v3, 0
	s_mov_b32 s1, exec_lo
	s_waitcnt lgkmcnt(0)
	s_waitcnt_vscnt null, 0x0
	s_barrier
	buffer_gl0_inv
	v_mov_b32_e32 v1, v3
	s_delay_alu instid0(VALU_DEP_1)
	v_cmpx_gt_u64_e64 v[13:14], v[0:1]
	s_cbranch_execz .LBB70_147
; %bb.145:
	v_lshlrev_b64 v[4:5], 3, v[15:16]
	s_lshl_b64 s[2:3], s[6:7], 3
	v_or_b32_e32 v2, 0x80, v0
	s_delay_alu instid0(VALU_DEP_2) | instskip(NEXT) | instid1(VALU_DEP_3)
	v_add_co_u32 v4, vcc_lo, s10, v4
	v_add_co_ci_u32_e32 v5, vcc_lo, s11, v5, vcc_lo
	s_delay_alu instid0(VALU_DEP_2) | instskip(NEXT) | instid1(VALU_DEP_2)
	v_add_co_u32 v6, vcc_lo, v4, s2
	v_add_co_ci_u32_e32 v7, vcc_lo, s3, v5, vcc_lo
	v_dual_mov_b32 v5, v1 :: v_dual_mov_b32 v4, v0
	s_mov_b32 s2, 0
	.p2align	6
.LBB70_146:                             ; =>This Inner Loop Header: Depth=1
	s_delay_alu instid0(VALU_DEP_1) | instskip(NEXT) | instid1(VALU_DEP_2)
	v_lshlrev_b32_e32 v1, 3, v4
	v_lshlrev_b64 v[10:11], 3, v[4:5]
	v_dual_mov_b32 v5, v3 :: v_dual_mov_b32 v4, v2
	v_cmp_le_u64_e32 vcc_lo, v[13:14], v[2:3]
	v_add_nc_u32_e32 v2, 0x80, v2
	ds_load_b64 v[8:9], v1
	v_add_co_u32 v10, s0, v6, v10
	s_delay_alu instid0(VALU_DEP_1)
	v_add_co_ci_u32_e64 v11, s0, v7, v11, s0
	s_or_b32 s2, vcc_lo, s2
	s_waitcnt lgkmcnt(0)
	global_store_b64 v[10:11], v[8:9], off
	s_and_not1_b32 exec_lo, exec_lo, s2
	s_cbranch_execnz .LBB70_146
.LBB70_147:
	s_or_b32 exec_lo, exec_lo, s1
	v_cmp_eq_u32_e32 vcc_lo, 0, v0
	s_and_b32 s0, vcc_lo, s14
	s_delay_alu instid0(SALU_CYCLE_1)
	s_and_saveexec_b32 s1, s0
	s_cbranch_execz .LBB70_88
.LBB70_148:
	v_add_co_u32 v0, vcc_lo, v15, v13
	v_add_co_ci_u32_e32 v1, vcc_lo, v16, v14, vcc_lo
	v_mov_b32_e32 v2, 0
	s_delay_alu instid0(VALU_DEP_3) | instskip(NEXT) | instid1(VALU_DEP_3)
	v_add_co_u32 v0, vcc_lo, v0, s6
	v_add_co_ci_u32_e32 v1, vcc_lo, s7, v1, vcc_lo
	global_store_b64 v2, v[0:1], s[4:5]
	s_nop 0
	s_sendmsg sendmsg(MSG_DEALLOC_VGPRS)
	s_endpgm
	.section	.rodata,"a",@progbits
	.p2align	6, 0x0
	.amdhsa_kernel _ZN7rocprim17ROCPRIM_400000_NS6detail17trampoline_kernelINS0_14default_configENS1_25partition_config_selectorILNS1_17partition_subalgoE5ElNS0_10empty_typeEbEEZZNS1_14partition_implILS5_5ELb0ES3_mN6hipcub16HIPCUB_304000_NS21CountingInputIteratorIllEEPS6_NSA_22TransformInputIteratorIbN2at6native12_GLOBAL__N_19NonZeroOpIhEEPKhlEENS0_5tupleIJPlS6_EEENSN_IJSD_SD_EEES6_PiJS6_EEE10hipError_tPvRmT3_T4_T5_T6_T7_T9_mT8_P12ihipStream_tbDpT10_ENKUlT_T0_E_clISt17integral_constantIbLb1EES1A_IbLb0EEEEDaS16_S17_EUlS16_E_NS1_11comp_targetILNS1_3genE9ELNS1_11target_archE1100ELNS1_3gpuE3ELNS1_3repE0EEENS1_30default_config_static_selectorELNS0_4arch9wavefront6targetE0EEEvT1_
		.amdhsa_group_segment_fixed_size 6160
		.amdhsa_private_segment_fixed_size 0
		.amdhsa_kernarg_size 120
		.amdhsa_user_sgpr_count 15
		.amdhsa_user_sgpr_dispatch_ptr 0
		.amdhsa_user_sgpr_queue_ptr 0
		.amdhsa_user_sgpr_kernarg_segment_ptr 1
		.amdhsa_user_sgpr_dispatch_id 0
		.amdhsa_user_sgpr_private_segment_size 0
		.amdhsa_wavefront_size32 1
		.amdhsa_uses_dynamic_stack 0
		.amdhsa_enable_private_segment 0
		.amdhsa_system_sgpr_workgroup_id_x 1
		.amdhsa_system_sgpr_workgroup_id_y 0
		.amdhsa_system_sgpr_workgroup_id_z 0
		.amdhsa_system_sgpr_workgroup_info 0
		.amdhsa_system_vgpr_workitem_id 0
		.amdhsa_next_free_vgpr 57
		.amdhsa_next_free_sgpr 20
		.amdhsa_reserve_vcc 1
		.amdhsa_float_round_mode_32 0
		.amdhsa_float_round_mode_16_64 0
		.amdhsa_float_denorm_mode_32 3
		.amdhsa_float_denorm_mode_16_64 3
		.amdhsa_dx10_clamp 1
		.amdhsa_ieee_mode 1
		.amdhsa_fp16_overflow 0
		.amdhsa_workgroup_processor_mode 1
		.amdhsa_memory_ordered 1
		.amdhsa_forward_progress 0
		.amdhsa_shared_vgpr_count 0
		.amdhsa_exception_fp_ieee_invalid_op 0
		.amdhsa_exception_fp_denorm_src 0
		.amdhsa_exception_fp_ieee_div_zero 0
		.amdhsa_exception_fp_ieee_overflow 0
		.amdhsa_exception_fp_ieee_underflow 0
		.amdhsa_exception_fp_ieee_inexact 0
		.amdhsa_exception_int_div_zero 0
	.end_amdhsa_kernel
	.section	.text._ZN7rocprim17ROCPRIM_400000_NS6detail17trampoline_kernelINS0_14default_configENS1_25partition_config_selectorILNS1_17partition_subalgoE5ElNS0_10empty_typeEbEEZZNS1_14partition_implILS5_5ELb0ES3_mN6hipcub16HIPCUB_304000_NS21CountingInputIteratorIllEEPS6_NSA_22TransformInputIteratorIbN2at6native12_GLOBAL__N_19NonZeroOpIhEEPKhlEENS0_5tupleIJPlS6_EEENSN_IJSD_SD_EEES6_PiJS6_EEE10hipError_tPvRmT3_T4_T5_T6_T7_T9_mT8_P12ihipStream_tbDpT10_ENKUlT_T0_E_clISt17integral_constantIbLb1EES1A_IbLb0EEEEDaS16_S17_EUlS16_E_NS1_11comp_targetILNS1_3genE9ELNS1_11target_archE1100ELNS1_3gpuE3ELNS1_3repE0EEENS1_30default_config_static_selectorELNS0_4arch9wavefront6targetE0EEEvT1_,"axG",@progbits,_ZN7rocprim17ROCPRIM_400000_NS6detail17trampoline_kernelINS0_14default_configENS1_25partition_config_selectorILNS1_17partition_subalgoE5ElNS0_10empty_typeEbEEZZNS1_14partition_implILS5_5ELb0ES3_mN6hipcub16HIPCUB_304000_NS21CountingInputIteratorIllEEPS6_NSA_22TransformInputIteratorIbN2at6native12_GLOBAL__N_19NonZeroOpIhEEPKhlEENS0_5tupleIJPlS6_EEENSN_IJSD_SD_EEES6_PiJS6_EEE10hipError_tPvRmT3_T4_T5_T6_T7_T9_mT8_P12ihipStream_tbDpT10_ENKUlT_T0_E_clISt17integral_constantIbLb1EES1A_IbLb0EEEEDaS16_S17_EUlS16_E_NS1_11comp_targetILNS1_3genE9ELNS1_11target_archE1100ELNS1_3gpuE3ELNS1_3repE0EEENS1_30default_config_static_selectorELNS0_4arch9wavefront6targetE0EEEvT1_,comdat
.Lfunc_end70:
	.size	_ZN7rocprim17ROCPRIM_400000_NS6detail17trampoline_kernelINS0_14default_configENS1_25partition_config_selectorILNS1_17partition_subalgoE5ElNS0_10empty_typeEbEEZZNS1_14partition_implILS5_5ELb0ES3_mN6hipcub16HIPCUB_304000_NS21CountingInputIteratorIllEEPS6_NSA_22TransformInputIteratorIbN2at6native12_GLOBAL__N_19NonZeroOpIhEEPKhlEENS0_5tupleIJPlS6_EEENSN_IJSD_SD_EEES6_PiJS6_EEE10hipError_tPvRmT3_T4_T5_T6_T7_T9_mT8_P12ihipStream_tbDpT10_ENKUlT_T0_E_clISt17integral_constantIbLb1EES1A_IbLb0EEEEDaS16_S17_EUlS16_E_NS1_11comp_targetILNS1_3genE9ELNS1_11target_archE1100ELNS1_3gpuE3ELNS1_3repE0EEENS1_30default_config_static_selectorELNS0_4arch9wavefront6targetE0EEEvT1_, .Lfunc_end70-_ZN7rocprim17ROCPRIM_400000_NS6detail17trampoline_kernelINS0_14default_configENS1_25partition_config_selectorILNS1_17partition_subalgoE5ElNS0_10empty_typeEbEEZZNS1_14partition_implILS5_5ELb0ES3_mN6hipcub16HIPCUB_304000_NS21CountingInputIteratorIllEEPS6_NSA_22TransformInputIteratorIbN2at6native12_GLOBAL__N_19NonZeroOpIhEEPKhlEENS0_5tupleIJPlS6_EEENSN_IJSD_SD_EEES6_PiJS6_EEE10hipError_tPvRmT3_T4_T5_T6_T7_T9_mT8_P12ihipStream_tbDpT10_ENKUlT_T0_E_clISt17integral_constantIbLb1EES1A_IbLb0EEEEDaS16_S17_EUlS16_E_NS1_11comp_targetILNS1_3genE9ELNS1_11target_archE1100ELNS1_3gpuE3ELNS1_3repE0EEENS1_30default_config_static_selectorELNS0_4arch9wavefront6targetE0EEEvT1_
                                        ; -- End function
	.section	.AMDGPU.csdata,"",@progbits
; Kernel info:
; codeLenInByte = 6432
; NumSgprs: 22
; NumVgprs: 57
; ScratchSize: 0
; MemoryBound: 0
; FloatMode: 240
; IeeeMode: 1
; LDSByteSize: 6160 bytes/workgroup (compile time only)
; SGPRBlocks: 2
; VGPRBlocks: 7
; NumSGPRsForWavesPerEU: 22
; NumVGPRsForWavesPerEU: 57
; Occupancy: 16
; WaveLimiterHint : 1
; COMPUTE_PGM_RSRC2:SCRATCH_EN: 0
; COMPUTE_PGM_RSRC2:USER_SGPR: 15
; COMPUTE_PGM_RSRC2:TRAP_HANDLER: 0
; COMPUTE_PGM_RSRC2:TGID_X_EN: 1
; COMPUTE_PGM_RSRC2:TGID_Y_EN: 0
; COMPUTE_PGM_RSRC2:TGID_Z_EN: 0
; COMPUTE_PGM_RSRC2:TIDIG_COMP_CNT: 0
	.section	.text._ZN7rocprim17ROCPRIM_400000_NS6detail17trampoline_kernelINS0_14default_configENS1_25partition_config_selectorILNS1_17partition_subalgoE5ElNS0_10empty_typeEbEEZZNS1_14partition_implILS5_5ELb0ES3_mN6hipcub16HIPCUB_304000_NS21CountingInputIteratorIllEEPS6_NSA_22TransformInputIteratorIbN2at6native12_GLOBAL__N_19NonZeroOpIhEEPKhlEENS0_5tupleIJPlS6_EEENSN_IJSD_SD_EEES6_PiJS6_EEE10hipError_tPvRmT3_T4_T5_T6_T7_T9_mT8_P12ihipStream_tbDpT10_ENKUlT_T0_E_clISt17integral_constantIbLb1EES1A_IbLb0EEEEDaS16_S17_EUlS16_E_NS1_11comp_targetILNS1_3genE8ELNS1_11target_archE1030ELNS1_3gpuE2ELNS1_3repE0EEENS1_30default_config_static_selectorELNS0_4arch9wavefront6targetE0EEEvT1_,"axG",@progbits,_ZN7rocprim17ROCPRIM_400000_NS6detail17trampoline_kernelINS0_14default_configENS1_25partition_config_selectorILNS1_17partition_subalgoE5ElNS0_10empty_typeEbEEZZNS1_14partition_implILS5_5ELb0ES3_mN6hipcub16HIPCUB_304000_NS21CountingInputIteratorIllEEPS6_NSA_22TransformInputIteratorIbN2at6native12_GLOBAL__N_19NonZeroOpIhEEPKhlEENS0_5tupleIJPlS6_EEENSN_IJSD_SD_EEES6_PiJS6_EEE10hipError_tPvRmT3_T4_T5_T6_T7_T9_mT8_P12ihipStream_tbDpT10_ENKUlT_T0_E_clISt17integral_constantIbLb1EES1A_IbLb0EEEEDaS16_S17_EUlS16_E_NS1_11comp_targetILNS1_3genE8ELNS1_11target_archE1030ELNS1_3gpuE2ELNS1_3repE0EEENS1_30default_config_static_selectorELNS0_4arch9wavefront6targetE0EEEvT1_,comdat
	.globl	_ZN7rocprim17ROCPRIM_400000_NS6detail17trampoline_kernelINS0_14default_configENS1_25partition_config_selectorILNS1_17partition_subalgoE5ElNS0_10empty_typeEbEEZZNS1_14partition_implILS5_5ELb0ES3_mN6hipcub16HIPCUB_304000_NS21CountingInputIteratorIllEEPS6_NSA_22TransformInputIteratorIbN2at6native12_GLOBAL__N_19NonZeroOpIhEEPKhlEENS0_5tupleIJPlS6_EEENSN_IJSD_SD_EEES6_PiJS6_EEE10hipError_tPvRmT3_T4_T5_T6_T7_T9_mT8_P12ihipStream_tbDpT10_ENKUlT_T0_E_clISt17integral_constantIbLb1EES1A_IbLb0EEEEDaS16_S17_EUlS16_E_NS1_11comp_targetILNS1_3genE8ELNS1_11target_archE1030ELNS1_3gpuE2ELNS1_3repE0EEENS1_30default_config_static_selectorELNS0_4arch9wavefront6targetE0EEEvT1_ ; -- Begin function _ZN7rocprim17ROCPRIM_400000_NS6detail17trampoline_kernelINS0_14default_configENS1_25partition_config_selectorILNS1_17partition_subalgoE5ElNS0_10empty_typeEbEEZZNS1_14partition_implILS5_5ELb0ES3_mN6hipcub16HIPCUB_304000_NS21CountingInputIteratorIllEEPS6_NSA_22TransformInputIteratorIbN2at6native12_GLOBAL__N_19NonZeroOpIhEEPKhlEENS0_5tupleIJPlS6_EEENSN_IJSD_SD_EEES6_PiJS6_EEE10hipError_tPvRmT3_T4_T5_T6_T7_T9_mT8_P12ihipStream_tbDpT10_ENKUlT_T0_E_clISt17integral_constantIbLb1EES1A_IbLb0EEEEDaS16_S17_EUlS16_E_NS1_11comp_targetILNS1_3genE8ELNS1_11target_archE1030ELNS1_3gpuE2ELNS1_3repE0EEENS1_30default_config_static_selectorELNS0_4arch9wavefront6targetE0EEEvT1_
	.p2align	8
	.type	_ZN7rocprim17ROCPRIM_400000_NS6detail17trampoline_kernelINS0_14default_configENS1_25partition_config_selectorILNS1_17partition_subalgoE5ElNS0_10empty_typeEbEEZZNS1_14partition_implILS5_5ELb0ES3_mN6hipcub16HIPCUB_304000_NS21CountingInputIteratorIllEEPS6_NSA_22TransformInputIteratorIbN2at6native12_GLOBAL__N_19NonZeroOpIhEEPKhlEENS0_5tupleIJPlS6_EEENSN_IJSD_SD_EEES6_PiJS6_EEE10hipError_tPvRmT3_T4_T5_T6_T7_T9_mT8_P12ihipStream_tbDpT10_ENKUlT_T0_E_clISt17integral_constantIbLb1EES1A_IbLb0EEEEDaS16_S17_EUlS16_E_NS1_11comp_targetILNS1_3genE8ELNS1_11target_archE1030ELNS1_3gpuE2ELNS1_3repE0EEENS1_30default_config_static_selectorELNS0_4arch9wavefront6targetE0EEEvT1_,@function
_ZN7rocprim17ROCPRIM_400000_NS6detail17trampoline_kernelINS0_14default_configENS1_25partition_config_selectorILNS1_17partition_subalgoE5ElNS0_10empty_typeEbEEZZNS1_14partition_implILS5_5ELb0ES3_mN6hipcub16HIPCUB_304000_NS21CountingInputIteratorIllEEPS6_NSA_22TransformInputIteratorIbN2at6native12_GLOBAL__N_19NonZeroOpIhEEPKhlEENS0_5tupleIJPlS6_EEENSN_IJSD_SD_EEES6_PiJS6_EEE10hipError_tPvRmT3_T4_T5_T6_T7_T9_mT8_P12ihipStream_tbDpT10_ENKUlT_T0_E_clISt17integral_constantIbLb1EES1A_IbLb0EEEEDaS16_S17_EUlS16_E_NS1_11comp_targetILNS1_3genE8ELNS1_11target_archE1030ELNS1_3gpuE2ELNS1_3repE0EEENS1_30default_config_static_selectorELNS0_4arch9wavefront6targetE0EEEvT1_: ; @_ZN7rocprim17ROCPRIM_400000_NS6detail17trampoline_kernelINS0_14default_configENS1_25partition_config_selectorILNS1_17partition_subalgoE5ElNS0_10empty_typeEbEEZZNS1_14partition_implILS5_5ELb0ES3_mN6hipcub16HIPCUB_304000_NS21CountingInputIteratorIllEEPS6_NSA_22TransformInputIteratorIbN2at6native12_GLOBAL__N_19NonZeroOpIhEEPKhlEENS0_5tupleIJPlS6_EEENSN_IJSD_SD_EEES6_PiJS6_EEE10hipError_tPvRmT3_T4_T5_T6_T7_T9_mT8_P12ihipStream_tbDpT10_ENKUlT_T0_E_clISt17integral_constantIbLb1EES1A_IbLb0EEEEDaS16_S17_EUlS16_E_NS1_11comp_targetILNS1_3genE8ELNS1_11target_archE1030ELNS1_3gpuE2ELNS1_3repE0EEENS1_30default_config_static_selectorELNS0_4arch9wavefront6targetE0EEEvT1_
; %bb.0:
	.section	.rodata,"a",@progbits
	.p2align	6, 0x0
	.amdhsa_kernel _ZN7rocprim17ROCPRIM_400000_NS6detail17trampoline_kernelINS0_14default_configENS1_25partition_config_selectorILNS1_17partition_subalgoE5ElNS0_10empty_typeEbEEZZNS1_14partition_implILS5_5ELb0ES3_mN6hipcub16HIPCUB_304000_NS21CountingInputIteratorIllEEPS6_NSA_22TransformInputIteratorIbN2at6native12_GLOBAL__N_19NonZeroOpIhEEPKhlEENS0_5tupleIJPlS6_EEENSN_IJSD_SD_EEES6_PiJS6_EEE10hipError_tPvRmT3_T4_T5_T6_T7_T9_mT8_P12ihipStream_tbDpT10_ENKUlT_T0_E_clISt17integral_constantIbLb1EES1A_IbLb0EEEEDaS16_S17_EUlS16_E_NS1_11comp_targetILNS1_3genE8ELNS1_11target_archE1030ELNS1_3gpuE2ELNS1_3repE0EEENS1_30default_config_static_selectorELNS0_4arch9wavefront6targetE0EEEvT1_
		.amdhsa_group_segment_fixed_size 0
		.amdhsa_private_segment_fixed_size 0
		.amdhsa_kernarg_size 120
		.amdhsa_user_sgpr_count 15
		.amdhsa_user_sgpr_dispatch_ptr 0
		.amdhsa_user_sgpr_queue_ptr 0
		.amdhsa_user_sgpr_kernarg_segment_ptr 1
		.amdhsa_user_sgpr_dispatch_id 0
		.amdhsa_user_sgpr_private_segment_size 0
		.amdhsa_wavefront_size32 1
		.amdhsa_uses_dynamic_stack 0
		.amdhsa_enable_private_segment 0
		.amdhsa_system_sgpr_workgroup_id_x 1
		.amdhsa_system_sgpr_workgroup_id_y 0
		.amdhsa_system_sgpr_workgroup_id_z 0
		.amdhsa_system_sgpr_workgroup_info 0
		.amdhsa_system_vgpr_workitem_id 0
		.amdhsa_next_free_vgpr 1
		.amdhsa_next_free_sgpr 1
		.amdhsa_reserve_vcc 0
		.amdhsa_float_round_mode_32 0
		.amdhsa_float_round_mode_16_64 0
		.amdhsa_float_denorm_mode_32 3
		.amdhsa_float_denorm_mode_16_64 3
		.amdhsa_dx10_clamp 1
		.amdhsa_ieee_mode 1
		.amdhsa_fp16_overflow 0
		.amdhsa_workgroup_processor_mode 1
		.amdhsa_memory_ordered 1
		.amdhsa_forward_progress 0
		.amdhsa_shared_vgpr_count 0
		.amdhsa_exception_fp_ieee_invalid_op 0
		.amdhsa_exception_fp_denorm_src 0
		.amdhsa_exception_fp_ieee_div_zero 0
		.amdhsa_exception_fp_ieee_overflow 0
		.amdhsa_exception_fp_ieee_underflow 0
		.amdhsa_exception_fp_ieee_inexact 0
		.amdhsa_exception_int_div_zero 0
	.end_amdhsa_kernel
	.section	.text._ZN7rocprim17ROCPRIM_400000_NS6detail17trampoline_kernelINS0_14default_configENS1_25partition_config_selectorILNS1_17partition_subalgoE5ElNS0_10empty_typeEbEEZZNS1_14partition_implILS5_5ELb0ES3_mN6hipcub16HIPCUB_304000_NS21CountingInputIteratorIllEEPS6_NSA_22TransformInputIteratorIbN2at6native12_GLOBAL__N_19NonZeroOpIhEEPKhlEENS0_5tupleIJPlS6_EEENSN_IJSD_SD_EEES6_PiJS6_EEE10hipError_tPvRmT3_T4_T5_T6_T7_T9_mT8_P12ihipStream_tbDpT10_ENKUlT_T0_E_clISt17integral_constantIbLb1EES1A_IbLb0EEEEDaS16_S17_EUlS16_E_NS1_11comp_targetILNS1_3genE8ELNS1_11target_archE1030ELNS1_3gpuE2ELNS1_3repE0EEENS1_30default_config_static_selectorELNS0_4arch9wavefront6targetE0EEEvT1_,"axG",@progbits,_ZN7rocprim17ROCPRIM_400000_NS6detail17trampoline_kernelINS0_14default_configENS1_25partition_config_selectorILNS1_17partition_subalgoE5ElNS0_10empty_typeEbEEZZNS1_14partition_implILS5_5ELb0ES3_mN6hipcub16HIPCUB_304000_NS21CountingInputIteratorIllEEPS6_NSA_22TransformInputIteratorIbN2at6native12_GLOBAL__N_19NonZeroOpIhEEPKhlEENS0_5tupleIJPlS6_EEENSN_IJSD_SD_EEES6_PiJS6_EEE10hipError_tPvRmT3_T4_T5_T6_T7_T9_mT8_P12ihipStream_tbDpT10_ENKUlT_T0_E_clISt17integral_constantIbLb1EES1A_IbLb0EEEEDaS16_S17_EUlS16_E_NS1_11comp_targetILNS1_3genE8ELNS1_11target_archE1030ELNS1_3gpuE2ELNS1_3repE0EEENS1_30default_config_static_selectorELNS0_4arch9wavefront6targetE0EEEvT1_,comdat
.Lfunc_end71:
	.size	_ZN7rocprim17ROCPRIM_400000_NS6detail17trampoline_kernelINS0_14default_configENS1_25partition_config_selectorILNS1_17partition_subalgoE5ElNS0_10empty_typeEbEEZZNS1_14partition_implILS5_5ELb0ES3_mN6hipcub16HIPCUB_304000_NS21CountingInputIteratorIllEEPS6_NSA_22TransformInputIteratorIbN2at6native12_GLOBAL__N_19NonZeroOpIhEEPKhlEENS0_5tupleIJPlS6_EEENSN_IJSD_SD_EEES6_PiJS6_EEE10hipError_tPvRmT3_T4_T5_T6_T7_T9_mT8_P12ihipStream_tbDpT10_ENKUlT_T0_E_clISt17integral_constantIbLb1EES1A_IbLb0EEEEDaS16_S17_EUlS16_E_NS1_11comp_targetILNS1_3genE8ELNS1_11target_archE1030ELNS1_3gpuE2ELNS1_3repE0EEENS1_30default_config_static_selectorELNS0_4arch9wavefront6targetE0EEEvT1_, .Lfunc_end71-_ZN7rocprim17ROCPRIM_400000_NS6detail17trampoline_kernelINS0_14default_configENS1_25partition_config_selectorILNS1_17partition_subalgoE5ElNS0_10empty_typeEbEEZZNS1_14partition_implILS5_5ELb0ES3_mN6hipcub16HIPCUB_304000_NS21CountingInputIteratorIllEEPS6_NSA_22TransformInputIteratorIbN2at6native12_GLOBAL__N_19NonZeroOpIhEEPKhlEENS0_5tupleIJPlS6_EEENSN_IJSD_SD_EEES6_PiJS6_EEE10hipError_tPvRmT3_T4_T5_T6_T7_T9_mT8_P12ihipStream_tbDpT10_ENKUlT_T0_E_clISt17integral_constantIbLb1EES1A_IbLb0EEEEDaS16_S17_EUlS16_E_NS1_11comp_targetILNS1_3genE8ELNS1_11target_archE1030ELNS1_3gpuE2ELNS1_3repE0EEENS1_30default_config_static_selectorELNS0_4arch9wavefront6targetE0EEEvT1_
                                        ; -- End function
	.section	.AMDGPU.csdata,"",@progbits
; Kernel info:
; codeLenInByte = 0
; NumSgprs: 0
; NumVgprs: 0
; ScratchSize: 0
; MemoryBound: 0
; FloatMode: 240
; IeeeMode: 1
; LDSByteSize: 0 bytes/workgroup (compile time only)
; SGPRBlocks: 0
; VGPRBlocks: 0
; NumSGPRsForWavesPerEU: 1
; NumVGPRsForWavesPerEU: 1
; Occupancy: 16
; WaveLimiterHint : 0
; COMPUTE_PGM_RSRC2:SCRATCH_EN: 0
; COMPUTE_PGM_RSRC2:USER_SGPR: 15
; COMPUTE_PGM_RSRC2:TRAP_HANDLER: 0
; COMPUTE_PGM_RSRC2:TGID_X_EN: 1
; COMPUTE_PGM_RSRC2:TGID_Y_EN: 0
; COMPUTE_PGM_RSRC2:TGID_Z_EN: 0
; COMPUTE_PGM_RSRC2:TIDIG_COMP_CNT: 0
	.section	.text._ZN7rocprim17ROCPRIM_400000_NS6detail31init_lookback_scan_state_kernelINS1_19lookback_scan_stateImLb0ELb1EEENS1_16block_id_wrapperIjLb1EEEEEvT_jT0_jPNS7_10value_typeE,"axG",@progbits,_ZN7rocprim17ROCPRIM_400000_NS6detail31init_lookback_scan_state_kernelINS1_19lookback_scan_stateImLb0ELb1EEENS1_16block_id_wrapperIjLb1EEEEEvT_jT0_jPNS7_10value_typeE,comdat
	.protected	_ZN7rocprim17ROCPRIM_400000_NS6detail31init_lookback_scan_state_kernelINS1_19lookback_scan_stateImLb0ELb1EEENS1_16block_id_wrapperIjLb1EEEEEvT_jT0_jPNS7_10value_typeE ; -- Begin function _ZN7rocprim17ROCPRIM_400000_NS6detail31init_lookback_scan_state_kernelINS1_19lookback_scan_stateImLb0ELb1EEENS1_16block_id_wrapperIjLb1EEEEEvT_jT0_jPNS7_10value_typeE
	.globl	_ZN7rocprim17ROCPRIM_400000_NS6detail31init_lookback_scan_state_kernelINS1_19lookback_scan_stateImLb0ELb1EEENS1_16block_id_wrapperIjLb1EEEEEvT_jT0_jPNS7_10value_typeE
	.p2align	8
	.type	_ZN7rocprim17ROCPRIM_400000_NS6detail31init_lookback_scan_state_kernelINS1_19lookback_scan_stateImLb0ELb1EEENS1_16block_id_wrapperIjLb1EEEEEvT_jT0_jPNS7_10value_typeE,@function
_ZN7rocprim17ROCPRIM_400000_NS6detail31init_lookback_scan_state_kernelINS1_19lookback_scan_stateImLb0ELb1EEENS1_16block_id_wrapperIjLb1EEEEEvT_jT0_jPNS7_10value_typeE: ; @_ZN7rocprim17ROCPRIM_400000_NS6detail31init_lookback_scan_state_kernelINS1_19lookback_scan_stateImLb0ELb1EEENS1_16block_id_wrapperIjLb1EEEEEvT_jT0_jPNS7_10value_typeE
; %bb.0:
	s_clause 0x3
	s_load_b32 s6, s[0:1], 0x34
	s_load_b64 s[4:5], s[0:1], 0x20
	s_load_b64 s[2:3], s[0:1], 0x0
	s_load_b32 s8, s[0:1], 0x8
	s_waitcnt lgkmcnt(0)
	s_and_b32 s6, s6, 0xffff
	s_cmp_eq_u64 s[4:5], 0
	v_mad_u64_u32 v[1:2], null, s15, s6, v[0:1]
	s_cbranch_scc1 .LBB72_8
; %bb.1:
	s_load_b32 s6, s[0:1], 0x18
	s_waitcnt lgkmcnt(0)
	s_cmp_lt_u32 s6, s8
	s_cselect_b32 s7, s6, 0
	s_delay_alu instid0(VALU_DEP_1) | instid1(SALU_CYCLE_1)
	v_cmp_eq_u32_e32 vcc_lo, s7, v1
	s_mov_b32 s7, 0
	s_and_saveexec_b32 s9, vcc_lo
	s_cbranch_execz .LBB72_7
; %bb.2:
	s_add_i32 s6, s6, 32
	s_mov_b32 s10, exec_lo
	s_lshl_b64 s[6:7], s[6:7], 4
	v_mov_b32_e32 v6, 0
	s_add_u32 s6, s2, s6
	s_addc_u32 s7, s3, s7
	s_delay_alu instid0(SALU_CYCLE_1) | instskip(SKIP_2) | instid1(VALU_DEP_1)
	v_dual_mov_b32 v2, s6 :: v_dual_mov_b32 v3, s7
	;;#ASMSTART
	global_load_dwordx4 v[2:5], v[2:3] off glc	
s_waitcnt vmcnt(0)
	;;#ASMEND
	v_and_b32_e32 v5, 0xff, v4
	v_cmpx_eq_u64_e32 0, v[5:6]
	s_cbranch_execz .LBB72_6
; %bb.3:
	v_dual_mov_b32 v8, s7 :: v_dual_mov_b32 v7, s6
	s_mov_b32 s6, 0
.LBB72_4:                               ; =>This Inner Loop Header: Depth=1
	;;#ASMSTART
	global_load_dwordx4 v[2:5], v[7:8] off glc	
s_waitcnt vmcnt(0)
	;;#ASMEND
	v_and_b32_e32 v5, 0xff, v4
	s_delay_alu instid0(VALU_DEP_1) | instskip(SKIP_1) | instid1(SALU_CYCLE_1)
	v_cmp_ne_u64_e32 vcc_lo, 0, v[5:6]
	s_or_b32 s6, vcc_lo, s6
	s_and_not1_b32 exec_lo, exec_lo, s6
	s_cbranch_execnz .LBB72_4
; %bb.5:
	s_or_b32 exec_lo, exec_lo, s6
.LBB72_6:
	s_delay_alu instid0(SALU_CYCLE_1)
	s_or_b32 exec_lo, exec_lo, s10
	v_mov_b32_e32 v0, 0
	global_store_b64 v0, v[2:3], s[4:5]
.LBB72_7:
	s_or_b32 exec_lo, exec_lo, s9
.LBB72_8:
	s_delay_alu instid0(SALU_CYCLE_1) | instskip(NEXT) | instid1(VALU_DEP_1)
	s_mov_b32 s4, exec_lo
	v_cmpx_eq_u32_e32 0, v1
	s_cbranch_execz .LBB72_10
; %bb.9:
	s_load_b64 s[0:1], s[0:1], 0x10
	v_mov_b32_e32 v0, 0
	s_waitcnt lgkmcnt(0)
	global_store_b32 v0, v0, s[0:1]
.LBB72_10:
	s_or_b32 exec_lo, exec_lo, s4
	s_delay_alu instid0(SALU_CYCLE_1)
	s_mov_b32 s0, exec_lo
	v_cmpx_gt_u32_e64 s8, v1
	s_cbranch_execz .LBB72_12
; %bb.11:
	v_dual_mov_b32 v3, 0 :: v_dual_add_nc_u32 v2, 32, v1
	s_delay_alu instid0(VALU_DEP_1) | instskip(SKIP_2) | instid1(VALU_DEP_3)
	v_lshlrev_b64 v[5:6], 4, v[2:3]
	v_mov_b32_e32 v2, v3
	v_mov_b32_e32 v4, v3
	v_add_co_u32 v7, vcc_lo, s2, v5
	s_delay_alu instid0(VALU_DEP_4)
	v_add_co_ci_u32_e32 v8, vcc_lo, s3, v6, vcc_lo
	v_mov_b32_e32 v5, v3
	global_store_b128 v[7:8], v[2:5], off
.LBB72_12:
	s_or_b32 exec_lo, exec_lo, s0
	s_delay_alu instid0(SALU_CYCLE_1)
	s_mov_b32 s0, exec_lo
	v_cmpx_gt_u32_e32 32, v1
	s_cbranch_execz .LBB72_14
; %bb.13:
	v_dual_mov_b32 v2, 0 :: v_dual_mov_b32 v3, 0xff
	s_delay_alu instid0(VALU_DEP_1) | instskip(SKIP_1) | instid1(VALU_DEP_2)
	v_lshlrev_b64 v[4:5], 4, v[1:2]
	v_mov_b32_e32 v1, v2
	v_add_co_u32 v6, vcc_lo, s2, v4
	s_delay_alu instid0(VALU_DEP_3)
	v_add_co_ci_u32_e32 v7, vcc_lo, s3, v5, vcc_lo
	v_mov_b32_e32 v4, v2
	global_store_b128 v[6:7], v[1:4], off
.LBB72_14:
	s_nop 0
	s_sendmsg sendmsg(MSG_DEALLOC_VGPRS)
	s_endpgm
	.section	.rodata,"a",@progbits
	.p2align	6, 0x0
	.amdhsa_kernel _ZN7rocprim17ROCPRIM_400000_NS6detail31init_lookback_scan_state_kernelINS1_19lookback_scan_stateImLb0ELb1EEENS1_16block_id_wrapperIjLb1EEEEEvT_jT0_jPNS7_10value_typeE
		.amdhsa_group_segment_fixed_size 0
		.amdhsa_private_segment_fixed_size 0
		.amdhsa_kernarg_size 296
		.amdhsa_user_sgpr_count 15
		.amdhsa_user_sgpr_dispatch_ptr 0
		.amdhsa_user_sgpr_queue_ptr 0
		.amdhsa_user_sgpr_kernarg_segment_ptr 1
		.amdhsa_user_sgpr_dispatch_id 0
		.amdhsa_user_sgpr_private_segment_size 0
		.amdhsa_wavefront_size32 1
		.amdhsa_uses_dynamic_stack 0
		.amdhsa_enable_private_segment 0
		.amdhsa_system_sgpr_workgroup_id_x 1
		.amdhsa_system_sgpr_workgroup_id_y 0
		.amdhsa_system_sgpr_workgroup_id_z 0
		.amdhsa_system_sgpr_workgroup_info 0
		.amdhsa_system_vgpr_workitem_id 0
		.amdhsa_next_free_vgpr 9
		.amdhsa_next_free_sgpr 16
		.amdhsa_reserve_vcc 1
		.amdhsa_float_round_mode_32 0
		.amdhsa_float_round_mode_16_64 0
		.amdhsa_float_denorm_mode_32 3
		.amdhsa_float_denorm_mode_16_64 3
		.amdhsa_dx10_clamp 1
		.amdhsa_ieee_mode 1
		.amdhsa_fp16_overflow 0
		.amdhsa_workgroup_processor_mode 1
		.amdhsa_memory_ordered 1
		.amdhsa_forward_progress 0
		.amdhsa_shared_vgpr_count 0
		.amdhsa_exception_fp_ieee_invalid_op 0
		.amdhsa_exception_fp_denorm_src 0
		.amdhsa_exception_fp_ieee_div_zero 0
		.amdhsa_exception_fp_ieee_overflow 0
		.amdhsa_exception_fp_ieee_underflow 0
		.amdhsa_exception_fp_ieee_inexact 0
		.amdhsa_exception_int_div_zero 0
	.end_amdhsa_kernel
	.section	.text._ZN7rocprim17ROCPRIM_400000_NS6detail31init_lookback_scan_state_kernelINS1_19lookback_scan_stateImLb0ELb1EEENS1_16block_id_wrapperIjLb1EEEEEvT_jT0_jPNS7_10value_typeE,"axG",@progbits,_ZN7rocprim17ROCPRIM_400000_NS6detail31init_lookback_scan_state_kernelINS1_19lookback_scan_stateImLb0ELb1EEENS1_16block_id_wrapperIjLb1EEEEEvT_jT0_jPNS7_10value_typeE,comdat
.Lfunc_end72:
	.size	_ZN7rocprim17ROCPRIM_400000_NS6detail31init_lookback_scan_state_kernelINS1_19lookback_scan_stateImLb0ELb1EEENS1_16block_id_wrapperIjLb1EEEEEvT_jT0_jPNS7_10value_typeE, .Lfunc_end72-_ZN7rocprim17ROCPRIM_400000_NS6detail31init_lookback_scan_state_kernelINS1_19lookback_scan_stateImLb0ELb1EEENS1_16block_id_wrapperIjLb1EEEEEvT_jT0_jPNS7_10value_typeE
                                        ; -- End function
	.section	.AMDGPU.csdata,"",@progbits
; Kernel info:
; codeLenInByte = 512
; NumSgprs: 18
; NumVgprs: 9
; ScratchSize: 0
; MemoryBound: 0
; FloatMode: 240
; IeeeMode: 1
; LDSByteSize: 0 bytes/workgroup (compile time only)
; SGPRBlocks: 2
; VGPRBlocks: 1
; NumSGPRsForWavesPerEU: 18
; NumVGPRsForWavesPerEU: 9
; Occupancy: 16
; WaveLimiterHint : 0
; COMPUTE_PGM_RSRC2:SCRATCH_EN: 0
; COMPUTE_PGM_RSRC2:USER_SGPR: 15
; COMPUTE_PGM_RSRC2:TRAP_HANDLER: 0
; COMPUTE_PGM_RSRC2:TGID_X_EN: 1
; COMPUTE_PGM_RSRC2:TGID_Y_EN: 0
; COMPUTE_PGM_RSRC2:TGID_Z_EN: 0
; COMPUTE_PGM_RSRC2:TIDIG_COMP_CNT: 0
	.section	.text._ZN7rocprim17ROCPRIM_400000_NS6detail17trampoline_kernelINS0_14default_configENS1_25partition_config_selectorILNS1_17partition_subalgoE5ElNS0_10empty_typeEbEEZZNS1_14partition_implILS5_5ELb0ES3_mN6hipcub16HIPCUB_304000_NS21CountingInputIteratorIllEEPS6_NSA_22TransformInputIteratorIbN2at6native12_GLOBAL__N_19NonZeroOpIhEEPKhlEENS0_5tupleIJPlS6_EEENSN_IJSD_SD_EEES6_PiJS6_EEE10hipError_tPvRmT3_T4_T5_T6_T7_T9_mT8_P12ihipStream_tbDpT10_ENKUlT_T0_E_clISt17integral_constantIbLb0EES1A_IbLb1EEEEDaS16_S17_EUlS16_E_NS1_11comp_targetILNS1_3genE0ELNS1_11target_archE4294967295ELNS1_3gpuE0ELNS1_3repE0EEENS1_30default_config_static_selectorELNS0_4arch9wavefront6targetE0EEEvT1_,"axG",@progbits,_ZN7rocprim17ROCPRIM_400000_NS6detail17trampoline_kernelINS0_14default_configENS1_25partition_config_selectorILNS1_17partition_subalgoE5ElNS0_10empty_typeEbEEZZNS1_14partition_implILS5_5ELb0ES3_mN6hipcub16HIPCUB_304000_NS21CountingInputIteratorIllEEPS6_NSA_22TransformInputIteratorIbN2at6native12_GLOBAL__N_19NonZeroOpIhEEPKhlEENS0_5tupleIJPlS6_EEENSN_IJSD_SD_EEES6_PiJS6_EEE10hipError_tPvRmT3_T4_T5_T6_T7_T9_mT8_P12ihipStream_tbDpT10_ENKUlT_T0_E_clISt17integral_constantIbLb0EES1A_IbLb1EEEEDaS16_S17_EUlS16_E_NS1_11comp_targetILNS1_3genE0ELNS1_11target_archE4294967295ELNS1_3gpuE0ELNS1_3repE0EEENS1_30default_config_static_selectorELNS0_4arch9wavefront6targetE0EEEvT1_,comdat
	.globl	_ZN7rocprim17ROCPRIM_400000_NS6detail17trampoline_kernelINS0_14default_configENS1_25partition_config_selectorILNS1_17partition_subalgoE5ElNS0_10empty_typeEbEEZZNS1_14partition_implILS5_5ELb0ES3_mN6hipcub16HIPCUB_304000_NS21CountingInputIteratorIllEEPS6_NSA_22TransformInputIteratorIbN2at6native12_GLOBAL__N_19NonZeroOpIhEEPKhlEENS0_5tupleIJPlS6_EEENSN_IJSD_SD_EEES6_PiJS6_EEE10hipError_tPvRmT3_T4_T5_T6_T7_T9_mT8_P12ihipStream_tbDpT10_ENKUlT_T0_E_clISt17integral_constantIbLb0EES1A_IbLb1EEEEDaS16_S17_EUlS16_E_NS1_11comp_targetILNS1_3genE0ELNS1_11target_archE4294967295ELNS1_3gpuE0ELNS1_3repE0EEENS1_30default_config_static_selectorELNS0_4arch9wavefront6targetE0EEEvT1_ ; -- Begin function _ZN7rocprim17ROCPRIM_400000_NS6detail17trampoline_kernelINS0_14default_configENS1_25partition_config_selectorILNS1_17partition_subalgoE5ElNS0_10empty_typeEbEEZZNS1_14partition_implILS5_5ELb0ES3_mN6hipcub16HIPCUB_304000_NS21CountingInputIteratorIllEEPS6_NSA_22TransformInputIteratorIbN2at6native12_GLOBAL__N_19NonZeroOpIhEEPKhlEENS0_5tupleIJPlS6_EEENSN_IJSD_SD_EEES6_PiJS6_EEE10hipError_tPvRmT3_T4_T5_T6_T7_T9_mT8_P12ihipStream_tbDpT10_ENKUlT_T0_E_clISt17integral_constantIbLb0EES1A_IbLb1EEEEDaS16_S17_EUlS16_E_NS1_11comp_targetILNS1_3genE0ELNS1_11target_archE4294967295ELNS1_3gpuE0ELNS1_3repE0EEENS1_30default_config_static_selectorELNS0_4arch9wavefront6targetE0EEEvT1_
	.p2align	8
	.type	_ZN7rocprim17ROCPRIM_400000_NS6detail17trampoline_kernelINS0_14default_configENS1_25partition_config_selectorILNS1_17partition_subalgoE5ElNS0_10empty_typeEbEEZZNS1_14partition_implILS5_5ELb0ES3_mN6hipcub16HIPCUB_304000_NS21CountingInputIteratorIllEEPS6_NSA_22TransformInputIteratorIbN2at6native12_GLOBAL__N_19NonZeroOpIhEEPKhlEENS0_5tupleIJPlS6_EEENSN_IJSD_SD_EEES6_PiJS6_EEE10hipError_tPvRmT3_T4_T5_T6_T7_T9_mT8_P12ihipStream_tbDpT10_ENKUlT_T0_E_clISt17integral_constantIbLb0EES1A_IbLb1EEEEDaS16_S17_EUlS16_E_NS1_11comp_targetILNS1_3genE0ELNS1_11target_archE4294967295ELNS1_3gpuE0ELNS1_3repE0EEENS1_30default_config_static_selectorELNS0_4arch9wavefront6targetE0EEEvT1_,@function
_ZN7rocprim17ROCPRIM_400000_NS6detail17trampoline_kernelINS0_14default_configENS1_25partition_config_selectorILNS1_17partition_subalgoE5ElNS0_10empty_typeEbEEZZNS1_14partition_implILS5_5ELb0ES3_mN6hipcub16HIPCUB_304000_NS21CountingInputIteratorIllEEPS6_NSA_22TransformInputIteratorIbN2at6native12_GLOBAL__N_19NonZeroOpIhEEPKhlEENS0_5tupleIJPlS6_EEENSN_IJSD_SD_EEES6_PiJS6_EEE10hipError_tPvRmT3_T4_T5_T6_T7_T9_mT8_P12ihipStream_tbDpT10_ENKUlT_T0_E_clISt17integral_constantIbLb0EES1A_IbLb1EEEEDaS16_S17_EUlS16_E_NS1_11comp_targetILNS1_3genE0ELNS1_11target_archE4294967295ELNS1_3gpuE0ELNS1_3repE0EEENS1_30default_config_static_selectorELNS0_4arch9wavefront6targetE0EEEvT1_: ; @_ZN7rocprim17ROCPRIM_400000_NS6detail17trampoline_kernelINS0_14default_configENS1_25partition_config_selectorILNS1_17partition_subalgoE5ElNS0_10empty_typeEbEEZZNS1_14partition_implILS5_5ELb0ES3_mN6hipcub16HIPCUB_304000_NS21CountingInputIteratorIllEEPS6_NSA_22TransformInputIteratorIbN2at6native12_GLOBAL__N_19NonZeroOpIhEEPKhlEENS0_5tupleIJPlS6_EEENSN_IJSD_SD_EEES6_PiJS6_EEE10hipError_tPvRmT3_T4_T5_T6_T7_T9_mT8_P12ihipStream_tbDpT10_ENKUlT_T0_E_clISt17integral_constantIbLb0EES1A_IbLb1EEEEDaS16_S17_EUlS16_E_NS1_11comp_targetILNS1_3genE0ELNS1_11target_archE4294967295ELNS1_3gpuE0ELNS1_3repE0EEENS1_30default_config_static_selectorELNS0_4arch9wavefront6targetE0EEEvT1_
; %bb.0:
	.section	.rodata,"a",@progbits
	.p2align	6, 0x0
	.amdhsa_kernel _ZN7rocprim17ROCPRIM_400000_NS6detail17trampoline_kernelINS0_14default_configENS1_25partition_config_selectorILNS1_17partition_subalgoE5ElNS0_10empty_typeEbEEZZNS1_14partition_implILS5_5ELb0ES3_mN6hipcub16HIPCUB_304000_NS21CountingInputIteratorIllEEPS6_NSA_22TransformInputIteratorIbN2at6native12_GLOBAL__N_19NonZeroOpIhEEPKhlEENS0_5tupleIJPlS6_EEENSN_IJSD_SD_EEES6_PiJS6_EEE10hipError_tPvRmT3_T4_T5_T6_T7_T9_mT8_P12ihipStream_tbDpT10_ENKUlT_T0_E_clISt17integral_constantIbLb0EES1A_IbLb1EEEEDaS16_S17_EUlS16_E_NS1_11comp_targetILNS1_3genE0ELNS1_11target_archE4294967295ELNS1_3gpuE0ELNS1_3repE0EEENS1_30default_config_static_selectorELNS0_4arch9wavefront6targetE0EEEvT1_
		.amdhsa_group_segment_fixed_size 0
		.amdhsa_private_segment_fixed_size 0
		.amdhsa_kernarg_size 136
		.amdhsa_user_sgpr_count 15
		.amdhsa_user_sgpr_dispatch_ptr 0
		.amdhsa_user_sgpr_queue_ptr 0
		.amdhsa_user_sgpr_kernarg_segment_ptr 1
		.amdhsa_user_sgpr_dispatch_id 0
		.amdhsa_user_sgpr_private_segment_size 0
		.amdhsa_wavefront_size32 1
		.amdhsa_uses_dynamic_stack 0
		.amdhsa_enable_private_segment 0
		.amdhsa_system_sgpr_workgroup_id_x 1
		.amdhsa_system_sgpr_workgroup_id_y 0
		.amdhsa_system_sgpr_workgroup_id_z 0
		.amdhsa_system_sgpr_workgroup_info 0
		.amdhsa_system_vgpr_workitem_id 0
		.amdhsa_next_free_vgpr 1
		.amdhsa_next_free_sgpr 1
		.amdhsa_reserve_vcc 0
		.amdhsa_float_round_mode_32 0
		.amdhsa_float_round_mode_16_64 0
		.amdhsa_float_denorm_mode_32 3
		.amdhsa_float_denorm_mode_16_64 3
		.amdhsa_dx10_clamp 1
		.amdhsa_ieee_mode 1
		.amdhsa_fp16_overflow 0
		.amdhsa_workgroup_processor_mode 1
		.amdhsa_memory_ordered 1
		.amdhsa_forward_progress 0
		.amdhsa_shared_vgpr_count 0
		.amdhsa_exception_fp_ieee_invalid_op 0
		.amdhsa_exception_fp_denorm_src 0
		.amdhsa_exception_fp_ieee_div_zero 0
		.amdhsa_exception_fp_ieee_overflow 0
		.amdhsa_exception_fp_ieee_underflow 0
		.amdhsa_exception_fp_ieee_inexact 0
		.amdhsa_exception_int_div_zero 0
	.end_amdhsa_kernel
	.section	.text._ZN7rocprim17ROCPRIM_400000_NS6detail17trampoline_kernelINS0_14default_configENS1_25partition_config_selectorILNS1_17partition_subalgoE5ElNS0_10empty_typeEbEEZZNS1_14partition_implILS5_5ELb0ES3_mN6hipcub16HIPCUB_304000_NS21CountingInputIteratorIllEEPS6_NSA_22TransformInputIteratorIbN2at6native12_GLOBAL__N_19NonZeroOpIhEEPKhlEENS0_5tupleIJPlS6_EEENSN_IJSD_SD_EEES6_PiJS6_EEE10hipError_tPvRmT3_T4_T5_T6_T7_T9_mT8_P12ihipStream_tbDpT10_ENKUlT_T0_E_clISt17integral_constantIbLb0EES1A_IbLb1EEEEDaS16_S17_EUlS16_E_NS1_11comp_targetILNS1_3genE0ELNS1_11target_archE4294967295ELNS1_3gpuE0ELNS1_3repE0EEENS1_30default_config_static_selectorELNS0_4arch9wavefront6targetE0EEEvT1_,"axG",@progbits,_ZN7rocprim17ROCPRIM_400000_NS6detail17trampoline_kernelINS0_14default_configENS1_25partition_config_selectorILNS1_17partition_subalgoE5ElNS0_10empty_typeEbEEZZNS1_14partition_implILS5_5ELb0ES3_mN6hipcub16HIPCUB_304000_NS21CountingInputIteratorIllEEPS6_NSA_22TransformInputIteratorIbN2at6native12_GLOBAL__N_19NonZeroOpIhEEPKhlEENS0_5tupleIJPlS6_EEENSN_IJSD_SD_EEES6_PiJS6_EEE10hipError_tPvRmT3_T4_T5_T6_T7_T9_mT8_P12ihipStream_tbDpT10_ENKUlT_T0_E_clISt17integral_constantIbLb0EES1A_IbLb1EEEEDaS16_S17_EUlS16_E_NS1_11comp_targetILNS1_3genE0ELNS1_11target_archE4294967295ELNS1_3gpuE0ELNS1_3repE0EEENS1_30default_config_static_selectorELNS0_4arch9wavefront6targetE0EEEvT1_,comdat
.Lfunc_end73:
	.size	_ZN7rocprim17ROCPRIM_400000_NS6detail17trampoline_kernelINS0_14default_configENS1_25partition_config_selectorILNS1_17partition_subalgoE5ElNS0_10empty_typeEbEEZZNS1_14partition_implILS5_5ELb0ES3_mN6hipcub16HIPCUB_304000_NS21CountingInputIteratorIllEEPS6_NSA_22TransformInputIteratorIbN2at6native12_GLOBAL__N_19NonZeroOpIhEEPKhlEENS0_5tupleIJPlS6_EEENSN_IJSD_SD_EEES6_PiJS6_EEE10hipError_tPvRmT3_T4_T5_T6_T7_T9_mT8_P12ihipStream_tbDpT10_ENKUlT_T0_E_clISt17integral_constantIbLb0EES1A_IbLb1EEEEDaS16_S17_EUlS16_E_NS1_11comp_targetILNS1_3genE0ELNS1_11target_archE4294967295ELNS1_3gpuE0ELNS1_3repE0EEENS1_30default_config_static_selectorELNS0_4arch9wavefront6targetE0EEEvT1_, .Lfunc_end73-_ZN7rocprim17ROCPRIM_400000_NS6detail17trampoline_kernelINS0_14default_configENS1_25partition_config_selectorILNS1_17partition_subalgoE5ElNS0_10empty_typeEbEEZZNS1_14partition_implILS5_5ELb0ES3_mN6hipcub16HIPCUB_304000_NS21CountingInputIteratorIllEEPS6_NSA_22TransformInputIteratorIbN2at6native12_GLOBAL__N_19NonZeroOpIhEEPKhlEENS0_5tupleIJPlS6_EEENSN_IJSD_SD_EEES6_PiJS6_EEE10hipError_tPvRmT3_T4_T5_T6_T7_T9_mT8_P12ihipStream_tbDpT10_ENKUlT_T0_E_clISt17integral_constantIbLb0EES1A_IbLb1EEEEDaS16_S17_EUlS16_E_NS1_11comp_targetILNS1_3genE0ELNS1_11target_archE4294967295ELNS1_3gpuE0ELNS1_3repE0EEENS1_30default_config_static_selectorELNS0_4arch9wavefront6targetE0EEEvT1_
                                        ; -- End function
	.section	.AMDGPU.csdata,"",@progbits
; Kernel info:
; codeLenInByte = 0
; NumSgprs: 0
; NumVgprs: 0
; ScratchSize: 0
; MemoryBound: 0
; FloatMode: 240
; IeeeMode: 1
; LDSByteSize: 0 bytes/workgroup (compile time only)
; SGPRBlocks: 0
; VGPRBlocks: 0
; NumSGPRsForWavesPerEU: 1
; NumVGPRsForWavesPerEU: 1
; Occupancy: 16
; WaveLimiterHint : 0
; COMPUTE_PGM_RSRC2:SCRATCH_EN: 0
; COMPUTE_PGM_RSRC2:USER_SGPR: 15
; COMPUTE_PGM_RSRC2:TRAP_HANDLER: 0
; COMPUTE_PGM_RSRC2:TGID_X_EN: 1
; COMPUTE_PGM_RSRC2:TGID_Y_EN: 0
; COMPUTE_PGM_RSRC2:TGID_Z_EN: 0
; COMPUTE_PGM_RSRC2:TIDIG_COMP_CNT: 0
	.section	.text._ZN7rocprim17ROCPRIM_400000_NS6detail17trampoline_kernelINS0_14default_configENS1_25partition_config_selectorILNS1_17partition_subalgoE5ElNS0_10empty_typeEbEEZZNS1_14partition_implILS5_5ELb0ES3_mN6hipcub16HIPCUB_304000_NS21CountingInputIteratorIllEEPS6_NSA_22TransformInputIteratorIbN2at6native12_GLOBAL__N_19NonZeroOpIhEEPKhlEENS0_5tupleIJPlS6_EEENSN_IJSD_SD_EEES6_PiJS6_EEE10hipError_tPvRmT3_T4_T5_T6_T7_T9_mT8_P12ihipStream_tbDpT10_ENKUlT_T0_E_clISt17integral_constantIbLb0EES1A_IbLb1EEEEDaS16_S17_EUlS16_E_NS1_11comp_targetILNS1_3genE5ELNS1_11target_archE942ELNS1_3gpuE9ELNS1_3repE0EEENS1_30default_config_static_selectorELNS0_4arch9wavefront6targetE0EEEvT1_,"axG",@progbits,_ZN7rocprim17ROCPRIM_400000_NS6detail17trampoline_kernelINS0_14default_configENS1_25partition_config_selectorILNS1_17partition_subalgoE5ElNS0_10empty_typeEbEEZZNS1_14partition_implILS5_5ELb0ES3_mN6hipcub16HIPCUB_304000_NS21CountingInputIteratorIllEEPS6_NSA_22TransformInputIteratorIbN2at6native12_GLOBAL__N_19NonZeroOpIhEEPKhlEENS0_5tupleIJPlS6_EEENSN_IJSD_SD_EEES6_PiJS6_EEE10hipError_tPvRmT3_T4_T5_T6_T7_T9_mT8_P12ihipStream_tbDpT10_ENKUlT_T0_E_clISt17integral_constantIbLb0EES1A_IbLb1EEEEDaS16_S17_EUlS16_E_NS1_11comp_targetILNS1_3genE5ELNS1_11target_archE942ELNS1_3gpuE9ELNS1_3repE0EEENS1_30default_config_static_selectorELNS0_4arch9wavefront6targetE0EEEvT1_,comdat
	.globl	_ZN7rocprim17ROCPRIM_400000_NS6detail17trampoline_kernelINS0_14default_configENS1_25partition_config_selectorILNS1_17partition_subalgoE5ElNS0_10empty_typeEbEEZZNS1_14partition_implILS5_5ELb0ES3_mN6hipcub16HIPCUB_304000_NS21CountingInputIteratorIllEEPS6_NSA_22TransformInputIteratorIbN2at6native12_GLOBAL__N_19NonZeroOpIhEEPKhlEENS0_5tupleIJPlS6_EEENSN_IJSD_SD_EEES6_PiJS6_EEE10hipError_tPvRmT3_T4_T5_T6_T7_T9_mT8_P12ihipStream_tbDpT10_ENKUlT_T0_E_clISt17integral_constantIbLb0EES1A_IbLb1EEEEDaS16_S17_EUlS16_E_NS1_11comp_targetILNS1_3genE5ELNS1_11target_archE942ELNS1_3gpuE9ELNS1_3repE0EEENS1_30default_config_static_selectorELNS0_4arch9wavefront6targetE0EEEvT1_ ; -- Begin function _ZN7rocprim17ROCPRIM_400000_NS6detail17trampoline_kernelINS0_14default_configENS1_25partition_config_selectorILNS1_17partition_subalgoE5ElNS0_10empty_typeEbEEZZNS1_14partition_implILS5_5ELb0ES3_mN6hipcub16HIPCUB_304000_NS21CountingInputIteratorIllEEPS6_NSA_22TransformInputIteratorIbN2at6native12_GLOBAL__N_19NonZeroOpIhEEPKhlEENS0_5tupleIJPlS6_EEENSN_IJSD_SD_EEES6_PiJS6_EEE10hipError_tPvRmT3_T4_T5_T6_T7_T9_mT8_P12ihipStream_tbDpT10_ENKUlT_T0_E_clISt17integral_constantIbLb0EES1A_IbLb1EEEEDaS16_S17_EUlS16_E_NS1_11comp_targetILNS1_3genE5ELNS1_11target_archE942ELNS1_3gpuE9ELNS1_3repE0EEENS1_30default_config_static_selectorELNS0_4arch9wavefront6targetE0EEEvT1_
	.p2align	8
	.type	_ZN7rocprim17ROCPRIM_400000_NS6detail17trampoline_kernelINS0_14default_configENS1_25partition_config_selectorILNS1_17partition_subalgoE5ElNS0_10empty_typeEbEEZZNS1_14partition_implILS5_5ELb0ES3_mN6hipcub16HIPCUB_304000_NS21CountingInputIteratorIllEEPS6_NSA_22TransformInputIteratorIbN2at6native12_GLOBAL__N_19NonZeroOpIhEEPKhlEENS0_5tupleIJPlS6_EEENSN_IJSD_SD_EEES6_PiJS6_EEE10hipError_tPvRmT3_T4_T5_T6_T7_T9_mT8_P12ihipStream_tbDpT10_ENKUlT_T0_E_clISt17integral_constantIbLb0EES1A_IbLb1EEEEDaS16_S17_EUlS16_E_NS1_11comp_targetILNS1_3genE5ELNS1_11target_archE942ELNS1_3gpuE9ELNS1_3repE0EEENS1_30default_config_static_selectorELNS0_4arch9wavefront6targetE0EEEvT1_,@function
_ZN7rocprim17ROCPRIM_400000_NS6detail17trampoline_kernelINS0_14default_configENS1_25partition_config_selectorILNS1_17partition_subalgoE5ElNS0_10empty_typeEbEEZZNS1_14partition_implILS5_5ELb0ES3_mN6hipcub16HIPCUB_304000_NS21CountingInputIteratorIllEEPS6_NSA_22TransformInputIteratorIbN2at6native12_GLOBAL__N_19NonZeroOpIhEEPKhlEENS0_5tupleIJPlS6_EEENSN_IJSD_SD_EEES6_PiJS6_EEE10hipError_tPvRmT3_T4_T5_T6_T7_T9_mT8_P12ihipStream_tbDpT10_ENKUlT_T0_E_clISt17integral_constantIbLb0EES1A_IbLb1EEEEDaS16_S17_EUlS16_E_NS1_11comp_targetILNS1_3genE5ELNS1_11target_archE942ELNS1_3gpuE9ELNS1_3repE0EEENS1_30default_config_static_selectorELNS0_4arch9wavefront6targetE0EEEvT1_: ; @_ZN7rocprim17ROCPRIM_400000_NS6detail17trampoline_kernelINS0_14default_configENS1_25partition_config_selectorILNS1_17partition_subalgoE5ElNS0_10empty_typeEbEEZZNS1_14partition_implILS5_5ELb0ES3_mN6hipcub16HIPCUB_304000_NS21CountingInputIteratorIllEEPS6_NSA_22TransformInputIteratorIbN2at6native12_GLOBAL__N_19NonZeroOpIhEEPKhlEENS0_5tupleIJPlS6_EEENSN_IJSD_SD_EEES6_PiJS6_EEE10hipError_tPvRmT3_T4_T5_T6_T7_T9_mT8_P12ihipStream_tbDpT10_ENKUlT_T0_E_clISt17integral_constantIbLb0EES1A_IbLb1EEEEDaS16_S17_EUlS16_E_NS1_11comp_targetILNS1_3genE5ELNS1_11target_archE942ELNS1_3gpuE9ELNS1_3repE0EEENS1_30default_config_static_selectorELNS0_4arch9wavefront6targetE0EEEvT1_
; %bb.0:
	.section	.rodata,"a",@progbits
	.p2align	6, 0x0
	.amdhsa_kernel _ZN7rocprim17ROCPRIM_400000_NS6detail17trampoline_kernelINS0_14default_configENS1_25partition_config_selectorILNS1_17partition_subalgoE5ElNS0_10empty_typeEbEEZZNS1_14partition_implILS5_5ELb0ES3_mN6hipcub16HIPCUB_304000_NS21CountingInputIteratorIllEEPS6_NSA_22TransformInputIteratorIbN2at6native12_GLOBAL__N_19NonZeroOpIhEEPKhlEENS0_5tupleIJPlS6_EEENSN_IJSD_SD_EEES6_PiJS6_EEE10hipError_tPvRmT3_T4_T5_T6_T7_T9_mT8_P12ihipStream_tbDpT10_ENKUlT_T0_E_clISt17integral_constantIbLb0EES1A_IbLb1EEEEDaS16_S17_EUlS16_E_NS1_11comp_targetILNS1_3genE5ELNS1_11target_archE942ELNS1_3gpuE9ELNS1_3repE0EEENS1_30default_config_static_selectorELNS0_4arch9wavefront6targetE0EEEvT1_
		.amdhsa_group_segment_fixed_size 0
		.amdhsa_private_segment_fixed_size 0
		.amdhsa_kernarg_size 136
		.amdhsa_user_sgpr_count 15
		.amdhsa_user_sgpr_dispatch_ptr 0
		.amdhsa_user_sgpr_queue_ptr 0
		.amdhsa_user_sgpr_kernarg_segment_ptr 1
		.amdhsa_user_sgpr_dispatch_id 0
		.amdhsa_user_sgpr_private_segment_size 0
		.amdhsa_wavefront_size32 1
		.amdhsa_uses_dynamic_stack 0
		.amdhsa_enable_private_segment 0
		.amdhsa_system_sgpr_workgroup_id_x 1
		.amdhsa_system_sgpr_workgroup_id_y 0
		.amdhsa_system_sgpr_workgroup_id_z 0
		.amdhsa_system_sgpr_workgroup_info 0
		.amdhsa_system_vgpr_workitem_id 0
		.amdhsa_next_free_vgpr 1
		.amdhsa_next_free_sgpr 1
		.amdhsa_reserve_vcc 0
		.amdhsa_float_round_mode_32 0
		.amdhsa_float_round_mode_16_64 0
		.amdhsa_float_denorm_mode_32 3
		.amdhsa_float_denorm_mode_16_64 3
		.amdhsa_dx10_clamp 1
		.amdhsa_ieee_mode 1
		.amdhsa_fp16_overflow 0
		.amdhsa_workgroup_processor_mode 1
		.amdhsa_memory_ordered 1
		.amdhsa_forward_progress 0
		.amdhsa_shared_vgpr_count 0
		.amdhsa_exception_fp_ieee_invalid_op 0
		.amdhsa_exception_fp_denorm_src 0
		.amdhsa_exception_fp_ieee_div_zero 0
		.amdhsa_exception_fp_ieee_overflow 0
		.amdhsa_exception_fp_ieee_underflow 0
		.amdhsa_exception_fp_ieee_inexact 0
		.amdhsa_exception_int_div_zero 0
	.end_amdhsa_kernel
	.section	.text._ZN7rocprim17ROCPRIM_400000_NS6detail17trampoline_kernelINS0_14default_configENS1_25partition_config_selectorILNS1_17partition_subalgoE5ElNS0_10empty_typeEbEEZZNS1_14partition_implILS5_5ELb0ES3_mN6hipcub16HIPCUB_304000_NS21CountingInputIteratorIllEEPS6_NSA_22TransformInputIteratorIbN2at6native12_GLOBAL__N_19NonZeroOpIhEEPKhlEENS0_5tupleIJPlS6_EEENSN_IJSD_SD_EEES6_PiJS6_EEE10hipError_tPvRmT3_T4_T5_T6_T7_T9_mT8_P12ihipStream_tbDpT10_ENKUlT_T0_E_clISt17integral_constantIbLb0EES1A_IbLb1EEEEDaS16_S17_EUlS16_E_NS1_11comp_targetILNS1_3genE5ELNS1_11target_archE942ELNS1_3gpuE9ELNS1_3repE0EEENS1_30default_config_static_selectorELNS0_4arch9wavefront6targetE0EEEvT1_,"axG",@progbits,_ZN7rocprim17ROCPRIM_400000_NS6detail17trampoline_kernelINS0_14default_configENS1_25partition_config_selectorILNS1_17partition_subalgoE5ElNS0_10empty_typeEbEEZZNS1_14partition_implILS5_5ELb0ES3_mN6hipcub16HIPCUB_304000_NS21CountingInputIteratorIllEEPS6_NSA_22TransformInputIteratorIbN2at6native12_GLOBAL__N_19NonZeroOpIhEEPKhlEENS0_5tupleIJPlS6_EEENSN_IJSD_SD_EEES6_PiJS6_EEE10hipError_tPvRmT3_T4_T5_T6_T7_T9_mT8_P12ihipStream_tbDpT10_ENKUlT_T0_E_clISt17integral_constantIbLb0EES1A_IbLb1EEEEDaS16_S17_EUlS16_E_NS1_11comp_targetILNS1_3genE5ELNS1_11target_archE942ELNS1_3gpuE9ELNS1_3repE0EEENS1_30default_config_static_selectorELNS0_4arch9wavefront6targetE0EEEvT1_,comdat
.Lfunc_end74:
	.size	_ZN7rocprim17ROCPRIM_400000_NS6detail17trampoline_kernelINS0_14default_configENS1_25partition_config_selectorILNS1_17partition_subalgoE5ElNS0_10empty_typeEbEEZZNS1_14partition_implILS5_5ELb0ES3_mN6hipcub16HIPCUB_304000_NS21CountingInputIteratorIllEEPS6_NSA_22TransformInputIteratorIbN2at6native12_GLOBAL__N_19NonZeroOpIhEEPKhlEENS0_5tupleIJPlS6_EEENSN_IJSD_SD_EEES6_PiJS6_EEE10hipError_tPvRmT3_T4_T5_T6_T7_T9_mT8_P12ihipStream_tbDpT10_ENKUlT_T0_E_clISt17integral_constantIbLb0EES1A_IbLb1EEEEDaS16_S17_EUlS16_E_NS1_11comp_targetILNS1_3genE5ELNS1_11target_archE942ELNS1_3gpuE9ELNS1_3repE0EEENS1_30default_config_static_selectorELNS0_4arch9wavefront6targetE0EEEvT1_, .Lfunc_end74-_ZN7rocprim17ROCPRIM_400000_NS6detail17trampoline_kernelINS0_14default_configENS1_25partition_config_selectorILNS1_17partition_subalgoE5ElNS0_10empty_typeEbEEZZNS1_14partition_implILS5_5ELb0ES3_mN6hipcub16HIPCUB_304000_NS21CountingInputIteratorIllEEPS6_NSA_22TransformInputIteratorIbN2at6native12_GLOBAL__N_19NonZeroOpIhEEPKhlEENS0_5tupleIJPlS6_EEENSN_IJSD_SD_EEES6_PiJS6_EEE10hipError_tPvRmT3_T4_T5_T6_T7_T9_mT8_P12ihipStream_tbDpT10_ENKUlT_T0_E_clISt17integral_constantIbLb0EES1A_IbLb1EEEEDaS16_S17_EUlS16_E_NS1_11comp_targetILNS1_3genE5ELNS1_11target_archE942ELNS1_3gpuE9ELNS1_3repE0EEENS1_30default_config_static_selectorELNS0_4arch9wavefront6targetE0EEEvT1_
                                        ; -- End function
	.section	.AMDGPU.csdata,"",@progbits
; Kernel info:
; codeLenInByte = 0
; NumSgprs: 0
; NumVgprs: 0
; ScratchSize: 0
; MemoryBound: 0
; FloatMode: 240
; IeeeMode: 1
; LDSByteSize: 0 bytes/workgroup (compile time only)
; SGPRBlocks: 0
; VGPRBlocks: 0
; NumSGPRsForWavesPerEU: 1
; NumVGPRsForWavesPerEU: 1
; Occupancy: 16
; WaveLimiterHint : 0
; COMPUTE_PGM_RSRC2:SCRATCH_EN: 0
; COMPUTE_PGM_RSRC2:USER_SGPR: 15
; COMPUTE_PGM_RSRC2:TRAP_HANDLER: 0
; COMPUTE_PGM_RSRC2:TGID_X_EN: 1
; COMPUTE_PGM_RSRC2:TGID_Y_EN: 0
; COMPUTE_PGM_RSRC2:TGID_Z_EN: 0
; COMPUTE_PGM_RSRC2:TIDIG_COMP_CNT: 0
	.section	.text._ZN7rocprim17ROCPRIM_400000_NS6detail17trampoline_kernelINS0_14default_configENS1_25partition_config_selectorILNS1_17partition_subalgoE5ElNS0_10empty_typeEbEEZZNS1_14partition_implILS5_5ELb0ES3_mN6hipcub16HIPCUB_304000_NS21CountingInputIteratorIllEEPS6_NSA_22TransformInputIteratorIbN2at6native12_GLOBAL__N_19NonZeroOpIhEEPKhlEENS0_5tupleIJPlS6_EEENSN_IJSD_SD_EEES6_PiJS6_EEE10hipError_tPvRmT3_T4_T5_T6_T7_T9_mT8_P12ihipStream_tbDpT10_ENKUlT_T0_E_clISt17integral_constantIbLb0EES1A_IbLb1EEEEDaS16_S17_EUlS16_E_NS1_11comp_targetILNS1_3genE4ELNS1_11target_archE910ELNS1_3gpuE8ELNS1_3repE0EEENS1_30default_config_static_selectorELNS0_4arch9wavefront6targetE0EEEvT1_,"axG",@progbits,_ZN7rocprim17ROCPRIM_400000_NS6detail17trampoline_kernelINS0_14default_configENS1_25partition_config_selectorILNS1_17partition_subalgoE5ElNS0_10empty_typeEbEEZZNS1_14partition_implILS5_5ELb0ES3_mN6hipcub16HIPCUB_304000_NS21CountingInputIteratorIllEEPS6_NSA_22TransformInputIteratorIbN2at6native12_GLOBAL__N_19NonZeroOpIhEEPKhlEENS0_5tupleIJPlS6_EEENSN_IJSD_SD_EEES6_PiJS6_EEE10hipError_tPvRmT3_T4_T5_T6_T7_T9_mT8_P12ihipStream_tbDpT10_ENKUlT_T0_E_clISt17integral_constantIbLb0EES1A_IbLb1EEEEDaS16_S17_EUlS16_E_NS1_11comp_targetILNS1_3genE4ELNS1_11target_archE910ELNS1_3gpuE8ELNS1_3repE0EEENS1_30default_config_static_selectorELNS0_4arch9wavefront6targetE0EEEvT1_,comdat
	.globl	_ZN7rocprim17ROCPRIM_400000_NS6detail17trampoline_kernelINS0_14default_configENS1_25partition_config_selectorILNS1_17partition_subalgoE5ElNS0_10empty_typeEbEEZZNS1_14partition_implILS5_5ELb0ES3_mN6hipcub16HIPCUB_304000_NS21CountingInputIteratorIllEEPS6_NSA_22TransformInputIteratorIbN2at6native12_GLOBAL__N_19NonZeroOpIhEEPKhlEENS0_5tupleIJPlS6_EEENSN_IJSD_SD_EEES6_PiJS6_EEE10hipError_tPvRmT3_T4_T5_T6_T7_T9_mT8_P12ihipStream_tbDpT10_ENKUlT_T0_E_clISt17integral_constantIbLb0EES1A_IbLb1EEEEDaS16_S17_EUlS16_E_NS1_11comp_targetILNS1_3genE4ELNS1_11target_archE910ELNS1_3gpuE8ELNS1_3repE0EEENS1_30default_config_static_selectorELNS0_4arch9wavefront6targetE0EEEvT1_ ; -- Begin function _ZN7rocprim17ROCPRIM_400000_NS6detail17trampoline_kernelINS0_14default_configENS1_25partition_config_selectorILNS1_17partition_subalgoE5ElNS0_10empty_typeEbEEZZNS1_14partition_implILS5_5ELb0ES3_mN6hipcub16HIPCUB_304000_NS21CountingInputIteratorIllEEPS6_NSA_22TransformInputIteratorIbN2at6native12_GLOBAL__N_19NonZeroOpIhEEPKhlEENS0_5tupleIJPlS6_EEENSN_IJSD_SD_EEES6_PiJS6_EEE10hipError_tPvRmT3_T4_T5_T6_T7_T9_mT8_P12ihipStream_tbDpT10_ENKUlT_T0_E_clISt17integral_constantIbLb0EES1A_IbLb1EEEEDaS16_S17_EUlS16_E_NS1_11comp_targetILNS1_3genE4ELNS1_11target_archE910ELNS1_3gpuE8ELNS1_3repE0EEENS1_30default_config_static_selectorELNS0_4arch9wavefront6targetE0EEEvT1_
	.p2align	8
	.type	_ZN7rocprim17ROCPRIM_400000_NS6detail17trampoline_kernelINS0_14default_configENS1_25partition_config_selectorILNS1_17partition_subalgoE5ElNS0_10empty_typeEbEEZZNS1_14partition_implILS5_5ELb0ES3_mN6hipcub16HIPCUB_304000_NS21CountingInputIteratorIllEEPS6_NSA_22TransformInputIteratorIbN2at6native12_GLOBAL__N_19NonZeroOpIhEEPKhlEENS0_5tupleIJPlS6_EEENSN_IJSD_SD_EEES6_PiJS6_EEE10hipError_tPvRmT3_T4_T5_T6_T7_T9_mT8_P12ihipStream_tbDpT10_ENKUlT_T0_E_clISt17integral_constantIbLb0EES1A_IbLb1EEEEDaS16_S17_EUlS16_E_NS1_11comp_targetILNS1_3genE4ELNS1_11target_archE910ELNS1_3gpuE8ELNS1_3repE0EEENS1_30default_config_static_selectorELNS0_4arch9wavefront6targetE0EEEvT1_,@function
_ZN7rocprim17ROCPRIM_400000_NS6detail17trampoline_kernelINS0_14default_configENS1_25partition_config_selectorILNS1_17partition_subalgoE5ElNS0_10empty_typeEbEEZZNS1_14partition_implILS5_5ELb0ES3_mN6hipcub16HIPCUB_304000_NS21CountingInputIteratorIllEEPS6_NSA_22TransformInputIteratorIbN2at6native12_GLOBAL__N_19NonZeroOpIhEEPKhlEENS0_5tupleIJPlS6_EEENSN_IJSD_SD_EEES6_PiJS6_EEE10hipError_tPvRmT3_T4_T5_T6_T7_T9_mT8_P12ihipStream_tbDpT10_ENKUlT_T0_E_clISt17integral_constantIbLb0EES1A_IbLb1EEEEDaS16_S17_EUlS16_E_NS1_11comp_targetILNS1_3genE4ELNS1_11target_archE910ELNS1_3gpuE8ELNS1_3repE0EEENS1_30default_config_static_selectorELNS0_4arch9wavefront6targetE0EEEvT1_: ; @_ZN7rocprim17ROCPRIM_400000_NS6detail17trampoline_kernelINS0_14default_configENS1_25partition_config_selectorILNS1_17partition_subalgoE5ElNS0_10empty_typeEbEEZZNS1_14partition_implILS5_5ELb0ES3_mN6hipcub16HIPCUB_304000_NS21CountingInputIteratorIllEEPS6_NSA_22TransformInputIteratorIbN2at6native12_GLOBAL__N_19NonZeroOpIhEEPKhlEENS0_5tupleIJPlS6_EEENSN_IJSD_SD_EEES6_PiJS6_EEE10hipError_tPvRmT3_T4_T5_T6_T7_T9_mT8_P12ihipStream_tbDpT10_ENKUlT_T0_E_clISt17integral_constantIbLb0EES1A_IbLb1EEEEDaS16_S17_EUlS16_E_NS1_11comp_targetILNS1_3genE4ELNS1_11target_archE910ELNS1_3gpuE8ELNS1_3repE0EEENS1_30default_config_static_selectorELNS0_4arch9wavefront6targetE0EEEvT1_
; %bb.0:
	.section	.rodata,"a",@progbits
	.p2align	6, 0x0
	.amdhsa_kernel _ZN7rocprim17ROCPRIM_400000_NS6detail17trampoline_kernelINS0_14default_configENS1_25partition_config_selectorILNS1_17partition_subalgoE5ElNS0_10empty_typeEbEEZZNS1_14partition_implILS5_5ELb0ES3_mN6hipcub16HIPCUB_304000_NS21CountingInputIteratorIllEEPS6_NSA_22TransformInputIteratorIbN2at6native12_GLOBAL__N_19NonZeroOpIhEEPKhlEENS0_5tupleIJPlS6_EEENSN_IJSD_SD_EEES6_PiJS6_EEE10hipError_tPvRmT3_T4_T5_T6_T7_T9_mT8_P12ihipStream_tbDpT10_ENKUlT_T0_E_clISt17integral_constantIbLb0EES1A_IbLb1EEEEDaS16_S17_EUlS16_E_NS1_11comp_targetILNS1_3genE4ELNS1_11target_archE910ELNS1_3gpuE8ELNS1_3repE0EEENS1_30default_config_static_selectorELNS0_4arch9wavefront6targetE0EEEvT1_
		.amdhsa_group_segment_fixed_size 0
		.amdhsa_private_segment_fixed_size 0
		.amdhsa_kernarg_size 136
		.amdhsa_user_sgpr_count 15
		.amdhsa_user_sgpr_dispatch_ptr 0
		.amdhsa_user_sgpr_queue_ptr 0
		.amdhsa_user_sgpr_kernarg_segment_ptr 1
		.amdhsa_user_sgpr_dispatch_id 0
		.amdhsa_user_sgpr_private_segment_size 0
		.amdhsa_wavefront_size32 1
		.amdhsa_uses_dynamic_stack 0
		.amdhsa_enable_private_segment 0
		.amdhsa_system_sgpr_workgroup_id_x 1
		.amdhsa_system_sgpr_workgroup_id_y 0
		.amdhsa_system_sgpr_workgroup_id_z 0
		.amdhsa_system_sgpr_workgroup_info 0
		.amdhsa_system_vgpr_workitem_id 0
		.amdhsa_next_free_vgpr 1
		.amdhsa_next_free_sgpr 1
		.amdhsa_reserve_vcc 0
		.amdhsa_float_round_mode_32 0
		.amdhsa_float_round_mode_16_64 0
		.amdhsa_float_denorm_mode_32 3
		.amdhsa_float_denorm_mode_16_64 3
		.amdhsa_dx10_clamp 1
		.amdhsa_ieee_mode 1
		.amdhsa_fp16_overflow 0
		.amdhsa_workgroup_processor_mode 1
		.amdhsa_memory_ordered 1
		.amdhsa_forward_progress 0
		.amdhsa_shared_vgpr_count 0
		.amdhsa_exception_fp_ieee_invalid_op 0
		.amdhsa_exception_fp_denorm_src 0
		.amdhsa_exception_fp_ieee_div_zero 0
		.amdhsa_exception_fp_ieee_overflow 0
		.amdhsa_exception_fp_ieee_underflow 0
		.amdhsa_exception_fp_ieee_inexact 0
		.amdhsa_exception_int_div_zero 0
	.end_amdhsa_kernel
	.section	.text._ZN7rocprim17ROCPRIM_400000_NS6detail17trampoline_kernelINS0_14default_configENS1_25partition_config_selectorILNS1_17partition_subalgoE5ElNS0_10empty_typeEbEEZZNS1_14partition_implILS5_5ELb0ES3_mN6hipcub16HIPCUB_304000_NS21CountingInputIteratorIllEEPS6_NSA_22TransformInputIteratorIbN2at6native12_GLOBAL__N_19NonZeroOpIhEEPKhlEENS0_5tupleIJPlS6_EEENSN_IJSD_SD_EEES6_PiJS6_EEE10hipError_tPvRmT3_T4_T5_T6_T7_T9_mT8_P12ihipStream_tbDpT10_ENKUlT_T0_E_clISt17integral_constantIbLb0EES1A_IbLb1EEEEDaS16_S17_EUlS16_E_NS1_11comp_targetILNS1_3genE4ELNS1_11target_archE910ELNS1_3gpuE8ELNS1_3repE0EEENS1_30default_config_static_selectorELNS0_4arch9wavefront6targetE0EEEvT1_,"axG",@progbits,_ZN7rocprim17ROCPRIM_400000_NS6detail17trampoline_kernelINS0_14default_configENS1_25partition_config_selectorILNS1_17partition_subalgoE5ElNS0_10empty_typeEbEEZZNS1_14partition_implILS5_5ELb0ES3_mN6hipcub16HIPCUB_304000_NS21CountingInputIteratorIllEEPS6_NSA_22TransformInputIteratorIbN2at6native12_GLOBAL__N_19NonZeroOpIhEEPKhlEENS0_5tupleIJPlS6_EEENSN_IJSD_SD_EEES6_PiJS6_EEE10hipError_tPvRmT3_T4_T5_T6_T7_T9_mT8_P12ihipStream_tbDpT10_ENKUlT_T0_E_clISt17integral_constantIbLb0EES1A_IbLb1EEEEDaS16_S17_EUlS16_E_NS1_11comp_targetILNS1_3genE4ELNS1_11target_archE910ELNS1_3gpuE8ELNS1_3repE0EEENS1_30default_config_static_selectorELNS0_4arch9wavefront6targetE0EEEvT1_,comdat
.Lfunc_end75:
	.size	_ZN7rocprim17ROCPRIM_400000_NS6detail17trampoline_kernelINS0_14default_configENS1_25partition_config_selectorILNS1_17partition_subalgoE5ElNS0_10empty_typeEbEEZZNS1_14partition_implILS5_5ELb0ES3_mN6hipcub16HIPCUB_304000_NS21CountingInputIteratorIllEEPS6_NSA_22TransformInputIteratorIbN2at6native12_GLOBAL__N_19NonZeroOpIhEEPKhlEENS0_5tupleIJPlS6_EEENSN_IJSD_SD_EEES6_PiJS6_EEE10hipError_tPvRmT3_T4_T5_T6_T7_T9_mT8_P12ihipStream_tbDpT10_ENKUlT_T0_E_clISt17integral_constantIbLb0EES1A_IbLb1EEEEDaS16_S17_EUlS16_E_NS1_11comp_targetILNS1_3genE4ELNS1_11target_archE910ELNS1_3gpuE8ELNS1_3repE0EEENS1_30default_config_static_selectorELNS0_4arch9wavefront6targetE0EEEvT1_, .Lfunc_end75-_ZN7rocprim17ROCPRIM_400000_NS6detail17trampoline_kernelINS0_14default_configENS1_25partition_config_selectorILNS1_17partition_subalgoE5ElNS0_10empty_typeEbEEZZNS1_14partition_implILS5_5ELb0ES3_mN6hipcub16HIPCUB_304000_NS21CountingInputIteratorIllEEPS6_NSA_22TransformInputIteratorIbN2at6native12_GLOBAL__N_19NonZeroOpIhEEPKhlEENS0_5tupleIJPlS6_EEENSN_IJSD_SD_EEES6_PiJS6_EEE10hipError_tPvRmT3_T4_T5_T6_T7_T9_mT8_P12ihipStream_tbDpT10_ENKUlT_T0_E_clISt17integral_constantIbLb0EES1A_IbLb1EEEEDaS16_S17_EUlS16_E_NS1_11comp_targetILNS1_3genE4ELNS1_11target_archE910ELNS1_3gpuE8ELNS1_3repE0EEENS1_30default_config_static_selectorELNS0_4arch9wavefront6targetE0EEEvT1_
                                        ; -- End function
	.section	.AMDGPU.csdata,"",@progbits
; Kernel info:
; codeLenInByte = 0
; NumSgprs: 0
; NumVgprs: 0
; ScratchSize: 0
; MemoryBound: 0
; FloatMode: 240
; IeeeMode: 1
; LDSByteSize: 0 bytes/workgroup (compile time only)
; SGPRBlocks: 0
; VGPRBlocks: 0
; NumSGPRsForWavesPerEU: 1
; NumVGPRsForWavesPerEU: 1
; Occupancy: 15
; WaveLimiterHint : 0
; COMPUTE_PGM_RSRC2:SCRATCH_EN: 0
; COMPUTE_PGM_RSRC2:USER_SGPR: 15
; COMPUTE_PGM_RSRC2:TRAP_HANDLER: 0
; COMPUTE_PGM_RSRC2:TGID_X_EN: 1
; COMPUTE_PGM_RSRC2:TGID_Y_EN: 0
; COMPUTE_PGM_RSRC2:TGID_Z_EN: 0
; COMPUTE_PGM_RSRC2:TIDIG_COMP_CNT: 0
	.section	.text._ZN7rocprim17ROCPRIM_400000_NS6detail17trampoline_kernelINS0_14default_configENS1_25partition_config_selectorILNS1_17partition_subalgoE5ElNS0_10empty_typeEbEEZZNS1_14partition_implILS5_5ELb0ES3_mN6hipcub16HIPCUB_304000_NS21CountingInputIteratorIllEEPS6_NSA_22TransformInputIteratorIbN2at6native12_GLOBAL__N_19NonZeroOpIhEEPKhlEENS0_5tupleIJPlS6_EEENSN_IJSD_SD_EEES6_PiJS6_EEE10hipError_tPvRmT3_T4_T5_T6_T7_T9_mT8_P12ihipStream_tbDpT10_ENKUlT_T0_E_clISt17integral_constantIbLb0EES1A_IbLb1EEEEDaS16_S17_EUlS16_E_NS1_11comp_targetILNS1_3genE3ELNS1_11target_archE908ELNS1_3gpuE7ELNS1_3repE0EEENS1_30default_config_static_selectorELNS0_4arch9wavefront6targetE0EEEvT1_,"axG",@progbits,_ZN7rocprim17ROCPRIM_400000_NS6detail17trampoline_kernelINS0_14default_configENS1_25partition_config_selectorILNS1_17partition_subalgoE5ElNS0_10empty_typeEbEEZZNS1_14partition_implILS5_5ELb0ES3_mN6hipcub16HIPCUB_304000_NS21CountingInputIteratorIllEEPS6_NSA_22TransformInputIteratorIbN2at6native12_GLOBAL__N_19NonZeroOpIhEEPKhlEENS0_5tupleIJPlS6_EEENSN_IJSD_SD_EEES6_PiJS6_EEE10hipError_tPvRmT3_T4_T5_T6_T7_T9_mT8_P12ihipStream_tbDpT10_ENKUlT_T0_E_clISt17integral_constantIbLb0EES1A_IbLb1EEEEDaS16_S17_EUlS16_E_NS1_11comp_targetILNS1_3genE3ELNS1_11target_archE908ELNS1_3gpuE7ELNS1_3repE0EEENS1_30default_config_static_selectorELNS0_4arch9wavefront6targetE0EEEvT1_,comdat
	.globl	_ZN7rocprim17ROCPRIM_400000_NS6detail17trampoline_kernelINS0_14default_configENS1_25partition_config_selectorILNS1_17partition_subalgoE5ElNS0_10empty_typeEbEEZZNS1_14partition_implILS5_5ELb0ES3_mN6hipcub16HIPCUB_304000_NS21CountingInputIteratorIllEEPS6_NSA_22TransformInputIteratorIbN2at6native12_GLOBAL__N_19NonZeroOpIhEEPKhlEENS0_5tupleIJPlS6_EEENSN_IJSD_SD_EEES6_PiJS6_EEE10hipError_tPvRmT3_T4_T5_T6_T7_T9_mT8_P12ihipStream_tbDpT10_ENKUlT_T0_E_clISt17integral_constantIbLb0EES1A_IbLb1EEEEDaS16_S17_EUlS16_E_NS1_11comp_targetILNS1_3genE3ELNS1_11target_archE908ELNS1_3gpuE7ELNS1_3repE0EEENS1_30default_config_static_selectorELNS0_4arch9wavefront6targetE0EEEvT1_ ; -- Begin function _ZN7rocprim17ROCPRIM_400000_NS6detail17trampoline_kernelINS0_14default_configENS1_25partition_config_selectorILNS1_17partition_subalgoE5ElNS0_10empty_typeEbEEZZNS1_14partition_implILS5_5ELb0ES3_mN6hipcub16HIPCUB_304000_NS21CountingInputIteratorIllEEPS6_NSA_22TransformInputIteratorIbN2at6native12_GLOBAL__N_19NonZeroOpIhEEPKhlEENS0_5tupleIJPlS6_EEENSN_IJSD_SD_EEES6_PiJS6_EEE10hipError_tPvRmT3_T4_T5_T6_T7_T9_mT8_P12ihipStream_tbDpT10_ENKUlT_T0_E_clISt17integral_constantIbLb0EES1A_IbLb1EEEEDaS16_S17_EUlS16_E_NS1_11comp_targetILNS1_3genE3ELNS1_11target_archE908ELNS1_3gpuE7ELNS1_3repE0EEENS1_30default_config_static_selectorELNS0_4arch9wavefront6targetE0EEEvT1_
	.p2align	8
	.type	_ZN7rocprim17ROCPRIM_400000_NS6detail17trampoline_kernelINS0_14default_configENS1_25partition_config_selectorILNS1_17partition_subalgoE5ElNS0_10empty_typeEbEEZZNS1_14partition_implILS5_5ELb0ES3_mN6hipcub16HIPCUB_304000_NS21CountingInputIteratorIllEEPS6_NSA_22TransformInputIteratorIbN2at6native12_GLOBAL__N_19NonZeroOpIhEEPKhlEENS0_5tupleIJPlS6_EEENSN_IJSD_SD_EEES6_PiJS6_EEE10hipError_tPvRmT3_T4_T5_T6_T7_T9_mT8_P12ihipStream_tbDpT10_ENKUlT_T0_E_clISt17integral_constantIbLb0EES1A_IbLb1EEEEDaS16_S17_EUlS16_E_NS1_11comp_targetILNS1_3genE3ELNS1_11target_archE908ELNS1_3gpuE7ELNS1_3repE0EEENS1_30default_config_static_selectorELNS0_4arch9wavefront6targetE0EEEvT1_,@function
_ZN7rocprim17ROCPRIM_400000_NS6detail17trampoline_kernelINS0_14default_configENS1_25partition_config_selectorILNS1_17partition_subalgoE5ElNS0_10empty_typeEbEEZZNS1_14partition_implILS5_5ELb0ES3_mN6hipcub16HIPCUB_304000_NS21CountingInputIteratorIllEEPS6_NSA_22TransformInputIteratorIbN2at6native12_GLOBAL__N_19NonZeroOpIhEEPKhlEENS0_5tupleIJPlS6_EEENSN_IJSD_SD_EEES6_PiJS6_EEE10hipError_tPvRmT3_T4_T5_T6_T7_T9_mT8_P12ihipStream_tbDpT10_ENKUlT_T0_E_clISt17integral_constantIbLb0EES1A_IbLb1EEEEDaS16_S17_EUlS16_E_NS1_11comp_targetILNS1_3genE3ELNS1_11target_archE908ELNS1_3gpuE7ELNS1_3repE0EEENS1_30default_config_static_selectorELNS0_4arch9wavefront6targetE0EEEvT1_: ; @_ZN7rocprim17ROCPRIM_400000_NS6detail17trampoline_kernelINS0_14default_configENS1_25partition_config_selectorILNS1_17partition_subalgoE5ElNS0_10empty_typeEbEEZZNS1_14partition_implILS5_5ELb0ES3_mN6hipcub16HIPCUB_304000_NS21CountingInputIteratorIllEEPS6_NSA_22TransformInputIteratorIbN2at6native12_GLOBAL__N_19NonZeroOpIhEEPKhlEENS0_5tupleIJPlS6_EEENSN_IJSD_SD_EEES6_PiJS6_EEE10hipError_tPvRmT3_T4_T5_T6_T7_T9_mT8_P12ihipStream_tbDpT10_ENKUlT_T0_E_clISt17integral_constantIbLb0EES1A_IbLb1EEEEDaS16_S17_EUlS16_E_NS1_11comp_targetILNS1_3genE3ELNS1_11target_archE908ELNS1_3gpuE7ELNS1_3repE0EEENS1_30default_config_static_selectorELNS0_4arch9wavefront6targetE0EEEvT1_
; %bb.0:
	.section	.rodata,"a",@progbits
	.p2align	6, 0x0
	.amdhsa_kernel _ZN7rocprim17ROCPRIM_400000_NS6detail17trampoline_kernelINS0_14default_configENS1_25partition_config_selectorILNS1_17partition_subalgoE5ElNS0_10empty_typeEbEEZZNS1_14partition_implILS5_5ELb0ES3_mN6hipcub16HIPCUB_304000_NS21CountingInputIteratorIllEEPS6_NSA_22TransformInputIteratorIbN2at6native12_GLOBAL__N_19NonZeroOpIhEEPKhlEENS0_5tupleIJPlS6_EEENSN_IJSD_SD_EEES6_PiJS6_EEE10hipError_tPvRmT3_T4_T5_T6_T7_T9_mT8_P12ihipStream_tbDpT10_ENKUlT_T0_E_clISt17integral_constantIbLb0EES1A_IbLb1EEEEDaS16_S17_EUlS16_E_NS1_11comp_targetILNS1_3genE3ELNS1_11target_archE908ELNS1_3gpuE7ELNS1_3repE0EEENS1_30default_config_static_selectorELNS0_4arch9wavefront6targetE0EEEvT1_
		.amdhsa_group_segment_fixed_size 0
		.amdhsa_private_segment_fixed_size 0
		.amdhsa_kernarg_size 136
		.amdhsa_user_sgpr_count 15
		.amdhsa_user_sgpr_dispatch_ptr 0
		.amdhsa_user_sgpr_queue_ptr 0
		.amdhsa_user_sgpr_kernarg_segment_ptr 1
		.amdhsa_user_sgpr_dispatch_id 0
		.amdhsa_user_sgpr_private_segment_size 0
		.amdhsa_wavefront_size32 1
		.amdhsa_uses_dynamic_stack 0
		.amdhsa_enable_private_segment 0
		.amdhsa_system_sgpr_workgroup_id_x 1
		.amdhsa_system_sgpr_workgroup_id_y 0
		.amdhsa_system_sgpr_workgroup_id_z 0
		.amdhsa_system_sgpr_workgroup_info 0
		.amdhsa_system_vgpr_workitem_id 0
		.amdhsa_next_free_vgpr 1
		.amdhsa_next_free_sgpr 1
		.amdhsa_reserve_vcc 0
		.amdhsa_float_round_mode_32 0
		.amdhsa_float_round_mode_16_64 0
		.amdhsa_float_denorm_mode_32 3
		.amdhsa_float_denorm_mode_16_64 3
		.amdhsa_dx10_clamp 1
		.amdhsa_ieee_mode 1
		.amdhsa_fp16_overflow 0
		.amdhsa_workgroup_processor_mode 1
		.amdhsa_memory_ordered 1
		.amdhsa_forward_progress 0
		.amdhsa_shared_vgpr_count 0
		.amdhsa_exception_fp_ieee_invalid_op 0
		.amdhsa_exception_fp_denorm_src 0
		.amdhsa_exception_fp_ieee_div_zero 0
		.amdhsa_exception_fp_ieee_overflow 0
		.amdhsa_exception_fp_ieee_underflow 0
		.amdhsa_exception_fp_ieee_inexact 0
		.amdhsa_exception_int_div_zero 0
	.end_amdhsa_kernel
	.section	.text._ZN7rocprim17ROCPRIM_400000_NS6detail17trampoline_kernelINS0_14default_configENS1_25partition_config_selectorILNS1_17partition_subalgoE5ElNS0_10empty_typeEbEEZZNS1_14partition_implILS5_5ELb0ES3_mN6hipcub16HIPCUB_304000_NS21CountingInputIteratorIllEEPS6_NSA_22TransformInputIteratorIbN2at6native12_GLOBAL__N_19NonZeroOpIhEEPKhlEENS0_5tupleIJPlS6_EEENSN_IJSD_SD_EEES6_PiJS6_EEE10hipError_tPvRmT3_T4_T5_T6_T7_T9_mT8_P12ihipStream_tbDpT10_ENKUlT_T0_E_clISt17integral_constantIbLb0EES1A_IbLb1EEEEDaS16_S17_EUlS16_E_NS1_11comp_targetILNS1_3genE3ELNS1_11target_archE908ELNS1_3gpuE7ELNS1_3repE0EEENS1_30default_config_static_selectorELNS0_4arch9wavefront6targetE0EEEvT1_,"axG",@progbits,_ZN7rocprim17ROCPRIM_400000_NS6detail17trampoline_kernelINS0_14default_configENS1_25partition_config_selectorILNS1_17partition_subalgoE5ElNS0_10empty_typeEbEEZZNS1_14partition_implILS5_5ELb0ES3_mN6hipcub16HIPCUB_304000_NS21CountingInputIteratorIllEEPS6_NSA_22TransformInputIteratorIbN2at6native12_GLOBAL__N_19NonZeroOpIhEEPKhlEENS0_5tupleIJPlS6_EEENSN_IJSD_SD_EEES6_PiJS6_EEE10hipError_tPvRmT3_T4_T5_T6_T7_T9_mT8_P12ihipStream_tbDpT10_ENKUlT_T0_E_clISt17integral_constantIbLb0EES1A_IbLb1EEEEDaS16_S17_EUlS16_E_NS1_11comp_targetILNS1_3genE3ELNS1_11target_archE908ELNS1_3gpuE7ELNS1_3repE0EEENS1_30default_config_static_selectorELNS0_4arch9wavefront6targetE0EEEvT1_,comdat
.Lfunc_end76:
	.size	_ZN7rocprim17ROCPRIM_400000_NS6detail17trampoline_kernelINS0_14default_configENS1_25partition_config_selectorILNS1_17partition_subalgoE5ElNS0_10empty_typeEbEEZZNS1_14partition_implILS5_5ELb0ES3_mN6hipcub16HIPCUB_304000_NS21CountingInputIteratorIllEEPS6_NSA_22TransformInputIteratorIbN2at6native12_GLOBAL__N_19NonZeroOpIhEEPKhlEENS0_5tupleIJPlS6_EEENSN_IJSD_SD_EEES6_PiJS6_EEE10hipError_tPvRmT3_T4_T5_T6_T7_T9_mT8_P12ihipStream_tbDpT10_ENKUlT_T0_E_clISt17integral_constantIbLb0EES1A_IbLb1EEEEDaS16_S17_EUlS16_E_NS1_11comp_targetILNS1_3genE3ELNS1_11target_archE908ELNS1_3gpuE7ELNS1_3repE0EEENS1_30default_config_static_selectorELNS0_4arch9wavefront6targetE0EEEvT1_, .Lfunc_end76-_ZN7rocprim17ROCPRIM_400000_NS6detail17trampoline_kernelINS0_14default_configENS1_25partition_config_selectorILNS1_17partition_subalgoE5ElNS0_10empty_typeEbEEZZNS1_14partition_implILS5_5ELb0ES3_mN6hipcub16HIPCUB_304000_NS21CountingInputIteratorIllEEPS6_NSA_22TransformInputIteratorIbN2at6native12_GLOBAL__N_19NonZeroOpIhEEPKhlEENS0_5tupleIJPlS6_EEENSN_IJSD_SD_EEES6_PiJS6_EEE10hipError_tPvRmT3_T4_T5_T6_T7_T9_mT8_P12ihipStream_tbDpT10_ENKUlT_T0_E_clISt17integral_constantIbLb0EES1A_IbLb1EEEEDaS16_S17_EUlS16_E_NS1_11comp_targetILNS1_3genE3ELNS1_11target_archE908ELNS1_3gpuE7ELNS1_3repE0EEENS1_30default_config_static_selectorELNS0_4arch9wavefront6targetE0EEEvT1_
                                        ; -- End function
	.section	.AMDGPU.csdata,"",@progbits
; Kernel info:
; codeLenInByte = 0
; NumSgprs: 0
; NumVgprs: 0
; ScratchSize: 0
; MemoryBound: 0
; FloatMode: 240
; IeeeMode: 1
; LDSByteSize: 0 bytes/workgroup (compile time only)
; SGPRBlocks: 0
; VGPRBlocks: 0
; NumSGPRsForWavesPerEU: 1
; NumVGPRsForWavesPerEU: 1
; Occupancy: 16
; WaveLimiterHint : 0
; COMPUTE_PGM_RSRC2:SCRATCH_EN: 0
; COMPUTE_PGM_RSRC2:USER_SGPR: 15
; COMPUTE_PGM_RSRC2:TRAP_HANDLER: 0
; COMPUTE_PGM_RSRC2:TGID_X_EN: 1
; COMPUTE_PGM_RSRC2:TGID_Y_EN: 0
; COMPUTE_PGM_RSRC2:TGID_Z_EN: 0
; COMPUTE_PGM_RSRC2:TIDIG_COMP_CNT: 0
	.section	.text._ZN7rocprim17ROCPRIM_400000_NS6detail17trampoline_kernelINS0_14default_configENS1_25partition_config_selectorILNS1_17partition_subalgoE5ElNS0_10empty_typeEbEEZZNS1_14partition_implILS5_5ELb0ES3_mN6hipcub16HIPCUB_304000_NS21CountingInputIteratorIllEEPS6_NSA_22TransformInputIteratorIbN2at6native12_GLOBAL__N_19NonZeroOpIhEEPKhlEENS0_5tupleIJPlS6_EEENSN_IJSD_SD_EEES6_PiJS6_EEE10hipError_tPvRmT3_T4_T5_T6_T7_T9_mT8_P12ihipStream_tbDpT10_ENKUlT_T0_E_clISt17integral_constantIbLb0EES1A_IbLb1EEEEDaS16_S17_EUlS16_E_NS1_11comp_targetILNS1_3genE2ELNS1_11target_archE906ELNS1_3gpuE6ELNS1_3repE0EEENS1_30default_config_static_selectorELNS0_4arch9wavefront6targetE0EEEvT1_,"axG",@progbits,_ZN7rocprim17ROCPRIM_400000_NS6detail17trampoline_kernelINS0_14default_configENS1_25partition_config_selectorILNS1_17partition_subalgoE5ElNS0_10empty_typeEbEEZZNS1_14partition_implILS5_5ELb0ES3_mN6hipcub16HIPCUB_304000_NS21CountingInputIteratorIllEEPS6_NSA_22TransformInputIteratorIbN2at6native12_GLOBAL__N_19NonZeroOpIhEEPKhlEENS0_5tupleIJPlS6_EEENSN_IJSD_SD_EEES6_PiJS6_EEE10hipError_tPvRmT3_T4_T5_T6_T7_T9_mT8_P12ihipStream_tbDpT10_ENKUlT_T0_E_clISt17integral_constantIbLb0EES1A_IbLb1EEEEDaS16_S17_EUlS16_E_NS1_11comp_targetILNS1_3genE2ELNS1_11target_archE906ELNS1_3gpuE6ELNS1_3repE0EEENS1_30default_config_static_selectorELNS0_4arch9wavefront6targetE0EEEvT1_,comdat
	.globl	_ZN7rocprim17ROCPRIM_400000_NS6detail17trampoline_kernelINS0_14default_configENS1_25partition_config_selectorILNS1_17partition_subalgoE5ElNS0_10empty_typeEbEEZZNS1_14partition_implILS5_5ELb0ES3_mN6hipcub16HIPCUB_304000_NS21CountingInputIteratorIllEEPS6_NSA_22TransformInputIteratorIbN2at6native12_GLOBAL__N_19NonZeroOpIhEEPKhlEENS0_5tupleIJPlS6_EEENSN_IJSD_SD_EEES6_PiJS6_EEE10hipError_tPvRmT3_T4_T5_T6_T7_T9_mT8_P12ihipStream_tbDpT10_ENKUlT_T0_E_clISt17integral_constantIbLb0EES1A_IbLb1EEEEDaS16_S17_EUlS16_E_NS1_11comp_targetILNS1_3genE2ELNS1_11target_archE906ELNS1_3gpuE6ELNS1_3repE0EEENS1_30default_config_static_selectorELNS0_4arch9wavefront6targetE0EEEvT1_ ; -- Begin function _ZN7rocprim17ROCPRIM_400000_NS6detail17trampoline_kernelINS0_14default_configENS1_25partition_config_selectorILNS1_17partition_subalgoE5ElNS0_10empty_typeEbEEZZNS1_14partition_implILS5_5ELb0ES3_mN6hipcub16HIPCUB_304000_NS21CountingInputIteratorIllEEPS6_NSA_22TransformInputIteratorIbN2at6native12_GLOBAL__N_19NonZeroOpIhEEPKhlEENS0_5tupleIJPlS6_EEENSN_IJSD_SD_EEES6_PiJS6_EEE10hipError_tPvRmT3_T4_T5_T6_T7_T9_mT8_P12ihipStream_tbDpT10_ENKUlT_T0_E_clISt17integral_constantIbLb0EES1A_IbLb1EEEEDaS16_S17_EUlS16_E_NS1_11comp_targetILNS1_3genE2ELNS1_11target_archE906ELNS1_3gpuE6ELNS1_3repE0EEENS1_30default_config_static_selectorELNS0_4arch9wavefront6targetE0EEEvT1_
	.p2align	8
	.type	_ZN7rocprim17ROCPRIM_400000_NS6detail17trampoline_kernelINS0_14default_configENS1_25partition_config_selectorILNS1_17partition_subalgoE5ElNS0_10empty_typeEbEEZZNS1_14partition_implILS5_5ELb0ES3_mN6hipcub16HIPCUB_304000_NS21CountingInputIteratorIllEEPS6_NSA_22TransformInputIteratorIbN2at6native12_GLOBAL__N_19NonZeroOpIhEEPKhlEENS0_5tupleIJPlS6_EEENSN_IJSD_SD_EEES6_PiJS6_EEE10hipError_tPvRmT3_T4_T5_T6_T7_T9_mT8_P12ihipStream_tbDpT10_ENKUlT_T0_E_clISt17integral_constantIbLb0EES1A_IbLb1EEEEDaS16_S17_EUlS16_E_NS1_11comp_targetILNS1_3genE2ELNS1_11target_archE906ELNS1_3gpuE6ELNS1_3repE0EEENS1_30default_config_static_selectorELNS0_4arch9wavefront6targetE0EEEvT1_,@function
_ZN7rocprim17ROCPRIM_400000_NS6detail17trampoline_kernelINS0_14default_configENS1_25partition_config_selectorILNS1_17partition_subalgoE5ElNS0_10empty_typeEbEEZZNS1_14partition_implILS5_5ELb0ES3_mN6hipcub16HIPCUB_304000_NS21CountingInputIteratorIllEEPS6_NSA_22TransformInputIteratorIbN2at6native12_GLOBAL__N_19NonZeroOpIhEEPKhlEENS0_5tupleIJPlS6_EEENSN_IJSD_SD_EEES6_PiJS6_EEE10hipError_tPvRmT3_T4_T5_T6_T7_T9_mT8_P12ihipStream_tbDpT10_ENKUlT_T0_E_clISt17integral_constantIbLb0EES1A_IbLb1EEEEDaS16_S17_EUlS16_E_NS1_11comp_targetILNS1_3genE2ELNS1_11target_archE906ELNS1_3gpuE6ELNS1_3repE0EEENS1_30default_config_static_selectorELNS0_4arch9wavefront6targetE0EEEvT1_: ; @_ZN7rocprim17ROCPRIM_400000_NS6detail17trampoline_kernelINS0_14default_configENS1_25partition_config_selectorILNS1_17partition_subalgoE5ElNS0_10empty_typeEbEEZZNS1_14partition_implILS5_5ELb0ES3_mN6hipcub16HIPCUB_304000_NS21CountingInputIteratorIllEEPS6_NSA_22TransformInputIteratorIbN2at6native12_GLOBAL__N_19NonZeroOpIhEEPKhlEENS0_5tupleIJPlS6_EEENSN_IJSD_SD_EEES6_PiJS6_EEE10hipError_tPvRmT3_T4_T5_T6_T7_T9_mT8_P12ihipStream_tbDpT10_ENKUlT_T0_E_clISt17integral_constantIbLb0EES1A_IbLb1EEEEDaS16_S17_EUlS16_E_NS1_11comp_targetILNS1_3genE2ELNS1_11target_archE906ELNS1_3gpuE6ELNS1_3repE0EEENS1_30default_config_static_selectorELNS0_4arch9wavefront6targetE0EEEvT1_
; %bb.0:
	.section	.rodata,"a",@progbits
	.p2align	6, 0x0
	.amdhsa_kernel _ZN7rocprim17ROCPRIM_400000_NS6detail17trampoline_kernelINS0_14default_configENS1_25partition_config_selectorILNS1_17partition_subalgoE5ElNS0_10empty_typeEbEEZZNS1_14partition_implILS5_5ELb0ES3_mN6hipcub16HIPCUB_304000_NS21CountingInputIteratorIllEEPS6_NSA_22TransformInputIteratorIbN2at6native12_GLOBAL__N_19NonZeroOpIhEEPKhlEENS0_5tupleIJPlS6_EEENSN_IJSD_SD_EEES6_PiJS6_EEE10hipError_tPvRmT3_T4_T5_T6_T7_T9_mT8_P12ihipStream_tbDpT10_ENKUlT_T0_E_clISt17integral_constantIbLb0EES1A_IbLb1EEEEDaS16_S17_EUlS16_E_NS1_11comp_targetILNS1_3genE2ELNS1_11target_archE906ELNS1_3gpuE6ELNS1_3repE0EEENS1_30default_config_static_selectorELNS0_4arch9wavefront6targetE0EEEvT1_
		.amdhsa_group_segment_fixed_size 0
		.amdhsa_private_segment_fixed_size 0
		.amdhsa_kernarg_size 136
		.amdhsa_user_sgpr_count 15
		.amdhsa_user_sgpr_dispatch_ptr 0
		.amdhsa_user_sgpr_queue_ptr 0
		.amdhsa_user_sgpr_kernarg_segment_ptr 1
		.amdhsa_user_sgpr_dispatch_id 0
		.amdhsa_user_sgpr_private_segment_size 0
		.amdhsa_wavefront_size32 1
		.amdhsa_uses_dynamic_stack 0
		.amdhsa_enable_private_segment 0
		.amdhsa_system_sgpr_workgroup_id_x 1
		.amdhsa_system_sgpr_workgroup_id_y 0
		.amdhsa_system_sgpr_workgroup_id_z 0
		.amdhsa_system_sgpr_workgroup_info 0
		.amdhsa_system_vgpr_workitem_id 0
		.amdhsa_next_free_vgpr 1
		.amdhsa_next_free_sgpr 1
		.amdhsa_reserve_vcc 0
		.amdhsa_float_round_mode_32 0
		.amdhsa_float_round_mode_16_64 0
		.amdhsa_float_denorm_mode_32 3
		.amdhsa_float_denorm_mode_16_64 3
		.amdhsa_dx10_clamp 1
		.amdhsa_ieee_mode 1
		.amdhsa_fp16_overflow 0
		.amdhsa_workgroup_processor_mode 1
		.amdhsa_memory_ordered 1
		.amdhsa_forward_progress 0
		.amdhsa_shared_vgpr_count 0
		.amdhsa_exception_fp_ieee_invalid_op 0
		.amdhsa_exception_fp_denorm_src 0
		.amdhsa_exception_fp_ieee_div_zero 0
		.amdhsa_exception_fp_ieee_overflow 0
		.amdhsa_exception_fp_ieee_underflow 0
		.amdhsa_exception_fp_ieee_inexact 0
		.amdhsa_exception_int_div_zero 0
	.end_amdhsa_kernel
	.section	.text._ZN7rocprim17ROCPRIM_400000_NS6detail17trampoline_kernelINS0_14default_configENS1_25partition_config_selectorILNS1_17partition_subalgoE5ElNS0_10empty_typeEbEEZZNS1_14partition_implILS5_5ELb0ES3_mN6hipcub16HIPCUB_304000_NS21CountingInputIteratorIllEEPS6_NSA_22TransformInputIteratorIbN2at6native12_GLOBAL__N_19NonZeroOpIhEEPKhlEENS0_5tupleIJPlS6_EEENSN_IJSD_SD_EEES6_PiJS6_EEE10hipError_tPvRmT3_T4_T5_T6_T7_T9_mT8_P12ihipStream_tbDpT10_ENKUlT_T0_E_clISt17integral_constantIbLb0EES1A_IbLb1EEEEDaS16_S17_EUlS16_E_NS1_11comp_targetILNS1_3genE2ELNS1_11target_archE906ELNS1_3gpuE6ELNS1_3repE0EEENS1_30default_config_static_selectorELNS0_4arch9wavefront6targetE0EEEvT1_,"axG",@progbits,_ZN7rocprim17ROCPRIM_400000_NS6detail17trampoline_kernelINS0_14default_configENS1_25partition_config_selectorILNS1_17partition_subalgoE5ElNS0_10empty_typeEbEEZZNS1_14partition_implILS5_5ELb0ES3_mN6hipcub16HIPCUB_304000_NS21CountingInputIteratorIllEEPS6_NSA_22TransformInputIteratorIbN2at6native12_GLOBAL__N_19NonZeroOpIhEEPKhlEENS0_5tupleIJPlS6_EEENSN_IJSD_SD_EEES6_PiJS6_EEE10hipError_tPvRmT3_T4_T5_T6_T7_T9_mT8_P12ihipStream_tbDpT10_ENKUlT_T0_E_clISt17integral_constantIbLb0EES1A_IbLb1EEEEDaS16_S17_EUlS16_E_NS1_11comp_targetILNS1_3genE2ELNS1_11target_archE906ELNS1_3gpuE6ELNS1_3repE0EEENS1_30default_config_static_selectorELNS0_4arch9wavefront6targetE0EEEvT1_,comdat
.Lfunc_end77:
	.size	_ZN7rocprim17ROCPRIM_400000_NS6detail17trampoline_kernelINS0_14default_configENS1_25partition_config_selectorILNS1_17partition_subalgoE5ElNS0_10empty_typeEbEEZZNS1_14partition_implILS5_5ELb0ES3_mN6hipcub16HIPCUB_304000_NS21CountingInputIteratorIllEEPS6_NSA_22TransformInputIteratorIbN2at6native12_GLOBAL__N_19NonZeroOpIhEEPKhlEENS0_5tupleIJPlS6_EEENSN_IJSD_SD_EEES6_PiJS6_EEE10hipError_tPvRmT3_T4_T5_T6_T7_T9_mT8_P12ihipStream_tbDpT10_ENKUlT_T0_E_clISt17integral_constantIbLb0EES1A_IbLb1EEEEDaS16_S17_EUlS16_E_NS1_11comp_targetILNS1_3genE2ELNS1_11target_archE906ELNS1_3gpuE6ELNS1_3repE0EEENS1_30default_config_static_selectorELNS0_4arch9wavefront6targetE0EEEvT1_, .Lfunc_end77-_ZN7rocprim17ROCPRIM_400000_NS6detail17trampoline_kernelINS0_14default_configENS1_25partition_config_selectorILNS1_17partition_subalgoE5ElNS0_10empty_typeEbEEZZNS1_14partition_implILS5_5ELb0ES3_mN6hipcub16HIPCUB_304000_NS21CountingInputIteratorIllEEPS6_NSA_22TransformInputIteratorIbN2at6native12_GLOBAL__N_19NonZeroOpIhEEPKhlEENS0_5tupleIJPlS6_EEENSN_IJSD_SD_EEES6_PiJS6_EEE10hipError_tPvRmT3_T4_T5_T6_T7_T9_mT8_P12ihipStream_tbDpT10_ENKUlT_T0_E_clISt17integral_constantIbLb0EES1A_IbLb1EEEEDaS16_S17_EUlS16_E_NS1_11comp_targetILNS1_3genE2ELNS1_11target_archE906ELNS1_3gpuE6ELNS1_3repE0EEENS1_30default_config_static_selectorELNS0_4arch9wavefront6targetE0EEEvT1_
                                        ; -- End function
	.section	.AMDGPU.csdata,"",@progbits
; Kernel info:
; codeLenInByte = 0
; NumSgprs: 0
; NumVgprs: 0
; ScratchSize: 0
; MemoryBound: 0
; FloatMode: 240
; IeeeMode: 1
; LDSByteSize: 0 bytes/workgroup (compile time only)
; SGPRBlocks: 0
; VGPRBlocks: 0
; NumSGPRsForWavesPerEU: 1
; NumVGPRsForWavesPerEU: 1
; Occupancy: 16
; WaveLimiterHint : 0
; COMPUTE_PGM_RSRC2:SCRATCH_EN: 0
; COMPUTE_PGM_RSRC2:USER_SGPR: 15
; COMPUTE_PGM_RSRC2:TRAP_HANDLER: 0
; COMPUTE_PGM_RSRC2:TGID_X_EN: 1
; COMPUTE_PGM_RSRC2:TGID_Y_EN: 0
; COMPUTE_PGM_RSRC2:TGID_Z_EN: 0
; COMPUTE_PGM_RSRC2:TIDIG_COMP_CNT: 0
	.section	.text._ZN7rocprim17ROCPRIM_400000_NS6detail17trampoline_kernelINS0_14default_configENS1_25partition_config_selectorILNS1_17partition_subalgoE5ElNS0_10empty_typeEbEEZZNS1_14partition_implILS5_5ELb0ES3_mN6hipcub16HIPCUB_304000_NS21CountingInputIteratorIllEEPS6_NSA_22TransformInputIteratorIbN2at6native12_GLOBAL__N_19NonZeroOpIhEEPKhlEENS0_5tupleIJPlS6_EEENSN_IJSD_SD_EEES6_PiJS6_EEE10hipError_tPvRmT3_T4_T5_T6_T7_T9_mT8_P12ihipStream_tbDpT10_ENKUlT_T0_E_clISt17integral_constantIbLb0EES1A_IbLb1EEEEDaS16_S17_EUlS16_E_NS1_11comp_targetILNS1_3genE10ELNS1_11target_archE1200ELNS1_3gpuE4ELNS1_3repE0EEENS1_30default_config_static_selectorELNS0_4arch9wavefront6targetE0EEEvT1_,"axG",@progbits,_ZN7rocprim17ROCPRIM_400000_NS6detail17trampoline_kernelINS0_14default_configENS1_25partition_config_selectorILNS1_17partition_subalgoE5ElNS0_10empty_typeEbEEZZNS1_14partition_implILS5_5ELb0ES3_mN6hipcub16HIPCUB_304000_NS21CountingInputIteratorIllEEPS6_NSA_22TransformInputIteratorIbN2at6native12_GLOBAL__N_19NonZeroOpIhEEPKhlEENS0_5tupleIJPlS6_EEENSN_IJSD_SD_EEES6_PiJS6_EEE10hipError_tPvRmT3_T4_T5_T6_T7_T9_mT8_P12ihipStream_tbDpT10_ENKUlT_T0_E_clISt17integral_constantIbLb0EES1A_IbLb1EEEEDaS16_S17_EUlS16_E_NS1_11comp_targetILNS1_3genE10ELNS1_11target_archE1200ELNS1_3gpuE4ELNS1_3repE0EEENS1_30default_config_static_selectorELNS0_4arch9wavefront6targetE0EEEvT1_,comdat
	.globl	_ZN7rocprim17ROCPRIM_400000_NS6detail17trampoline_kernelINS0_14default_configENS1_25partition_config_selectorILNS1_17partition_subalgoE5ElNS0_10empty_typeEbEEZZNS1_14partition_implILS5_5ELb0ES3_mN6hipcub16HIPCUB_304000_NS21CountingInputIteratorIllEEPS6_NSA_22TransformInputIteratorIbN2at6native12_GLOBAL__N_19NonZeroOpIhEEPKhlEENS0_5tupleIJPlS6_EEENSN_IJSD_SD_EEES6_PiJS6_EEE10hipError_tPvRmT3_T4_T5_T6_T7_T9_mT8_P12ihipStream_tbDpT10_ENKUlT_T0_E_clISt17integral_constantIbLb0EES1A_IbLb1EEEEDaS16_S17_EUlS16_E_NS1_11comp_targetILNS1_3genE10ELNS1_11target_archE1200ELNS1_3gpuE4ELNS1_3repE0EEENS1_30default_config_static_selectorELNS0_4arch9wavefront6targetE0EEEvT1_ ; -- Begin function _ZN7rocprim17ROCPRIM_400000_NS6detail17trampoline_kernelINS0_14default_configENS1_25partition_config_selectorILNS1_17partition_subalgoE5ElNS0_10empty_typeEbEEZZNS1_14partition_implILS5_5ELb0ES3_mN6hipcub16HIPCUB_304000_NS21CountingInputIteratorIllEEPS6_NSA_22TransformInputIteratorIbN2at6native12_GLOBAL__N_19NonZeroOpIhEEPKhlEENS0_5tupleIJPlS6_EEENSN_IJSD_SD_EEES6_PiJS6_EEE10hipError_tPvRmT3_T4_T5_T6_T7_T9_mT8_P12ihipStream_tbDpT10_ENKUlT_T0_E_clISt17integral_constantIbLb0EES1A_IbLb1EEEEDaS16_S17_EUlS16_E_NS1_11comp_targetILNS1_3genE10ELNS1_11target_archE1200ELNS1_3gpuE4ELNS1_3repE0EEENS1_30default_config_static_selectorELNS0_4arch9wavefront6targetE0EEEvT1_
	.p2align	8
	.type	_ZN7rocprim17ROCPRIM_400000_NS6detail17trampoline_kernelINS0_14default_configENS1_25partition_config_selectorILNS1_17partition_subalgoE5ElNS0_10empty_typeEbEEZZNS1_14partition_implILS5_5ELb0ES3_mN6hipcub16HIPCUB_304000_NS21CountingInputIteratorIllEEPS6_NSA_22TransformInputIteratorIbN2at6native12_GLOBAL__N_19NonZeroOpIhEEPKhlEENS0_5tupleIJPlS6_EEENSN_IJSD_SD_EEES6_PiJS6_EEE10hipError_tPvRmT3_T4_T5_T6_T7_T9_mT8_P12ihipStream_tbDpT10_ENKUlT_T0_E_clISt17integral_constantIbLb0EES1A_IbLb1EEEEDaS16_S17_EUlS16_E_NS1_11comp_targetILNS1_3genE10ELNS1_11target_archE1200ELNS1_3gpuE4ELNS1_3repE0EEENS1_30default_config_static_selectorELNS0_4arch9wavefront6targetE0EEEvT1_,@function
_ZN7rocprim17ROCPRIM_400000_NS6detail17trampoline_kernelINS0_14default_configENS1_25partition_config_selectorILNS1_17partition_subalgoE5ElNS0_10empty_typeEbEEZZNS1_14partition_implILS5_5ELb0ES3_mN6hipcub16HIPCUB_304000_NS21CountingInputIteratorIllEEPS6_NSA_22TransformInputIteratorIbN2at6native12_GLOBAL__N_19NonZeroOpIhEEPKhlEENS0_5tupleIJPlS6_EEENSN_IJSD_SD_EEES6_PiJS6_EEE10hipError_tPvRmT3_T4_T5_T6_T7_T9_mT8_P12ihipStream_tbDpT10_ENKUlT_T0_E_clISt17integral_constantIbLb0EES1A_IbLb1EEEEDaS16_S17_EUlS16_E_NS1_11comp_targetILNS1_3genE10ELNS1_11target_archE1200ELNS1_3gpuE4ELNS1_3repE0EEENS1_30default_config_static_selectorELNS0_4arch9wavefront6targetE0EEEvT1_: ; @_ZN7rocprim17ROCPRIM_400000_NS6detail17trampoline_kernelINS0_14default_configENS1_25partition_config_selectorILNS1_17partition_subalgoE5ElNS0_10empty_typeEbEEZZNS1_14partition_implILS5_5ELb0ES3_mN6hipcub16HIPCUB_304000_NS21CountingInputIteratorIllEEPS6_NSA_22TransformInputIteratorIbN2at6native12_GLOBAL__N_19NonZeroOpIhEEPKhlEENS0_5tupleIJPlS6_EEENSN_IJSD_SD_EEES6_PiJS6_EEE10hipError_tPvRmT3_T4_T5_T6_T7_T9_mT8_P12ihipStream_tbDpT10_ENKUlT_T0_E_clISt17integral_constantIbLb0EES1A_IbLb1EEEEDaS16_S17_EUlS16_E_NS1_11comp_targetILNS1_3genE10ELNS1_11target_archE1200ELNS1_3gpuE4ELNS1_3repE0EEENS1_30default_config_static_selectorELNS0_4arch9wavefront6targetE0EEEvT1_
; %bb.0:
	.section	.rodata,"a",@progbits
	.p2align	6, 0x0
	.amdhsa_kernel _ZN7rocprim17ROCPRIM_400000_NS6detail17trampoline_kernelINS0_14default_configENS1_25partition_config_selectorILNS1_17partition_subalgoE5ElNS0_10empty_typeEbEEZZNS1_14partition_implILS5_5ELb0ES3_mN6hipcub16HIPCUB_304000_NS21CountingInputIteratorIllEEPS6_NSA_22TransformInputIteratorIbN2at6native12_GLOBAL__N_19NonZeroOpIhEEPKhlEENS0_5tupleIJPlS6_EEENSN_IJSD_SD_EEES6_PiJS6_EEE10hipError_tPvRmT3_T4_T5_T6_T7_T9_mT8_P12ihipStream_tbDpT10_ENKUlT_T0_E_clISt17integral_constantIbLb0EES1A_IbLb1EEEEDaS16_S17_EUlS16_E_NS1_11comp_targetILNS1_3genE10ELNS1_11target_archE1200ELNS1_3gpuE4ELNS1_3repE0EEENS1_30default_config_static_selectorELNS0_4arch9wavefront6targetE0EEEvT1_
		.amdhsa_group_segment_fixed_size 0
		.amdhsa_private_segment_fixed_size 0
		.amdhsa_kernarg_size 136
		.amdhsa_user_sgpr_count 15
		.amdhsa_user_sgpr_dispatch_ptr 0
		.amdhsa_user_sgpr_queue_ptr 0
		.amdhsa_user_sgpr_kernarg_segment_ptr 1
		.amdhsa_user_sgpr_dispatch_id 0
		.amdhsa_user_sgpr_private_segment_size 0
		.amdhsa_wavefront_size32 1
		.amdhsa_uses_dynamic_stack 0
		.amdhsa_enable_private_segment 0
		.amdhsa_system_sgpr_workgroup_id_x 1
		.amdhsa_system_sgpr_workgroup_id_y 0
		.amdhsa_system_sgpr_workgroup_id_z 0
		.amdhsa_system_sgpr_workgroup_info 0
		.amdhsa_system_vgpr_workitem_id 0
		.amdhsa_next_free_vgpr 1
		.amdhsa_next_free_sgpr 1
		.amdhsa_reserve_vcc 0
		.amdhsa_float_round_mode_32 0
		.amdhsa_float_round_mode_16_64 0
		.amdhsa_float_denorm_mode_32 3
		.amdhsa_float_denorm_mode_16_64 3
		.amdhsa_dx10_clamp 1
		.amdhsa_ieee_mode 1
		.amdhsa_fp16_overflow 0
		.amdhsa_workgroup_processor_mode 1
		.amdhsa_memory_ordered 1
		.amdhsa_forward_progress 0
		.amdhsa_shared_vgpr_count 0
		.amdhsa_exception_fp_ieee_invalid_op 0
		.amdhsa_exception_fp_denorm_src 0
		.amdhsa_exception_fp_ieee_div_zero 0
		.amdhsa_exception_fp_ieee_overflow 0
		.amdhsa_exception_fp_ieee_underflow 0
		.amdhsa_exception_fp_ieee_inexact 0
		.amdhsa_exception_int_div_zero 0
	.end_amdhsa_kernel
	.section	.text._ZN7rocprim17ROCPRIM_400000_NS6detail17trampoline_kernelINS0_14default_configENS1_25partition_config_selectorILNS1_17partition_subalgoE5ElNS0_10empty_typeEbEEZZNS1_14partition_implILS5_5ELb0ES3_mN6hipcub16HIPCUB_304000_NS21CountingInputIteratorIllEEPS6_NSA_22TransformInputIteratorIbN2at6native12_GLOBAL__N_19NonZeroOpIhEEPKhlEENS0_5tupleIJPlS6_EEENSN_IJSD_SD_EEES6_PiJS6_EEE10hipError_tPvRmT3_T4_T5_T6_T7_T9_mT8_P12ihipStream_tbDpT10_ENKUlT_T0_E_clISt17integral_constantIbLb0EES1A_IbLb1EEEEDaS16_S17_EUlS16_E_NS1_11comp_targetILNS1_3genE10ELNS1_11target_archE1200ELNS1_3gpuE4ELNS1_3repE0EEENS1_30default_config_static_selectorELNS0_4arch9wavefront6targetE0EEEvT1_,"axG",@progbits,_ZN7rocprim17ROCPRIM_400000_NS6detail17trampoline_kernelINS0_14default_configENS1_25partition_config_selectorILNS1_17partition_subalgoE5ElNS0_10empty_typeEbEEZZNS1_14partition_implILS5_5ELb0ES3_mN6hipcub16HIPCUB_304000_NS21CountingInputIteratorIllEEPS6_NSA_22TransformInputIteratorIbN2at6native12_GLOBAL__N_19NonZeroOpIhEEPKhlEENS0_5tupleIJPlS6_EEENSN_IJSD_SD_EEES6_PiJS6_EEE10hipError_tPvRmT3_T4_T5_T6_T7_T9_mT8_P12ihipStream_tbDpT10_ENKUlT_T0_E_clISt17integral_constantIbLb0EES1A_IbLb1EEEEDaS16_S17_EUlS16_E_NS1_11comp_targetILNS1_3genE10ELNS1_11target_archE1200ELNS1_3gpuE4ELNS1_3repE0EEENS1_30default_config_static_selectorELNS0_4arch9wavefront6targetE0EEEvT1_,comdat
.Lfunc_end78:
	.size	_ZN7rocprim17ROCPRIM_400000_NS6detail17trampoline_kernelINS0_14default_configENS1_25partition_config_selectorILNS1_17partition_subalgoE5ElNS0_10empty_typeEbEEZZNS1_14partition_implILS5_5ELb0ES3_mN6hipcub16HIPCUB_304000_NS21CountingInputIteratorIllEEPS6_NSA_22TransformInputIteratorIbN2at6native12_GLOBAL__N_19NonZeroOpIhEEPKhlEENS0_5tupleIJPlS6_EEENSN_IJSD_SD_EEES6_PiJS6_EEE10hipError_tPvRmT3_T4_T5_T6_T7_T9_mT8_P12ihipStream_tbDpT10_ENKUlT_T0_E_clISt17integral_constantIbLb0EES1A_IbLb1EEEEDaS16_S17_EUlS16_E_NS1_11comp_targetILNS1_3genE10ELNS1_11target_archE1200ELNS1_3gpuE4ELNS1_3repE0EEENS1_30default_config_static_selectorELNS0_4arch9wavefront6targetE0EEEvT1_, .Lfunc_end78-_ZN7rocprim17ROCPRIM_400000_NS6detail17trampoline_kernelINS0_14default_configENS1_25partition_config_selectorILNS1_17partition_subalgoE5ElNS0_10empty_typeEbEEZZNS1_14partition_implILS5_5ELb0ES3_mN6hipcub16HIPCUB_304000_NS21CountingInputIteratorIllEEPS6_NSA_22TransformInputIteratorIbN2at6native12_GLOBAL__N_19NonZeroOpIhEEPKhlEENS0_5tupleIJPlS6_EEENSN_IJSD_SD_EEES6_PiJS6_EEE10hipError_tPvRmT3_T4_T5_T6_T7_T9_mT8_P12ihipStream_tbDpT10_ENKUlT_T0_E_clISt17integral_constantIbLb0EES1A_IbLb1EEEEDaS16_S17_EUlS16_E_NS1_11comp_targetILNS1_3genE10ELNS1_11target_archE1200ELNS1_3gpuE4ELNS1_3repE0EEENS1_30default_config_static_selectorELNS0_4arch9wavefront6targetE0EEEvT1_
                                        ; -- End function
	.section	.AMDGPU.csdata,"",@progbits
; Kernel info:
; codeLenInByte = 0
; NumSgprs: 0
; NumVgprs: 0
; ScratchSize: 0
; MemoryBound: 0
; FloatMode: 240
; IeeeMode: 1
; LDSByteSize: 0 bytes/workgroup (compile time only)
; SGPRBlocks: 0
; VGPRBlocks: 0
; NumSGPRsForWavesPerEU: 1
; NumVGPRsForWavesPerEU: 1
; Occupancy: 16
; WaveLimiterHint : 0
; COMPUTE_PGM_RSRC2:SCRATCH_EN: 0
; COMPUTE_PGM_RSRC2:USER_SGPR: 15
; COMPUTE_PGM_RSRC2:TRAP_HANDLER: 0
; COMPUTE_PGM_RSRC2:TGID_X_EN: 1
; COMPUTE_PGM_RSRC2:TGID_Y_EN: 0
; COMPUTE_PGM_RSRC2:TGID_Z_EN: 0
; COMPUTE_PGM_RSRC2:TIDIG_COMP_CNT: 0
	.section	.text._ZN7rocprim17ROCPRIM_400000_NS6detail17trampoline_kernelINS0_14default_configENS1_25partition_config_selectorILNS1_17partition_subalgoE5ElNS0_10empty_typeEbEEZZNS1_14partition_implILS5_5ELb0ES3_mN6hipcub16HIPCUB_304000_NS21CountingInputIteratorIllEEPS6_NSA_22TransformInputIteratorIbN2at6native12_GLOBAL__N_19NonZeroOpIhEEPKhlEENS0_5tupleIJPlS6_EEENSN_IJSD_SD_EEES6_PiJS6_EEE10hipError_tPvRmT3_T4_T5_T6_T7_T9_mT8_P12ihipStream_tbDpT10_ENKUlT_T0_E_clISt17integral_constantIbLb0EES1A_IbLb1EEEEDaS16_S17_EUlS16_E_NS1_11comp_targetILNS1_3genE9ELNS1_11target_archE1100ELNS1_3gpuE3ELNS1_3repE0EEENS1_30default_config_static_selectorELNS0_4arch9wavefront6targetE0EEEvT1_,"axG",@progbits,_ZN7rocprim17ROCPRIM_400000_NS6detail17trampoline_kernelINS0_14default_configENS1_25partition_config_selectorILNS1_17partition_subalgoE5ElNS0_10empty_typeEbEEZZNS1_14partition_implILS5_5ELb0ES3_mN6hipcub16HIPCUB_304000_NS21CountingInputIteratorIllEEPS6_NSA_22TransformInputIteratorIbN2at6native12_GLOBAL__N_19NonZeroOpIhEEPKhlEENS0_5tupleIJPlS6_EEENSN_IJSD_SD_EEES6_PiJS6_EEE10hipError_tPvRmT3_T4_T5_T6_T7_T9_mT8_P12ihipStream_tbDpT10_ENKUlT_T0_E_clISt17integral_constantIbLb0EES1A_IbLb1EEEEDaS16_S17_EUlS16_E_NS1_11comp_targetILNS1_3genE9ELNS1_11target_archE1100ELNS1_3gpuE3ELNS1_3repE0EEENS1_30default_config_static_selectorELNS0_4arch9wavefront6targetE0EEEvT1_,comdat
	.globl	_ZN7rocprim17ROCPRIM_400000_NS6detail17trampoline_kernelINS0_14default_configENS1_25partition_config_selectorILNS1_17partition_subalgoE5ElNS0_10empty_typeEbEEZZNS1_14partition_implILS5_5ELb0ES3_mN6hipcub16HIPCUB_304000_NS21CountingInputIteratorIllEEPS6_NSA_22TransformInputIteratorIbN2at6native12_GLOBAL__N_19NonZeroOpIhEEPKhlEENS0_5tupleIJPlS6_EEENSN_IJSD_SD_EEES6_PiJS6_EEE10hipError_tPvRmT3_T4_T5_T6_T7_T9_mT8_P12ihipStream_tbDpT10_ENKUlT_T0_E_clISt17integral_constantIbLb0EES1A_IbLb1EEEEDaS16_S17_EUlS16_E_NS1_11comp_targetILNS1_3genE9ELNS1_11target_archE1100ELNS1_3gpuE3ELNS1_3repE0EEENS1_30default_config_static_selectorELNS0_4arch9wavefront6targetE0EEEvT1_ ; -- Begin function _ZN7rocprim17ROCPRIM_400000_NS6detail17trampoline_kernelINS0_14default_configENS1_25partition_config_selectorILNS1_17partition_subalgoE5ElNS0_10empty_typeEbEEZZNS1_14partition_implILS5_5ELb0ES3_mN6hipcub16HIPCUB_304000_NS21CountingInputIteratorIllEEPS6_NSA_22TransformInputIteratorIbN2at6native12_GLOBAL__N_19NonZeroOpIhEEPKhlEENS0_5tupleIJPlS6_EEENSN_IJSD_SD_EEES6_PiJS6_EEE10hipError_tPvRmT3_T4_T5_T6_T7_T9_mT8_P12ihipStream_tbDpT10_ENKUlT_T0_E_clISt17integral_constantIbLb0EES1A_IbLb1EEEEDaS16_S17_EUlS16_E_NS1_11comp_targetILNS1_3genE9ELNS1_11target_archE1100ELNS1_3gpuE3ELNS1_3repE0EEENS1_30default_config_static_selectorELNS0_4arch9wavefront6targetE0EEEvT1_
	.p2align	8
	.type	_ZN7rocprim17ROCPRIM_400000_NS6detail17trampoline_kernelINS0_14default_configENS1_25partition_config_selectorILNS1_17partition_subalgoE5ElNS0_10empty_typeEbEEZZNS1_14partition_implILS5_5ELb0ES3_mN6hipcub16HIPCUB_304000_NS21CountingInputIteratorIllEEPS6_NSA_22TransformInputIteratorIbN2at6native12_GLOBAL__N_19NonZeroOpIhEEPKhlEENS0_5tupleIJPlS6_EEENSN_IJSD_SD_EEES6_PiJS6_EEE10hipError_tPvRmT3_T4_T5_T6_T7_T9_mT8_P12ihipStream_tbDpT10_ENKUlT_T0_E_clISt17integral_constantIbLb0EES1A_IbLb1EEEEDaS16_S17_EUlS16_E_NS1_11comp_targetILNS1_3genE9ELNS1_11target_archE1100ELNS1_3gpuE3ELNS1_3repE0EEENS1_30default_config_static_selectorELNS0_4arch9wavefront6targetE0EEEvT1_,@function
_ZN7rocprim17ROCPRIM_400000_NS6detail17trampoline_kernelINS0_14default_configENS1_25partition_config_selectorILNS1_17partition_subalgoE5ElNS0_10empty_typeEbEEZZNS1_14partition_implILS5_5ELb0ES3_mN6hipcub16HIPCUB_304000_NS21CountingInputIteratorIllEEPS6_NSA_22TransformInputIteratorIbN2at6native12_GLOBAL__N_19NonZeroOpIhEEPKhlEENS0_5tupleIJPlS6_EEENSN_IJSD_SD_EEES6_PiJS6_EEE10hipError_tPvRmT3_T4_T5_T6_T7_T9_mT8_P12ihipStream_tbDpT10_ENKUlT_T0_E_clISt17integral_constantIbLb0EES1A_IbLb1EEEEDaS16_S17_EUlS16_E_NS1_11comp_targetILNS1_3genE9ELNS1_11target_archE1100ELNS1_3gpuE3ELNS1_3repE0EEENS1_30default_config_static_selectorELNS0_4arch9wavefront6targetE0EEEvT1_: ; @_ZN7rocprim17ROCPRIM_400000_NS6detail17trampoline_kernelINS0_14default_configENS1_25partition_config_selectorILNS1_17partition_subalgoE5ElNS0_10empty_typeEbEEZZNS1_14partition_implILS5_5ELb0ES3_mN6hipcub16HIPCUB_304000_NS21CountingInputIteratorIllEEPS6_NSA_22TransformInputIteratorIbN2at6native12_GLOBAL__N_19NonZeroOpIhEEPKhlEENS0_5tupleIJPlS6_EEENSN_IJSD_SD_EEES6_PiJS6_EEE10hipError_tPvRmT3_T4_T5_T6_T7_T9_mT8_P12ihipStream_tbDpT10_ENKUlT_T0_E_clISt17integral_constantIbLb0EES1A_IbLb1EEEEDaS16_S17_EUlS16_E_NS1_11comp_targetILNS1_3genE9ELNS1_11target_archE1100ELNS1_3gpuE3ELNS1_3repE0EEENS1_30default_config_static_selectorELNS0_4arch9wavefront6targetE0EEEvT1_
; %bb.0:
	s_clause 0x4
	s_load_b64 s[18:19], s[0:1], 0x20
	s_load_b64 s[12:13], s[0:1], 0x30
	;; [unrolled: 1-line block ×3, first 2 shown]
	s_load_b128 s[4:7], s[0:1], 0x48
	s_load_b64 s[14:15], s[0:1], 0x68
	v_cmp_eq_u32_e64 s2, 0, v0
	s_delay_alu instid0(VALU_DEP_1)
	s_and_saveexec_b32 s3, s2
	s_cbranch_execz .LBB79_4
; %bb.1:
	s_mov_b32 s9, exec_lo
	s_mov_b32 s8, exec_lo
	v_mbcnt_lo_u32_b32 v1, s9, 0
                                        ; implicit-def: $vgpr2
	s_delay_alu instid0(VALU_DEP_1)
	v_cmpx_eq_u32_e32 0, v1
	s_cbranch_execz .LBB79_3
; %bb.2:
	s_load_b64 s[10:11], s[0:1], 0x78
	s_bcnt1_i32_b32 s9, s9
	s_delay_alu instid0(SALU_CYCLE_1)
	v_dual_mov_b32 v2, 0 :: v_dual_mov_b32 v3, s9
	s_waitcnt lgkmcnt(0)
	global_atomic_add_u32 v2, v2, v3, s[10:11] glc
.LBB79_3:
	s_or_b32 exec_lo, exec_lo, s8
	s_waitcnt vmcnt(0)
	v_readfirstlane_b32 s8, v2
	s_delay_alu instid0(VALU_DEP_1)
	v_dual_mov_b32 v2, 0 :: v_dual_add_nc_u32 v1, s8, v1
	ds_store_b32 v2, v1
.LBB79_4:
	s_or_b32 exec_lo, exec_lo, s3
	v_mov_b32_e32 v1, 0
	s_clause 0x1
	s_load_b128 s[8:11], s[0:1], 0x8
	s_load_b32 s0, s[0:1], 0x70
	s_waitcnt lgkmcnt(0)
	s_barrier
	buffer_gl0_inv
	ds_load_b32 v3, v1
	s_waitcnt lgkmcnt(0)
	s_barrier
	buffer_gl0_inv
	global_load_b64 v[1:2], v1, s[6:7]
	s_add_u32 s1, s10, s8
	s_mul_i32 s20, s0, 0x300
	s_addc_u32 s21, s11, s9
	s_add_i32 s0, s0, -1
	s_add_u32 s6, s10, s20
	v_readfirstlane_b32 s9, v3
	s_addc_u32 s7, s11, 0
	s_delay_alu instid0(SALU_CYCLE_1) | instskip(SKIP_1) | instid1(VALU_DEP_2)
	v_cmp_ge_u64_e64 s6, s[6:7], s[16:17]
	s_mov_b32 s17, -1
	s_cmp_eq_u32 s9, s0
	s_mul_i32 s0, s9, 0x300
	s_cselect_b32 s3, -1, 0
	s_delay_alu instid0(VALU_DEP_1) | instid1(SALU_CYCLE_1)
	s_and_b32 s6, s6, s3
	s_delay_alu instid0(SALU_CYCLE_1) | instskip(NEXT) | instid1(SALU_CYCLE_1)
	s_xor_b32 s8, s6, -1
	s_and_b32 vcc_lo, exec_lo, s8
	s_waitcnt vmcnt(0)
	v_readfirstlane_b32 s6, v1
	v_readfirstlane_b32 s7, v2
	s_cbranch_vccz .LBB79_6
; %bb.5:
	s_add_u32 s17, s0, s1
	s_addc_u32 s22, 0, s21
	v_add_co_u32 v1, s17, s17, v0
	s_delay_alu instid0(VALU_DEP_1) | instskip(SKIP_1) | instid1(VALU_DEP_3)
	v_add_co_ci_u32_e64 v2, null, s22, 0, s17
	v_lshlrev_b32_e32 v13, 3, v0
	v_add_co_u32 v3, vcc_lo, 0x80, v1
	s_delay_alu instid0(VALU_DEP_3)
	v_add_co_ci_u32_e32 v4, vcc_lo, 0, v2, vcc_lo
	v_add_co_u32 v5, vcc_lo, 0x100, v1
	v_add_co_ci_u32_e32 v6, vcc_lo, 0, v2, vcc_lo
	v_add_co_u32 v7, vcc_lo, 0x180, v1
	;; [unrolled: 2-line block ×4, first 2 shown]
	v_add_co_ci_u32_e32 v12, vcc_lo, 0, v2, vcc_lo
	ds_store_2addr_stride64_b64 v13, v[1:2], v[3:4] offset1:2
	ds_store_2addr_stride64_b64 v13, v[5:6], v[7:8] offset0:4 offset1:6
	ds_store_2addr_stride64_b64 v13, v[9:10], v[11:12] offset0:8 offset1:10
	s_waitcnt lgkmcnt(0)
	s_mov_b32 s17, 0
	s_barrier
.LBB79_6:
	v_or_b32_e32 v17, 0x100, v0
	v_or_b32_e32 v16, 0x180, v0
	;; [unrolled: 1-line block ×4, first 2 shown]
	s_and_not1_b32 vcc_lo, exec_lo, s17
	s_cbranch_vccnz .LBB79_8
; %bb.7:
	v_or_b32_e32 v3, 0x80, v0
	s_add_u32 s1, s1, s0
	s_addc_u32 s17, s21, 0
	v_add_co_u32 v1, s21, s1, v0
	s_delay_alu instid0(VALU_DEP_1) | instskip(SKIP_1) | instid1(VALU_DEP_1)
	v_add_co_ci_u32_e64 v2, null, s17, 0, s21
	v_add_co_u32 v3, s21, s1, v3
	v_add_co_ci_u32_e64 v4, null, s17, 0, s21
	v_add_co_u32 v5, s21, s1, v17
	s_delay_alu instid0(VALU_DEP_1) | instskip(SKIP_1) | instid1(VALU_DEP_1)
	v_add_co_ci_u32_e64 v6, null, s17, 0, s21
	v_add_co_u32 v7, s21, s1, v16
	v_add_co_ci_u32_e64 v8, null, s17, 0, s21
	v_add_co_u32 v9, s21, s1, v14
	v_lshlrev_b32_e32 v15, 3, v0
	v_add_co_u32 v11, s1, s1, v13
	v_add_co_ci_u32_e64 v10, null, s17, 0, s21
	v_add_co_ci_u32_e64 v12, null, s17, 0, s1
	ds_store_2addr_stride64_b64 v15, v[1:2], v[3:4] offset1:2
	ds_store_2addr_stride64_b64 v15, v[5:6], v[7:8] offset0:4 offset1:6
	ds_store_2addr_stride64_b64 v15, v[9:10], v[11:12] offset0:8 offset1:10
	s_waitcnt lgkmcnt(0)
	s_barrier
.LBB79_8:
	v_mul_u32_u24_e32 v1, 6, v0
	buffer_gl0_inv
	s_add_u32 s1, s18, s10
	s_addc_u32 s11, s19, s11
	s_add_u32 s0, s1, s0
	v_lshlrev_b32_e32 v15, 3, v1
	s_addc_u32 s1, s11, 0
	s_and_b32 vcc_lo, exec_lo, s8
	s_mov_b32 s11, -1
	ds_load_b128 v[9:12], v15
	ds_load_b128 v[5:8], v15 offset:16
	ds_load_b128 v[1:4], v15 offset:32
	s_waitcnt lgkmcnt(0)
	s_barrier
	buffer_gl0_inv
	s_cbranch_vccz .LBB79_10
; %bb.9:
	s_clause 0x5
	global_load_u8 v18, v0, s[0:1]
	global_load_u8 v19, v0, s[0:1] offset:128
	global_load_u8 v20, v0, s[0:1] offset:256
	;; [unrolled: 1-line block ×5, first 2 shown]
	s_mov_b32 s11, 0
	s_waitcnt vmcnt(5)
	v_cmp_ne_u16_e32 vcc_lo, 0, v18
	v_cndmask_b32_e64 v18, 0, 1, vcc_lo
	s_waitcnt vmcnt(4)
	v_cmp_ne_u16_e32 vcc_lo, 0, v19
	v_cndmask_b32_e64 v19, 0, 1, vcc_lo
	;; [unrolled: 3-line block ×6, first 2 shown]
	ds_store_b8 v0, v18
	ds_store_b8 v0, v19 offset:128
	ds_store_b8 v0, v20 offset:256
	;; [unrolled: 1-line block ×5, first 2 shown]
	s_waitcnt lgkmcnt(0)
	s_barrier
.LBB79_10:
	s_and_not1_b32 vcc_lo, exec_lo, s11
	s_cbranch_vccnz .LBB79_24
; %bb.11:
	s_add_i32 s20, s20, s10
	v_dual_mov_b32 v18, 0 :: v_dual_mov_b32 v19, 0
	s_sub_i32 s10, s16, s20
	s_mov_b32 s11, exec_lo
	s_addk_i32 s10, 0x300
	s_delay_alu instid0(SALU_CYCLE_1)
	v_cmpx_gt_u32_e64 s10, v0
	s_cbranch_execz .LBB79_13
; %bb.12:
	global_load_u8 v19, v0, s[0:1]
	s_waitcnt vmcnt(0)
	v_cmp_ne_u16_e32 vcc_lo, 0, v19
	v_cndmask_b32_e64 v19, 0, 1, vcc_lo
.LBB79_13:
	s_or_b32 exec_lo, exec_lo, s11
	v_or_b32_e32 v20, 0x80, v0
	s_mov_b32 s11, exec_lo
	s_delay_alu instid0(VALU_DEP_1)
	v_cmpx_gt_u32_e64 s10, v20
	s_cbranch_execz .LBB79_15
; %bb.14:
	global_load_u8 v18, v0, s[0:1] offset:128
	s_waitcnt vmcnt(0)
	v_cmp_ne_u16_e32 vcc_lo, 0, v18
	v_cndmask_b32_e64 v18, 0, 1, vcc_lo
.LBB79_15:
	s_or_b32 exec_lo, exec_lo, s11
	v_cmp_gt_u32_e32 vcc_lo, s10, v17
	v_dual_mov_b32 v17, 0 :: v_dual_mov_b32 v20, 0
	s_and_saveexec_b32 s11, vcc_lo
	s_cbranch_execz .LBB79_17
; %bb.16:
	global_load_u8 v20, v0, s[0:1] offset:256
	s_waitcnt vmcnt(0)
	v_cmp_ne_u16_e32 vcc_lo, 0, v20
	v_cndmask_b32_e64 v20, 0, 1, vcc_lo
.LBB79_17:
	s_or_b32 exec_lo, exec_lo, s11
	s_delay_alu instid0(SALU_CYCLE_1)
	s_mov_b32 s11, exec_lo
	v_cmpx_gt_u32_e64 s10, v16
	s_cbranch_execz .LBB79_19
; %bb.18:
	global_load_u8 v16, v0, s[0:1] offset:384
	s_waitcnt vmcnt(0)
	v_cmp_ne_u16_e32 vcc_lo, 0, v16
	v_cndmask_b32_e64 v17, 0, 1, vcc_lo
.LBB79_19:
	s_or_b32 exec_lo, exec_lo, s11
	v_cmp_gt_u32_e32 vcc_lo, s10, v14
	v_mov_b32_e32 v14, 0
	v_mov_b32_e32 v16, 0
	s_and_saveexec_b32 s11, vcc_lo
	s_cbranch_execz .LBB79_21
; %bb.20:
	global_load_u8 v16, v0, s[0:1] offset:512
	s_waitcnt vmcnt(0)
	v_cmp_ne_u16_e32 vcc_lo, 0, v16
	v_cndmask_b32_e64 v16, 0, 1, vcc_lo
.LBB79_21:
	s_or_b32 exec_lo, exec_lo, s11
	v_cmp_gt_u32_e32 vcc_lo, s10, v13
	s_and_saveexec_b32 s10, vcc_lo
	s_cbranch_execz .LBB79_23
; %bb.22:
	global_load_u8 v13, v0, s[0:1] offset:640
	s_waitcnt vmcnt(0)
	v_cmp_ne_u16_e32 vcc_lo, 0, v13
	v_cndmask_b32_e64 v14, 0, 1, vcc_lo
.LBB79_23:
	s_or_b32 exec_lo, exec_lo, s10
	ds_store_b8 v0, v19
	ds_store_b8 v0, v18 offset:128
	ds_store_b8 v0, v20 offset:256
	;; [unrolled: 1-line block ×5, first 2 shown]
	s_waitcnt lgkmcnt(0)
	s_barrier
.LBB79_24:
	v_mad_i32_i24 v43, 0xffffffd6, v0, v15
	buffer_gl0_inv
	v_mbcnt_lo_u32_b32 v42, -1, 0
	s_cmp_lg_u32 s9, 0
	s_mov_b32 s1, -1
	ds_load_u16 v36, v43
	ds_load_u16 v33, v43 offset:2
	ds_load_u16 v31, v43 offset:4
	v_mov_b32_e32 v14, 0
	v_and_b32_e32 v44, 15, v42
	s_waitcnt lgkmcnt(0)
	s_barrier
	buffer_gl0_inv
	v_and_b32_e32 v41, 0xff, v36
	v_lshrrev_b16 v34, 8, v36
	v_lshrrev_b16 v35, 8, v33
	v_and_b32_e32 v39, 0xff, v33
	v_lshrrev_b16 v32, 8, v31
	v_and_b32_e32 v37, 0xff, v31
	v_and_b32_e32 v40, 0xffff, v34
	;; [unrolled: 1-line block ×3, first 2 shown]
	s_delay_alu instid0(VALU_DEP_4) | instskip(NEXT) | instid1(VALU_DEP_3)
	v_and_b32_e32 v16, 0xffff, v32
	v_add_co_u32 v13, s0, v40, v41
	s_delay_alu instid0(VALU_DEP_1) | instskip(SKIP_1) | instid1(VALU_DEP_3)
	v_add_co_ci_u32_e64 v15, null, 0, 0, s0
	v_cmp_ne_u32_e64 s0, 0, v44
	v_add_co_u32 v13, vcc_lo, v13, v39
	s_delay_alu instid0(VALU_DEP_3) | instskip(NEXT) | instid1(VALU_DEP_2)
	v_add_co_ci_u32_e32 v15, vcc_lo, 0, v15, vcc_lo
	v_add_co_u32 v13, vcc_lo, v13, v38
	s_delay_alu instid0(VALU_DEP_2) | instskip(NEXT) | instid1(VALU_DEP_2)
	v_add_co_ci_u32_e32 v15, vcc_lo, 0, v15, vcc_lo
	v_add_co_u32 v13, vcc_lo, v13, v37
	s_delay_alu instid0(VALU_DEP_2) | instskip(NEXT) | instid1(VALU_DEP_2)
	v_add_co_ci_u32_e32 v15, vcc_lo, 0, v15, vcc_lo
	v_add_co_u32 v21, vcc_lo, v13, v16
	s_delay_alu instid0(VALU_DEP_2)
	v_add_co_ci_u32_e32 v22, vcc_lo, 0, v15, vcc_lo
	s_cbranch_scc0 .LBB79_88
; %bb.25:
	s_delay_alu instid0(VALU_DEP_2)
	v_mov_b32_e32 v15, v21
	v_mov_b32_dpp v13, v21 row_shr:1 row_mask:0xf bank_mask:0xf
	v_mov_b32_dpp v18, v14 row_shr:1 row_mask:0xf bank_mask:0xf
	v_dual_mov_b32 v17, v21 :: v_dual_mov_b32 v16, v22
	s_and_saveexec_b32 s1, s0
; %bb.26:
	s_delay_alu instid0(VALU_DEP_3) | instskip(SKIP_1) | instid1(VALU_DEP_2)
	v_add_co_u32 v17, vcc_lo, v21, v13
	v_add_co_ci_u32_e32 v14, vcc_lo, 0, v22, vcc_lo
	v_add_co_u32 v13, vcc_lo, 0, v17
	s_delay_alu instid0(VALU_DEP_2) | instskip(NEXT) | instid1(VALU_DEP_1)
	v_add_co_ci_u32_e32 v14, vcc_lo, v18, v14, vcc_lo
	v_dual_mov_b32 v16, v14 :: v_dual_mov_b32 v15, v13
; %bb.27:
	s_or_b32 exec_lo, exec_lo, s1
	v_mov_b32_dpp v13, v17 row_shr:2 row_mask:0xf bank_mask:0xf
	v_mov_b32_dpp v18, v14 row_shr:2 row_mask:0xf bank_mask:0xf
	s_mov_b32 s1, exec_lo
	v_cmpx_lt_u32_e32 1, v44
; %bb.28:
	s_delay_alu instid0(VALU_DEP_3) | instskip(SKIP_1) | instid1(VALU_DEP_2)
	v_add_co_u32 v17, vcc_lo, v15, v13
	v_add_co_ci_u32_e32 v14, vcc_lo, 0, v16, vcc_lo
	v_add_co_u32 v13, vcc_lo, 0, v17
	s_delay_alu instid0(VALU_DEP_2) | instskip(NEXT) | instid1(VALU_DEP_1)
	v_add_co_ci_u32_e32 v14, vcc_lo, v18, v14, vcc_lo
	v_dual_mov_b32 v16, v14 :: v_dual_mov_b32 v15, v13
; %bb.29:
	s_or_b32 exec_lo, exec_lo, s1
	v_mov_b32_dpp v13, v17 row_shr:4 row_mask:0xf bank_mask:0xf
	v_mov_b32_dpp v18, v14 row_shr:4 row_mask:0xf bank_mask:0xf
	s_mov_b32 s1, exec_lo
	v_cmpx_lt_u32_e32 3, v44
	;; [unrolled: 14-line block ×3, first 2 shown]
; %bb.32:
	s_delay_alu instid0(VALU_DEP_3) | instskip(SKIP_1) | instid1(VALU_DEP_2)
	v_add_co_u32 v17, vcc_lo, v15, v18
	v_add_co_ci_u32_e32 v14, vcc_lo, 0, v16, vcc_lo
	v_add_co_u32 v15, vcc_lo, 0, v17
	s_delay_alu instid0(VALU_DEP_2) | instskip(NEXT) | instid1(VALU_DEP_1)
	v_add_co_ci_u32_e32 v16, vcc_lo, v13, v14, vcc_lo
	v_mov_b32_e32 v14, v16
; %bb.33:
	s_or_b32 exec_lo, exec_lo, s1
	ds_swizzle_b32 v13, v17 offset:swizzle(BROADCAST,32,15)
	ds_swizzle_b32 v18, v14 offset:swizzle(BROADCAST,32,15)
	v_and_b32_e32 v19, 16, v42
	s_mov_b32 s1, exec_lo
	s_delay_alu instid0(VALU_DEP_1)
	v_cmpx_ne_u32_e32 0, v19
	s_cbranch_execz .LBB79_35
; %bb.34:
	s_waitcnt lgkmcnt(1)
	v_add_co_u32 v17, vcc_lo, v15, v13
	v_add_co_ci_u32_e32 v14, vcc_lo, 0, v16, vcc_lo
	s_delay_alu instid0(VALU_DEP_2) | instskip(SKIP_1) | instid1(VALU_DEP_2)
	v_add_co_u32 v13, vcc_lo, 0, v17
	s_waitcnt lgkmcnt(0)
	v_add_co_ci_u32_e32 v14, vcc_lo, v18, v14, vcc_lo
	s_delay_alu instid0(VALU_DEP_1)
	v_dual_mov_b32 v16, v14 :: v_dual_mov_b32 v15, v13
.LBB79_35:
	s_or_b32 exec_lo, exec_lo, s1
	s_waitcnt lgkmcnt(0)
	v_or_b32_e32 v18, 31, v0
	v_lshrrev_b32_e32 v13, 5, v0
	s_mov_b32 s1, exec_lo
	s_delay_alu instid0(VALU_DEP_2)
	v_cmpx_eq_u32_e64 v18, v0
	s_cbranch_execz .LBB79_37
; %bb.36:
	s_delay_alu instid0(VALU_DEP_2)
	v_lshlrev_b32_e32 v18, 3, v13
	ds_store_b64 v18, v[15:16]
.LBB79_37:
	s_or_b32 exec_lo, exec_lo, s1
	s_delay_alu instid0(SALU_CYCLE_1)
	s_mov_b32 s1, exec_lo
	s_waitcnt lgkmcnt(0)
	s_barrier
	buffer_gl0_inv
	v_cmpx_gt_u32_e32 4, v0
	s_cbranch_execz .LBB79_43
; %bb.38:
	v_lshlrev_b32_e32 v18, 3, v0
	s_mov_b32 s10, exec_lo
	ds_load_b64 v[15:16], v18
	s_waitcnt lgkmcnt(0)
	v_dual_mov_b32 v20, v15 :: v_dual_and_b32 v19, 3, v42
	v_mov_b32_dpp v24, v15 row_shr:1 row_mask:0xf bank_mask:0xf
	v_mov_b32_dpp v23, v16 row_shr:1 row_mask:0xf bank_mask:0xf
	s_delay_alu instid0(VALU_DEP_3)
	v_cmpx_ne_u32_e32 0, v19
; %bb.39:
	s_delay_alu instid0(VALU_DEP_3) | instskip(SKIP_1) | instid1(VALU_DEP_2)
	v_add_co_u32 v20, vcc_lo, v15, v24
	v_add_co_ci_u32_e32 v16, vcc_lo, 0, v16, vcc_lo
	v_add_co_u32 v15, vcc_lo, 0, v20
	s_delay_alu instid0(VALU_DEP_2)
	v_add_co_ci_u32_e32 v16, vcc_lo, v23, v16, vcc_lo
; %bb.40:
	s_or_b32 exec_lo, exec_lo, s10
	v_mov_b32_dpp v23, v20 row_shr:2 row_mask:0xf bank_mask:0xf
	s_delay_alu instid0(VALU_DEP_2)
	v_mov_b32_dpp v20, v16 row_shr:2 row_mask:0xf bank_mask:0xf
	s_mov_b32 s10, exec_lo
	v_cmpx_lt_u32_e32 1, v19
; %bb.41:
	s_delay_alu instid0(VALU_DEP_3) | instskip(SKIP_1) | instid1(VALU_DEP_2)
	v_add_co_u32 v15, vcc_lo, v15, v23
	v_add_co_ci_u32_e32 v16, vcc_lo, 0, v16, vcc_lo
	v_add_co_u32 v15, vcc_lo, v15, 0
	s_delay_alu instid0(VALU_DEP_2)
	v_add_co_ci_u32_e32 v16, vcc_lo, v16, v20, vcc_lo
; %bb.42:
	s_or_b32 exec_lo, exec_lo, s10
	ds_store_b64 v18, v[15:16]
.LBB79_43:
	s_or_b32 exec_lo, exec_lo, s1
	v_cmp_gt_u32_e32 vcc_lo, 32, v0
	s_mov_b32 s10, exec_lo
	s_waitcnt lgkmcnt(0)
	s_barrier
	buffer_gl0_inv
                                        ; implicit-def: $vgpr23_vgpr24
	v_cmpx_lt_u32_e32 31, v0
	s_cbranch_execz .LBB79_45
; %bb.44:
	v_lshl_add_u32 v13, v13, 3, -8
	ds_load_b64 v[23:24], v13
	s_waitcnt lgkmcnt(0)
	v_add_co_u32 v17, s1, v17, v23
	s_delay_alu instid0(VALU_DEP_1)
	v_add_co_ci_u32_e64 v14, s1, v14, v24, s1
.LBB79_45:
	s_or_b32 exec_lo, exec_lo, s10
	v_add_nc_u32_e32 v13, -1, v42
	s_delay_alu instid0(VALU_DEP_1) | instskip(NEXT) | instid1(VALU_DEP_1)
	v_cmp_gt_i32_e64 s1, 0, v13
	v_cndmask_b32_e64 v13, v13, v42, s1
	v_cmp_eq_u32_e64 s1, 0, v42
	s_delay_alu instid0(VALU_DEP_2)
	v_lshlrev_b32_e32 v13, 2, v13
	ds_bpermute_b32 v29, v13, v17
	ds_bpermute_b32 v30, v13, v14
	s_and_saveexec_b32 s10, vcc_lo
	s_cbranch_execz .LBB79_83
; %bb.46:
	v_mov_b32_e32 v16, 0
	ds_load_b64 v[13:14], v16 offset:24
	s_and_saveexec_b32 s11, s1
	s_cbranch_execz .LBB79_48
; %bb.47:
	s_add_i32 s16, s9, 32
	s_mov_b32 s17, 0
	s_delay_alu instid0(SALU_CYCLE_1) | instskip(NEXT) | instid1(SALU_CYCLE_1)
	s_lshl_b64 s[16:17], s[16:17], 4
	s_add_u32 s16, s14, s16
	s_addc_u32 s17, s15, s17
	s_delay_alu instid0(SALU_CYCLE_1)
	v_dual_mov_b32 v15, 1 :: v_dual_mov_b32 v18, s17
	v_mov_b32_e32 v17, s16
	s_waitcnt lgkmcnt(0)
	;;#ASMSTART
	global_store_dwordx4 v[17:18], v[13:16] off	
s_waitcnt vmcnt(0)
	;;#ASMEND
.LBB79_48:
	s_or_b32 exec_lo, exec_lo, s11
	v_xad_u32 v25, v42, -1, s9
	s_mov_b32 s16, 0
	s_mov_b32 s11, exec_lo
	s_delay_alu instid0(VALU_DEP_1) | instskip(NEXT) | instid1(VALU_DEP_1)
	v_add_nc_u32_e32 v15, 32, v25
	v_lshlrev_b64 v[15:16], 4, v[15:16]
	s_delay_alu instid0(VALU_DEP_1) | instskip(NEXT) | instid1(VALU_DEP_2)
	v_add_co_u32 v15, vcc_lo, s14, v15
	v_add_co_ci_u32_e32 v16, vcc_lo, s15, v16, vcc_lo
	;;#ASMSTART
	global_load_dwordx4 v[17:20], v[15:16] off glc	
s_waitcnt vmcnt(0)
	;;#ASMEND
	v_and_b32_e32 v20, 0xff, v18
	v_and_b32_e32 v26, 0xff00, v18
	v_or3_b32 v17, v17, 0, 0
	v_and_b32_e32 v27, 0xff000000, v18
	v_and_b32_e32 v18, 0xff0000, v18
	s_delay_alu instid0(VALU_DEP_4) | instskip(SKIP_2) | instid1(VALU_DEP_3)
	v_or3_b32 v20, 0, v20, v26
	v_and_b32_e32 v26, 0xff, v19
	v_or3_b32 v17, v17, 0, 0
	v_or3_b32 v18, v20, v18, v27
	s_delay_alu instid0(VALU_DEP_3)
	v_cmpx_eq_u16_e32 0, v26
	s_cbranch_execz .LBB79_51
.LBB79_49:                              ; =>This Inner Loop Header: Depth=1
	;;#ASMSTART
	global_load_dwordx4 v[17:20], v[15:16] off glc	
s_waitcnt vmcnt(0)
	;;#ASMEND
	v_and_b32_e32 v20, 0xff, v19
	s_delay_alu instid0(VALU_DEP_1) | instskip(SKIP_1) | instid1(SALU_CYCLE_1)
	v_cmp_ne_u16_e32 vcc_lo, 0, v20
	s_or_b32 s16, vcc_lo, s16
	s_and_not1_b32 exec_lo, exec_lo, s16
	s_cbranch_execnz .LBB79_49
; %bb.50:
	s_or_b32 exec_lo, exec_lo, s16
.LBB79_51:
	s_delay_alu instid0(SALU_CYCLE_1)
	s_or_b32 exec_lo, exec_lo, s11
	v_cmp_ne_u32_e32 vcc_lo, 31, v42
	v_and_b32_e32 v16, 0xff, v19
	v_lshlrev_b32_e64 v46, v42, -1
	s_mov_b32 s11, exec_lo
	v_add_co_ci_u32_e32 v15, vcc_lo, 0, v42, vcc_lo
	s_delay_alu instid0(VALU_DEP_3) | instskip(NEXT) | instid1(VALU_DEP_2)
	v_cmp_eq_u16_e32 vcc_lo, 2, v16
	v_dual_mov_b32 v16, v17 :: v_dual_lshlrev_b32 v45, 2, v15
	v_and_or_b32 v15, vcc_lo, v46, 0x80000000
	ds_bpermute_b32 v26, v45, v17
	ds_bpermute_b32 v20, v45, v18
	v_ctz_i32_b32_e32 v15, v15
	s_delay_alu instid0(VALU_DEP_1)
	v_cmpx_lt_u32_e64 v42, v15
	s_cbranch_execz .LBB79_53
; %bb.52:
	s_waitcnt lgkmcnt(1)
	v_add_co_u32 v16, vcc_lo, v17, v26
	v_add_co_ci_u32_e32 v18, vcc_lo, 0, v18, vcc_lo
	s_delay_alu instid0(VALU_DEP_2) | instskip(SKIP_1) | instid1(VALU_DEP_2)
	v_add_co_u32 v17, vcc_lo, 0, v16
	s_waitcnt lgkmcnt(0)
	v_add_co_ci_u32_e32 v18, vcc_lo, v20, v18, vcc_lo
.LBB79_53:
	s_or_b32 exec_lo, exec_lo, s11
	v_cmp_gt_u32_e32 vcc_lo, 30, v42
	v_add_nc_u32_e32 v48, 2, v42
	s_mov_b32 s11, exec_lo
	s_waitcnt lgkmcnt(0)
	v_cndmask_b32_e64 v20, 0, 1, vcc_lo
	s_delay_alu instid0(VALU_DEP_1) | instskip(NEXT) | instid1(VALU_DEP_1)
	v_lshlrev_b32_e32 v20, 1, v20
	v_add_lshl_u32 v47, v20, v42, 2
	ds_bpermute_b32 v26, v47, v16
	ds_bpermute_b32 v20, v47, v18
	v_cmpx_le_u32_e64 v48, v15
	s_cbranch_execz .LBB79_55
; %bb.54:
	s_waitcnt lgkmcnt(1)
	v_add_co_u32 v16, vcc_lo, v17, v26
	v_add_co_ci_u32_e32 v18, vcc_lo, 0, v18, vcc_lo
	s_delay_alu instid0(VALU_DEP_2) | instskip(SKIP_1) | instid1(VALU_DEP_2)
	v_add_co_u32 v17, vcc_lo, 0, v16
	s_waitcnt lgkmcnt(0)
	v_add_co_ci_u32_e32 v18, vcc_lo, v20, v18, vcc_lo
.LBB79_55:
	s_or_b32 exec_lo, exec_lo, s11
	v_cmp_gt_u32_e32 vcc_lo, 28, v42
	v_add_nc_u32_e32 v50, 4, v42
	s_mov_b32 s11, exec_lo
	s_waitcnt lgkmcnt(0)
	v_cndmask_b32_e64 v20, 0, 1, vcc_lo
	s_delay_alu instid0(VALU_DEP_1) | instskip(NEXT) | instid1(VALU_DEP_1)
	v_lshlrev_b32_e32 v20, 2, v20
	v_add_lshl_u32 v49, v20, v42, 2
	ds_bpermute_b32 v26, v49, v16
	ds_bpermute_b32 v20, v49, v18
	v_cmpx_le_u32_e64 v50, v15
	;; [unrolled: 22-line block ×4, first 2 shown]
	s_cbranch_execz .LBB79_61
; %bb.60:
	s_waitcnt lgkmcnt(1)
	v_add_co_u32 v15, vcc_lo, v17, v20
	v_add_co_ci_u32_e32 v18, vcc_lo, 0, v18, vcc_lo
	s_delay_alu instid0(VALU_DEP_2) | instskip(SKIP_1) | instid1(VALU_DEP_2)
	v_add_co_u32 v17, vcc_lo, v15, 0
	s_waitcnt lgkmcnt(0)
	v_add_co_ci_u32_e32 v18, vcc_lo, v18, v16, vcc_lo
.LBB79_61:
	s_or_b32 exec_lo, exec_lo, s11
	v_mov_b32_e32 v26, 0
	s_branch .LBB79_63
.LBB79_62:                              ;   in Loop: Header=BB79_63 Depth=1
	s_or_b32 exec_lo, exec_lo, s11
	v_add_co_u32 v17, vcc_lo, v17, v15
	v_subrev_nc_u32_e32 v25, 32, v25
	v_add_co_ci_u32_e32 v18, vcc_lo, v18, v16, vcc_lo
.LBB79_63:                              ; =>This Loop Header: Depth=1
                                        ;     Child Loop BB79_66 Depth 2
	v_and_b32_e32 v15, 0xff, v19
	s_delay_alu instid0(VALU_DEP_1) | instskip(SKIP_2) | instid1(VALU_DEP_1)
	v_cmp_ne_u16_e32 vcc_lo, 2, v15
	v_cndmask_b32_e64 v15, 0, 1, vcc_lo
	;;#ASMSTART
	;;#ASMEND
	v_cmp_ne_u32_e32 vcc_lo, 0, v15
	s_waitcnt lgkmcnt(0)
	v_dual_mov_b32 v15, v17 :: v_dual_mov_b32 v16, v18
	s_cmp_lg_u32 vcc_lo, exec_lo
	s_cbranch_scc1 .LBB79_78
; %bb.64:                               ;   in Loop: Header=BB79_63 Depth=1
	v_lshlrev_b64 v[17:18], 4, v[25:26]
	s_mov_b32 s11, exec_lo
	s_delay_alu instid0(VALU_DEP_1) | instskip(NEXT) | instid1(VALU_DEP_2)
	v_add_co_u32 v27, vcc_lo, s14, v17
	v_add_co_ci_u32_e32 v28, vcc_lo, s15, v18, vcc_lo
	;;#ASMSTART
	global_load_dwordx4 v[17:20], v[27:28] off glc	
s_waitcnt vmcnt(0)
	;;#ASMEND
	v_and_b32_e32 v20, 0xff, v18
	v_and_b32_e32 v55, 0xff00, v18
	v_or3_b32 v17, v17, 0, 0
	v_and_b32_e32 v56, 0xff000000, v18
	v_and_b32_e32 v18, 0xff0000, v18
	s_delay_alu instid0(VALU_DEP_4) | instskip(SKIP_2) | instid1(VALU_DEP_3)
	v_or3_b32 v20, 0, v20, v55
	v_and_b32_e32 v55, 0xff, v19
	v_or3_b32 v17, v17, 0, 0
	v_or3_b32 v18, v20, v18, v56
	s_delay_alu instid0(VALU_DEP_3)
	v_cmpx_eq_u16_e32 0, v55
	s_cbranch_execz .LBB79_68
; %bb.65:                               ;   in Loop: Header=BB79_63 Depth=1
	s_mov_b32 s16, 0
.LBB79_66:                              ;   Parent Loop BB79_63 Depth=1
                                        ; =>  This Inner Loop Header: Depth=2
	;;#ASMSTART
	global_load_dwordx4 v[17:20], v[27:28] off glc	
s_waitcnt vmcnt(0)
	;;#ASMEND
	v_and_b32_e32 v20, 0xff, v19
	s_delay_alu instid0(VALU_DEP_1) | instskip(SKIP_1) | instid1(SALU_CYCLE_1)
	v_cmp_ne_u16_e32 vcc_lo, 0, v20
	s_or_b32 s16, vcc_lo, s16
	s_and_not1_b32 exec_lo, exec_lo, s16
	s_cbranch_execnz .LBB79_66
; %bb.67:                               ;   in Loop: Header=BB79_63 Depth=1
	s_or_b32 exec_lo, exec_lo, s16
.LBB79_68:                              ;   in Loop: Header=BB79_63 Depth=1
	s_delay_alu instid0(SALU_CYCLE_1)
	s_or_b32 exec_lo, exec_lo, s11
	v_dual_mov_b32 v27, v17 :: v_dual_and_b32 v20, 0xff, v19
	ds_bpermute_b32 v55, v45, v17
	ds_bpermute_b32 v28, v45, v18
	s_mov_b32 s11, exec_lo
	v_cmp_eq_u16_e32 vcc_lo, 2, v20
	v_and_or_b32 v20, vcc_lo, v46, 0x80000000
	s_delay_alu instid0(VALU_DEP_1) | instskip(NEXT) | instid1(VALU_DEP_1)
	v_ctz_i32_b32_e32 v20, v20
	v_cmpx_lt_u32_e64 v42, v20
	s_cbranch_execz .LBB79_70
; %bb.69:                               ;   in Loop: Header=BB79_63 Depth=1
	s_waitcnt lgkmcnt(1)
	v_add_co_u32 v27, vcc_lo, v17, v55
	v_add_co_ci_u32_e32 v18, vcc_lo, 0, v18, vcc_lo
	s_delay_alu instid0(VALU_DEP_2) | instskip(SKIP_1) | instid1(VALU_DEP_2)
	v_add_co_u32 v17, vcc_lo, 0, v27
	s_waitcnt lgkmcnt(0)
	v_add_co_ci_u32_e32 v18, vcc_lo, v28, v18, vcc_lo
.LBB79_70:                              ;   in Loop: Header=BB79_63 Depth=1
	s_or_b32 exec_lo, exec_lo, s11
	s_waitcnt lgkmcnt(1)
	ds_bpermute_b32 v55, v47, v27
	s_waitcnt lgkmcnt(1)
	ds_bpermute_b32 v28, v47, v18
	s_mov_b32 s11, exec_lo
	v_cmpx_le_u32_e64 v48, v20
	s_cbranch_execz .LBB79_72
; %bb.71:                               ;   in Loop: Header=BB79_63 Depth=1
	s_waitcnt lgkmcnt(1)
	v_add_co_u32 v27, vcc_lo, v17, v55
	v_add_co_ci_u32_e32 v18, vcc_lo, 0, v18, vcc_lo
	s_delay_alu instid0(VALU_DEP_2) | instskip(SKIP_1) | instid1(VALU_DEP_2)
	v_add_co_u32 v17, vcc_lo, 0, v27
	s_waitcnt lgkmcnt(0)
	v_add_co_ci_u32_e32 v18, vcc_lo, v28, v18, vcc_lo
.LBB79_72:                              ;   in Loop: Header=BB79_63 Depth=1
	s_or_b32 exec_lo, exec_lo, s11
	s_waitcnt lgkmcnt(1)
	ds_bpermute_b32 v55, v49, v27
	s_waitcnt lgkmcnt(1)
	ds_bpermute_b32 v28, v49, v18
	s_mov_b32 s11, exec_lo
	v_cmpx_le_u32_e64 v50, v20
	;; [unrolled: 17-line block ×3, first 2 shown]
	s_cbranch_execz .LBB79_76
; %bb.75:                               ;   in Loop: Header=BB79_63 Depth=1
	s_waitcnt lgkmcnt(1)
	v_add_co_u32 v27, vcc_lo, v17, v55
	v_add_co_ci_u32_e32 v18, vcc_lo, 0, v18, vcc_lo
	s_delay_alu instid0(VALU_DEP_2) | instskip(SKIP_1) | instid1(VALU_DEP_2)
	v_add_co_u32 v17, vcc_lo, 0, v27
	s_waitcnt lgkmcnt(0)
	v_add_co_ci_u32_e32 v18, vcc_lo, v28, v18, vcc_lo
.LBB79_76:                              ;   in Loop: Header=BB79_63 Depth=1
	s_or_b32 exec_lo, exec_lo, s11
	s_waitcnt lgkmcnt(0)
	ds_bpermute_b32 v28, v53, v27
	ds_bpermute_b32 v27, v53, v18
	s_mov_b32 s11, exec_lo
	v_cmpx_le_u32_e64 v54, v20
	s_cbranch_execz .LBB79_62
; %bb.77:                               ;   in Loop: Header=BB79_63 Depth=1
	s_waitcnt lgkmcnt(1)
	v_add_co_u32 v17, vcc_lo, v17, v28
	v_add_co_ci_u32_e32 v18, vcc_lo, 0, v18, vcc_lo
	s_delay_alu instid0(VALU_DEP_2) | instskip(SKIP_1) | instid1(VALU_DEP_2)
	v_add_co_u32 v17, vcc_lo, v17, 0
	s_waitcnt lgkmcnt(0)
	v_add_co_ci_u32_e32 v18, vcc_lo, v18, v27, vcc_lo
	s_branch .LBB79_62
.LBB79_78:                              ;   in Loop: Header=BB79_63 Depth=1
                                        ; implicit-def: $vgpr17_vgpr18
	s_cbranch_execz .LBB79_63
; %bb.79:
	s_and_saveexec_b32 s11, s1
	s_cbranch_execz .LBB79_81
; %bb.80:
	s_add_i32 s16, s9, 32
	s_mov_b32 s17, 0
	v_add_co_u32 v17, vcc_lo, v15, v13
	s_lshl_b64 s[16:17], s[16:17], 4
	v_dual_mov_b32 v19, 2 :: v_dual_mov_b32 v20, 0
	s_add_u32 s16, s14, s16
	s_addc_u32 s17, s15, s17
	v_add_co_ci_u32_e32 v18, vcc_lo, v16, v14, vcc_lo
	v_dual_mov_b32 v26, s17 :: v_dual_mov_b32 v25, s16
	;;#ASMSTART
	global_store_dwordx4 v[25:26], v[17:20] off	
s_waitcnt vmcnt(0)
	;;#ASMEND
	ds_store_b128 v20, v[13:16] offset:6144
.LBB79_81:
	s_or_b32 exec_lo, exec_lo, s11
	s_delay_alu instid0(SALU_CYCLE_1)
	s_and_b32 exec_lo, exec_lo, s2
	s_cbranch_execz .LBB79_83
; %bb.82:
	v_mov_b32_e32 v13, 0
	ds_store_b64 v13, v[15:16] offset:24
.LBB79_83:
	s_or_b32 exec_lo, exec_lo, s10
	v_mov_b32_e32 v15, 0
	s_waitcnt lgkmcnt(0)
	s_barrier
	buffer_gl0_inv
	v_cndmask_b32_e64 v16, v29, v23, s1
	ds_load_b64 v[13:14], v15 offset:24
	v_cndmask_b32_e64 v17, v30, v24, s1
	s_waitcnt lgkmcnt(0)
	s_barrier
	v_cndmask_b32_e64 v16, v16, 0, s2
	buffer_gl0_inv
	v_cndmask_b32_e64 v17, v17, 0, s2
	v_add_co_u32 v29, vcc_lo, v13, v16
	s_delay_alu instid0(VALU_DEP_2) | instskip(SKIP_3) | instid1(VALU_DEP_2)
	v_add_co_ci_u32_e32 v30, vcc_lo, v14, v17, vcc_lo
	ds_load_b128 v[13:16], v15 offset:6144
	v_add_co_u32 v27, vcc_lo, v29, v41
	v_add_co_ci_u32_e32 v28, vcc_lo, 0, v30, vcc_lo
	v_add_co_u32 v25, vcc_lo, v27, v40
	s_delay_alu instid0(VALU_DEP_2) | instskip(NEXT) | instid1(VALU_DEP_2)
	v_add_co_ci_u32_e32 v26, vcc_lo, 0, v28, vcc_lo
	v_add_co_u32 v23, vcc_lo, v25, v39
	s_delay_alu instid0(VALU_DEP_2) | instskip(NEXT) | instid1(VALU_DEP_2)
	;; [unrolled: 3-line block ×3, first 2 shown]
	v_add_co_ci_u32_e32 v20, vcc_lo, 0, v24, vcc_lo
	v_add_co_u32 v17, vcc_lo, v19, v37
	s_delay_alu instid0(VALU_DEP_2)
	v_add_co_ci_u32_e32 v18, vcc_lo, 0, v20, vcc_lo
.LBB79_84:
	s_waitcnt lgkmcnt(0)
	v_cmp_gt_u64_e32 vcc_lo, 0x81, v[13:14]
	s_mov_b32 s0, -1
	s_cbranch_vccnz .LBB79_112
.LBB79_85:
	s_and_b32 vcc_lo, exec_lo, s0
	s_cbranch_vccnz .LBB79_131
.LBB79_86:
	s_and_b32 s0, s2, s3
	s_delay_alu instid0(SALU_CYCLE_1)
	s_and_saveexec_b32 s1, s0
	s_cbranch_execnz .LBB79_147
.LBB79_87:
	s_nop 0
	s_sendmsg sendmsg(MSG_DEALLOC_VGPRS)
	s_endpgm
.LBB79_88:
                                        ; kill: def $vgpr13_vgpr14 killed $sgpr0_sgpr1 killed $exec
                                        ; implicit-def: $vgpr17_vgpr18
                                        ; implicit-def: $vgpr19_vgpr20
                                        ; implicit-def: $vgpr23_vgpr24
                                        ; implicit-def: $vgpr25_vgpr26
                                        ; implicit-def: $vgpr27_vgpr28
                                        ; implicit-def: $vgpr29_vgpr30
                                        ; implicit-def: $vgpr15_vgpr16
	s_and_b32 vcc_lo, exec_lo, s1
	s_cbranch_vccz .LBB79_84
; %bb.89:
	s_waitcnt lgkmcnt(0)
	v_dual_mov_b32 v14, 0 :: v_dual_mov_b32 v15, v21
	v_mov_b32_dpp v16, v21 row_shr:1 row_mask:0xf bank_mask:0xf
	s_delay_alu instid0(VALU_DEP_2)
	v_mov_b32_dpp v13, v14 row_shr:1 row_mask:0xf bank_mask:0xf
	s_and_saveexec_b32 s1, s0
; %bb.90:
	s_delay_alu instid0(VALU_DEP_2) | instskip(SKIP_1) | instid1(VALU_DEP_2)
	v_add_co_u32 v15, vcc_lo, v21, v16
	v_add_co_ci_u32_e32 v14, vcc_lo, 0, v22, vcc_lo
	v_add_co_u32 v21, vcc_lo, 0, v15
	s_delay_alu instid0(VALU_DEP_2) | instskip(NEXT) | instid1(VALU_DEP_1)
	v_add_co_ci_u32_e32 v22, vcc_lo, v13, v14, vcc_lo
	v_mov_b32_e32 v14, v22
; %bb.91:
	s_or_b32 exec_lo, exec_lo, s1
	v_mov_b32_dpp v13, v15 row_shr:2 row_mask:0xf bank_mask:0xf
	s_delay_alu instid0(VALU_DEP_2)
	v_mov_b32_dpp v16, v14 row_shr:2 row_mask:0xf bank_mask:0xf
	s_mov_b32 s0, exec_lo
	v_cmpx_lt_u32_e32 1, v44
; %bb.92:
	s_delay_alu instid0(VALU_DEP_3) | instskip(SKIP_1) | instid1(VALU_DEP_2)
	v_add_co_u32 v15, vcc_lo, v21, v13
	v_add_co_ci_u32_e32 v14, vcc_lo, 0, v22, vcc_lo
	v_add_co_u32 v13, vcc_lo, 0, v15
	s_delay_alu instid0(VALU_DEP_2) | instskip(NEXT) | instid1(VALU_DEP_1)
	v_add_co_ci_u32_e32 v14, vcc_lo, v16, v14, vcc_lo
	v_dual_mov_b32 v22, v14 :: v_dual_mov_b32 v21, v13
; %bb.93:
	s_or_b32 exec_lo, exec_lo, s0
	v_mov_b32_dpp v13, v15 row_shr:4 row_mask:0xf bank_mask:0xf
	v_mov_b32_dpp v16, v14 row_shr:4 row_mask:0xf bank_mask:0xf
	s_mov_b32 s0, exec_lo
	v_cmpx_lt_u32_e32 3, v44
; %bb.94:
	s_delay_alu instid0(VALU_DEP_3) | instskip(SKIP_1) | instid1(VALU_DEP_2)
	v_add_co_u32 v15, vcc_lo, v21, v13
	v_add_co_ci_u32_e32 v14, vcc_lo, 0, v22, vcc_lo
	v_add_co_u32 v13, vcc_lo, 0, v15
	s_delay_alu instid0(VALU_DEP_2) | instskip(NEXT) | instid1(VALU_DEP_1)
	v_add_co_ci_u32_e32 v14, vcc_lo, v16, v14, vcc_lo
	v_dual_mov_b32 v22, v14 :: v_dual_mov_b32 v21, v13
; %bb.95:
	s_or_b32 exec_lo, exec_lo, s0
	v_mov_b32_dpp v16, v15 row_shr:8 row_mask:0xf bank_mask:0xf
	v_mov_b32_dpp v13, v14 row_shr:8 row_mask:0xf bank_mask:0xf
	s_mov_b32 s0, exec_lo
	v_cmpx_lt_u32_e32 7, v44
; %bb.96:
	s_delay_alu instid0(VALU_DEP_3) | instskip(SKIP_1) | instid1(VALU_DEP_2)
	v_add_co_u32 v15, vcc_lo, v21, v16
	v_add_co_ci_u32_e32 v14, vcc_lo, 0, v22, vcc_lo
	v_add_co_u32 v21, vcc_lo, 0, v15
	s_delay_alu instid0(VALU_DEP_2) | instskip(NEXT) | instid1(VALU_DEP_1)
	v_add_co_ci_u32_e32 v22, vcc_lo, v13, v14, vcc_lo
	v_mov_b32_e32 v14, v22
; %bb.97:
	s_or_b32 exec_lo, exec_lo, s0
	ds_swizzle_b32 v15, v15 offset:swizzle(BROADCAST,32,15)
	ds_swizzle_b32 v13, v14 offset:swizzle(BROADCAST,32,15)
	v_and_b32_e32 v14, 16, v42
	s_mov_b32 s0, exec_lo
	s_delay_alu instid0(VALU_DEP_1)
	v_cmpx_ne_u32_e32 0, v14
	s_cbranch_execz .LBB79_99
; %bb.98:
	s_waitcnt lgkmcnt(1)
	v_add_co_u32 v14, vcc_lo, v21, v15
	v_add_co_ci_u32_e32 v15, vcc_lo, 0, v22, vcc_lo
	s_delay_alu instid0(VALU_DEP_2) | instskip(SKIP_1) | instid1(VALU_DEP_2)
	v_add_co_u32 v21, vcc_lo, v14, 0
	s_waitcnt lgkmcnt(0)
	v_add_co_ci_u32_e32 v22, vcc_lo, v15, v13, vcc_lo
.LBB79_99:
	s_or_b32 exec_lo, exec_lo, s0
	s_waitcnt lgkmcnt(0)
	v_or_b32_e32 v13, 31, v0
	v_lshrrev_b32_e32 v15, 5, v0
	s_mov_b32 s0, exec_lo
	s_delay_alu instid0(VALU_DEP_2)
	v_cmpx_eq_u32_e64 v13, v0
	s_cbranch_execz .LBB79_101
; %bb.100:
	s_delay_alu instid0(VALU_DEP_2)
	v_lshlrev_b32_e32 v13, 3, v15
	ds_store_b64 v13, v[21:22]
.LBB79_101:
	s_or_b32 exec_lo, exec_lo, s0
	s_delay_alu instid0(SALU_CYCLE_1)
	s_mov_b32 s0, exec_lo
	s_waitcnt lgkmcnt(0)
	s_barrier
	buffer_gl0_inv
	v_cmpx_gt_u32_e32 4, v0
	s_cbranch_execz .LBB79_107
; %bb.102:
	v_lshlrev_b32_e32 v13, 1, v0
	s_mov_b32 s1, exec_lo
	s_delay_alu instid0(VALU_DEP_1)
	v_add_nc_u32_e32 v16, v43, v13
	ds_load_b64 v[13:14], v16
	s_waitcnt lgkmcnt(0)
	v_dual_mov_b32 v18, v13 :: v_dual_and_b32 v17, 3, v42
	v_mov_b32_dpp v20, v13 row_shr:1 row_mask:0xf bank_mask:0xf
	v_mov_b32_dpp v19, v14 row_shr:1 row_mask:0xf bank_mask:0xf
	s_delay_alu instid0(VALU_DEP_3)
	v_cmpx_ne_u32_e32 0, v17
; %bb.103:
	s_delay_alu instid0(VALU_DEP_3) | instskip(SKIP_1) | instid1(VALU_DEP_2)
	v_add_co_u32 v18, vcc_lo, v13, v20
	v_add_co_ci_u32_e32 v14, vcc_lo, 0, v14, vcc_lo
	v_add_co_u32 v13, vcc_lo, 0, v18
	s_delay_alu instid0(VALU_DEP_2)
	v_add_co_ci_u32_e32 v14, vcc_lo, v19, v14, vcc_lo
; %bb.104:
	s_or_b32 exec_lo, exec_lo, s1
	v_mov_b32_dpp v19, v18 row_shr:2 row_mask:0xf bank_mask:0xf
	s_delay_alu instid0(VALU_DEP_2)
	v_mov_b32_dpp v18, v14 row_shr:2 row_mask:0xf bank_mask:0xf
	s_mov_b32 s1, exec_lo
	v_cmpx_lt_u32_e32 1, v17
; %bb.105:
	s_delay_alu instid0(VALU_DEP_3) | instskip(SKIP_1) | instid1(VALU_DEP_2)
	v_add_co_u32 v13, vcc_lo, v13, v19
	v_add_co_ci_u32_e32 v14, vcc_lo, 0, v14, vcc_lo
	v_add_co_u32 v13, vcc_lo, v13, 0
	s_delay_alu instid0(VALU_DEP_2)
	v_add_co_ci_u32_e32 v14, vcc_lo, v14, v18, vcc_lo
; %bb.106:
	s_or_b32 exec_lo, exec_lo, s1
	ds_store_b64 v16, v[13:14]
.LBB79_107:
	s_or_b32 exec_lo, exec_lo, s0
	v_mov_b32_e32 v17, 0
	v_mov_b32_e32 v18, 0
	s_mov_b32 s0, exec_lo
	s_waitcnt lgkmcnt(0)
	s_barrier
	buffer_gl0_inv
	v_cmpx_lt_u32_e32 31, v0
	s_cbranch_execz .LBB79_109
; %bb.108:
	v_lshl_add_u32 v13, v15, 3, -8
	ds_load_b64 v[17:18], v13
.LBB79_109:
	s_or_b32 exec_lo, exec_lo, s0
	v_dual_mov_b32 v16, 0 :: v_dual_add_nc_u32 v13, -1, v42
	s_delay_alu instid0(VALU_DEP_1) | instskip(SKIP_4) | instid1(VALU_DEP_3)
	v_cmp_gt_i32_e32 vcc_lo, 0, v13
	v_cndmask_b32_e32 v13, v13, v42, vcc_lo
	s_waitcnt lgkmcnt(0)
	v_add_co_u32 v14, vcc_lo, v17, v21
	v_add_co_ci_u32_e32 v15, vcc_lo, v18, v22, vcc_lo
	v_lshlrev_b32_e32 v13, 2, v13
	ds_bpermute_b32 v19, v13, v14
	ds_bpermute_b32 v20, v13, v15
	ds_load_b64 v[13:14], v16 offset:24
	s_and_saveexec_b32 s0, s2
	s_cbranch_execz .LBB79_111
; %bb.110:
	s_add_u32 s10, s14, 0x200
	s_addc_u32 s11, s15, 0
	s_delay_alu instid0(SALU_CYCLE_1)
	v_dual_mov_b32 v15, 2 :: v_dual_mov_b32 v22, s11
	v_mov_b32_e32 v21, s10
	s_waitcnt lgkmcnt(0)
	;;#ASMSTART
	global_store_dwordx4 v[21:22], v[13:16] off	
s_waitcnt vmcnt(0)
	;;#ASMEND
.LBB79_111:
	s_or_b32 exec_lo, exec_lo, s0
	v_cmp_eq_u32_e32 vcc_lo, 0, v42
	s_waitcnt lgkmcnt(0)
	s_barrier
	buffer_gl0_inv
	v_dual_cndmask_b32 v15, v19, v17 :: v_dual_cndmask_b32 v16, v20, v18
	s_delay_alu instid0(VALU_DEP_1) | instskip(NEXT) | instid1(VALU_DEP_2)
	v_cndmask_b32_e64 v29, v15, 0, s2
	v_cndmask_b32_e64 v30, v16, 0, s2
	v_mov_b32_e32 v15, 0
	v_mov_b32_e32 v16, 0
	s_delay_alu instid0(VALU_DEP_4) | instskip(NEXT) | instid1(VALU_DEP_4)
	v_add_co_u32 v27, vcc_lo, v29, v41
	v_add_co_ci_u32_e32 v28, vcc_lo, 0, v30, vcc_lo
	s_delay_alu instid0(VALU_DEP_2) | instskip(NEXT) | instid1(VALU_DEP_2)
	v_add_co_u32 v25, vcc_lo, v27, v40
	v_add_co_ci_u32_e32 v26, vcc_lo, 0, v28, vcc_lo
	s_delay_alu instid0(VALU_DEP_2) | instskip(NEXT) | instid1(VALU_DEP_2)
	;; [unrolled: 3-line block ×4, first 2 shown]
	v_add_co_u32 v17, vcc_lo, v19, v37
	v_add_co_ci_u32_e32 v18, vcc_lo, 0, v20, vcc_lo
	v_cmp_gt_u64_e32 vcc_lo, 0x81, v[13:14]
	s_mov_b32 s0, -1
	s_cbranch_vccz .LBB79_85
.LBB79_112:
	v_add_co_u32 v21, vcc_lo, v15, v13
	v_add_co_ci_u32_e32 v22, vcc_lo, v16, v14, vcc_lo
	s_delay_alu instid0(VALU_DEP_1) | instskip(SKIP_1) | instid1(SALU_CYCLE_1)
	v_cmp_lt_u64_e32 vcc_lo, v[29:30], v[21:22]
	s_or_b32 s1, s8, vcc_lo
	s_and_saveexec_b32 s0, s1
	s_cbranch_execz .LBB79_115
; %bb.113:
	v_and_b32_e32 v37, 1, v36
	s_delay_alu instid0(VALU_DEP_1)
	v_cmp_eq_u32_e32 vcc_lo, 1, v37
	s_and_b32 exec_lo, exec_lo, vcc_lo
	s_cbranch_execz .LBB79_115
; %bb.114:
	v_lshlrev_b64 v[37:38], 3, v[29:30]
	s_lshl_b64 s[10:11], s[6:7], 3
	s_delay_alu instid0(SALU_CYCLE_1) | instskip(SKIP_1) | instid1(VALU_DEP_1)
	s_add_u32 s1, s12, s10
	s_addc_u32 s9, s13, s11
	v_add_co_u32 v37, vcc_lo, s1, v37
	s_delay_alu instid0(VALU_DEP_2)
	v_add_co_ci_u32_e32 v38, vcc_lo, s9, v38, vcc_lo
	global_store_b64 v[37:38], v[9:10], off
.LBB79_115:
	s_or_b32 exec_lo, exec_lo, s0
	v_cmp_lt_u64_e32 vcc_lo, v[27:28], v[21:22]
	s_or_b32 s1, s8, vcc_lo
	s_delay_alu instid0(SALU_CYCLE_1)
	s_and_saveexec_b32 s0, s1
	s_cbranch_execz .LBB79_118
; %bb.116:
	v_and_b32_e32 v30, 1, v34
	s_delay_alu instid0(VALU_DEP_1)
	v_cmp_eq_u32_e32 vcc_lo, 1, v30
	s_and_b32 exec_lo, exec_lo, vcc_lo
	s_cbranch_execz .LBB79_118
; %bb.117:
	v_lshlrev_b64 v[37:38], 3, v[27:28]
	s_lshl_b64 s[10:11], s[6:7], 3
	s_delay_alu instid0(SALU_CYCLE_1) | instskip(SKIP_1) | instid1(VALU_DEP_1)
	s_add_u32 s1, s12, s10
	s_addc_u32 s9, s13, s11
	v_add_co_u32 v37, vcc_lo, s1, v37
	s_delay_alu instid0(VALU_DEP_2)
	v_add_co_ci_u32_e32 v38, vcc_lo, s9, v38, vcc_lo
	global_store_b64 v[37:38], v[11:12], off
.LBB79_118:
	s_or_b32 exec_lo, exec_lo, s0
	v_cmp_lt_u64_e32 vcc_lo, v[25:26], v[21:22]
	s_or_b32 s1, s8, vcc_lo
	s_delay_alu instid0(SALU_CYCLE_1)
	;; [unrolled: 23-line block ×5, first 2 shown]
	s_and_saveexec_b32 s0, s1
	s_cbranch_execz .LBB79_130
; %bb.128:
	v_and_b32_e32 v20, 1, v32
	s_delay_alu instid0(VALU_DEP_1)
	v_cmp_eq_u32_e32 vcc_lo, 1, v20
	s_and_b32 exec_lo, exec_lo, vcc_lo
	s_cbranch_execz .LBB79_130
; %bb.129:
	v_lshlrev_b64 v[20:21], 3, v[17:18]
	s_lshl_b64 s[8:9], s[6:7], 3
	s_delay_alu instid0(SALU_CYCLE_1) | instskip(SKIP_1) | instid1(VALU_DEP_1)
	s_add_u32 s1, s12, s8
	s_addc_u32 s8, s13, s9
	v_add_co_u32 v20, vcc_lo, s1, v20
	s_delay_alu instid0(VALU_DEP_2)
	v_add_co_ci_u32_e32 v21, vcc_lo, s8, v21, vcc_lo
	global_store_b64 v[20:21], v[3:4], off
.LBB79_130:
	s_or_b32 exec_lo, exec_lo, s0
	s_branch .LBB79_86
.LBB79_131:
	v_and_b32_e32 v18, 1, v36
	s_mov_b32 s0, exec_lo
	s_delay_alu instid0(VALU_DEP_1)
	v_cmpx_eq_u32_e32 1, v18
	s_cbranch_execz .LBB79_133
; %bb.132:
	v_sub_nc_u32_e32 v18, v29, v15
	s_delay_alu instid0(VALU_DEP_1)
	v_lshlrev_b32_e32 v18, 3, v18
	ds_store_b64 v18, v[9:10]
.LBB79_133:
	s_or_b32 exec_lo, exec_lo, s0
	v_and_b32_e32 v9, 1, v34
	s_mov_b32 s0, exec_lo
	s_delay_alu instid0(VALU_DEP_1)
	v_cmpx_eq_u32_e32 1, v9
	s_cbranch_execz .LBB79_135
; %bb.134:
	v_sub_nc_u32_e32 v9, v27, v15
	s_delay_alu instid0(VALU_DEP_1)
	v_lshlrev_b32_e32 v9, 3, v9
	ds_store_b64 v9, v[11:12]
.LBB79_135:
	s_or_b32 exec_lo, exec_lo, s0
	;; [unrolled: 12-line block ×6, first 2 shown]
	v_mov_b32_e32 v1, 0
	s_mov_b32 s1, exec_lo
	s_waitcnt lgkmcnt(0)
	s_waitcnt_vscnt null, 0x0
	s_barrier
	buffer_gl0_inv
	v_cmpx_gt_u64_e64 v[13:14], v[0:1]
	s_cbranch_execz .LBB79_146
; %bb.144:
	v_lshlrev_b64 v[4:5], 3, v[15:16]
	s_lshl_b64 s[8:9], s[6:7], 3
	v_dual_mov_b32 v3, v1 :: v_dual_mov_b32 v2, v0
	v_or_b32_e32 v0, 0x80, v0
	s_delay_alu instid0(VALU_DEP_3) | instskip(NEXT) | instid1(VALU_DEP_4)
	v_add_co_u32 v4, vcc_lo, s12, v4
	v_add_co_ci_u32_e32 v5, vcc_lo, s13, v5, vcc_lo
	s_delay_alu instid0(VALU_DEP_2) | instskip(NEXT) | instid1(VALU_DEP_2)
	v_add_co_u32 v4, vcc_lo, v4, s8
	v_add_co_ci_u32_e32 v5, vcc_lo, s9, v5, vcc_lo
	s_mov_b32 s8, 0
	.p2align	6
.LBB79_145:                             ; =>This Inner Loop Header: Depth=1
	v_lshlrev_b32_e32 v6, 3, v2
	v_lshlrev_b64 v[8:9], 3, v[2:3]
	v_mov_b32_e32 v3, v1
	v_cmp_le_u64_e32 vcc_lo, v[13:14], v[0:1]
	v_mov_b32_e32 v2, v0
	ds_load_b64 v[6:7], v6
	v_add_nc_u32_e32 v0, 0x80, v0
	v_add_co_u32 v8, s0, v4, v8
	s_delay_alu instid0(VALU_DEP_1)
	v_add_co_ci_u32_e64 v9, s0, v5, v9, s0
	s_or_b32 s8, vcc_lo, s8
	s_waitcnt lgkmcnt(0)
	global_store_b64 v[8:9], v[6:7], off
	s_and_not1_b32 exec_lo, exec_lo, s8
	s_cbranch_execnz .LBB79_145
.LBB79_146:
	s_or_b32 exec_lo, exec_lo, s1
	s_and_b32 s0, s2, s3
	s_delay_alu instid0(SALU_CYCLE_1)
	s_and_saveexec_b32 s1, s0
	s_cbranch_execz .LBB79_87
.LBB79_147:
	v_add_co_u32 v0, vcc_lo, v15, v13
	v_add_co_ci_u32_e32 v1, vcc_lo, v16, v14, vcc_lo
	v_mov_b32_e32 v2, 0
	s_delay_alu instid0(VALU_DEP_3) | instskip(NEXT) | instid1(VALU_DEP_3)
	v_add_co_u32 v0, vcc_lo, v0, s6
	v_add_co_ci_u32_e32 v1, vcc_lo, s7, v1, vcc_lo
	global_store_b64 v2, v[0:1], s[4:5]
	s_nop 0
	s_sendmsg sendmsg(MSG_DEALLOC_VGPRS)
	s_endpgm
	.section	.rodata,"a",@progbits
	.p2align	6, 0x0
	.amdhsa_kernel _ZN7rocprim17ROCPRIM_400000_NS6detail17trampoline_kernelINS0_14default_configENS1_25partition_config_selectorILNS1_17partition_subalgoE5ElNS0_10empty_typeEbEEZZNS1_14partition_implILS5_5ELb0ES3_mN6hipcub16HIPCUB_304000_NS21CountingInputIteratorIllEEPS6_NSA_22TransformInputIteratorIbN2at6native12_GLOBAL__N_19NonZeroOpIhEEPKhlEENS0_5tupleIJPlS6_EEENSN_IJSD_SD_EEES6_PiJS6_EEE10hipError_tPvRmT3_T4_T5_T6_T7_T9_mT8_P12ihipStream_tbDpT10_ENKUlT_T0_E_clISt17integral_constantIbLb0EES1A_IbLb1EEEEDaS16_S17_EUlS16_E_NS1_11comp_targetILNS1_3genE9ELNS1_11target_archE1100ELNS1_3gpuE3ELNS1_3repE0EEENS1_30default_config_static_selectorELNS0_4arch9wavefront6targetE0EEEvT1_
		.amdhsa_group_segment_fixed_size 6160
		.amdhsa_private_segment_fixed_size 0
		.amdhsa_kernarg_size 136
		.amdhsa_user_sgpr_count 15
		.amdhsa_user_sgpr_dispatch_ptr 0
		.amdhsa_user_sgpr_queue_ptr 0
		.amdhsa_user_sgpr_kernarg_segment_ptr 1
		.amdhsa_user_sgpr_dispatch_id 0
		.amdhsa_user_sgpr_private_segment_size 0
		.amdhsa_wavefront_size32 1
		.amdhsa_uses_dynamic_stack 0
		.amdhsa_enable_private_segment 0
		.amdhsa_system_sgpr_workgroup_id_x 1
		.amdhsa_system_sgpr_workgroup_id_y 0
		.amdhsa_system_sgpr_workgroup_id_z 0
		.amdhsa_system_sgpr_workgroup_info 0
		.amdhsa_system_vgpr_workitem_id 0
		.amdhsa_next_free_vgpr 57
		.amdhsa_next_free_sgpr 23
		.amdhsa_reserve_vcc 1
		.amdhsa_float_round_mode_32 0
		.amdhsa_float_round_mode_16_64 0
		.amdhsa_float_denorm_mode_32 3
		.amdhsa_float_denorm_mode_16_64 3
		.amdhsa_dx10_clamp 1
		.amdhsa_ieee_mode 1
		.amdhsa_fp16_overflow 0
		.amdhsa_workgroup_processor_mode 1
		.amdhsa_memory_ordered 1
		.amdhsa_forward_progress 0
		.amdhsa_shared_vgpr_count 0
		.amdhsa_exception_fp_ieee_invalid_op 0
		.amdhsa_exception_fp_denorm_src 0
		.amdhsa_exception_fp_ieee_div_zero 0
		.amdhsa_exception_fp_ieee_overflow 0
		.amdhsa_exception_fp_ieee_underflow 0
		.amdhsa_exception_fp_ieee_inexact 0
		.amdhsa_exception_int_div_zero 0
	.end_amdhsa_kernel
	.section	.text._ZN7rocprim17ROCPRIM_400000_NS6detail17trampoline_kernelINS0_14default_configENS1_25partition_config_selectorILNS1_17partition_subalgoE5ElNS0_10empty_typeEbEEZZNS1_14partition_implILS5_5ELb0ES3_mN6hipcub16HIPCUB_304000_NS21CountingInputIteratorIllEEPS6_NSA_22TransformInputIteratorIbN2at6native12_GLOBAL__N_19NonZeroOpIhEEPKhlEENS0_5tupleIJPlS6_EEENSN_IJSD_SD_EEES6_PiJS6_EEE10hipError_tPvRmT3_T4_T5_T6_T7_T9_mT8_P12ihipStream_tbDpT10_ENKUlT_T0_E_clISt17integral_constantIbLb0EES1A_IbLb1EEEEDaS16_S17_EUlS16_E_NS1_11comp_targetILNS1_3genE9ELNS1_11target_archE1100ELNS1_3gpuE3ELNS1_3repE0EEENS1_30default_config_static_selectorELNS0_4arch9wavefront6targetE0EEEvT1_,"axG",@progbits,_ZN7rocprim17ROCPRIM_400000_NS6detail17trampoline_kernelINS0_14default_configENS1_25partition_config_selectorILNS1_17partition_subalgoE5ElNS0_10empty_typeEbEEZZNS1_14partition_implILS5_5ELb0ES3_mN6hipcub16HIPCUB_304000_NS21CountingInputIteratorIllEEPS6_NSA_22TransformInputIteratorIbN2at6native12_GLOBAL__N_19NonZeroOpIhEEPKhlEENS0_5tupleIJPlS6_EEENSN_IJSD_SD_EEES6_PiJS6_EEE10hipError_tPvRmT3_T4_T5_T6_T7_T9_mT8_P12ihipStream_tbDpT10_ENKUlT_T0_E_clISt17integral_constantIbLb0EES1A_IbLb1EEEEDaS16_S17_EUlS16_E_NS1_11comp_targetILNS1_3genE9ELNS1_11target_archE1100ELNS1_3gpuE3ELNS1_3repE0EEENS1_30default_config_static_selectorELNS0_4arch9wavefront6targetE0EEEvT1_,comdat
.Lfunc_end79:
	.size	_ZN7rocprim17ROCPRIM_400000_NS6detail17trampoline_kernelINS0_14default_configENS1_25partition_config_selectorILNS1_17partition_subalgoE5ElNS0_10empty_typeEbEEZZNS1_14partition_implILS5_5ELb0ES3_mN6hipcub16HIPCUB_304000_NS21CountingInputIteratorIllEEPS6_NSA_22TransformInputIteratorIbN2at6native12_GLOBAL__N_19NonZeroOpIhEEPKhlEENS0_5tupleIJPlS6_EEENSN_IJSD_SD_EEES6_PiJS6_EEE10hipError_tPvRmT3_T4_T5_T6_T7_T9_mT8_P12ihipStream_tbDpT10_ENKUlT_T0_E_clISt17integral_constantIbLb0EES1A_IbLb1EEEEDaS16_S17_EUlS16_E_NS1_11comp_targetILNS1_3genE9ELNS1_11target_archE1100ELNS1_3gpuE3ELNS1_3repE0EEENS1_30default_config_static_selectorELNS0_4arch9wavefront6targetE0EEEvT1_, .Lfunc_end79-_ZN7rocprim17ROCPRIM_400000_NS6detail17trampoline_kernelINS0_14default_configENS1_25partition_config_selectorILNS1_17partition_subalgoE5ElNS0_10empty_typeEbEEZZNS1_14partition_implILS5_5ELb0ES3_mN6hipcub16HIPCUB_304000_NS21CountingInputIteratorIllEEPS6_NSA_22TransformInputIteratorIbN2at6native12_GLOBAL__N_19NonZeroOpIhEEPKhlEENS0_5tupleIJPlS6_EEENSN_IJSD_SD_EEES6_PiJS6_EEE10hipError_tPvRmT3_T4_T5_T6_T7_T9_mT8_P12ihipStream_tbDpT10_ENKUlT_T0_E_clISt17integral_constantIbLb0EES1A_IbLb1EEEEDaS16_S17_EUlS16_E_NS1_11comp_targetILNS1_3genE9ELNS1_11target_archE1100ELNS1_3gpuE3ELNS1_3repE0EEENS1_30default_config_static_selectorELNS0_4arch9wavefront6targetE0EEEvT1_
                                        ; -- End function
	.section	.AMDGPU.csdata,"",@progbits
; Kernel info:
; codeLenInByte = 6468
; NumSgprs: 25
; NumVgprs: 57
; ScratchSize: 0
; MemoryBound: 0
; FloatMode: 240
; IeeeMode: 1
; LDSByteSize: 6160 bytes/workgroup (compile time only)
; SGPRBlocks: 3
; VGPRBlocks: 7
; NumSGPRsForWavesPerEU: 25
; NumVGPRsForWavesPerEU: 57
; Occupancy: 16
; WaveLimiterHint : 1
; COMPUTE_PGM_RSRC2:SCRATCH_EN: 0
; COMPUTE_PGM_RSRC2:USER_SGPR: 15
; COMPUTE_PGM_RSRC2:TRAP_HANDLER: 0
; COMPUTE_PGM_RSRC2:TGID_X_EN: 1
; COMPUTE_PGM_RSRC2:TGID_Y_EN: 0
; COMPUTE_PGM_RSRC2:TGID_Z_EN: 0
; COMPUTE_PGM_RSRC2:TIDIG_COMP_CNT: 0
	.section	.text._ZN7rocprim17ROCPRIM_400000_NS6detail17trampoline_kernelINS0_14default_configENS1_25partition_config_selectorILNS1_17partition_subalgoE5ElNS0_10empty_typeEbEEZZNS1_14partition_implILS5_5ELb0ES3_mN6hipcub16HIPCUB_304000_NS21CountingInputIteratorIllEEPS6_NSA_22TransformInputIteratorIbN2at6native12_GLOBAL__N_19NonZeroOpIhEEPKhlEENS0_5tupleIJPlS6_EEENSN_IJSD_SD_EEES6_PiJS6_EEE10hipError_tPvRmT3_T4_T5_T6_T7_T9_mT8_P12ihipStream_tbDpT10_ENKUlT_T0_E_clISt17integral_constantIbLb0EES1A_IbLb1EEEEDaS16_S17_EUlS16_E_NS1_11comp_targetILNS1_3genE8ELNS1_11target_archE1030ELNS1_3gpuE2ELNS1_3repE0EEENS1_30default_config_static_selectorELNS0_4arch9wavefront6targetE0EEEvT1_,"axG",@progbits,_ZN7rocprim17ROCPRIM_400000_NS6detail17trampoline_kernelINS0_14default_configENS1_25partition_config_selectorILNS1_17partition_subalgoE5ElNS0_10empty_typeEbEEZZNS1_14partition_implILS5_5ELb0ES3_mN6hipcub16HIPCUB_304000_NS21CountingInputIteratorIllEEPS6_NSA_22TransformInputIteratorIbN2at6native12_GLOBAL__N_19NonZeroOpIhEEPKhlEENS0_5tupleIJPlS6_EEENSN_IJSD_SD_EEES6_PiJS6_EEE10hipError_tPvRmT3_T4_T5_T6_T7_T9_mT8_P12ihipStream_tbDpT10_ENKUlT_T0_E_clISt17integral_constantIbLb0EES1A_IbLb1EEEEDaS16_S17_EUlS16_E_NS1_11comp_targetILNS1_3genE8ELNS1_11target_archE1030ELNS1_3gpuE2ELNS1_3repE0EEENS1_30default_config_static_selectorELNS0_4arch9wavefront6targetE0EEEvT1_,comdat
	.globl	_ZN7rocprim17ROCPRIM_400000_NS6detail17trampoline_kernelINS0_14default_configENS1_25partition_config_selectorILNS1_17partition_subalgoE5ElNS0_10empty_typeEbEEZZNS1_14partition_implILS5_5ELb0ES3_mN6hipcub16HIPCUB_304000_NS21CountingInputIteratorIllEEPS6_NSA_22TransformInputIteratorIbN2at6native12_GLOBAL__N_19NonZeroOpIhEEPKhlEENS0_5tupleIJPlS6_EEENSN_IJSD_SD_EEES6_PiJS6_EEE10hipError_tPvRmT3_T4_T5_T6_T7_T9_mT8_P12ihipStream_tbDpT10_ENKUlT_T0_E_clISt17integral_constantIbLb0EES1A_IbLb1EEEEDaS16_S17_EUlS16_E_NS1_11comp_targetILNS1_3genE8ELNS1_11target_archE1030ELNS1_3gpuE2ELNS1_3repE0EEENS1_30default_config_static_selectorELNS0_4arch9wavefront6targetE0EEEvT1_ ; -- Begin function _ZN7rocprim17ROCPRIM_400000_NS6detail17trampoline_kernelINS0_14default_configENS1_25partition_config_selectorILNS1_17partition_subalgoE5ElNS0_10empty_typeEbEEZZNS1_14partition_implILS5_5ELb0ES3_mN6hipcub16HIPCUB_304000_NS21CountingInputIteratorIllEEPS6_NSA_22TransformInputIteratorIbN2at6native12_GLOBAL__N_19NonZeroOpIhEEPKhlEENS0_5tupleIJPlS6_EEENSN_IJSD_SD_EEES6_PiJS6_EEE10hipError_tPvRmT3_T4_T5_T6_T7_T9_mT8_P12ihipStream_tbDpT10_ENKUlT_T0_E_clISt17integral_constantIbLb0EES1A_IbLb1EEEEDaS16_S17_EUlS16_E_NS1_11comp_targetILNS1_3genE8ELNS1_11target_archE1030ELNS1_3gpuE2ELNS1_3repE0EEENS1_30default_config_static_selectorELNS0_4arch9wavefront6targetE0EEEvT1_
	.p2align	8
	.type	_ZN7rocprim17ROCPRIM_400000_NS6detail17trampoline_kernelINS0_14default_configENS1_25partition_config_selectorILNS1_17partition_subalgoE5ElNS0_10empty_typeEbEEZZNS1_14partition_implILS5_5ELb0ES3_mN6hipcub16HIPCUB_304000_NS21CountingInputIteratorIllEEPS6_NSA_22TransformInputIteratorIbN2at6native12_GLOBAL__N_19NonZeroOpIhEEPKhlEENS0_5tupleIJPlS6_EEENSN_IJSD_SD_EEES6_PiJS6_EEE10hipError_tPvRmT3_T4_T5_T6_T7_T9_mT8_P12ihipStream_tbDpT10_ENKUlT_T0_E_clISt17integral_constantIbLb0EES1A_IbLb1EEEEDaS16_S17_EUlS16_E_NS1_11comp_targetILNS1_3genE8ELNS1_11target_archE1030ELNS1_3gpuE2ELNS1_3repE0EEENS1_30default_config_static_selectorELNS0_4arch9wavefront6targetE0EEEvT1_,@function
_ZN7rocprim17ROCPRIM_400000_NS6detail17trampoline_kernelINS0_14default_configENS1_25partition_config_selectorILNS1_17partition_subalgoE5ElNS0_10empty_typeEbEEZZNS1_14partition_implILS5_5ELb0ES3_mN6hipcub16HIPCUB_304000_NS21CountingInputIteratorIllEEPS6_NSA_22TransformInputIteratorIbN2at6native12_GLOBAL__N_19NonZeroOpIhEEPKhlEENS0_5tupleIJPlS6_EEENSN_IJSD_SD_EEES6_PiJS6_EEE10hipError_tPvRmT3_T4_T5_T6_T7_T9_mT8_P12ihipStream_tbDpT10_ENKUlT_T0_E_clISt17integral_constantIbLb0EES1A_IbLb1EEEEDaS16_S17_EUlS16_E_NS1_11comp_targetILNS1_3genE8ELNS1_11target_archE1030ELNS1_3gpuE2ELNS1_3repE0EEENS1_30default_config_static_selectorELNS0_4arch9wavefront6targetE0EEEvT1_: ; @_ZN7rocprim17ROCPRIM_400000_NS6detail17trampoline_kernelINS0_14default_configENS1_25partition_config_selectorILNS1_17partition_subalgoE5ElNS0_10empty_typeEbEEZZNS1_14partition_implILS5_5ELb0ES3_mN6hipcub16HIPCUB_304000_NS21CountingInputIteratorIllEEPS6_NSA_22TransformInputIteratorIbN2at6native12_GLOBAL__N_19NonZeroOpIhEEPKhlEENS0_5tupleIJPlS6_EEENSN_IJSD_SD_EEES6_PiJS6_EEE10hipError_tPvRmT3_T4_T5_T6_T7_T9_mT8_P12ihipStream_tbDpT10_ENKUlT_T0_E_clISt17integral_constantIbLb0EES1A_IbLb1EEEEDaS16_S17_EUlS16_E_NS1_11comp_targetILNS1_3genE8ELNS1_11target_archE1030ELNS1_3gpuE2ELNS1_3repE0EEENS1_30default_config_static_selectorELNS0_4arch9wavefront6targetE0EEEvT1_
; %bb.0:
	.section	.rodata,"a",@progbits
	.p2align	6, 0x0
	.amdhsa_kernel _ZN7rocprim17ROCPRIM_400000_NS6detail17trampoline_kernelINS0_14default_configENS1_25partition_config_selectorILNS1_17partition_subalgoE5ElNS0_10empty_typeEbEEZZNS1_14partition_implILS5_5ELb0ES3_mN6hipcub16HIPCUB_304000_NS21CountingInputIteratorIllEEPS6_NSA_22TransformInputIteratorIbN2at6native12_GLOBAL__N_19NonZeroOpIhEEPKhlEENS0_5tupleIJPlS6_EEENSN_IJSD_SD_EEES6_PiJS6_EEE10hipError_tPvRmT3_T4_T5_T6_T7_T9_mT8_P12ihipStream_tbDpT10_ENKUlT_T0_E_clISt17integral_constantIbLb0EES1A_IbLb1EEEEDaS16_S17_EUlS16_E_NS1_11comp_targetILNS1_3genE8ELNS1_11target_archE1030ELNS1_3gpuE2ELNS1_3repE0EEENS1_30default_config_static_selectorELNS0_4arch9wavefront6targetE0EEEvT1_
		.amdhsa_group_segment_fixed_size 0
		.amdhsa_private_segment_fixed_size 0
		.amdhsa_kernarg_size 136
		.amdhsa_user_sgpr_count 15
		.amdhsa_user_sgpr_dispatch_ptr 0
		.amdhsa_user_sgpr_queue_ptr 0
		.amdhsa_user_sgpr_kernarg_segment_ptr 1
		.amdhsa_user_sgpr_dispatch_id 0
		.amdhsa_user_sgpr_private_segment_size 0
		.amdhsa_wavefront_size32 1
		.amdhsa_uses_dynamic_stack 0
		.amdhsa_enable_private_segment 0
		.amdhsa_system_sgpr_workgroup_id_x 1
		.amdhsa_system_sgpr_workgroup_id_y 0
		.amdhsa_system_sgpr_workgroup_id_z 0
		.amdhsa_system_sgpr_workgroup_info 0
		.amdhsa_system_vgpr_workitem_id 0
		.amdhsa_next_free_vgpr 1
		.amdhsa_next_free_sgpr 1
		.amdhsa_reserve_vcc 0
		.amdhsa_float_round_mode_32 0
		.amdhsa_float_round_mode_16_64 0
		.amdhsa_float_denorm_mode_32 3
		.amdhsa_float_denorm_mode_16_64 3
		.amdhsa_dx10_clamp 1
		.amdhsa_ieee_mode 1
		.amdhsa_fp16_overflow 0
		.amdhsa_workgroup_processor_mode 1
		.amdhsa_memory_ordered 1
		.amdhsa_forward_progress 0
		.amdhsa_shared_vgpr_count 0
		.amdhsa_exception_fp_ieee_invalid_op 0
		.amdhsa_exception_fp_denorm_src 0
		.amdhsa_exception_fp_ieee_div_zero 0
		.amdhsa_exception_fp_ieee_overflow 0
		.amdhsa_exception_fp_ieee_underflow 0
		.amdhsa_exception_fp_ieee_inexact 0
		.amdhsa_exception_int_div_zero 0
	.end_amdhsa_kernel
	.section	.text._ZN7rocprim17ROCPRIM_400000_NS6detail17trampoline_kernelINS0_14default_configENS1_25partition_config_selectorILNS1_17partition_subalgoE5ElNS0_10empty_typeEbEEZZNS1_14partition_implILS5_5ELb0ES3_mN6hipcub16HIPCUB_304000_NS21CountingInputIteratorIllEEPS6_NSA_22TransformInputIteratorIbN2at6native12_GLOBAL__N_19NonZeroOpIhEEPKhlEENS0_5tupleIJPlS6_EEENSN_IJSD_SD_EEES6_PiJS6_EEE10hipError_tPvRmT3_T4_T5_T6_T7_T9_mT8_P12ihipStream_tbDpT10_ENKUlT_T0_E_clISt17integral_constantIbLb0EES1A_IbLb1EEEEDaS16_S17_EUlS16_E_NS1_11comp_targetILNS1_3genE8ELNS1_11target_archE1030ELNS1_3gpuE2ELNS1_3repE0EEENS1_30default_config_static_selectorELNS0_4arch9wavefront6targetE0EEEvT1_,"axG",@progbits,_ZN7rocprim17ROCPRIM_400000_NS6detail17trampoline_kernelINS0_14default_configENS1_25partition_config_selectorILNS1_17partition_subalgoE5ElNS0_10empty_typeEbEEZZNS1_14partition_implILS5_5ELb0ES3_mN6hipcub16HIPCUB_304000_NS21CountingInputIteratorIllEEPS6_NSA_22TransformInputIteratorIbN2at6native12_GLOBAL__N_19NonZeroOpIhEEPKhlEENS0_5tupleIJPlS6_EEENSN_IJSD_SD_EEES6_PiJS6_EEE10hipError_tPvRmT3_T4_T5_T6_T7_T9_mT8_P12ihipStream_tbDpT10_ENKUlT_T0_E_clISt17integral_constantIbLb0EES1A_IbLb1EEEEDaS16_S17_EUlS16_E_NS1_11comp_targetILNS1_3genE8ELNS1_11target_archE1030ELNS1_3gpuE2ELNS1_3repE0EEENS1_30default_config_static_selectorELNS0_4arch9wavefront6targetE0EEEvT1_,comdat
.Lfunc_end80:
	.size	_ZN7rocprim17ROCPRIM_400000_NS6detail17trampoline_kernelINS0_14default_configENS1_25partition_config_selectorILNS1_17partition_subalgoE5ElNS0_10empty_typeEbEEZZNS1_14partition_implILS5_5ELb0ES3_mN6hipcub16HIPCUB_304000_NS21CountingInputIteratorIllEEPS6_NSA_22TransformInputIteratorIbN2at6native12_GLOBAL__N_19NonZeroOpIhEEPKhlEENS0_5tupleIJPlS6_EEENSN_IJSD_SD_EEES6_PiJS6_EEE10hipError_tPvRmT3_T4_T5_T6_T7_T9_mT8_P12ihipStream_tbDpT10_ENKUlT_T0_E_clISt17integral_constantIbLb0EES1A_IbLb1EEEEDaS16_S17_EUlS16_E_NS1_11comp_targetILNS1_3genE8ELNS1_11target_archE1030ELNS1_3gpuE2ELNS1_3repE0EEENS1_30default_config_static_selectorELNS0_4arch9wavefront6targetE0EEEvT1_, .Lfunc_end80-_ZN7rocprim17ROCPRIM_400000_NS6detail17trampoline_kernelINS0_14default_configENS1_25partition_config_selectorILNS1_17partition_subalgoE5ElNS0_10empty_typeEbEEZZNS1_14partition_implILS5_5ELb0ES3_mN6hipcub16HIPCUB_304000_NS21CountingInputIteratorIllEEPS6_NSA_22TransformInputIteratorIbN2at6native12_GLOBAL__N_19NonZeroOpIhEEPKhlEENS0_5tupleIJPlS6_EEENSN_IJSD_SD_EEES6_PiJS6_EEE10hipError_tPvRmT3_T4_T5_T6_T7_T9_mT8_P12ihipStream_tbDpT10_ENKUlT_T0_E_clISt17integral_constantIbLb0EES1A_IbLb1EEEEDaS16_S17_EUlS16_E_NS1_11comp_targetILNS1_3genE8ELNS1_11target_archE1030ELNS1_3gpuE2ELNS1_3repE0EEENS1_30default_config_static_selectorELNS0_4arch9wavefront6targetE0EEEvT1_
                                        ; -- End function
	.section	.AMDGPU.csdata,"",@progbits
; Kernel info:
; codeLenInByte = 0
; NumSgprs: 0
; NumVgprs: 0
; ScratchSize: 0
; MemoryBound: 0
; FloatMode: 240
; IeeeMode: 1
; LDSByteSize: 0 bytes/workgroup (compile time only)
; SGPRBlocks: 0
; VGPRBlocks: 0
; NumSGPRsForWavesPerEU: 1
; NumVGPRsForWavesPerEU: 1
; Occupancy: 16
; WaveLimiterHint : 0
; COMPUTE_PGM_RSRC2:SCRATCH_EN: 0
; COMPUTE_PGM_RSRC2:USER_SGPR: 15
; COMPUTE_PGM_RSRC2:TRAP_HANDLER: 0
; COMPUTE_PGM_RSRC2:TGID_X_EN: 1
; COMPUTE_PGM_RSRC2:TGID_Y_EN: 0
; COMPUTE_PGM_RSRC2:TGID_Z_EN: 0
; COMPUTE_PGM_RSRC2:TIDIG_COMP_CNT: 0
	.section	.text._ZN2at6native12_GLOBAL__N_113write_indicesIlEEvPlNS1_10TensorDimsIT_EEiS5_S3_l,"axG",@progbits,_ZN2at6native12_GLOBAL__N_113write_indicesIlEEvPlNS1_10TensorDimsIT_EEiS5_S3_l,comdat
	.globl	_ZN2at6native12_GLOBAL__N_113write_indicesIlEEvPlNS1_10TensorDimsIT_EEiS5_S3_l ; -- Begin function _ZN2at6native12_GLOBAL__N_113write_indicesIlEEvPlNS1_10TensorDimsIT_EEiS5_S3_l
	.p2align	8
	.type	_ZN2at6native12_GLOBAL__N_113write_indicesIlEEvPlNS1_10TensorDimsIT_EEiS5_S3_l,@function
_ZN2at6native12_GLOBAL__N_113write_indicesIlEEvPlNS1_10TensorDimsIT_EEiS5_S3_l: ; @_ZN2at6native12_GLOBAL__N_113write_indicesIlEEvPlNS1_10TensorDimsIT_EEiS5_S3_l
; %bb.0:
	s_clause 0x2
	s_load_b32 s2, s[0:1], 0xb4
	s_load_b128 s[4:7], s[0:1], 0x90
	s_load_b64 s[8:9], s[0:1], 0xa0
	v_mov_b32_e32 v1, 0
	s_mov_b32 s3, 0
	s_waitcnt lgkmcnt(0)
	s_and_b32 s2, s2, 0xffff
	s_cmp_eq_u64 s[6:7], 0
	v_mad_u64_u32 v[4:5], null, s2, s15, v[0:1]
	s_cbranch_scc1 .LBB81_2
; %bb.1:
	s_load_b64 s[2:3], s[6:7], 0x0
	s_waitcnt lgkmcnt(0)
	s_delay_alu instid0(VALU_DEP_1)
	v_cmp_le_i64_e32 vcc_lo, s[2:3], v[4:5]
	s_and_b32 s3, vcc_lo, exec_lo
.LBB81_2:
	s_clause 0x1
	s_load_b64 s[6:7], s[0:1], 0x0
	s_load_b32 s18, s[0:1], 0x88
	s_delay_alu instid0(VALU_DEP_1) | instskip(NEXT) | instid1(VALU_DEP_1)
	v_cmp_le_i64_e64 s2, s[4:5], v[4:5]
	s_or_b32 s3, s2, s3
	s_delay_alu instid0(SALU_CYCLE_1) | instskip(NEXT) | instid1(SALU_CYCLE_1)
	s_xor_b32 s3, s3, -1
	s_and_saveexec_b32 s10, s3
	s_delay_alu instid0(SALU_CYCLE_1)
	s_xor_b32 s19, exec_lo, s10
	s_cbranch_execz .LBB81_20
; %bb.3:
	v_lshlrev_b64 v[0:1], 3, v[4:5]
	s_waitcnt lgkmcnt(0)
	s_cmp_lt_i32 s18, 17
	s_mov_b64 s[10:11], 1
	s_delay_alu instid0(VALU_DEP_1) | instskip(NEXT) | instid1(VALU_DEP_2)
	v_add_co_u32 v0, vcc_lo, s6, v0
	v_add_co_ci_u32_e32 v1, vcc_lo, s7, v1, vcc_lo
	global_load_b64 v[2:3], v[0:1], off
	s_cbranch_scc0 .LBB81_21
; %bb.4:
	s_cmp_lt_i32 s18, 16
	s_cbranch_scc0 .LBB81_26
.LBB81_5:
	s_cmp_lt_i32 s18, 15
	s_cbranch_scc0 .LBB81_35
.LBB81_6:
	s_cmp_lt_i32 s18, 14
	s_cbranch_scc0 .LBB81_44
.LBB81_7:
	s_cmp_lt_i32 s18, 13
	s_cbranch_scc0 .LBB81_53
.LBB81_8:
	s_cmp_lt_i32 s18, 12
	s_cbranch_scc0 .LBB81_62
.LBB81_9:
	s_cmp_lt_i32 s18, 11
	s_cbranch_scc0 .LBB81_71
.LBB81_10:
	s_cmp_lt_i32 s18, 10
	s_cbranch_scc0 .LBB81_80
.LBB81_11:
	s_cmp_lt_i32 s18, 9
	s_cbranch_scc0 .LBB81_89
.LBB81_12:
	s_cmp_lt_i32 s18, 8
	s_cbranch_scc0 .LBB81_98
.LBB81_13:
	s_cmp_lt_i32 s18, 7
	s_cbranch_scc0 .LBB81_107
.LBB81_14:
	s_cmp_lt_i32 s18, 6
	s_cbranch_scc0 .LBB81_116
.LBB81_15:
	s_cmp_lt_i32 s18, 5
	s_cbranch_scc0 .LBB81_125
.LBB81_16:
	s_cmp_lt_i32 s18, 4
	s_cbranch_scc0 .LBB81_134
.LBB81_17:
	s_cmp_lt_i32 s18, 3
	s_cbranch_scc0 .LBB81_143
.LBB81_18:
	s_cmp_lt_i32 s18, 2
	s_cbranch_scc0 .LBB81_152
.LBB81_19:
	s_cmp_lt_i32 s18, 1
                                        ; implicit-def: $vgpr4_vgpr5
	s_cbranch_scc0 .LBB81_161
.LBB81_20:
	s_and_not1_saveexec_b32 s0, s19
	s_cbranch_execnz .LBB81_170
	s_branch .LBB81_173
.LBB81_21:
	s_load_b64 s[10:11], s[0:1], 0x88
	v_mov_b32_e32 v4, 0
	s_waitcnt vmcnt(0) lgkmcnt(0)
	v_or_b32_e32 v5, s11, v3
	s_delay_alu instid0(VALU_DEP_1) | instskip(SKIP_1) | instid1(SALU_CYCLE_1)
	v_cmp_ne_u64_e32 vcc_lo, 0, v[4:5]
                                        ; implicit-def: $vgpr4_vgpr5
	s_and_saveexec_b32 s3, vcc_lo
	s_xor_b32 s14, exec_lo, s3
	s_cbranch_execz .LBB81_23
; %bb.22:
	s_ashr_i32 s12, s11, 31
	s_delay_alu instid0(SALU_CYCLE_1) | instskip(SKIP_2) | instid1(SALU_CYCLE_1)
	s_add_u32 s16, s10, s12
	s_mov_b32 s13, s12
	s_addc_u32 s17, s11, s12
	s_xor_b64 s[12:13], s[16:17], s[12:13]
	s_delay_alu instid0(SALU_CYCLE_1) | instskip(SKIP_3) | instid1(VALU_DEP_1)
	v_cvt_f32_u32_e32 v4, s12
	v_cvt_f32_u32_e32 v5, s13
	s_sub_u32 s3, 0, s12
	s_subb_u32 s15, 0, s13
	v_fmamk_f32 v4, v5, 0x4f800000, v4
	s_delay_alu instid0(VALU_DEP_1) | instskip(SKIP_2) | instid1(VALU_DEP_1)
	v_rcp_f32_e32 v4, v4
	s_waitcnt_depctr 0xfff
	v_mul_f32_e32 v4, 0x5f7ffffc, v4
	v_mul_f32_e32 v5, 0x2f800000, v4
	s_delay_alu instid0(VALU_DEP_1) | instskip(NEXT) | instid1(VALU_DEP_1)
	v_trunc_f32_e32 v5, v5
	v_fmamk_f32 v4, v5, 0xcf800000, v4
	v_cvt_u32_f32_e32 v5, v5
	s_delay_alu instid0(VALU_DEP_2) | instskip(NEXT) | instid1(VALU_DEP_2)
	v_cvt_u32_f32_e32 v4, v4
	v_mul_lo_u32 v6, s3, v5
	s_delay_alu instid0(VALU_DEP_2) | instskip(SKIP_1) | instid1(VALU_DEP_2)
	v_mul_hi_u32 v7, s3, v4
	v_mul_lo_u32 v8, s15, v4
	v_add_nc_u32_e32 v6, v7, v6
	v_mul_lo_u32 v7, s3, v4
	s_delay_alu instid0(VALU_DEP_2) | instskip(NEXT) | instid1(VALU_DEP_2)
	v_add_nc_u32_e32 v6, v6, v8
	v_mul_hi_u32 v8, v4, v7
	s_delay_alu instid0(VALU_DEP_2)
	v_mul_lo_u32 v9, v4, v6
	v_mul_hi_u32 v10, v4, v6
	v_mul_hi_u32 v11, v5, v7
	v_mul_lo_u32 v7, v5, v7
	v_mul_hi_u32 v12, v5, v6
	v_mul_lo_u32 v6, v5, v6
	v_add_co_u32 v8, vcc_lo, v8, v9
	v_add_co_ci_u32_e32 v9, vcc_lo, 0, v10, vcc_lo
	s_delay_alu instid0(VALU_DEP_2) | instskip(NEXT) | instid1(VALU_DEP_2)
	v_add_co_u32 v7, vcc_lo, v8, v7
	v_add_co_ci_u32_e32 v7, vcc_lo, v9, v11, vcc_lo
	v_add_co_ci_u32_e32 v8, vcc_lo, 0, v12, vcc_lo
	v_ashrrev_i32_e32 v11, 31, v3
	s_delay_alu instid0(VALU_DEP_3) | instskip(NEXT) | instid1(VALU_DEP_3)
	v_add_co_u32 v6, vcc_lo, v7, v6
	v_add_co_ci_u32_e32 v7, vcc_lo, 0, v8, vcc_lo
	s_delay_alu instid0(VALU_DEP_2) | instskip(NEXT) | instid1(VALU_DEP_2)
	v_add_co_u32 v4, vcc_lo, v4, v6
	v_add_co_ci_u32_e32 v5, vcc_lo, v5, v7, vcc_lo
	s_delay_alu instid0(VALU_DEP_2) | instskip(SKIP_1) | instid1(VALU_DEP_3)
	v_mul_hi_u32 v6, s3, v4
	v_mul_lo_u32 v8, s15, v4
	v_mul_lo_u32 v7, s3, v5
	s_delay_alu instid0(VALU_DEP_1) | instskip(SKIP_1) | instid1(VALU_DEP_2)
	v_add_nc_u32_e32 v6, v6, v7
	v_mul_lo_u32 v7, s3, v4
	v_add_nc_u32_e32 v6, v6, v8
	s_delay_alu instid0(VALU_DEP_2) | instskip(NEXT) | instid1(VALU_DEP_2)
	v_mul_hi_u32 v8, v4, v7
	v_mul_lo_u32 v9, v4, v6
	v_mul_hi_u32 v10, v4, v6
	v_mul_hi_u32 v12, v5, v7
	v_mul_lo_u32 v7, v5, v7
	v_mul_hi_u32 v13, v5, v6
	v_mul_lo_u32 v6, v5, v6
	v_add_co_u32 v8, vcc_lo, v8, v9
	v_add_co_ci_u32_e32 v9, vcc_lo, 0, v10, vcc_lo
	s_delay_alu instid0(VALU_DEP_2) | instskip(NEXT) | instid1(VALU_DEP_2)
	v_add_co_u32 v7, vcc_lo, v8, v7
	v_add_co_ci_u32_e32 v7, vcc_lo, v9, v12, vcc_lo
	v_add_co_ci_u32_e32 v8, vcc_lo, 0, v13, vcc_lo
	v_add_co_u32 v9, vcc_lo, v2, v11
	v_add_co_ci_u32_e32 v10, vcc_lo, v3, v11, vcc_lo
	s_delay_alu instid0(VALU_DEP_4) | instskip(NEXT) | instid1(VALU_DEP_4)
	v_add_co_u32 v6, vcc_lo, v7, v6
	v_add_co_ci_u32_e32 v7, vcc_lo, 0, v8, vcc_lo
	s_delay_alu instid0(VALU_DEP_4) | instskip(NEXT) | instid1(VALU_DEP_3)
	v_xor_b32_e32 v12, v9, v11
	v_add_co_u32 v8, vcc_lo, v4, v6
	s_delay_alu instid0(VALU_DEP_3) | instskip(SKIP_1) | instid1(VALU_DEP_3)
	v_add_co_ci_u32_e32 v13, vcc_lo, v5, v7, vcc_lo
	v_xor_b32_e32 v10, v10, v11
	v_mul_hi_u32 v14, v12, v8
	s_delay_alu instid0(VALU_DEP_3) | instskip(NEXT) | instid1(VALU_DEP_3)
	v_mad_u64_u32 v[4:5], null, v12, v13, 0
	v_mad_u64_u32 v[6:7], null, v10, v8, 0
	;; [unrolled: 1-line block ×3, first 2 shown]
	s_delay_alu instid0(VALU_DEP_3) | instskip(NEXT) | instid1(VALU_DEP_4)
	v_add_co_u32 v4, vcc_lo, v14, v4
	v_add_co_ci_u32_e32 v5, vcc_lo, 0, v5, vcc_lo
	s_delay_alu instid0(VALU_DEP_2) | instskip(NEXT) | instid1(VALU_DEP_2)
	v_add_co_u32 v4, vcc_lo, v4, v6
	v_add_co_ci_u32_e32 v4, vcc_lo, v5, v7, vcc_lo
	v_add_co_ci_u32_e32 v5, vcc_lo, 0, v9, vcc_lo
	s_delay_alu instid0(VALU_DEP_2) | instskip(NEXT) | instid1(VALU_DEP_2)
	v_add_co_u32 v6, vcc_lo, v4, v8
	v_add_co_ci_u32_e32 v7, vcc_lo, 0, v5, vcc_lo
	s_delay_alu instid0(VALU_DEP_2) | instskip(SKIP_1) | instid1(VALU_DEP_3)
	v_mul_lo_u32 v8, s13, v6
	v_mad_u64_u32 v[4:5], null, s12, v6, 0
	v_mul_lo_u32 v6, s12, v7
	s_delay_alu instid0(VALU_DEP_2) | instskip(NEXT) | instid1(VALU_DEP_2)
	v_sub_co_u32 v4, vcc_lo, v12, v4
	v_add3_u32 v5, v5, v6, v8
	s_delay_alu instid0(VALU_DEP_1) | instskip(NEXT) | instid1(VALU_DEP_1)
	v_sub_nc_u32_e32 v6, v10, v5
	v_subrev_co_ci_u32_e64 v6, s3, s13, v6, vcc_lo
	v_sub_co_ci_u32_e32 v5, vcc_lo, v10, v5, vcc_lo
	v_sub_co_u32 v7, vcc_lo, v4, s12
	s_delay_alu instid0(VALU_DEP_1) | instskip(SKIP_3) | instid1(VALU_DEP_3)
	v_subrev_co_ci_u32_e64 v8, s3, 0, v6, vcc_lo
	v_cmp_le_u32_e64 s3, s12, v4
	v_subrev_co_ci_u32_e32 v6, vcc_lo, s13, v6, vcc_lo
	v_cmp_le_u32_e32 vcc_lo, s13, v5
	v_cndmask_b32_e64 v9, 0, -1, s3
	v_cmp_le_u32_e64 s3, s12, v7
	v_cndmask_b32_e64 v13, 0, -1, vcc_lo
	v_cmp_eq_u32_e32 vcc_lo, s13, v8
	s_delay_alu instid0(VALU_DEP_3) | instskip(SKIP_1) | instid1(VALU_DEP_1)
	v_cndmask_b32_e64 v10, 0, -1, s3
	v_cmp_le_u32_e64 s3, s13, v8
	v_cndmask_b32_e64 v12, 0, -1, s3
	v_cmp_eq_u32_e64 s3, s13, v5
	s_delay_alu instid0(VALU_DEP_2) | instskip(SKIP_2) | instid1(VALU_DEP_3)
	v_cndmask_b32_e32 v10, v12, v10, vcc_lo
	v_sub_co_u32 v12, vcc_lo, v7, s12
	v_subrev_co_ci_u32_e32 v6, vcc_lo, 0, v6, vcc_lo
	v_cmp_ne_u32_e32 vcc_lo, 0, v10
	v_cndmask_b32_e64 v9, v13, v9, s3
	s_delay_alu instid0(VALU_DEP_3) | instskip(NEXT) | instid1(VALU_DEP_2)
	v_dual_cndmask_b32 v6, v8, v6 :: v_dual_cndmask_b32 v7, v7, v12
	v_cmp_ne_u32_e32 vcc_lo, 0, v9
	s_delay_alu instid0(VALU_DEP_2) | instskip(NEXT) | instid1(VALU_DEP_1)
	v_dual_cndmask_b32 v4, v4, v7 :: v_dual_cndmask_b32 v5, v5, v6
	v_xor_b32_e32 v4, v4, v11
	s_delay_alu instid0(VALU_DEP_2) | instskip(NEXT) | instid1(VALU_DEP_2)
	v_xor_b32_e32 v5, v5, v11
	v_sub_co_u32 v4, vcc_lo, v4, v11
	s_delay_alu instid0(VALU_DEP_2)
	v_sub_co_ci_u32_e32 v5, vcc_lo, v5, v11, vcc_lo
.LBB81_23:
	s_and_not1_saveexec_b32 s3, s14
	s_cbranch_execz .LBB81_25
; %bb.24:
	v_cvt_f32_u32_e32 v4, s10
	s_sub_i32 s12, 0, s10
	s_delay_alu instid0(VALU_DEP_1) | instskip(SKIP_2) | instid1(VALU_DEP_1)
	v_rcp_iflag_f32_e32 v4, v4
	s_waitcnt_depctr 0xfff
	v_mul_f32_e32 v4, 0x4f7ffffe, v4
	v_cvt_u32_f32_e32 v4, v4
	s_delay_alu instid0(VALU_DEP_1) | instskip(NEXT) | instid1(VALU_DEP_1)
	v_mul_lo_u32 v5, s12, v4
	v_mul_hi_u32 v5, v4, v5
	s_delay_alu instid0(VALU_DEP_1) | instskip(NEXT) | instid1(VALU_DEP_1)
	v_add_nc_u32_e32 v4, v4, v5
	v_mul_hi_u32 v4, v2, v4
	s_delay_alu instid0(VALU_DEP_1) | instskip(NEXT) | instid1(VALU_DEP_1)
	v_mul_lo_u32 v4, v4, s10
	v_sub_nc_u32_e32 v4, v2, v4
	s_delay_alu instid0(VALU_DEP_1) | instskip(SKIP_1) | instid1(VALU_DEP_2)
	v_subrev_nc_u32_e32 v5, s10, v4
	v_cmp_le_u32_e32 vcc_lo, s10, v4
	v_cndmask_b32_e32 v4, v4, v5, vcc_lo
	s_delay_alu instid0(VALU_DEP_1) | instskip(SKIP_1) | instid1(VALU_DEP_2)
	v_subrev_nc_u32_e32 v5, s10, v4
	v_cmp_le_u32_e32 vcc_lo, s10, v4
	v_dual_cndmask_b32 v4, v4, v5 :: v_dual_mov_b32 v5, 0
.LBB81_25:
	s_or_b32 exec_lo, exec_lo, s3
	s_lshl_b64 s[12:13], s[4:5], 7
	s_delay_alu instid0(SALU_CYCLE_1)
	v_add_co_u32 v6, vcc_lo, v0, s12
	v_add_co_ci_u32_e32 v7, vcc_lo, s13, v1, vcc_lo
	global_store_b64 v[6:7], v[4:5], off
	s_cmp_lt_i32 s18, 16
	s_cbranch_scc1 .LBB81_5
.LBB81_26:
	s_load_b64 s[12:13], s[0:1], 0x80
	s_waitcnt vmcnt(0)
	v_or_b32_e32 v5, s11, v3
	v_mov_b32_e32 v4, 0
	s_delay_alu instid0(VALU_DEP_1) | instskip(SKIP_1) | instid1(SALU_CYCLE_1)
	v_cmp_ne_u64_e32 vcc_lo, 0, v[4:5]
                                        ; implicit-def: $vgpr4_vgpr5
	s_and_saveexec_b32 s3, vcc_lo
	s_xor_b32 s20, exec_lo, s3
	s_cbranch_execz .LBB81_28
; %bb.27:
	s_ashr_i32 s14, s11, 31
	s_delay_alu instid0(SALU_CYCLE_1) | instskip(SKIP_2) | instid1(SALU_CYCLE_1)
	s_add_u32 s16, s10, s14
	s_mov_b32 s15, s14
	s_addc_u32 s17, s11, s14
	s_xor_b64 s[16:17], s[16:17], s[14:15]
	s_delay_alu instid0(SALU_CYCLE_1) | instskip(SKIP_3) | instid1(VALU_DEP_1)
	v_cvt_f32_u32_e32 v4, s16
	v_cvt_f32_u32_e32 v5, s17
	s_sub_u32 s3, 0, s16
	s_subb_u32 s15, 0, s17
	v_fmamk_f32 v4, v5, 0x4f800000, v4
	s_delay_alu instid0(VALU_DEP_1) | instskip(SKIP_2) | instid1(VALU_DEP_1)
	v_rcp_f32_e32 v4, v4
	s_waitcnt_depctr 0xfff
	v_mul_f32_e32 v4, 0x5f7ffffc, v4
	v_mul_f32_e32 v5, 0x2f800000, v4
	s_delay_alu instid0(VALU_DEP_1) | instskip(NEXT) | instid1(VALU_DEP_1)
	v_trunc_f32_e32 v5, v5
	v_fmamk_f32 v4, v5, 0xcf800000, v4
	v_cvt_u32_f32_e32 v5, v5
	s_delay_alu instid0(VALU_DEP_2) | instskip(NEXT) | instid1(VALU_DEP_2)
	v_cvt_u32_f32_e32 v4, v4
	v_mul_lo_u32 v6, s3, v5
	s_delay_alu instid0(VALU_DEP_2) | instskip(SKIP_1) | instid1(VALU_DEP_2)
	v_mul_hi_u32 v7, s3, v4
	v_mul_lo_u32 v8, s15, v4
	v_add_nc_u32_e32 v6, v7, v6
	v_mul_lo_u32 v7, s3, v4
	s_delay_alu instid0(VALU_DEP_2) | instskip(NEXT) | instid1(VALU_DEP_2)
	v_add_nc_u32_e32 v6, v6, v8
	v_mul_hi_u32 v8, v4, v7
	s_delay_alu instid0(VALU_DEP_2)
	v_mul_lo_u32 v9, v4, v6
	v_mul_hi_u32 v10, v4, v6
	v_mul_hi_u32 v11, v5, v7
	v_mul_lo_u32 v7, v5, v7
	v_mul_hi_u32 v12, v5, v6
	v_mul_lo_u32 v6, v5, v6
	v_add_co_u32 v8, vcc_lo, v8, v9
	v_add_co_ci_u32_e32 v9, vcc_lo, 0, v10, vcc_lo
	s_delay_alu instid0(VALU_DEP_2) | instskip(NEXT) | instid1(VALU_DEP_2)
	v_add_co_u32 v7, vcc_lo, v8, v7
	v_add_co_ci_u32_e32 v7, vcc_lo, v9, v11, vcc_lo
	v_add_co_ci_u32_e32 v8, vcc_lo, 0, v12, vcc_lo
	v_ashrrev_i32_e32 v11, 31, v3
	s_delay_alu instid0(VALU_DEP_3) | instskip(NEXT) | instid1(VALU_DEP_3)
	v_add_co_u32 v6, vcc_lo, v7, v6
	v_add_co_ci_u32_e32 v7, vcc_lo, 0, v8, vcc_lo
	s_delay_alu instid0(VALU_DEP_2) | instskip(NEXT) | instid1(VALU_DEP_2)
	v_add_co_u32 v4, vcc_lo, v4, v6
	v_add_co_ci_u32_e32 v5, vcc_lo, v5, v7, vcc_lo
	s_delay_alu instid0(VALU_DEP_2) | instskip(SKIP_1) | instid1(VALU_DEP_3)
	v_mul_hi_u32 v6, s3, v4
	v_mul_lo_u32 v8, s15, v4
	v_mul_lo_u32 v7, s3, v5
	s_delay_alu instid0(VALU_DEP_1) | instskip(SKIP_1) | instid1(VALU_DEP_2)
	v_add_nc_u32_e32 v6, v6, v7
	v_mul_lo_u32 v7, s3, v4
	v_add_nc_u32_e32 v6, v6, v8
	s_delay_alu instid0(VALU_DEP_2) | instskip(NEXT) | instid1(VALU_DEP_2)
	v_mul_hi_u32 v8, v4, v7
	v_mul_lo_u32 v9, v4, v6
	v_mul_hi_u32 v10, v4, v6
	v_mul_hi_u32 v12, v5, v7
	v_mul_lo_u32 v7, v5, v7
	v_mul_hi_u32 v13, v5, v6
	v_mul_lo_u32 v6, v5, v6
	v_add_co_u32 v8, vcc_lo, v8, v9
	v_add_co_ci_u32_e32 v9, vcc_lo, 0, v10, vcc_lo
	s_delay_alu instid0(VALU_DEP_2) | instskip(NEXT) | instid1(VALU_DEP_2)
	v_add_co_u32 v7, vcc_lo, v8, v7
	v_add_co_ci_u32_e32 v7, vcc_lo, v9, v12, vcc_lo
	v_add_co_ci_u32_e32 v8, vcc_lo, 0, v13, vcc_lo
	v_add_co_u32 v9, vcc_lo, v2, v11
	v_add_co_ci_u32_e32 v10, vcc_lo, v3, v11, vcc_lo
	s_delay_alu instid0(VALU_DEP_4) | instskip(NEXT) | instid1(VALU_DEP_4)
	v_add_co_u32 v6, vcc_lo, v7, v6
	v_add_co_ci_u32_e32 v7, vcc_lo, 0, v8, vcc_lo
	s_delay_alu instid0(VALU_DEP_4) | instskip(NEXT) | instid1(VALU_DEP_3)
	v_xor_b32_e32 v12, v9, v11
	v_add_co_u32 v8, vcc_lo, v4, v6
	s_delay_alu instid0(VALU_DEP_3) | instskip(SKIP_1) | instid1(VALU_DEP_3)
	v_add_co_ci_u32_e32 v13, vcc_lo, v5, v7, vcc_lo
	v_xor_b32_e32 v10, v10, v11
	v_mul_hi_u32 v14, v12, v8
	s_delay_alu instid0(VALU_DEP_3) | instskip(NEXT) | instid1(VALU_DEP_3)
	v_mad_u64_u32 v[4:5], null, v12, v13, 0
	v_mad_u64_u32 v[6:7], null, v10, v8, 0
	;; [unrolled: 1-line block ×3, first 2 shown]
	s_delay_alu instid0(VALU_DEP_3) | instskip(NEXT) | instid1(VALU_DEP_4)
	v_add_co_u32 v4, vcc_lo, v14, v4
	v_add_co_ci_u32_e32 v5, vcc_lo, 0, v5, vcc_lo
	s_delay_alu instid0(VALU_DEP_2) | instskip(NEXT) | instid1(VALU_DEP_2)
	v_add_co_u32 v4, vcc_lo, v4, v6
	v_add_co_ci_u32_e32 v4, vcc_lo, v5, v7, vcc_lo
	v_add_co_ci_u32_e32 v5, vcc_lo, 0, v9, vcc_lo
	s_delay_alu instid0(VALU_DEP_2) | instskip(NEXT) | instid1(VALU_DEP_2)
	v_add_co_u32 v6, vcc_lo, v4, v8
	v_add_co_ci_u32_e32 v7, vcc_lo, 0, v5, vcc_lo
	s_delay_alu instid0(VALU_DEP_2) | instskip(SKIP_1) | instid1(VALU_DEP_3)
	v_mul_lo_u32 v8, s17, v6
	v_mad_u64_u32 v[4:5], null, s16, v6, 0
	v_mul_lo_u32 v9, s16, v7
	s_delay_alu instid0(VALU_DEP_2) | instskip(NEXT) | instid1(VALU_DEP_2)
	v_sub_co_u32 v4, vcc_lo, v12, v4
	v_add3_u32 v5, v5, v9, v8
	s_delay_alu instid0(VALU_DEP_1) | instskip(NEXT) | instid1(VALU_DEP_1)
	v_sub_nc_u32_e32 v8, v10, v5
	v_subrev_co_ci_u32_e64 v8, s3, s17, v8, vcc_lo
	v_add_co_u32 v9, s3, v6, 2
	s_delay_alu instid0(VALU_DEP_1) | instskip(SKIP_3) | instid1(VALU_DEP_3)
	v_add_co_ci_u32_e64 v12, s3, 0, v7, s3
	v_sub_co_u32 v13, s3, v4, s16
	v_sub_co_ci_u32_e32 v5, vcc_lo, v10, v5, vcc_lo
	v_subrev_co_ci_u32_e64 v8, s3, 0, v8, s3
	v_cmp_le_u32_e32 vcc_lo, s16, v13
	s_delay_alu instid0(VALU_DEP_3) | instskip(SKIP_1) | instid1(VALU_DEP_4)
	v_cmp_eq_u32_e64 s3, s17, v5
	v_cndmask_b32_e64 v10, 0, -1, vcc_lo
	v_cmp_le_u32_e32 vcc_lo, s17, v8
	v_cndmask_b32_e64 v13, 0, -1, vcc_lo
	v_cmp_le_u32_e32 vcc_lo, s16, v4
	;; [unrolled: 2-line block ×3, first 2 shown]
	v_cndmask_b32_e64 v14, 0, -1, vcc_lo
	v_cmp_eq_u32_e32 vcc_lo, s17, v8
	s_delay_alu instid0(VALU_DEP_2) | instskip(SKIP_3) | instid1(VALU_DEP_3)
	v_cndmask_b32_e64 v4, v14, v4, s3
	v_cndmask_b32_e32 v8, v13, v10, vcc_lo
	v_add_co_u32 v10, vcc_lo, v6, 1
	v_add_co_ci_u32_e32 v13, vcc_lo, 0, v7, vcc_lo
	v_cmp_ne_u32_e32 vcc_lo, 0, v8
	s_delay_alu instid0(VALU_DEP_2) | instskip(SKIP_2) | instid1(VALU_DEP_3)
	v_dual_cndmask_b32 v5, v13, v12 :: v_dual_cndmask_b32 v8, v10, v9
	v_cmp_ne_u32_e32 vcc_lo, 0, v4
	v_xor_b32_e32 v9, s14, v11
	v_dual_cndmask_b32 v4, v7, v5 :: v_dual_cndmask_b32 v5, v6, v8
	s_delay_alu instid0(VALU_DEP_1) | instskip(NEXT) | instid1(VALU_DEP_2)
	v_xor_b32_e32 v6, v4, v9
	v_xor_b32_e32 v5, v5, v9
	s_delay_alu instid0(VALU_DEP_1) | instskip(NEXT) | instid1(VALU_DEP_3)
	v_sub_co_u32 v4, vcc_lo, v5, v9
	v_sub_co_ci_u32_e32 v5, vcc_lo, v6, v9, vcc_lo
.LBB81_28:
	s_and_not1_saveexec_b32 s3, s20
	s_cbranch_execz .LBB81_30
; %bb.29:
	v_cvt_f32_u32_e32 v4, s10
	s_sub_i32 s14, 0, s10
	s_delay_alu instid0(VALU_DEP_1) | instskip(SKIP_2) | instid1(VALU_DEP_1)
	v_rcp_iflag_f32_e32 v4, v4
	s_waitcnt_depctr 0xfff
	v_mul_f32_e32 v4, 0x4f7ffffe, v4
	v_cvt_u32_f32_e32 v4, v4
	s_delay_alu instid0(VALU_DEP_1) | instskip(NEXT) | instid1(VALU_DEP_1)
	v_mul_lo_u32 v5, s14, v4
	v_mul_hi_u32 v5, v4, v5
	s_delay_alu instid0(VALU_DEP_1) | instskip(NEXT) | instid1(VALU_DEP_1)
	v_add_nc_u32_e32 v4, v4, v5
	v_mul_hi_u32 v4, v2, v4
	s_delay_alu instid0(VALU_DEP_1) | instskip(SKIP_1) | instid1(VALU_DEP_2)
	v_mul_lo_u32 v5, v4, s10
	v_add_nc_u32_e32 v6, 1, v4
	v_sub_nc_u32_e32 v5, v2, v5
	s_delay_alu instid0(VALU_DEP_1) | instskip(SKIP_1) | instid1(VALU_DEP_2)
	v_subrev_nc_u32_e32 v7, s10, v5
	v_cmp_le_u32_e32 vcc_lo, s10, v5
	v_dual_cndmask_b32 v5, v5, v7 :: v_dual_cndmask_b32 v4, v4, v6
	s_delay_alu instid0(VALU_DEP_1) | instskip(NEXT) | instid1(VALU_DEP_2)
	v_cmp_le_u32_e32 vcc_lo, s10, v5
	v_dual_mov_b32 v5, 0 :: v_dual_add_nc_u32 v6, 1, v4
	s_delay_alu instid0(VALU_DEP_1)
	v_cndmask_b32_e32 v4, v4, v6, vcc_lo
.LBB81_30:
	s_or_b32 exec_lo, exec_lo, s3
	s_waitcnt lgkmcnt(0)
	s_delay_alu instid0(VALU_DEP_1) | instskip(SKIP_1) | instid1(VALU_DEP_1)
	v_or_b32_e32 v7, s13, v5
	v_mov_b32_e32 v6, 0
	v_cmp_ne_u64_e32 vcc_lo, 0, v[6:7]
                                        ; implicit-def: $vgpr6_vgpr7
	s_and_saveexec_b32 s3, vcc_lo
	s_delay_alu instid0(SALU_CYCLE_1)
	s_xor_b32 s16, exec_lo, s3
	s_cbranch_execz .LBB81_32
; %bb.31:
	s_ashr_i32 s14, s13, 31
	s_delay_alu instid0(SALU_CYCLE_1) | instskip(SKIP_2) | instid1(SALU_CYCLE_1)
	s_add_u32 s20, s12, s14
	s_mov_b32 s15, s14
	s_addc_u32 s21, s13, s14
	s_xor_b64 s[14:15], s[20:21], s[14:15]
	s_delay_alu instid0(SALU_CYCLE_1) | instskip(SKIP_3) | instid1(VALU_DEP_1)
	v_cvt_f32_u32_e32 v6, s14
	v_cvt_f32_u32_e32 v7, s15
	s_sub_u32 s3, 0, s14
	s_subb_u32 s17, 0, s15
	v_fmamk_f32 v6, v7, 0x4f800000, v6
	s_delay_alu instid0(VALU_DEP_1) | instskip(SKIP_2) | instid1(VALU_DEP_1)
	v_rcp_f32_e32 v6, v6
	s_waitcnt_depctr 0xfff
	v_mul_f32_e32 v6, 0x5f7ffffc, v6
	v_mul_f32_e32 v7, 0x2f800000, v6
	s_delay_alu instid0(VALU_DEP_1) | instskip(NEXT) | instid1(VALU_DEP_1)
	v_trunc_f32_e32 v7, v7
	v_fmamk_f32 v6, v7, 0xcf800000, v6
	v_cvt_u32_f32_e32 v7, v7
	s_delay_alu instid0(VALU_DEP_2) | instskip(NEXT) | instid1(VALU_DEP_2)
	v_cvt_u32_f32_e32 v6, v6
	v_mul_lo_u32 v8, s3, v7
	s_delay_alu instid0(VALU_DEP_2) | instskip(SKIP_1) | instid1(VALU_DEP_2)
	v_mul_hi_u32 v9, s3, v6
	v_mul_lo_u32 v10, s17, v6
	v_add_nc_u32_e32 v8, v9, v8
	v_mul_lo_u32 v9, s3, v6
	s_delay_alu instid0(VALU_DEP_2) | instskip(NEXT) | instid1(VALU_DEP_2)
	v_add_nc_u32_e32 v8, v8, v10
	v_mul_hi_u32 v10, v6, v9
	s_delay_alu instid0(VALU_DEP_2)
	v_mul_lo_u32 v11, v6, v8
	v_mul_hi_u32 v12, v6, v8
	v_mul_hi_u32 v13, v7, v9
	v_mul_lo_u32 v9, v7, v9
	v_mul_hi_u32 v14, v7, v8
	v_mul_lo_u32 v8, v7, v8
	v_add_co_u32 v10, vcc_lo, v10, v11
	v_add_co_ci_u32_e32 v11, vcc_lo, 0, v12, vcc_lo
	s_delay_alu instid0(VALU_DEP_2) | instskip(NEXT) | instid1(VALU_DEP_2)
	v_add_co_u32 v9, vcc_lo, v10, v9
	v_add_co_ci_u32_e32 v9, vcc_lo, v11, v13, vcc_lo
	v_add_co_ci_u32_e32 v10, vcc_lo, 0, v14, vcc_lo
	v_ashrrev_i32_e32 v13, 31, v5
	s_delay_alu instid0(VALU_DEP_3) | instskip(NEXT) | instid1(VALU_DEP_3)
	v_add_co_u32 v8, vcc_lo, v9, v8
	v_add_co_ci_u32_e32 v9, vcc_lo, 0, v10, vcc_lo
	s_delay_alu instid0(VALU_DEP_2) | instskip(NEXT) | instid1(VALU_DEP_2)
	v_add_co_u32 v6, vcc_lo, v6, v8
	v_add_co_ci_u32_e32 v7, vcc_lo, v7, v9, vcc_lo
	s_delay_alu instid0(VALU_DEP_2) | instskip(SKIP_1) | instid1(VALU_DEP_3)
	v_mul_hi_u32 v8, s3, v6
	v_mul_lo_u32 v10, s17, v6
	v_mul_lo_u32 v9, s3, v7
	s_delay_alu instid0(VALU_DEP_1) | instskip(SKIP_1) | instid1(VALU_DEP_2)
	v_add_nc_u32_e32 v8, v8, v9
	v_mul_lo_u32 v9, s3, v6
	v_add_nc_u32_e32 v8, v8, v10
	s_delay_alu instid0(VALU_DEP_2) | instskip(NEXT) | instid1(VALU_DEP_2)
	v_mul_hi_u32 v10, v6, v9
	v_mul_lo_u32 v11, v6, v8
	v_mul_hi_u32 v12, v6, v8
	v_mul_hi_u32 v14, v7, v9
	v_mul_lo_u32 v9, v7, v9
	v_mul_hi_u32 v15, v7, v8
	v_mul_lo_u32 v8, v7, v8
	v_add_co_u32 v10, vcc_lo, v10, v11
	v_add_co_ci_u32_e32 v11, vcc_lo, 0, v12, vcc_lo
	s_delay_alu instid0(VALU_DEP_2) | instskip(NEXT) | instid1(VALU_DEP_2)
	v_add_co_u32 v9, vcc_lo, v10, v9
	v_add_co_ci_u32_e32 v9, vcc_lo, v11, v14, vcc_lo
	v_add_co_ci_u32_e32 v10, vcc_lo, 0, v15, vcc_lo
	v_add_co_u32 v4, vcc_lo, v4, v13
	v_add_co_ci_u32_e32 v5, vcc_lo, v5, v13, vcc_lo
	s_delay_alu instid0(VALU_DEP_4) | instskip(NEXT) | instid1(VALU_DEP_4)
	v_add_co_u32 v8, vcc_lo, v9, v8
	v_add_co_ci_u32_e32 v9, vcc_lo, 0, v10, vcc_lo
	s_delay_alu instid0(VALU_DEP_4) | instskip(NEXT) | instid1(VALU_DEP_3)
	v_xor_b32_e32 v10, v4, v13
	v_add_co_u32 v8, vcc_lo, v6, v8
	s_delay_alu instid0(VALU_DEP_3) | instskip(SKIP_1) | instid1(VALU_DEP_3)
	v_add_co_ci_u32_e32 v11, vcc_lo, v7, v9, vcc_lo
	v_xor_b32_e32 v12, v5, v13
	v_mul_hi_u32 v14, v10, v8
	s_delay_alu instid0(VALU_DEP_3) | instskip(NEXT) | instid1(VALU_DEP_3)
	v_mad_u64_u32 v[4:5], null, v10, v11, 0
	v_mad_u64_u32 v[6:7], null, v12, v8, 0
	;; [unrolled: 1-line block ×3, first 2 shown]
	s_delay_alu instid0(VALU_DEP_3) | instskip(NEXT) | instid1(VALU_DEP_4)
	v_add_co_u32 v4, vcc_lo, v14, v4
	v_add_co_ci_u32_e32 v5, vcc_lo, 0, v5, vcc_lo
	s_delay_alu instid0(VALU_DEP_2) | instskip(NEXT) | instid1(VALU_DEP_2)
	v_add_co_u32 v4, vcc_lo, v4, v6
	v_add_co_ci_u32_e32 v4, vcc_lo, v5, v7, vcc_lo
	v_add_co_ci_u32_e32 v5, vcc_lo, 0, v9, vcc_lo
	s_delay_alu instid0(VALU_DEP_2) | instskip(NEXT) | instid1(VALU_DEP_2)
	v_add_co_u32 v6, vcc_lo, v4, v8
	v_add_co_ci_u32_e32 v7, vcc_lo, 0, v5, vcc_lo
	s_delay_alu instid0(VALU_DEP_2) | instskip(SKIP_1) | instid1(VALU_DEP_3)
	v_mul_lo_u32 v8, s15, v6
	v_mad_u64_u32 v[4:5], null, s14, v6, 0
	v_mul_lo_u32 v6, s14, v7
	s_delay_alu instid0(VALU_DEP_2) | instskip(NEXT) | instid1(VALU_DEP_2)
	v_sub_co_u32 v4, vcc_lo, v10, v4
	v_add3_u32 v5, v5, v6, v8
	s_delay_alu instid0(VALU_DEP_1) | instskip(NEXT) | instid1(VALU_DEP_1)
	v_sub_nc_u32_e32 v6, v12, v5
	v_subrev_co_ci_u32_e64 v6, s3, s15, v6, vcc_lo
	v_sub_co_ci_u32_e32 v5, vcc_lo, v12, v5, vcc_lo
	v_sub_co_u32 v7, vcc_lo, v4, s14
	s_delay_alu instid0(VALU_DEP_1) | instskip(SKIP_3) | instid1(VALU_DEP_3)
	v_subrev_co_ci_u32_e64 v8, s3, 0, v6, vcc_lo
	v_cmp_le_u32_e64 s3, s14, v4
	v_subrev_co_ci_u32_e32 v6, vcc_lo, s15, v6, vcc_lo
	v_cmp_le_u32_e32 vcc_lo, s15, v5
	v_cndmask_b32_e64 v9, 0, -1, s3
	v_cmp_le_u32_e64 s3, s14, v7
	v_cndmask_b32_e64 v12, 0, -1, vcc_lo
	v_cmp_eq_u32_e32 vcc_lo, s15, v8
	s_delay_alu instid0(VALU_DEP_3) | instskip(SKIP_1) | instid1(VALU_DEP_1)
	v_cndmask_b32_e64 v10, 0, -1, s3
	v_cmp_le_u32_e64 s3, s15, v8
	v_cndmask_b32_e64 v11, 0, -1, s3
	v_cmp_eq_u32_e64 s3, s15, v5
	s_delay_alu instid0(VALU_DEP_2) | instskip(SKIP_2) | instid1(VALU_DEP_3)
	v_cndmask_b32_e32 v10, v11, v10, vcc_lo
	v_sub_co_u32 v11, vcc_lo, v7, s14
	v_subrev_co_ci_u32_e32 v6, vcc_lo, 0, v6, vcc_lo
	v_cmp_ne_u32_e32 vcc_lo, 0, v10
	v_cndmask_b32_e64 v9, v12, v9, s3
	s_delay_alu instid0(VALU_DEP_3) | instskip(NEXT) | instid1(VALU_DEP_2)
	v_dual_cndmask_b32 v6, v8, v6 :: v_dual_cndmask_b32 v7, v7, v11
	v_cmp_ne_u32_e32 vcc_lo, 0, v9
	s_delay_alu instid0(VALU_DEP_2) | instskip(NEXT) | instid1(VALU_DEP_1)
	v_dual_cndmask_b32 v5, v5, v6 :: v_dual_cndmask_b32 v4, v4, v7
	v_xor_b32_e32 v5, v5, v13
	s_delay_alu instid0(VALU_DEP_2) | instskip(NEXT) | instid1(VALU_DEP_1)
	v_xor_b32_e32 v4, v4, v13
	v_sub_co_u32 v6, vcc_lo, v4, v13
	s_delay_alu instid0(VALU_DEP_3)
	v_sub_co_ci_u32_e32 v7, vcc_lo, v5, v13, vcc_lo
                                        ; implicit-def: $vgpr4_vgpr5
.LBB81_32:
	s_and_not1_saveexec_b32 s3, s16
	s_cbranch_execz .LBB81_34
; %bb.33:
	v_cvt_f32_u32_e32 v5, s12
	s_sub_i32 s14, 0, s12
	v_mov_b32_e32 v7, 0
	s_delay_alu instid0(VALU_DEP_2) | instskip(SKIP_2) | instid1(VALU_DEP_1)
	v_rcp_iflag_f32_e32 v5, v5
	s_waitcnt_depctr 0xfff
	v_mul_f32_e32 v5, 0x4f7ffffe, v5
	v_cvt_u32_f32_e32 v5, v5
	s_delay_alu instid0(VALU_DEP_1) | instskip(NEXT) | instid1(VALU_DEP_1)
	v_mul_lo_u32 v6, s14, v5
	v_mul_hi_u32 v6, v5, v6
	s_delay_alu instid0(VALU_DEP_1) | instskip(NEXT) | instid1(VALU_DEP_1)
	v_add_nc_u32_e32 v5, v5, v6
	v_mul_hi_u32 v5, v4, v5
	s_delay_alu instid0(VALU_DEP_1) | instskip(NEXT) | instid1(VALU_DEP_1)
	v_mul_lo_u32 v5, v5, s12
	v_sub_nc_u32_e32 v4, v4, v5
	s_delay_alu instid0(VALU_DEP_1) | instskip(SKIP_1) | instid1(VALU_DEP_2)
	v_subrev_nc_u32_e32 v5, s12, v4
	v_cmp_le_u32_e32 vcc_lo, s12, v4
	v_cndmask_b32_e32 v4, v4, v5, vcc_lo
	s_delay_alu instid0(VALU_DEP_1) | instskip(SKIP_1) | instid1(VALU_DEP_2)
	v_subrev_nc_u32_e32 v5, s12, v4
	v_cmp_le_u32_e32 vcc_lo, s12, v4
	v_cndmask_b32_e32 v6, v4, v5, vcc_lo
.LBB81_34:
	s_or_b32 exec_lo, exec_lo, s3
	v_mad_u64_u32 v[4:5], null, 0x78, s4, v[0:1]
	s_mul_i32 s3, s12, s11
	s_mul_hi_u32 s11, s12, s10
	s_delay_alu instid0(SALU_CYCLE_1) | instskip(SKIP_2) | instid1(VALU_DEP_1)
	s_add_i32 s3, s11, s3
	s_mul_i32 s11, s13, s10
	s_mul_i32 s10, s12, s10
	v_mad_u64_u32 v[8:9], null, 0x78, s5, v[5:6]
	s_add_i32 s11, s3, s11
	s_delay_alu instid0(VALU_DEP_1)
	v_mov_b32_e32 v5, v8
	global_store_b64 v[4:5], v[6:7], off
	s_cmp_lt_i32 s18, 15
	s_cbranch_scc1 .LBB81_6
.LBB81_35:
	s_load_b64 s[12:13], s[0:1], 0x78
	s_waitcnt vmcnt(0)
	v_or_b32_e32 v5, s11, v3
	v_mov_b32_e32 v4, 0
	s_delay_alu instid0(VALU_DEP_1) | instskip(SKIP_1) | instid1(SALU_CYCLE_1)
	v_cmp_ne_u64_e32 vcc_lo, 0, v[4:5]
                                        ; implicit-def: $vgpr4_vgpr5
	s_and_saveexec_b32 s3, vcc_lo
	s_xor_b32 s20, exec_lo, s3
	s_cbranch_execz .LBB81_37
; %bb.36:
	s_ashr_i32 s14, s11, 31
	s_delay_alu instid0(SALU_CYCLE_1) | instskip(SKIP_2) | instid1(SALU_CYCLE_1)
	s_add_u32 s16, s10, s14
	s_mov_b32 s15, s14
	s_addc_u32 s17, s11, s14
	s_xor_b64 s[16:17], s[16:17], s[14:15]
	s_delay_alu instid0(SALU_CYCLE_1) | instskip(SKIP_3) | instid1(VALU_DEP_1)
	v_cvt_f32_u32_e32 v4, s16
	v_cvt_f32_u32_e32 v5, s17
	s_sub_u32 s3, 0, s16
	s_subb_u32 s15, 0, s17
	v_fmamk_f32 v4, v5, 0x4f800000, v4
	s_delay_alu instid0(VALU_DEP_1) | instskip(SKIP_2) | instid1(VALU_DEP_1)
	v_rcp_f32_e32 v4, v4
	s_waitcnt_depctr 0xfff
	v_mul_f32_e32 v4, 0x5f7ffffc, v4
	v_mul_f32_e32 v5, 0x2f800000, v4
	s_delay_alu instid0(VALU_DEP_1) | instskip(NEXT) | instid1(VALU_DEP_1)
	v_trunc_f32_e32 v5, v5
	v_fmamk_f32 v4, v5, 0xcf800000, v4
	v_cvt_u32_f32_e32 v5, v5
	s_delay_alu instid0(VALU_DEP_2) | instskip(NEXT) | instid1(VALU_DEP_2)
	v_cvt_u32_f32_e32 v4, v4
	v_mul_lo_u32 v6, s3, v5
	s_delay_alu instid0(VALU_DEP_2) | instskip(SKIP_1) | instid1(VALU_DEP_2)
	v_mul_hi_u32 v7, s3, v4
	v_mul_lo_u32 v8, s15, v4
	v_add_nc_u32_e32 v6, v7, v6
	v_mul_lo_u32 v7, s3, v4
	s_delay_alu instid0(VALU_DEP_2) | instskip(NEXT) | instid1(VALU_DEP_2)
	v_add_nc_u32_e32 v6, v6, v8
	v_mul_hi_u32 v8, v4, v7
	s_delay_alu instid0(VALU_DEP_2)
	v_mul_lo_u32 v9, v4, v6
	v_mul_hi_u32 v10, v4, v6
	v_mul_hi_u32 v11, v5, v7
	v_mul_lo_u32 v7, v5, v7
	v_mul_hi_u32 v12, v5, v6
	v_mul_lo_u32 v6, v5, v6
	v_add_co_u32 v8, vcc_lo, v8, v9
	v_add_co_ci_u32_e32 v9, vcc_lo, 0, v10, vcc_lo
	s_delay_alu instid0(VALU_DEP_2) | instskip(NEXT) | instid1(VALU_DEP_2)
	v_add_co_u32 v7, vcc_lo, v8, v7
	v_add_co_ci_u32_e32 v7, vcc_lo, v9, v11, vcc_lo
	v_add_co_ci_u32_e32 v8, vcc_lo, 0, v12, vcc_lo
	v_ashrrev_i32_e32 v11, 31, v3
	s_delay_alu instid0(VALU_DEP_3) | instskip(NEXT) | instid1(VALU_DEP_3)
	v_add_co_u32 v6, vcc_lo, v7, v6
	v_add_co_ci_u32_e32 v7, vcc_lo, 0, v8, vcc_lo
	s_delay_alu instid0(VALU_DEP_2) | instskip(NEXT) | instid1(VALU_DEP_2)
	v_add_co_u32 v4, vcc_lo, v4, v6
	v_add_co_ci_u32_e32 v5, vcc_lo, v5, v7, vcc_lo
	s_delay_alu instid0(VALU_DEP_2) | instskip(SKIP_1) | instid1(VALU_DEP_3)
	v_mul_hi_u32 v6, s3, v4
	v_mul_lo_u32 v8, s15, v4
	v_mul_lo_u32 v7, s3, v5
	s_delay_alu instid0(VALU_DEP_1) | instskip(SKIP_1) | instid1(VALU_DEP_2)
	v_add_nc_u32_e32 v6, v6, v7
	v_mul_lo_u32 v7, s3, v4
	v_add_nc_u32_e32 v6, v6, v8
	s_delay_alu instid0(VALU_DEP_2) | instskip(NEXT) | instid1(VALU_DEP_2)
	v_mul_hi_u32 v8, v4, v7
	v_mul_lo_u32 v9, v4, v6
	v_mul_hi_u32 v10, v4, v6
	v_mul_hi_u32 v12, v5, v7
	v_mul_lo_u32 v7, v5, v7
	v_mul_hi_u32 v13, v5, v6
	v_mul_lo_u32 v6, v5, v6
	v_add_co_u32 v8, vcc_lo, v8, v9
	v_add_co_ci_u32_e32 v9, vcc_lo, 0, v10, vcc_lo
	s_delay_alu instid0(VALU_DEP_2) | instskip(NEXT) | instid1(VALU_DEP_2)
	v_add_co_u32 v7, vcc_lo, v8, v7
	v_add_co_ci_u32_e32 v7, vcc_lo, v9, v12, vcc_lo
	v_add_co_ci_u32_e32 v8, vcc_lo, 0, v13, vcc_lo
	v_add_co_u32 v9, vcc_lo, v2, v11
	v_add_co_ci_u32_e32 v10, vcc_lo, v3, v11, vcc_lo
	s_delay_alu instid0(VALU_DEP_4) | instskip(NEXT) | instid1(VALU_DEP_4)
	v_add_co_u32 v6, vcc_lo, v7, v6
	v_add_co_ci_u32_e32 v7, vcc_lo, 0, v8, vcc_lo
	s_delay_alu instid0(VALU_DEP_4) | instskip(NEXT) | instid1(VALU_DEP_3)
	v_xor_b32_e32 v12, v9, v11
	v_add_co_u32 v8, vcc_lo, v4, v6
	s_delay_alu instid0(VALU_DEP_3) | instskip(SKIP_1) | instid1(VALU_DEP_3)
	v_add_co_ci_u32_e32 v13, vcc_lo, v5, v7, vcc_lo
	v_xor_b32_e32 v10, v10, v11
	v_mul_hi_u32 v14, v12, v8
	s_delay_alu instid0(VALU_DEP_3) | instskip(NEXT) | instid1(VALU_DEP_3)
	v_mad_u64_u32 v[4:5], null, v12, v13, 0
	v_mad_u64_u32 v[6:7], null, v10, v8, 0
	;; [unrolled: 1-line block ×3, first 2 shown]
	s_delay_alu instid0(VALU_DEP_3) | instskip(NEXT) | instid1(VALU_DEP_4)
	v_add_co_u32 v4, vcc_lo, v14, v4
	v_add_co_ci_u32_e32 v5, vcc_lo, 0, v5, vcc_lo
	s_delay_alu instid0(VALU_DEP_2) | instskip(NEXT) | instid1(VALU_DEP_2)
	v_add_co_u32 v4, vcc_lo, v4, v6
	v_add_co_ci_u32_e32 v4, vcc_lo, v5, v7, vcc_lo
	v_add_co_ci_u32_e32 v5, vcc_lo, 0, v9, vcc_lo
	s_delay_alu instid0(VALU_DEP_2) | instskip(NEXT) | instid1(VALU_DEP_2)
	v_add_co_u32 v6, vcc_lo, v4, v8
	v_add_co_ci_u32_e32 v7, vcc_lo, 0, v5, vcc_lo
	s_delay_alu instid0(VALU_DEP_2) | instskip(SKIP_1) | instid1(VALU_DEP_3)
	v_mul_lo_u32 v8, s17, v6
	v_mad_u64_u32 v[4:5], null, s16, v6, 0
	v_mul_lo_u32 v9, s16, v7
	s_delay_alu instid0(VALU_DEP_2) | instskip(NEXT) | instid1(VALU_DEP_2)
	v_sub_co_u32 v4, vcc_lo, v12, v4
	v_add3_u32 v5, v5, v9, v8
	s_delay_alu instid0(VALU_DEP_1) | instskip(NEXT) | instid1(VALU_DEP_1)
	v_sub_nc_u32_e32 v8, v10, v5
	v_subrev_co_ci_u32_e64 v8, s3, s17, v8, vcc_lo
	v_add_co_u32 v9, s3, v6, 2
	s_delay_alu instid0(VALU_DEP_1) | instskip(SKIP_3) | instid1(VALU_DEP_3)
	v_add_co_ci_u32_e64 v12, s3, 0, v7, s3
	v_sub_co_u32 v13, s3, v4, s16
	v_sub_co_ci_u32_e32 v5, vcc_lo, v10, v5, vcc_lo
	v_subrev_co_ci_u32_e64 v8, s3, 0, v8, s3
	v_cmp_le_u32_e32 vcc_lo, s16, v13
	s_delay_alu instid0(VALU_DEP_3) | instskip(SKIP_1) | instid1(VALU_DEP_4)
	v_cmp_eq_u32_e64 s3, s17, v5
	v_cndmask_b32_e64 v10, 0, -1, vcc_lo
	v_cmp_le_u32_e32 vcc_lo, s17, v8
	v_cndmask_b32_e64 v13, 0, -1, vcc_lo
	v_cmp_le_u32_e32 vcc_lo, s16, v4
	;; [unrolled: 2-line block ×3, first 2 shown]
	v_cndmask_b32_e64 v14, 0, -1, vcc_lo
	v_cmp_eq_u32_e32 vcc_lo, s17, v8
	s_delay_alu instid0(VALU_DEP_2) | instskip(SKIP_3) | instid1(VALU_DEP_3)
	v_cndmask_b32_e64 v4, v14, v4, s3
	v_cndmask_b32_e32 v8, v13, v10, vcc_lo
	v_add_co_u32 v10, vcc_lo, v6, 1
	v_add_co_ci_u32_e32 v13, vcc_lo, 0, v7, vcc_lo
	v_cmp_ne_u32_e32 vcc_lo, 0, v8
	s_delay_alu instid0(VALU_DEP_2) | instskip(SKIP_2) | instid1(VALU_DEP_3)
	v_dual_cndmask_b32 v5, v13, v12 :: v_dual_cndmask_b32 v8, v10, v9
	v_cmp_ne_u32_e32 vcc_lo, 0, v4
	v_xor_b32_e32 v9, s14, v11
	v_dual_cndmask_b32 v4, v7, v5 :: v_dual_cndmask_b32 v5, v6, v8
	s_delay_alu instid0(VALU_DEP_1) | instskip(NEXT) | instid1(VALU_DEP_2)
	v_xor_b32_e32 v6, v4, v9
	v_xor_b32_e32 v5, v5, v9
	s_delay_alu instid0(VALU_DEP_1) | instskip(NEXT) | instid1(VALU_DEP_3)
	v_sub_co_u32 v4, vcc_lo, v5, v9
	v_sub_co_ci_u32_e32 v5, vcc_lo, v6, v9, vcc_lo
.LBB81_37:
	s_and_not1_saveexec_b32 s3, s20
	s_cbranch_execz .LBB81_39
; %bb.38:
	v_cvt_f32_u32_e32 v4, s10
	s_sub_i32 s14, 0, s10
	s_delay_alu instid0(VALU_DEP_1) | instskip(SKIP_2) | instid1(VALU_DEP_1)
	v_rcp_iflag_f32_e32 v4, v4
	s_waitcnt_depctr 0xfff
	v_mul_f32_e32 v4, 0x4f7ffffe, v4
	v_cvt_u32_f32_e32 v4, v4
	s_delay_alu instid0(VALU_DEP_1) | instskip(NEXT) | instid1(VALU_DEP_1)
	v_mul_lo_u32 v5, s14, v4
	v_mul_hi_u32 v5, v4, v5
	s_delay_alu instid0(VALU_DEP_1) | instskip(NEXT) | instid1(VALU_DEP_1)
	v_add_nc_u32_e32 v4, v4, v5
	v_mul_hi_u32 v4, v2, v4
	s_delay_alu instid0(VALU_DEP_1) | instskip(SKIP_1) | instid1(VALU_DEP_2)
	v_mul_lo_u32 v5, v4, s10
	v_add_nc_u32_e32 v6, 1, v4
	v_sub_nc_u32_e32 v5, v2, v5
	s_delay_alu instid0(VALU_DEP_1) | instskip(SKIP_1) | instid1(VALU_DEP_2)
	v_subrev_nc_u32_e32 v7, s10, v5
	v_cmp_le_u32_e32 vcc_lo, s10, v5
	v_dual_cndmask_b32 v5, v5, v7 :: v_dual_cndmask_b32 v4, v4, v6
	s_delay_alu instid0(VALU_DEP_1) | instskip(NEXT) | instid1(VALU_DEP_2)
	v_cmp_le_u32_e32 vcc_lo, s10, v5
	v_dual_mov_b32 v5, 0 :: v_dual_add_nc_u32 v6, 1, v4
	s_delay_alu instid0(VALU_DEP_1)
	v_cndmask_b32_e32 v4, v4, v6, vcc_lo
.LBB81_39:
	s_or_b32 exec_lo, exec_lo, s3
	s_waitcnt lgkmcnt(0)
	s_delay_alu instid0(VALU_DEP_1) | instskip(SKIP_1) | instid1(VALU_DEP_1)
	v_or_b32_e32 v7, s13, v5
	v_mov_b32_e32 v6, 0
	v_cmp_ne_u64_e32 vcc_lo, 0, v[6:7]
                                        ; implicit-def: $vgpr6_vgpr7
	s_and_saveexec_b32 s3, vcc_lo
	s_delay_alu instid0(SALU_CYCLE_1)
	s_xor_b32 s16, exec_lo, s3
	s_cbranch_execz .LBB81_41
; %bb.40:
	s_ashr_i32 s14, s13, 31
	s_delay_alu instid0(SALU_CYCLE_1) | instskip(SKIP_2) | instid1(SALU_CYCLE_1)
	s_add_u32 s20, s12, s14
	s_mov_b32 s15, s14
	s_addc_u32 s21, s13, s14
	s_xor_b64 s[14:15], s[20:21], s[14:15]
	s_delay_alu instid0(SALU_CYCLE_1) | instskip(SKIP_3) | instid1(VALU_DEP_1)
	v_cvt_f32_u32_e32 v6, s14
	v_cvt_f32_u32_e32 v7, s15
	s_sub_u32 s3, 0, s14
	s_subb_u32 s17, 0, s15
	v_fmamk_f32 v6, v7, 0x4f800000, v6
	s_delay_alu instid0(VALU_DEP_1) | instskip(SKIP_2) | instid1(VALU_DEP_1)
	v_rcp_f32_e32 v6, v6
	s_waitcnt_depctr 0xfff
	v_mul_f32_e32 v6, 0x5f7ffffc, v6
	v_mul_f32_e32 v7, 0x2f800000, v6
	s_delay_alu instid0(VALU_DEP_1) | instskip(NEXT) | instid1(VALU_DEP_1)
	v_trunc_f32_e32 v7, v7
	v_fmamk_f32 v6, v7, 0xcf800000, v6
	v_cvt_u32_f32_e32 v7, v7
	s_delay_alu instid0(VALU_DEP_2) | instskip(NEXT) | instid1(VALU_DEP_2)
	v_cvt_u32_f32_e32 v6, v6
	v_mul_lo_u32 v8, s3, v7
	s_delay_alu instid0(VALU_DEP_2) | instskip(SKIP_1) | instid1(VALU_DEP_2)
	v_mul_hi_u32 v9, s3, v6
	v_mul_lo_u32 v10, s17, v6
	v_add_nc_u32_e32 v8, v9, v8
	v_mul_lo_u32 v9, s3, v6
	s_delay_alu instid0(VALU_DEP_2) | instskip(NEXT) | instid1(VALU_DEP_2)
	v_add_nc_u32_e32 v8, v8, v10
	v_mul_hi_u32 v10, v6, v9
	s_delay_alu instid0(VALU_DEP_2)
	v_mul_lo_u32 v11, v6, v8
	v_mul_hi_u32 v12, v6, v8
	v_mul_hi_u32 v13, v7, v9
	v_mul_lo_u32 v9, v7, v9
	v_mul_hi_u32 v14, v7, v8
	v_mul_lo_u32 v8, v7, v8
	v_add_co_u32 v10, vcc_lo, v10, v11
	v_add_co_ci_u32_e32 v11, vcc_lo, 0, v12, vcc_lo
	s_delay_alu instid0(VALU_DEP_2) | instskip(NEXT) | instid1(VALU_DEP_2)
	v_add_co_u32 v9, vcc_lo, v10, v9
	v_add_co_ci_u32_e32 v9, vcc_lo, v11, v13, vcc_lo
	v_add_co_ci_u32_e32 v10, vcc_lo, 0, v14, vcc_lo
	v_ashrrev_i32_e32 v13, 31, v5
	s_delay_alu instid0(VALU_DEP_3) | instskip(NEXT) | instid1(VALU_DEP_3)
	v_add_co_u32 v8, vcc_lo, v9, v8
	v_add_co_ci_u32_e32 v9, vcc_lo, 0, v10, vcc_lo
	s_delay_alu instid0(VALU_DEP_2) | instskip(NEXT) | instid1(VALU_DEP_2)
	v_add_co_u32 v6, vcc_lo, v6, v8
	v_add_co_ci_u32_e32 v7, vcc_lo, v7, v9, vcc_lo
	s_delay_alu instid0(VALU_DEP_2) | instskip(SKIP_1) | instid1(VALU_DEP_3)
	v_mul_hi_u32 v8, s3, v6
	v_mul_lo_u32 v10, s17, v6
	v_mul_lo_u32 v9, s3, v7
	s_delay_alu instid0(VALU_DEP_1) | instskip(SKIP_1) | instid1(VALU_DEP_2)
	v_add_nc_u32_e32 v8, v8, v9
	v_mul_lo_u32 v9, s3, v6
	v_add_nc_u32_e32 v8, v8, v10
	s_delay_alu instid0(VALU_DEP_2) | instskip(NEXT) | instid1(VALU_DEP_2)
	v_mul_hi_u32 v10, v6, v9
	v_mul_lo_u32 v11, v6, v8
	v_mul_hi_u32 v12, v6, v8
	v_mul_hi_u32 v14, v7, v9
	v_mul_lo_u32 v9, v7, v9
	v_mul_hi_u32 v15, v7, v8
	v_mul_lo_u32 v8, v7, v8
	v_add_co_u32 v10, vcc_lo, v10, v11
	v_add_co_ci_u32_e32 v11, vcc_lo, 0, v12, vcc_lo
	s_delay_alu instid0(VALU_DEP_2) | instskip(NEXT) | instid1(VALU_DEP_2)
	v_add_co_u32 v9, vcc_lo, v10, v9
	v_add_co_ci_u32_e32 v9, vcc_lo, v11, v14, vcc_lo
	v_add_co_ci_u32_e32 v10, vcc_lo, 0, v15, vcc_lo
	v_add_co_u32 v4, vcc_lo, v4, v13
	v_add_co_ci_u32_e32 v5, vcc_lo, v5, v13, vcc_lo
	s_delay_alu instid0(VALU_DEP_4) | instskip(NEXT) | instid1(VALU_DEP_4)
	v_add_co_u32 v8, vcc_lo, v9, v8
	v_add_co_ci_u32_e32 v9, vcc_lo, 0, v10, vcc_lo
	s_delay_alu instid0(VALU_DEP_4) | instskip(NEXT) | instid1(VALU_DEP_3)
	v_xor_b32_e32 v10, v4, v13
	v_add_co_u32 v8, vcc_lo, v6, v8
	s_delay_alu instid0(VALU_DEP_3) | instskip(SKIP_1) | instid1(VALU_DEP_3)
	v_add_co_ci_u32_e32 v11, vcc_lo, v7, v9, vcc_lo
	v_xor_b32_e32 v12, v5, v13
	v_mul_hi_u32 v14, v10, v8
	s_delay_alu instid0(VALU_DEP_3) | instskip(NEXT) | instid1(VALU_DEP_3)
	v_mad_u64_u32 v[4:5], null, v10, v11, 0
	v_mad_u64_u32 v[6:7], null, v12, v8, 0
	;; [unrolled: 1-line block ×3, first 2 shown]
	s_delay_alu instid0(VALU_DEP_3) | instskip(NEXT) | instid1(VALU_DEP_4)
	v_add_co_u32 v4, vcc_lo, v14, v4
	v_add_co_ci_u32_e32 v5, vcc_lo, 0, v5, vcc_lo
	s_delay_alu instid0(VALU_DEP_2) | instskip(NEXT) | instid1(VALU_DEP_2)
	v_add_co_u32 v4, vcc_lo, v4, v6
	v_add_co_ci_u32_e32 v4, vcc_lo, v5, v7, vcc_lo
	v_add_co_ci_u32_e32 v5, vcc_lo, 0, v9, vcc_lo
	s_delay_alu instid0(VALU_DEP_2) | instskip(NEXT) | instid1(VALU_DEP_2)
	v_add_co_u32 v6, vcc_lo, v4, v8
	v_add_co_ci_u32_e32 v7, vcc_lo, 0, v5, vcc_lo
	s_delay_alu instid0(VALU_DEP_2) | instskip(SKIP_1) | instid1(VALU_DEP_3)
	v_mul_lo_u32 v8, s15, v6
	v_mad_u64_u32 v[4:5], null, s14, v6, 0
	v_mul_lo_u32 v6, s14, v7
	s_delay_alu instid0(VALU_DEP_2) | instskip(NEXT) | instid1(VALU_DEP_2)
	v_sub_co_u32 v4, vcc_lo, v10, v4
	v_add3_u32 v5, v5, v6, v8
	s_delay_alu instid0(VALU_DEP_1) | instskip(NEXT) | instid1(VALU_DEP_1)
	v_sub_nc_u32_e32 v6, v12, v5
	v_subrev_co_ci_u32_e64 v6, s3, s15, v6, vcc_lo
	v_sub_co_ci_u32_e32 v5, vcc_lo, v12, v5, vcc_lo
	v_sub_co_u32 v7, vcc_lo, v4, s14
	s_delay_alu instid0(VALU_DEP_1) | instskip(SKIP_3) | instid1(VALU_DEP_3)
	v_subrev_co_ci_u32_e64 v8, s3, 0, v6, vcc_lo
	v_cmp_le_u32_e64 s3, s14, v4
	v_subrev_co_ci_u32_e32 v6, vcc_lo, s15, v6, vcc_lo
	v_cmp_le_u32_e32 vcc_lo, s15, v5
	v_cndmask_b32_e64 v9, 0, -1, s3
	v_cmp_le_u32_e64 s3, s14, v7
	v_cndmask_b32_e64 v12, 0, -1, vcc_lo
	v_cmp_eq_u32_e32 vcc_lo, s15, v8
	s_delay_alu instid0(VALU_DEP_3) | instskip(SKIP_1) | instid1(VALU_DEP_1)
	v_cndmask_b32_e64 v10, 0, -1, s3
	v_cmp_le_u32_e64 s3, s15, v8
	v_cndmask_b32_e64 v11, 0, -1, s3
	v_cmp_eq_u32_e64 s3, s15, v5
	s_delay_alu instid0(VALU_DEP_2) | instskip(SKIP_2) | instid1(VALU_DEP_3)
	v_cndmask_b32_e32 v10, v11, v10, vcc_lo
	v_sub_co_u32 v11, vcc_lo, v7, s14
	v_subrev_co_ci_u32_e32 v6, vcc_lo, 0, v6, vcc_lo
	v_cmp_ne_u32_e32 vcc_lo, 0, v10
	v_cndmask_b32_e64 v9, v12, v9, s3
	s_delay_alu instid0(VALU_DEP_3) | instskip(NEXT) | instid1(VALU_DEP_2)
	v_dual_cndmask_b32 v6, v8, v6 :: v_dual_cndmask_b32 v7, v7, v11
	v_cmp_ne_u32_e32 vcc_lo, 0, v9
	s_delay_alu instid0(VALU_DEP_2) | instskip(NEXT) | instid1(VALU_DEP_1)
	v_dual_cndmask_b32 v5, v5, v6 :: v_dual_cndmask_b32 v4, v4, v7
	v_xor_b32_e32 v5, v5, v13
	s_delay_alu instid0(VALU_DEP_2) | instskip(NEXT) | instid1(VALU_DEP_1)
	v_xor_b32_e32 v4, v4, v13
	v_sub_co_u32 v6, vcc_lo, v4, v13
	s_delay_alu instid0(VALU_DEP_3)
	v_sub_co_ci_u32_e32 v7, vcc_lo, v5, v13, vcc_lo
                                        ; implicit-def: $vgpr4_vgpr5
.LBB81_41:
	s_and_not1_saveexec_b32 s3, s16
	s_cbranch_execz .LBB81_43
; %bb.42:
	v_cvt_f32_u32_e32 v5, s12
	s_sub_i32 s14, 0, s12
	v_mov_b32_e32 v7, 0
	s_delay_alu instid0(VALU_DEP_2) | instskip(SKIP_2) | instid1(VALU_DEP_1)
	v_rcp_iflag_f32_e32 v5, v5
	s_waitcnt_depctr 0xfff
	v_mul_f32_e32 v5, 0x4f7ffffe, v5
	v_cvt_u32_f32_e32 v5, v5
	s_delay_alu instid0(VALU_DEP_1) | instskip(NEXT) | instid1(VALU_DEP_1)
	v_mul_lo_u32 v6, s14, v5
	v_mul_hi_u32 v6, v5, v6
	s_delay_alu instid0(VALU_DEP_1) | instskip(NEXT) | instid1(VALU_DEP_1)
	v_add_nc_u32_e32 v5, v5, v6
	v_mul_hi_u32 v5, v4, v5
	s_delay_alu instid0(VALU_DEP_1) | instskip(NEXT) | instid1(VALU_DEP_1)
	v_mul_lo_u32 v5, v5, s12
	v_sub_nc_u32_e32 v4, v4, v5
	s_delay_alu instid0(VALU_DEP_1) | instskip(SKIP_1) | instid1(VALU_DEP_2)
	v_subrev_nc_u32_e32 v5, s12, v4
	v_cmp_le_u32_e32 vcc_lo, s12, v4
	v_cndmask_b32_e32 v4, v4, v5, vcc_lo
	s_delay_alu instid0(VALU_DEP_1) | instskip(SKIP_1) | instid1(VALU_DEP_2)
	v_subrev_nc_u32_e32 v5, s12, v4
	v_cmp_le_u32_e32 vcc_lo, s12, v4
	v_cndmask_b32_e32 v6, v4, v5, vcc_lo
.LBB81_43:
	s_or_b32 exec_lo, exec_lo, s3
	v_mad_u64_u32 v[4:5], null, 0x70, s4, v[0:1]
	s_mul_i32 s3, s12, s11
	s_mul_hi_u32 s11, s12, s10
	s_delay_alu instid0(SALU_CYCLE_1) | instskip(SKIP_2) | instid1(VALU_DEP_1)
	s_add_i32 s3, s11, s3
	s_mul_i32 s11, s13, s10
	s_mul_i32 s10, s12, s10
	v_mad_u64_u32 v[8:9], null, 0x70, s5, v[5:6]
	s_add_i32 s11, s3, s11
	s_delay_alu instid0(VALU_DEP_1)
	v_mov_b32_e32 v5, v8
	global_store_b64 v[4:5], v[6:7], off
	s_cmp_lt_i32 s18, 14
	s_cbranch_scc1 .LBB81_7
.LBB81_44:
	s_load_b64 s[12:13], s[0:1], 0x70
	s_waitcnt vmcnt(0)
	v_or_b32_e32 v5, s11, v3
	v_mov_b32_e32 v4, 0
	s_delay_alu instid0(VALU_DEP_1) | instskip(SKIP_1) | instid1(SALU_CYCLE_1)
	v_cmp_ne_u64_e32 vcc_lo, 0, v[4:5]
                                        ; implicit-def: $vgpr4_vgpr5
	s_and_saveexec_b32 s3, vcc_lo
	s_xor_b32 s20, exec_lo, s3
	s_cbranch_execz .LBB81_46
; %bb.45:
	s_ashr_i32 s14, s11, 31
	s_delay_alu instid0(SALU_CYCLE_1) | instskip(SKIP_2) | instid1(SALU_CYCLE_1)
	s_add_u32 s16, s10, s14
	s_mov_b32 s15, s14
	s_addc_u32 s17, s11, s14
	s_xor_b64 s[16:17], s[16:17], s[14:15]
	s_delay_alu instid0(SALU_CYCLE_1) | instskip(SKIP_3) | instid1(VALU_DEP_1)
	v_cvt_f32_u32_e32 v4, s16
	v_cvt_f32_u32_e32 v5, s17
	s_sub_u32 s3, 0, s16
	s_subb_u32 s15, 0, s17
	v_fmamk_f32 v4, v5, 0x4f800000, v4
	s_delay_alu instid0(VALU_DEP_1) | instskip(SKIP_2) | instid1(VALU_DEP_1)
	v_rcp_f32_e32 v4, v4
	s_waitcnt_depctr 0xfff
	v_mul_f32_e32 v4, 0x5f7ffffc, v4
	v_mul_f32_e32 v5, 0x2f800000, v4
	s_delay_alu instid0(VALU_DEP_1) | instskip(NEXT) | instid1(VALU_DEP_1)
	v_trunc_f32_e32 v5, v5
	v_fmamk_f32 v4, v5, 0xcf800000, v4
	v_cvt_u32_f32_e32 v5, v5
	s_delay_alu instid0(VALU_DEP_2) | instskip(NEXT) | instid1(VALU_DEP_2)
	v_cvt_u32_f32_e32 v4, v4
	v_mul_lo_u32 v6, s3, v5
	s_delay_alu instid0(VALU_DEP_2) | instskip(SKIP_1) | instid1(VALU_DEP_2)
	v_mul_hi_u32 v7, s3, v4
	v_mul_lo_u32 v8, s15, v4
	v_add_nc_u32_e32 v6, v7, v6
	v_mul_lo_u32 v7, s3, v4
	s_delay_alu instid0(VALU_DEP_2) | instskip(NEXT) | instid1(VALU_DEP_2)
	v_add_nc_u32_e32 v6, v6, v8
	v_mul_hi_u32 v8, v4, v7
	s_delay_alu instid0(VALU_DEP_2)
	v_mul_lo_u32 v9, v4, v6
	v_mul_hi_u32 v10, v4, v6
	v_mul_hi_u32 v11, v5, v7
	v_mul_lo_u32 v7, v5, v7
	v_mul_hi_u32 v12, v5, v6
	v_mul_lo_u32 v6, v5, v6
	v_add_co_u32 v8, vcc_lo, v8, v9
	v_add_co_ci_u32_e32 v9, vcc_lo, 0, v10, vcc_lo
	s_delay_alu instid0(VALU_DEP_2) | instskip(NEXT) | instid1(VALU_DEP_2)
	v_add_co_u32 v7, vcc_lo, v8, v7
	v_add_co_ci_u32_e32 v7, vcc_lo, v9, v11, vcc_lo
	v_add_co_ci_u32_e32 v8, vcc_lo, 0, v12, vcc_lo
	v_ashrrev_i32_e32 v11, 31, v3
	s_delay_alu instid0(VALU_DEP_3) | instskip(NEXT) | instid1(VALU_DEP_3)
	v_add_co_u32 v6, vcc_lo, v7, v6
	v_add_co_ci_u32_e32 v7, vcc_lo, 0, v8, vcc_lo
	s_delay_alu instid0(VALU_DEP_2) | instskip(NEXT) | instid1(VALU_DEP_2)
	v_add_co_u32 v4, vcc_lo, v4, v6
	v_add_co_ci_u32_e32 v5, vcc_lo, v5, v7, vcc_lo
	s_delay_alu instid0(VALU_DEP_2) | instskip(SKIP_1) | instid1(VALU_DEP_3)
	v_mul_hi_u32 v6, s3, v4
	v_mul_lo_u32 v8, s15, v4
	v_mul_lo_u32 v7, s3, v5
	s_delay_alu instid0(VALU_DEP_1) | instskip(SKIP_1) | instid1(VALU_DEP_2)
	v_add_nc_u32_e32 v6, v6, v7
	v_mul_lo_u32 v7, s3, v4
	v_add_nc_u32_e32 v6, v6, v8
	s_delay_alu instid0(VALU_DEP_2) | instskip(NEXT) | instid1(VALU_DEP_2)
	v_mul_hi_u32 v8, v4, v7
	v_mul_lo_u32 v9, v4, v6
	v_mul_hi_u32 v10, v4, v6
	v_mul_hi_u32 v12, v5, v7
	v_mul_lo_u32 v7, v5, v7
	v_mul_hi_u32 v13, v5, v6
	v_mul_lo_u32 v6, v5, v6
	v_add_co_u32 v8, vcc_lo, v8, v9
	v_add_co_ci_u32_e32 v9, vcc_lo, 0, v10, vcc_lo
	s_delay_alu instid0(VALU_DEP_2) | instskip(NEXT) | instid1(VALU_DEP_2)
	v_add_co_u32 v7, vcc_lo, v8, v7
	v_add_co_ci_u32_e32 v7, vcc_lo, v9, v12, vcc_lo
	v_add_co_ci_u32_e32 v8, vcc_lo, 0, v13, vcc_lo
	v_add_co_u32 v9, vcc_lo, v2, v11
	v_add_co_ci_u32_e32 v10, vcc_lo, v3, v11, vcc_lo
	s_delay_alu instid0(VALU_DEP_4) | instskip(NEXT) | instid1(VALU_DEP_4)
	v_add_co_u32 v6, vcc_lo, v7, v6
	v_add_co_ci_u32_e32 v7, vcc_lo, 0, v8, vcc_lo
	s_delay_alu instid0(VALU_DEP_4) | instskip(NEXT) | instid1(VALU_DEP_3)
	v_xor_b32_e32 v12, v9, v11
	v_add_co_u32 v8, vcc_lo, v4, v6
	s_delay_alu instid0(VALU_DEP_3) | instskip(SKIP_1) | instid1(VALU_DEP_3)
	v_add_co_ci_u32_e32 v13, vcc_lo, v5, v7, vcc_lo
	v_xor_b32_e32 v10, v10, v11
	v_mul_hi_u32 v14, v12, v8
	s_delay_alu instid0(VALU_DEP_3) | instskip(NEXT) | instid1(VALU_DEP_3)
	v_mad_u64_u32 v[4:5], null, v12, v13, 0
	v_mad_u64_u32 v[6:7], null, v10, v8, 0
	;; [unrolled: 1-line block ×3, first 2 shown]
	s_delay_alu instid0(VALU_DEP_3) | instskip(NEXT) | instid1(VALU_DEP_4)
	v_add_co_u32 v4, vcc_lo, v14, v4
	v_add_co_ci_u32_e32 v5, vcc_lo, 0, v5, vcc_lo
	s_delay_alu instid0(VALU_DEP_2) | instskip(NEXT) | instid1(VALU_DEP_2)
	v_add_co_u32 v4, vcc_lo, v4, v6
	v_add_co_ci_u32_e32 v4, vcc_lo, v5, v7, vcc_lo
	v_add_co_ci_u32_e32 v5, vcc_lo, 0, v9, vcc_lo
	s_delay_alu instid0(VALU_DEP_2) | instskip(NEXT) | instid1(VALU_DEP_2)
	v_add_co_u32 v6, vcc_lo, v4, v8
	v_add_co_ci_u32_e32 v7, vcc_lo, 0, v5, vcc_lo
	s_delay_alu instid0(VALU_DEP_2) | instskip(SKIP_1) | instid1(VALU_DEP_3)
	v_mul_lo_u32 v8, s17, v6
	v_mad_u64_u32 v[4:5], null, s16, v6, 0
	v_mul_lo_u32 v9, s16, v7
	s_delay_alu instid0(VALU_DEP_2) | instskip(NEXT) | instid1(VALU_DEP_2)
	v_sub_co_u32 v4, vcc_lo, v12, v4
	v_add3_u32 v5, v5, v9, v8
	s_delay_alu instid0(VALU_DEP_1) | instskip(NEXT) | instid1(VALU_DEP_1)
	v_sub_nc_u32_e32 v8, v10, v5
	v_subrev_co_ci_u32_e64 v8, s3, s17, v8, vcc_lo
	v_add_co_u32 v9, s3, v6, 2
	s_delay_alu instid0(VALU_DEP_1) | instskip(SKIP_3) | instid1(VALU_DEP_3)
	v_add_co_ci_u32_e64 v12, s3, 0, v7, s3
	v_sub_co_u32 v13, s3, v4, s16
	v_sub_co_ci_u32_e32 v5, vcc_lo, v10, v5, vcc_lo
	v_subrev_co_ci_u32_e64 v8, s3, 0, v8, s3
	v_cmp_le_u32_e32 vcc_lo, s16, v13
	s_delay_alu instid0(VALU_DEP_3) | instskip(SKIP_1) | instid1(VALU_DEP_4)
	v_cmp_eq_u32_e64 s3, s17, v5
	v_cndmask_b32_e64 v10, 0, -1, vcc_lo
	v_cmp_le_u32_e32 vcc_lo, s17, v8
	v_cndmask_b32_e64 v13, 0, -1, vcc_lo
	v_cmp_le_u32_e32 vcc_lo, s16, v4
	v_cndmask_b32_e64 v4, 0, -1, vcc_lo
	v_cmp_le_u32_e32 vcc_lo, s17, v5
	v_cndmask_b32_e64 v14, 0, -1, vcc_lo
	v_cmp_eq_u32_e32 vcc_lo, s17, v8
	s_delay_alu instid0(VALU_DEP_2) | instskip(SKIP_3) | instid1(VALU_DEP_3)
	v_cndmask_b32_e64 v4, v14, v4, s3
	v_cndmask_b32_e32 v8, v13, v10, vcc_lo
	v_add_co_u32 v10, vcc_lo, v6, 1
	v_add_co_ci_u32_e32 v13, vcc_lo, 0, v7, vcc_lo
	v_cmp_ne_u32_e32 vcc_lo, 0, v8
	s_delay_alu instid0(VALU_DEP_2) | instskip(SKIP_2) | instid1(VALU_DEP_3)
	v_dual_cndmask_b32 v5, v13, v12 :: v_dual_cndmask_b32 v8, v10, v9
	v_cmp_ne_u32_e32 vcc_lo, 0, v4
	v_xor_b32_e32 v9, s14, v11
	v_dual_cndmask_b32 v4, v7, v5 :: v_dual_cndmask_b32 v5, v6, v8
	s_delay_alu instid0(VALU_DEP_1) | instskip(NEXT) | instid1(VALU_DEP_2)
	v_xor_b32_e32 v6, v4, v9
	v_xor_b32_e32 v5, v5, v9
	s_delay_alu instid0(VALU_DEP_1) | instskip(NEXT) | instid1(VALU_DEP_3)
	v_sub_co_u32 v4, vcc_lo, v5, v9
	v_sub_co_ci_u32_e32 v5, vcc_lo, v6, v9, vcc_lo
.LBB81_46:
	s_and_not1_saveexec_b32 s3, s20
	s_cbranch_execz .LBB81_48
; %bb.47:
	v_cvt_f32_u32_e32 v4, s10
	s_sub_i32 s14, 0, s10
	s_delay_alu instid0(VALU_DEP_1) | instskip(SKIP_2) | instid1(VALU_DEP_1)
	v_rcp_iflag_f32_e32 v4, v4
	s_waitcnt_depctr 0xfff
	v_mul_f32_e32 v4, 0x4f7ffffe, v4
	v_cvt_u32_f32_e32 v4, v4
	s_delay_alu instid0(VALU_DEP_1) | instskip(NEXT) | instid1(VALU_DEP_1)
	v_mul_lo_u32 v5, s14, v4
	v_mul_hi_u32 v5, v4, v5
	s_delay_alu instid0(VALU_DEP_1) | instskip(NEXT) | instid1(VALU_DEP_1)
	v_add_nc_u32_e32 v4, v4, v5
	v_mul_hi_u32 v4, v2, v4
	s_delay_alu instid0(VALU_DEP_1) | instskip(SKIP_1) | instid1(VALU_DEP_2)
	v_mul_lo_u32 v5, v4, s10
	v_add_nc_u32_e32 v6, 1, v4
	v_sub_nc_u32_e32 v5, v2, v5
	s_delay_alu instid0(VALU_DEP_1) | instskip(SKIP_1) | instid1(VALU_DEP_2)
	v_subrev_nc_u32_e32 v7, s10, v5
	v_cmp_le_u32_e32 vcc_lo, s10, v5
	v_dual_cndmask_b32 v5, v5, v7 :: v_dual_cndmask_b32 v4, v4, v6
	s_delay_alu instid0(VALU_DEP_1) | instskip(NEXT) | instid1(VALU_DEP_2)
	v_cmp_le_u32_e32 vcc_lo, s10, v5
	v_dual_mov_b32 v5, 0 :: v_dual_add_nc_u32 v6, 1, v4
	s_delay_alu instid0(VALU_DEP_1)
	v_cndmask_b32_e32 v4, v4, v6, vcc_lo
.LBB81_48:
	s_or_b32 exec_lo, exec_lo, s3
	s_waitcnt lgkmcnt(0)
	s_delay_alu instid0(VALU_DEP_1) | instskip(SKIP_1) | instid1(VALU_DEP_1)
	v_or_b32_e32 v7, s13, v5
	v_mov_b32_e32 v6, 0
	v_cmp_ne_u64_e32 vcc_lo, 0, v[6:7]
                                        ; implicit-def: $vgpr6_vgpr7
	s_and_saveexec_b32 s3, vcc_lo
	s_delay_alu instid0(SALU_CYCLE_1)
	s_xor_b32 s16, exec_lo, s3
	s_cbranch_execz .LBB81_50
; %bb.49:
	s_ashr_i32 s14, s13, 31
	s_delay_alu instid0(SALU_CYCLE_1) | instskip(SKIP_2) | instid1(SALU_CYCLE_1)
	s_add_u32 s20, s12, s14
	s_mov_b32 s15, s14
	s_addc_u32 s21, s13, s14
	s_xor_b64 s[14:15], s[20:21], s[14:15]
	s_delay_alu instid0(SALU_CYCLE_1) | instskip(SKIP_3) | instid1(VALU_DEP_1)
	v_cvt_f32_u32_e32 v6, s14
	v_cvt_f32_u32_e32 v7, s15
	s_sub_u32 s3, 0, s14
	s_subb_u32 s17, 0, s15
	v_fmamk_f32 v6, v7, 0x4f800000, v6
	s_delay_alu instid0(VALU_DEP_1) | instskip(SKIP_2) | instid1(VALU_DEP_1)
	v_rcp_f32_e32 v6, v6
	s_waitcnt_depctr 0xfff
	v_mul_f32_e32 v6, 0x5f7ffffc, v6
	v_mul_f32_e32 v7, 0x2f800000, v6
	s_delay_alu instid0(VALU_DEP_1) | instskip(NEXT) | instid1(VALU_DEP_1)
	v_trunc_f32_e32 v7, v7
	v_fmamk_f32 v6, v7, 0xcf800000, v6
	v_cvt_u32_f32_e32 v7, v7
	s_delay_alu instid0(VALU_DEP_2) | instskip(NEXT) | instid1(VALU_DEP_2)
	v_cvt_u32_f32_e32 v6, v6
	v_mul_lo_u32 v8, s3, v7
	s_delay_alu instid0(VALU_DEP_2) | instskip(SKIP_1) | instid1(VALU_DEP_2)
	v_mul_hi_u32 v9, s3, v6
	v_mul_lo_u32 v10, s17, v6
	v_add_nc_u32_e32 v8, v9, v8
	v_mul_lo_u32 v9, s3, v6
	s_delay_alu instid0(VALU_DEP_2) | instskip(NEXT) | instid1(VALU_DEP_2)
	v_add_nc_u32_e32 v8, v8, v10
	v_mul_hi_u32 v10, v6, v9
	s_delay_alu instid0(VALU_DEP_2)
	v_mul_lo_u32 v11, v6, v8
	v_mul_hi_u32 v12, v6, v8
	v_mul_hi_u32 v13, v7, v9
	v_mul_lo_u32 v9, v7, v9
	v_mul_hi_u32 v14, v7, v8
	v_mul_lo_u32 v8, v7, v8
	v_add_co_u32 v10, vcc_lo, v10, v11
	v_add_co_ci_u32_e32 v11, vcc_lo, 0, v12, vcc_lo
	s_delay_alu instid0(VALU_DEP_2) | instskip(NEXT) | instid1(VALU_DEP_2)
	v_add_co_u32 v9, vcc_lo, v10, v9
	v_add_co_ci_u32_e32 v9, vcc_lo, v11, v13, vcc_lo
	v_add_co_ci_u32_e32 v10, vcc_lo, 0, v14, vcc_lo
	v_ashrrev_i32_e32 v13, 31, v5
	s_delay_alu instid0(VALU_DEP_3) | instskip(NEXT) | instid1(VALU_DEP_3)
	v_add_co_u32 v8, vcc_lo, v9, v8
	v_add_co_ci_u32_e32 v9, vcc_lo, 0, v10, vcc_lo
	s_delay_alu instid0(VALU_DEP_2) | instskip(NEXT) | instid1(VALU_DEP_2)
	v_add_co_u32 v6, vcc_lo, v6, v8
	v_add_co_ci_u32_e32 v7, vcc_lo, v7, v9, vcc_lo
	s_delay_alu instid0(VALU_DEP_2) | instskip(SKIP_1) | instid1(VALU_DEP_3)
	v_mul_hi_u32 v8, s3, v6
	v_mul_lo_u32 v10, s17, v6
	v_mul_lo_u32 v9, s3, v7
	s_delay_alu instid0(VALU_DEP_1) | instskip(SKIP_1) | instid1(VALU_DEP_2)
	v_add_nc_u32_e32 v8, v8, v9
	v_mul_lo_u32 v9, s3, v6
	v_add_nc_u32_e32 v8, v8, v10
	s_delay_alu instid0(VALU_DEP_2) | instskip(NEXT) | instid1(VALU_DEP_2)
	v_mul_hi_u32 v10, v6, v9
	v_mul_lo_u32 v11, v6, v8
	v_mul_hi_u32 v12, v6, v8
	v_mul_hi_u32 v14, v7, v9
	v_mul_lo_u32 v9, v7, v9
	v_mul_hi_u32 v15, v7, v8
	v_mul_lo_u32 v8, v7, v8
	v_add_co_u32 v10, vcc_lo, v10, v11
	v_add_co_ci_u32_e32 v11, vcc_lo, 0, v12, vcc_lo
	s_delay_alu instid0(VALU_DEP_2) | instskip(NEXT) | instid1(VALU_DEP_2)
	v_add_co_u32 v9, vcc_lo, v10, v9
	v_add_co_ci_u32_e32 v9, vcc_lo, v11, v14, vcc_lo
	v_add_co_ci_u32_e32 v10, vcc_lo, 0, v15, vcc_lo
	v_add_co_u32 v4, vcc_lo, v4, v13
	v_add_co_ci_u32_e32 v5, vcc_lo, v5, v13, vcc_lo
	s_delay_alu instid0(VALU_DEP_4) | instskip(NEXT) | instid1(VALU_DEP_4)
	v_add_co_u32 v8, vcc_lo, v9, v8
	v_add_co_ci_u32_e32 v9, vcc_lo, 0, v10, vcc_lo
	s_delay_alu instid0(VALU_DEP_4) | instskip(NEXT) | instid1(VALU_DEP_3)
	v_xor_b32_e32 v10, v4, v13
	v_add_co_u32 v8, vcc_lo, v6, v8
	s_delay_alu instid0(VALU_DEP_3) | instskip(SKIP_1) | instid1(VALU_DEP_3)
	v_add_co_ci_u32_e32 v11, vcc_lo, v7, v9, vcc_lo
	v_xor_b32_e32 v12, v5, v13
	v_mul_hi_u32 v14, v10, v8
	s_delay_alu instid0(VALU_DEP_3) | instskip(NEXT) | instid1(VALU_DEP_3)
	v_mad_u64_u32 v[4:5], null, v10, v11, 0
	v_mad_u64_u32 v[6:7], null, v12, v8, 0
	;; [unrolled: 1-line block ×3, first 2 shown]
	s_delay_alu instid0(VALU_DEP_3) | instskip(NEXT) | instid1(VALU_DEP_4)
	v_add_co_u32 v4, vcc_lo, v14, v4
	v_add_co_ci_u32_e32 v5, vcc_lo, 0, v5, vcc_lo
	s_delay_alu instid0(VALU_DEP_2) | instskip(NEXT) | instid1(VALU_DEP_2)
	v_add_co_u32 v4, vcc_lo, v4, v6
	v_add_co_ci_u32_e32 v4, vcc_lo, v5, v7, vcc_lo
	v_add_co_ci_u32_e32 v5, vcc_lo, 0, v9, vcc_lo
	s_delay_alu instid0(VALU_DEP_2) | instskip(NEXT) | instid1(VALU_DEP_2)
	v_add_co_u32 v6, vcc_lo, v4, v8
	v_add_co_ci_u32_e32 v7, vcc_lo, 0, v5, vcc_lo
	s_delay_alu instid0(VALU_DEP_2) | instskip(SKIP_1) | instid1(VALU_DEP_3)
	v_mul_lo_u32 v8, s15, v6
	v_mad_u64_u32 v[4:5], null, s14, v6, 0
	v_mul_lo_u32 v6, s14, v7
	s_delay_alu instid0(VALU_DEP_2) | instskip(NEXT) | instid1(VALU_DEP_2)
	v_sub_co_u32 v4, vcc_lo, v10, v4
	v_add3_u32 v5, v5, v6, v8
	s_delay_alu instid0(VALU_DEP_1) | instskip(NEXT) | instid1(VALU_DEP_1)
	v_sub_nc_u32_e32 v6, v12, v5
	v_subrev_co_ci_u32_e64 v6, s3, s15, v6, vcc_lo
	v_sub_co_ci_u32_e32 v5, vcc_lo, v12, v5, vcc_lo
	v_sub_co_u32 v7, vcc_lo, v4, s14
	s_delay_alu instid0(VALU_DEP_1) | instskip(SKIP_3) | instid1(VALU_DEP_3)
	v_subrev_co_ci_u32_e64 v8, s3, 0, v6, vcc_lo
	v_cmp_le_u32_e64 s3, s14, v4
	v_subrev_co_ci_u32_e32 v6, vcc_lo, s15, v6, vcc_lo
	v_cmp_le_u32_e32 vcc_lo, s15, v5
	v_cndmask_b32_e64 v9, 0, -1, s3
	v_cmp_le_u32_e64 s3, s14, v7
	v_cndmask_b32_e64 v12, 0, -1, vcc_lo
	v_cmp_eq_u32_e32 vcc_lo, s15, v8
	s_delay_alu instid0(VALU_DEP_3) | instskip(SKIP_1) | instid1(VALU_DEP_1)
	v_cndmask_b32_e64 v10, 0, -1, s3
	v_cmp_le_u32_e64 s3, s15, v8
	v_cndmask_b32_e64 v11, 0, -1, s3
	v_cmp_eq_u32_e64 s3, s15, v5
	s_delay_alu instid0(VALU_DEP_2) | instskip(SKIP_2) | instid1(VALU_DEP_3)
	v_cndmask_b32_e32 v10, v11, v10, vcc_lo
	v_sub_co_u32 v11, vcc_lo, v7, s14
	v_subrev_co_ci_u32_e32 v6, vcc_lo, 0, v6, vcc_lo
	v_cmp_ne_u32_e32 vcc_lo, 0, v10
	v_cndmask_b32_e64 v9, v12, v9, s3
	s_delay_alu instid0(VALU_DEP_3) | instskip(NEXT) | instid1(VALU_DEP_2)
	v_dual_cndmask_b32 v6, v8, v6 :: v_dual_cndmask_b32 v7, v7, v11
	v_cmp_ne_u32_e32 vcc_lo, 0, v9
	s_delay_alu instid0(VALU_DEP_2) | instskip(NEXT) | instid1(VALU_DEP_1)
	v_dual_cndmask_b32 v5, v5, v6 :: v_dual_cndmask_b32 v4, v4, v7
	v_xor_b32_e32 v5, v5, v13
	s_delay_alu instid0(VALU_DEP_2) | instskip(NEXT) | instid1(VALU_DEP_1)
	v_xor_b32_e32 v4, v4, v13
	v_sub_co_u32 v6, vcc_lo, v4, v13
	s_delay_alu instid0(VALU_DEP_3)
	v_sub_co_ci_u32_e32 v7, vcc_lo, v5, v13, vcc_lo
                                        ; implicit-def: $vgpr4_vgpr5
.LBB81_50:
	s_and_not1_saveexec_b32 s3, s16
	s_cbranch_execz .LBB81_52
; %bb.51:
	v_cvt_f32_u32_e32 v5, s12
	s_sub_i32 s14, 0, s12
	v_mov_b32_e32 v7, 0
	s_delay_alu instid0(VALU_DEP_2) | instskip(SKIP_2) | instid1(VALU_DEP_1)
	v_rcp_iflag_f32_e32 v5, v5
	s_waitcnt_depctr 0xfff
	v_mul_f32_e32 v5, 0x4f7ffffe, v5
	v_cvt_u32_f32_e32 v5, v5
	s_delay_alu instid0(VALU_DEP_1) | instskip(NEXT) | instid1(VALU_DEP_1)
	v_mul_lo_u32 v6, s14, v5
	v_mul_hi_u32 v6, v5, v6
	s_delay_alu instid0(VALU_DEP_1) | instskip(NEXT) | instid1(VALU_DEP_1)
	v_add_nc_u32_e32 v5, v5, v6
	v_mul_hi_u32 v5, v4, v5
	s_delay_alu instid0(VALU_DEP_1) | instskip(NEXT) | instid1(VALU_DEP_1)
	v_mul_lo_u32 v5, v5, s12
	v_sub_nc_u32_e32 v4, v4, v5
	s_delay_alu instid0(VALU_DEP_1) | instskip(SKIP_1) | instid1(VALU_DEP_2)
	v_subrev_nc_u32_e32 v5, s12, v4
	v_cmp_le_u32_e32 vcc_lo, s12, v4
	v_cndmask_b32_e32 v4, v4, v5, vcc_lo
	s_delay_alu instid0(VALU_DEP_1) | instskip(SKIP_1) | instid1(VALU_DEP_2)
	v_subrev_nc_u32_e32 v5, s12, v4
	v_cmp_le_u32_e32 vcc_lo, s12, v4
	v_cndmask_b32_e32 v6, v4, v5, vcc_lo
.LBB81_52:
	s_or_b32 exec_lo, exec_lo, s3
	v_mad_u64_u32 v[4:5], null, 0x68, s4, v[0:1]
	s_mul_i32 s3, s12, s11
	s_mul_hi_u32 s11, s12, s10
	s_delay_alu instid0(SALU_CYCLE_1) | instskip(SKIP_2) | instid1(VALU_DEP_1)
	s_add_i32 s3, s11, s3
	s_mul_i32 s11, s13, s10
	s_mul_i32 s10, s12, s10
	v_mad_u64_u32 v[8:9], null, 0x68, s5, v[5:6]
	s_add_i32 s11, s3, s11
	s_delay_alu instid0(VALU_DEP_1)
	v_mov_b32_e32 v5, v8
	global_store_b64 v[4:5], v[6:7], off
	s_cmp_lt_i32 s18, 13
	s_cbranch_scc1 .LBB81_8
.LBB81_53:
	s_load_b64 s[12:13], s[0:1], 0x68
	s_waitcnt vmcnt(0)
	v_or_b32_e32 v5, s11, v3
	v_mov_b32_e32 v4, 0
	s_delay_alu instid0(VALU_DEP_1) | instskip(SKIP_1) | instid1(SALU_CYCLE_1)
	v_cmp_ne_u64_e32 vcc_lo, 0, v[4:5]
                                        ; implicit-def: $vgpr4_vgpr5
	s_and_saveexec_b32 s3, vcc_lo
	s_xor_b32 s20, exec_lo, s3
	s_cbranch_execz .LBB81_55
; %bb.54:
	s_ashr_i32 s14, s11, 31
	s_delay_alu instid0(SALU_CYCLE_1) | instskip(SKIP_2) | instid1(SALU_CYCLE_1)
	s_add_u32 s16, s10, s14
	s_mov_b32 s15, s14
	s_addc_u32 s17, s11, s14
	s_xor_b64 s[16:17], s[16:17], s[14:15]
	s_delay_alu instid0(SALU_CYCLE_1) | instskip(SKIP_3) | instid1(VALU_DEP_1)
	v_cvt_f32_u32_e32 v4, s16
	v_cvt_f32_u32_e32 v5, s17
	s_sub_u32 s3, 0, s16
	s_subb_u32 s15, 0, s17
	v_fmamk_f32 v4, v5, 0x4f800000, v4
	s_delay_alu instid0(VALU_DEP_1) | instskip(SKIP_2) | instid1(VALU_DEP_1)
	v_rcp_f32_e32 v4, v4
	s_waitcnt_depctr 0xfff
	v_mul_f32_e32 v4, 0x5f7ffffc, v4
	v_mul_f32_e32 v5, 0x2f800000, v4
	s_delay_alu instid0(VALU_DEP_1) | instskip(NEXT) | instid1(VALU_DEP_1)
	v_trunc_f32_e32 v5, v5
	v_fmamk_f32 v4, v5, 0xcf800000, v4
	v_cvt_u32_f32_e32 v5, v5
	s_delay_alu instid0(VALU_DEP_2) | instskip(NEXT) | instid1(VALU_DEP_2)
	v_cvt_u32_f32_e32 v4, v4
	v_mul_lo_u32 v6, s3, v5
	s_delay_alu instid0(VALU_DEP_2) | instskip(SKIP_1) | instid1(VALU_DEP_2)
	v_mul_hi_u32 v7, s3, v4
	v_mul_lo_u32 v8, s15, v4
	v_add_nc_u32_e32 v6, v7, v6
	v_mul_lo_u32 v7, s3, v4
	s_delay_alu instid0(VALU_DEP_2) | instskip(NEXT) | instid1(VALU_DEP_2)
	v_add_nc_u32_e32 v6, v6, v8
	v_mul_hi_u32 v8, v4, v7
	s_delay_alu instid0(VALU_DEP_2)
	v_mul_lo_u32 v9, v4, v6
	v_mul_hi_u32 v10, v4, v6
	v_mul_hi_u32 v11, v5, v7
	v_mul_lo_u32 v7, v5, v7
	v_mul_hi_u32 v12, v5, v6
	v_mul_lo_u32 v6, v5, v6
	v_add_co_u32 v8, vcc_lo, v8, v9
	v_add_co_ci_u32_e32 v9, vcc_lo, 0, v10, vcc_lo
	s_delay_alu instid0(VALU_DEP_2) | instskip(NEXT) | instid1(VALU_DEP_2)
	v_add_co_u32 v7, vcc_lo, v8, v7
	v_add_co_ci_u32_e32 v7, vcc_lo, v9, v11, vcc_lo
	v_add_co_ci_u32_e32 v8, vcc_lo, 0, v12, vcc_lo
	v_ashrrev_i32_e32 v11, 31, v3
	s_delay_alu instid0(VALU_DEP_3) | instskip(NEXT) | instid1(VALU_DEP_3)
	v_add_co_u32 v6, vcc_lo, v7, v6
	v_add_co_ci_u32_e32 v7, vcc_lo, 0, v8, vcc_lo
	s_delay_alu instid0(VALU_DEP_2) | instskip(NEXT) | instid1(VALU_DEP_2)
	v_add_co_u32 v4, vcc_lo, v4, v6
	v_add_co_ci_u32_e32 v5, vcc_lo, v5, v7, vcc_lo
	s_delay_alu instid0(VALU_DEP_2) | instskip(SKIP_1) | instid1(VALU_DEP_3)
	v_mul_hi_u32 v6, s3, v4
	v_mul_lo_u32 v8, s15, v4
	v_mul_lo_u32 v7, s3, v5
	s_delay_alu instid0(VALU_DEP_1) | instskip(SKIP_1) | instid1(VALU_DEP_2)
	v_add_nc_u32_e32 v6, v6, v7
	v_mul_lo_u32 v7, s3, v4
	v_add_nc_u32_e32 v6, v6, v8
	s_delay_alu instid0(VALU_DEP_2) | instskip(NEXT) | instid1(VALU_DEP_2)
	v_mul_hi_u32 v8, v4, v7
	v_mul_lo_u32 v9, v4, v6
	v_mul_hi_u32 v10, v4, v6
	v_mul_hi_u32 v12, v5, v7
	v_mul_lo_u32 v7, v5, v7
	v_mul_hi_u32 v13, v5, v6
	v_mul_lo_u32 v6, v5, v6
	v_add_co_u32 v8, vcc_lo, v8, v9
	v_add_co_ci_u32_e32 v9, vcc_lo, 0, v10, vcc_lo
	s_delay_alu instid0(VALU_DEP_2) | instskip(NEXT) | instid1(VALU_DEP_2)
	v_add_co_u32 v7, vcc_lo, v8, v7
	v_add_co_ci_u32_e32 v7, vcc_lo, v9, v12, vcc_lo
	v_add_co_ci_u32_e32 v8, vcc_lo, 0, v13, vcc_lo
	v_add_co_u32 v9, vcc_lo, v2, v11
	v_add_co_ci_u32_e32 v10, vcc_lo, v3, v11, vcc_lo
	s_delay_alu instid0(VALU_DEP_4) | instskip(NEXT) | instid1(VALU_DEP_4)
	v_add_co_u32 v6, vcc_lo, v7, v6
	v_add_co_ci_u32_e32 v7, vcc_lo, 0, v8, vcc_lo
	s_delay_alu instid0(VALU_DEP_4) | instskip(NEXT) | instid1(VALU_DEP_3)
	v_xor_b32_e32 v12, v9, v11
	v_add_co_u32 v8, vcc_lo, v4, v6
	s_delay_alu instid0(VALU_DEP_3) | instskip(SKIP_1) | instid1(VALU_DEP_3)
	v_add_co_ci_u32_e32 v13, vcc_lo, v5, v7, vcc_lo
	v_xor_b32_e32 v10, v10, v11
	v_mul_hi_u32 v14, v12, v8
	s_delay_alu instid0(VALU_DEP_3) | instskip(NEXT) | instid1(VALU_DEP_3)
	v_mad_u64_u32 v[4:5], null, v12, v13, 0
	v_mad_u64_u32 v[6:7], null, v10, v8, 0
	v_mad_u64_u32 v[8:9], null, v10, v13, 0
	s_delay_alu instid0(VALU_DEP_3) | instskip(NEXT) | instid1(VALU_DEP_4)
	v_add_co_u32 v4, vcc_lo, v14, v4
	v_add_co_ci_u32_e32 v5, vcc_lo, 0, v5, vcc_lo
	s_delay_alu instid0(VALU_DEP_2) | instskip(NEXT) | instid1(VALU_DEP_2)
	v_add_co_u32 v4, vcc_lo, v4, v6
	v_add_co_ci_u32_e32 v4, vcc_lo, v5, v7, vcc_lo
	v_add_co_ci_u32_e32 v5, vcc_lo, 0, v9, vcc_lo
	s_delay_alu instid0(VALU_DEP_2) | instskip(NEXT) | instid1(VALU_DEP_2)
	v_add_co_u32 v6, vcc_lo, v4, v8
	v_add_co_ci_u32_e32 v7, vcc_lo, 0, v5, vcc_lo
	s_delay_alu instid0(VALU_DEP_2) | instskip(SKIP_1) | instid1(VALU_DEP_3)
	v_mul_lo_u32 v8, s17, v6
	v_mad_u64_u32 v[4:5], null, s16, v6, 0
	v_mul_lo_u32 v9, s16, v7
	s_delay_alu instid0(VALU_DEP_2) | instskip(NEXT) | instid1(VALU_DEP_2)
	v_sub_co_u32 v4, vcc_lo, v12, v4
	v_add3_u32 v5, v5, v9, v8
	s_delay_alu instid0(VALU_DEP_1) | instskip(NEXT) | instid1(VALU_DEP_1)
	v_sub_nc_u32_e32 v8, v10, v5
	v_subrev_co_ci_u32_e64 v8, s3, s17, v8, vcc_lo
	v_add_co_u32 v9, s3, v6, 2
	s_delay_alu instid0(VALU_DEP_1) | instskip(SKIP_3) | instid1(VALU_DEP_3)
	v_add_co_ci_u32_e64 v12, s3, 0, v7, s3
	v_sub_co_u32 v13, s3, v4, s16
	v_sub_co_ci_u32_e32 v5, vcc_lo, v10, v5, vcc_lo
	v_subrev_co_ci_u32_e64 v8, s3, 0, v8, s3
	v_cmp_le_u32_e32 vcc_lo, s16, v13
	s_delay_alu instid0(VALU_DEP_3) | instskip(SKIP_1) | instid1(VALU_DEP_4)
	v_cmp_eq_u32_e64 s3, s17, v5
	v_cndmask_b32_e64 v10, 0, -1, vcc_lo
	v_cmp_le_u32_e32 vcc_lo, s17, v8
	v_cndmask_b32_e64 v13, 0, -1, vcc_lo
	v_cmp_le_u32_e32 vcc_lo, s16, v4
	;; [unrolled: 2-line block ×3, first 2 shown]
	v_cndmask_b32_e64 v14, 0, -1, vcc_lo
	v_cmp_eq_u32_e32 vcc_lo, s17, v8
	s_delay_alu instid0(VALU_DEP_2) | instskip(SKIP_3) | instid1(VALU_DEP_3)
	v_cndmask_b32_e64 v4, v14, v4, s3
	v_cndmask_b32_e32 v8, v13, v10, vcc_lo
	v_add_co_u32 v10, vcc_lo, v6, 1
	v_add_co_ci_u32_e32 v13, vcc_lo, 0, v7, vcc_lo
	v_cmp_ne_u32_e32 vcc_lo, 0, v8
	s_delay_alu instid0(VALU_DEP_2) | instskip(SKIP_2) | instid1(VALU_DEP_3)
	v_dual_cndmask_b32 v5, v13, v12 :: v_dual_cndmask_b32 v8, v10, v9
	v_cmp_ne_u32_e32 vcc_lo, 0, v4
	v_xor_b32_e32 v9, s14, v11
	v_dual_cndmask_b32 v4, v7, v5 :: v_dual_cndmask_b32 v5, v6, v8
	s_delay_alu instid0(VALU_DEP_1) | instskip(NEXT) | instid1(VALU_DEP_2)
	v_xor_b32_e32 v6, v4, v9
	v_xor_b32_e32 v5, v5, v9
	s_delay_alu instid0(VALU_DEP_1) | instskip(NEXT) | instid1(VALU_DEP_3)
	v_sub_co_u32 v4, vcc_lo, v5, v9
	v_sub_co_ci_u32_e32 v5, vcc_lo, v6, v9, vcc_lo
.LBB81_55:
	s_and_not1_saveexec_b32 s3, s20
	s_cbranch_execz .LBB81_57
; %bb.56:
	v_cvt_f32_u32_e32 v4, s10
	s_sub_i32 s14, 0, s10
	s_delay_alu instid0(VALU_DEP_1) | instskip(SKIP_2) | instid1(VALU_DEP_1)
	v_rcp_iflag_f32_e32 v4, v4
	s_waitcnt_depctr 0xfff
	v_mul_f32_e32 v4, 0x4f7ffffe, v4
	v_cvt_u32_f32_e32 v4, v4
	s_delay_alu instid0(VALU_DEP_1) | instskip(NEXT) | instid1(VALU_DEP_1)
	v_mul_lo_u32 v5, s14, v4
	v_mul_hi_u32 v5, v4, v5
	s_delay_alu instid0(VALU_DEP_1) | instskip(NEXT) | instid1(VALU_DEP_1)
	v_add_nc_u32_e32 v4, v4, v5
	v_mul_hi_u32 v4, v2, v4
	s_delay_alu instid0(VALU_DEP_1) | instskip(SKIP_1) | instid1(VALU_DEP_2)
	v_mul_lo_u32 v5, v4, s10
	v_add_nc_u32_e32 v6, 1, v4
	v_sub_nc_u32_e32 v5, v2, v5
	s_delay_alu instid0(VALU_DEP_1) | instskip(SKIP_1) | instid1(VALU_DEP_2)
	v_subrev_nc_u32_e32 v7, s10, v5
	v_cmp_le_u32_e32 vcc_lo, s10, v5
	v_dual_cndmask_b32 v5, v5, v7 :: v_dual_cndmask_b32 v4, v4, v6
	s_delay_alu instid0(VALU_DEP_1) | instskip(NEXT) | instid1(VALU_DEP_2)
	v_cmp_le_u32_e32 vcc_lo, s10, v5
	v_dual_mov_b32 v5, 0 :: v_dual_add_nc_u32 v6, 1, v4
	s_delay_alu instid0(VALU_DEP_1)
	v_cndmask_b32_e32 v4, v4, v6, vcc_lo
.LBB81_57:
	s_or_b32 exec_lo, exec_lo, s3
	s_waitcnt lgkmcnt(0)
	s_delay_alu instid0(VALU_DEP_1) | instskip(SKIP_1) | instid1(VALU_DEP_1)
	v_or_b32_e32 v7, s13, v5
	v_mov_b32_e32 v6, 0
	v_cmp_ne_u64_e32 vcc_lo, 0, v[6:7]
                                        ; implicit-def: $vgpr6_vgpr7
	s_and_saveexec_b32 s3, vcc_lo
	s_delay_alu instid0(SALU_CYCLE_1)
	s_xor_b32 s16, exec_lo, s3
	s_cbranch_execz .LBB81_59
; %bb.58:
	s_ashr_i32 s14, s13, 31
	s_delay_alu instid0(SALU_CYCLE_1) | instskip(SKIP_2) | instid1(SALU_CYCLE_1)
	s_add_u32 s20, s12, s14
	s_mov_b32 s15, s14
	s_addc_u32 s21, s13, s14
	s_xor_b64 s[14:15], s[20:21], s[14:15]
	s_delay_alu instid0(SALU_CYCLE_1) | instskip(SKIP_3) | instid1(VALU_DEP_1)
	v_cvt_f32_u32_e32 v6, s14
	v_cvt_f32_u32_e32 v7, s15
	s_sub_u32 s3, 0, s14
	s_subb_u32 s17, 0, s15
	v_fmamk_f32 v6, v7, 0x4f800000, v6
	s_delay_alu instid0(VALU_DEP_1) | instskip(SKIP_2) | instid1(VALU_DEP_1)
	v_rcp_f32_e32 v6, v6
	s_waitcnt_depctr 0xfff
	v_mul_f32_e32 v6, 0x5f7ffffc, v6
	v_mul_f32_e32 v7, 0x2f800000, v6
	s_delay_alu instid0(VALU_DEP_1) | instskip(NEXT) | instid1(VALU_DEP_1)
	v_trunc_f32_e32 v7, v7
	v_fmamk_f32 v6, v7, 0xcf800000, v6
	v_cvt_u32_f32_e32 v7, v7
	s_delay_alu instid0(VALU_DEP_2) | instskip(NEXT) | instid1(VALU_DEP_2)
	v_cvt_u32_f32_e32 v6, v6
	v_mul_lo_u32 v8, s3, v7
	s_delay_alu instid0(VALU_DEP_2) | instskip(SKIP_1) | instid1(VALU_DEP_2)
	v_mul_hi_u32 v9, s3, v6
	v_mul_lo_u32 v10, s17, v6
	v_add_nc_u32_e32 v8, v9, v8
	v_mul_lo_u32 v9, s3, v6
	s_delay_alu instid0(VALU_DEP_2) | instskip(NEXT) | instid1(VALU_DEP_2)
	v_add_nc_u32_e32 v8, v8, v10
	v_mul_hi_u32 v10, v6, v9
	s_delay_alu instid0(VALU_DEP_2)
	v_mul_lo_u32 v11, v6, v8
	v_mul_hi_u32 v12, v6, v8
	v_mul_hi_u32 v13, v7, v9
	v_mul_lo_u32 v9, v7, v9
	v_mul_hi_u32 v14, v7, v8
	v_mul_lo_u32 v8, v7, v8
	v_add_co_u32 v10, vcc_lo, v10, v11
	v_add_co_ci_u32_e32 v11, vcc_lo, 0, v12, vcc_lo
	s_delay_alu instid0(VALU_DEP_2) | instskip(NEXT) | instid1(VALU_DEP_2)
	v_add_co_u32 v9, vcc_lo, v10, v9
	v_add_co_ci_u32_e32 v9, vcc_lo, v11, v13, vcc_lo
	v_add_co_ci_u32_e32 v10, vcc_lo, 0, v14, vcc_lo
	v_ashrrev_i32_e32 v13, 31, v5
	s_delay_alu instid0(VALU_DEP_3) | instskip(NEXT) | instid1(VALU_DEP_3)
	v_add_co_u32 v8, vcc_lo, v9, v8
	v_add_co_ci_u32_e32 v9, vcc_lo, 0, v10, vcc_lo
	s_delay_alu instid0(VALU_DEP_2) | instskip(NEXT) | instid1(VALU_DEP_2)
	v_add_co_u32 v6, vcc_lo, v6, v8
	v_add_co_ci_u32_e32 v7, vcc_lo, v7, v9, vcc_lo
	s_delay_alu instid0(VALU_DEP_2) | instskip(SKIP_1) | instid1(VALU_DEP_3)
	v_mul_hi_u32 v8, s3, v6
	v_mul_lo_u32 v10, s17, v6
	v_mul_lo_u32 v9, s3, v7
	s_delay_alu instid0(VALU_DEP_1) | instskip(SKIP_1) | instid1(VALU_DEP_2)
	v_add_nc_u32_e32 v8, v8, v9
	v_mul_lo_u32 v9, s3, v6
	v_add_nc_u32_e32 v8, v8, v10
	s_delay_alu instid0(VALU_DEP_2) | instskip(NEXT) | instid1(VALU_DEP_2)
	v_mul_hi_u32 v10, v6, v9
	v_mul_lo_u32 v11, v6, v8
	v_mul_hi_u32 v12, v6, v8
	v_mul_hi_u32 v14, v7, v9
	v_mul_lo_u32 v9, v7, v9
	v_mul_hi_u32 v15, v7, v8
	v_mul_lo_u32 v8, v7, v8
	v_add_co_u32 v10, vcc_lo, v10, v11
	v_add_co_ci_u32_e32 v11, vcc_lo, 0, v12, vcc_lo
	s_delay_alu instid0(VALU_DEP_2) | instskip(NEXT) | instid1(VALU_DEP_2)
	v_add_co_u32 v9, vcc_lo, v10, v9
	v_add_co_ci_u32_e32 v9, vcc_lo, v11, v14, vcc_lo
	v_add_co_ci_u32_e32 v10, vcc_lo, 0, v15, vcc_lo
	v_add_co_u32 v4, vcc_lo, v4, v13
	v_add_co_ci_u32_e32 v5, vcc_lo, v5, v13, vcc_lo
	s_delay_alu instid0(VALU_DEP_4) | instskip(NEXT) | instid1(VALU_DEP_4)
	v_add_co_u32 v8, vcc_lo, v9, v8
	v_add_co_ci_u32_e32 v9, vcc_lo, 0, v10, vcc_lo
	s_delay_alu instid0(VALU_DEP_4) | instskip(NEXT) | instid1(VALU_DEP_3)
	v_xor_b32_e32 v10, v4, v13
	v_add_co_u32 v8, vcc_lo, v6, v8
	s_delay_alu instid0(VALU_DEP_3) | instskip(SKIP_1) | instid1(VALU_DEP_3)
	v_add_co_ci_u32_e32 v11, vcc_lo, v7, v9, vcc_lo
	v_xor_b32_e32 v12, v5, v13
	v_mul_hi_u32 v14, v10, v8
	s_delay_alu instid0(VALU_DEP_3) | instskip(NEXT) | instid1(VALU_DEP_3)
	v_mad_u64_u32 v[4:5], null, v10, v11, 0
	v_mad_u64_u32 v[6:7], null, v12, v8, 0
	;; [unrolled: 1-line block ×3, first 2 shown]
	s_delay_alu instid0(VALU_DEP_3) | instskip(NEXT) | instid1(VALU_DEP_4)
	v_add_co_u32 v4, vcc_lo, v14, v4
	v_add_co_ci_u32_e32 v5, vcc_lo, 0, v5, vcc_lo
	s_delay_alu instid0(VALU_DEP_2) | instskip(NEXT) | instid1(VALU_DEP_2)
	v_add_co_u32 v4, vcc_lo, v4, v6
	v_add_co_ci_u32_e32 v4, vcc_lo, v5, v7, vcc_lo
	v_add_co_ci_u32_e32 v5, vcc_lo, 0, v9, vcc_lo
	s_delay_alu instid0(VALU_DEP_2) | instskip(NEXT) | instid1(VALU_DEP_2)
	v_add_co_u32 v6, vcc_lo, v4, v8
	v_add_co_ci_u32_e32 v7, vcc_lo, 0, v5, vcc_lo
	s_delay_alu instid0(VALU_DEP_2) | instskip(SKIP_1) | instid1(VALU_DEP_3)
	v_mul_lo_u32 v8, s15, v6
	v_mad_u64_u32 v[4:5], null, s14, v6, 0
	v_mul_lo_u32 v6, s14, v7
	s_delay_alu instid0(VALU_DEP_2) | instskip(NEXT) | instid1(VALU_DEP_2)
	v_sub_co_u32 v4, vcc_lo, v10, v4
	v_add3_u32 v5, v5, v6, v8
	s_delay_alu instid0(VALU_DEP_1) | instskip(NEXT) | instid1(VALU_DEP_1)
	v_sub_nc_u32_e32 v6, v12, v5
	v_subrev_co_ci_u32_e64 v6, s3, s15, v6, vcc_lo
	v_sub_co_ci_u32_e32 v5, vcc_lo, v12, v5, vcc_lo
	v_sub_co_u32 v7, vcc_lo, v4, s14
	s_delay_alu instid0(VALU_DEP_1) | instskip(SKIP_3) | instid1(VALU_DEP_3)
	v_subrev_co_ci_u32_e64 v8, s3, 0, v6, vcc_lo
	v_cmp_le_u32_e64 s3, s14, v4
	v_subrev_co_ci_u32_e32 v6, vcc_lo, s15, v6, vcc_lo
	v_cmp_le_u32_e32 vcc_lo, s15, v5
	v_cndmask_b32_e64 v9, 0, -1, s3
	v_cmp_le_u32_e64 s3, s14, v7
	v_cndmask_b32_e64 v12, 0, -1, vcc_lo
	v_cmp_eq_u32_e32 vcc_lo, s15, v8
	s_delay_alu instid0(VALU_DEP_3) | instskip(SKIP_1) | instid1(VALU_DEP_1)
	v_cndmask_b32_e64 v10, 0, -1, s3
	v_cmp_le_u32_e64 s3, s15, v8
	v_cndmask_b32_e64 v11, 0, -1, s3
	v_cmp_eq_u32_e64 s3, s15, v5
	s_delay_alu instid0(VALU_DEP_2) | instskip(SKIP_2) | instid1(VALU_DEP_3)
	v_cndmask_b32_e32 v10, v11, v10, vcc_lo
	v_sub_co_u32 v11, vcc_lo, v7, s14
	v_subrev_co_ci_u32_e32 v6, vcc_lo, 0, v6, vcc_lo
	v_cmp_ne_u32_e32 vcc_lo, 0, v10
	v_cndmask_b32_e64 v9, v12, v9, s3
	s_delay_alu instid0(VALU_DEP_3) | instskip(NEXT) | instid1(VALU_DEP_2)
	v_dual_cndmask_b32 v6, v8, v6 :: v_dual_cndmask_b32 v7, v7, v11
	v_cmp_ne_u32_e32 vcc_lo, 0, v9
	s_delay_alu instid0(VALU_DEP_2) | instskip(NEXT) | instid1(VALU_DEP_1)
	v_dual_cndmask_b32 v5, v5, v6 :: v_dual_cndmask_b32 v4, v4, v7
	v_xor_b32_e32 v5, v5, v13
	s_delay_alu instid0(VALU_DEP_2) | instskip(NEXT) | instid1(VALU_DEP_1)
	v_xor_b32_e32 v4, v4, v13
	v_sub_co_u32 v6, vcc_lo, v4, v13
	s_delay_alu instid0(VALU_DEP_3)
	v_sub_co_ci_u32_e32 v7, vcc_lo, v5, v13, vcc_lo
                                        ; implicit-def: $vgpr4_vgpr5
.LBB81_59:
	s_and_not1_saveexec_b32 s3, s16
	s_cbranch_execz .LBB81_61
; %bb.60:
	v_cvt_f32_u32_e32 v5, s12
	s_sub_i32 s14, 0, s12
	v_mov_b32_e32 v7, 0
	s_delay_alu instid0(VALU_DEP_2) | instskip(SKIP_2) | instid1(VALU_DEP_1)
	v_rcp_iflag_f32_e32 v5, v5
	s_waitcnt_depctr 0xfff
	v_mul_f32_e32 v5, 0x4f7ffffe, v5
	v_cvt_u32_f32_e32 v5, v5
	s_delay_alu instid0(VALU_DEP_1) | instskip(NEXT) | instid1(VALU_DEP_1)
	v_mul_lo_u32 v6, s14, v5
	v_mul_hi_u32 v6, v5, v6
	s_delay_alu instid0(VALU_DEP_1) | instskip(NEXT) | instid1(VALU_DEP_1)
	v_add_nc_u32_e32 v5, v5, v6
	v_mul_hi_u32 v5, v4, v5
	s_delay_alu instid0(VALU_DEP_1) | instskip(NEXT) | instid1(VALU_DEP_1)
	v_mul_lo_u32 v5, v5, s12
	v_sub_nc_u32_e32 v4, v4, v5
	s_delay_alu instid0(VALU_DEP_1) | instskip(SKIP_1) | instid1(VALU_DEP_2)
	v_subrev_nc_u32_e32 v5, s12, v4
	v_cmp_le_u32_e32 vcc_lo, s12, v4
	v_cndmask_b32_e32 v4, v4, v5, vcc_lo
	s_delay_alu instid0(VALU_DEP_1) | instskip(SKIP_1) | instid1(VALU_DEP_2)
	v_subrev_nc_u32_e32 v5, s12, v4
	v_cmp_le_u32_e32 vcc_lo, s12, v4
	v_cndmask_b32_e32 v6, v4, v5, vcc_lo
.LBB81_61:
	s_or_b32 exec_lo, exec_lo, s3
	v_mad_u64_u32 v[4:5], null, 0x60, s4, v[0:1]
	s_mul_i32 s3, s12, s11
	s_mul_hi_u32 s11, s12, s10
	s_delay_alu instid0(SALU_CYCLE_1) | instskip(SKIP_2) | instid1(VALU_DEP_1)
	s_add_i32 s3, s11, s3
	s_mul_i32 s11, s13, s10
	s_mul_i32 s10, s12, s10
	v_mad_u64_u32 v[8:9], null, 0x60, s5, v[5:6]
	s_add_i32 s11, s3, s11
	s_delay_alu instid0(VALU_DEP_1)
	v_mov_b32_e32 v5, v8
	global_store_b64 v[4:5], v[6:7], off
	s_cmp_lt_i32 s18, 12
	s_cbranch_scc1 .LBB81_9
.LBB81_62:
	s_load_b64 s[12:13], s[0:1], 0x60
	s_waitcnt vmcnt(0)
	v_or_b32_e32 v5, s11, v3
	v_mov_b32_e32 v4, 0
	s_delay_alu instid0(VALU_DEP_1) | instskip(SKIP_1) | instid1(SALU_CYCLE_1)
	v_cmp_ne_u64_e32 vcc_lo, 0, v[4:5]
                                        ; implicit-def: $vgpr4_vgpr5
	s_and_saveexec_b32 s3, vcc_lo
	s_xor_b32 s20, exec_lo, s3
	s_cbranch_execz .LBB81_64
; %bb.63:
	s_ashr_i32 s14, s11, 31
	s_delay_alu instid0(SALU_CYCLE_1) | instskip(SKIP_2) | instid1(SALU_CYCLE_1)
	s_add_u32 s16, s10, s14
	s_mov_b32 s15, s14
	s_addc_u32 s17, s11, s14
	s_xor_b64 s[16:17], s[16:17], s[14:15]
	s_delay_alu instid0(SALU_CYCLE_1) | instskip(SKIP_3) | instid1(VALU_DEP_1)
	v_cvt_f32_u32_e32 v4, s16
	v_cvt_f32_u32_e32 v5, s17
	s_sub_u32 s3, 0, s16
	s_subb_u32 s15, 0, s17
	v_fmamk_f32 v4, v5, 0x4f800000, v4
	s_delay_alu instid0(VALU_DEP_1) | instskip(SKIP_2) | instid1(VALU_DEP_1)
	v_rcp_f32_e32 v4, v4
	s_waitcnt_depctr 0xfff
	v_mul_f32_e32 v4, 0x5f7ffffc, v4
	v_mul_f32_e32 v5, 0x2f800000, v4
	s_delay_alu instid0(VALU_DEP_1) | instskip(NEXT) | instid1(VALU_DEP_1)
	v_trunc_f32_e32 v5, v5
	v_fmamk_f32 v4, v5, 0xcf800000, v4
	v_cvt_u32_f32_e32 v5, v5
	s_delay_alu instid0(VALU_DEP_2) | instskip(NEXT) | instid1(VALU_DEP_2)
	v_cvt_u32_f32_e32 v4, v4
	v_mul_lo_u32 v6, s3, v5
	s_delay_alu instid0(VALU_DEP_2) | instskip(SKIP_1) | instid1(VALU_DEP_2)
	v_mul_hi_u32 v7, s3, v4
	v_mul_lo_u32 v8, s15, v4
	v_add_nc_u32_e32 v6, v7, v6
	v_mul_lo_u32 v7, s3, v4
	s_delay_alu instid0(VALU_DEP_2) | instskip(NEXT) | instid1(VALU_DEP_2)
	v_add_nc_u32_e32 v6, v6, v8
	v_mul_hi_u32 v8, v4, v7
	s_delay_alu instid0(VALU_DEP_2)
	v_mul_lo_u32 v9, v4, v6
	v_mul_hi_u32 v10, v4, v6
	v_mul_hi_u32 v11, v5, v7
	v_mul_lo_u32 v7, v5, v7
	v_mul_hi_u32 v12, v5, v6
	v_mul_lo_u32 v6, v5, v6
	v_add_co_u32 v8, vcc_lo, v8, v9
	v_add_co_ci_u32_e32 v9, vcc_lo, 0, v10, vcc_lo
	s_delay_alu instid0(VALU_DEP_2) | instskip(NEXT) | instid1(VALU_DEP_2)
	v_add_co_u32 v7, vcc_lo, v8, v7
	v_add_co_ci_u32_e32 v7, vcc_lo, v9, v11, vcc_lo
	v_add_co_ci_u32_e32 v8, vcc_lo, 0, v12, vcc_lo
	v_ashrrev_i32_e32 v11, 31, v3
	s_delay_alu instid0(VALU_DEP_3) | instskip(NEXT) | instid1(VALU_DEP_3)
	v_add_co_u32 v6, vcc_lo, v7, v6
	v_add_co_ci_u32_e32 v7, vcc_lo, 0, v8, vcc_lo
	s_delay_alu instid0(VALU_DEP_2) | instskip(NEXT) | instid1(VALU_DEP_2)
	v_add_co_u32 v4, vcc_lo, v4, v6
	v_add_co_ci_u32_e32 v5, vcc_lo, v5, v7, vcc_lo
	s_delay_alu instid0(VALU_DEP_2) | instskip(SKIP_1) | instid1(VALU_DEP_3)
	v_mul_hi_u32 v6, s3, v4
	v_mul_lo_u32 v8, s15, v4
	v_mul_lo_u32 v7, s3, v5
	s_delay_alu instid0(VALU_DEP_1) | instskip(SKIP_1) | instid1(VALU_DEP_2)
	v_add_nc_u32_e32 v6, v6, v7
	v_mul_lo_u32 v7, s3, v4
	v_add_nc_u32_e32 v6, v6, v8
	s_delay_alu instid0(VALU_DEP_2) | instskip(NEXT) | instid1(VALU_DEP_2)
	v_mul_hi_u32 v8, v4, v7
	v_mul_lo_u32 v9, v4, v6
	v_mul_hi_u32 v10, v4, v6
	v_mul_hi_u32 v12, v5, v7
	v_mul_lo_u32 v7, v5, v7
	v_mul_hi_u32 v13, v5, v6
	v_mul_lo_u32 v6, v5, v6
	v_add_co_u32 v8, vcc_lo, v8, v9
	v_add_co_ci_u32_e32 v9, vcc_lo, 0, v10, vcc_lo
	s_delay_alu instid0(VALU_DEP_2) | instskip(NEXT) | instid1(VALU_DEP_2)
	v_add_co_u32 v7, vcc_lo, v8, v7
	v_add_co_ci_u32_e32 v7, vcc_lo, v9, v12, vcc_lo
	v_add_co_ci_u32_e32 v8, vcc_lo, 0, v13, vcc_lo
	v_add_co_u32 v9, vcc_lo, v2, v11
	v_add_co_ci_u32_e32 v10, vcc_lo, v3, v11, vcc_lo
	s_delay_alu instid0(VALU_DEP_4) | instskip(NEXT) | instid1(VALU_DEP_4)
	v_add_co_u32 v6, vcc_lo, v7, v6
	v_add_co_ci_u32_e32 v7, vcc_lo, 0, v8, vcc_lo
	s_delay_alu instid0(VALU_DEP_4) | instskip(NEXT) | instid1(VALU_DEP_3)
	v_xor_b32_e32 v12, v9, v11
	v_add_co_u32 v8, vcc_lo, v4, v6
	s_delay_alu instid0(VALU_DEP_3) | instskip(SKIP_1) | instid1(VALU_DEP_3)
	v_add_co_ci_u32_e32 v13, vcc_lo, v5, v7, vcc_lo
	v_xor_b32_e32 v10, v10, v11
	v_mul_hi_u32 v14, v12, v8
	s_delay_alu instid0(VALU_DEP_3) | instskip(NEXT) | instid1(VALU_DEP_3)
	v_mad_u64_u32 v[4:5], null, v12, v13, 0
	v_mad_u64_u32 v[6:7], null, v10, v8, 0
	v_mad_u64_u32 v[8:9], null, v10, v13, 0
	s_delay_alu instid0(VALU_DEP_3) | instskip(NEXT) | instid1(VALU_DEP_4)
	v_add_co_u32 v4, vcc_lo, v14, v4
	v_add_co_ci_u32_e32 v5, vcc_lo, 0, v5, vcc_lo
	s_delay_alu instid0(VALU_DEP_2) | instskip(NEXT) | instid1(VALU_DEP_2)
	v_add_co_u32 v4, vcc_lo, v4, v6
	v_add_co_ci_u32_e32 v4, vcc_lo, v5, v7, vcc_lo
	v_add_co_ci_u32_e32 v5, vcc_lo, 0, v9, vcc_lo
	s_delay_alu instid0(VALU_DEP_2) | instskip(NEXT) | instid1(VALU_DEP_2)
	v_add_co_u32 v6, vcc_lo, v4, v8
	v_add_co_ci_u32_e32 v7, vcc_lo, 0, v5, vcc_lo
	s_delay_alu instid0(VALU_DEP_2) | instskip(SKIP_1) | instid1(VALU_DEP_3)
	v_mul_lo_u32 v8, s17, v6
	v_mad_u64_u32 v[4:5], null, s16, v6, 0
	v_mul_lo_u32 v9, s16, v7
	s_delay_alu instid0(VALU_DEP_2) | instskip(NEXT) | instid1(VALU_DEP_2)
	v_sub_co_u32 v4, vcc_lo, v12, v4
	v_add3_u32 v5, v5, v9, v8
	s_delay_alu instid0(VALU_DEP_1) | instskip(NEXT) | instid1(VALU_DEP_1)
	v_sub_nc_u32_e32 v8, v10, v5
	v_subrev_co_ci_u32_e64 v8, s3, s17, v8, vcc_lo
	v_add_co_u32 v9, s3, v6, 2
	s_delay_alu instid0(VALU_DEP_1) | instskip(SKIP_3) | instid1(VALU_DEP_3)
	v_add_co_ci_u32_e64 v12, s3, 0, v7, s3
	v_sub_co_u32 v13, s3, v4, s16
	v_sub_co_ci_u32_e32 v5, vcc_lo, v10, v5, vcc_lo
	v_subrev_co_ci_u32_e64 v8, s3, 0, v8, s3
	v_cmp_le_u32_e32 vcc_lo, s16, v13
	s_delay_alu instid0(VALU_DEP_3) | instskip(SKIP_1) | instid1(VALU_DEP_4)
	v_cmp_eq_u32_e64 s3, s17, v5
	v_cndmask_b32_e64 v10, 0, -1, vcc_lo
	v_cmp_le_u32_e32 vcc_lo, s17, v8
	v_cndmask_b32_e64 v13, 0, -1, vcc_lo
	v_cmp_le_u32_e32 vcc_lo, s16, v4
	v_cndmask_b32_e64 v4, 0, -1, vcc_lo
	v_cmp_le_u32_e32 vcc_lo, s17, v5
	v_cndmask_b32_e64 v14, 0, -1, vcc_lo
	v_cmp_eq_u32_e32 vcc_lo, s17, v8
	s_delay_alu instid0(VALU_DEP_2) | instskip(SKIP_3) | instid1(VALU_DEP_3)
	v_cndmask_b32_e64 v4, v14, v4, s3
	v_cndmask_b32_e32 v8, v13, v10, vcc_lo
	v_add_co_u32 v10, vcc_lo, v6, 1
	v_add_co_ci_u32_e32 v13, vcc_lo, 0, v7, vcc_lo
	v_cmp_ne_u32_e32 vcc_lo, 0, v8
	s_delay_alu instid0(VALU_DEP_2) | instskip(SKIP_2) | instid1(VALU_DEP_3)
	v_dual_cndmask_b32 v5, v13, v12 :: v_dual_cndmask_b32 v8, v10, v9
	v_cmp_ne_u32_e32 vcc_lo, 0, v4
	v_xor_b32_e32 v9, s14, v11
	v_dual_cndmask_b32 v4, v7, v5 :: v_dual_cndmask_b32 v5, v6, v8
	s_delay_alu instid0(VALU_DEP_1) | instskip(NEXT) | instid1(VALU_DEP_2)
	v_xor_b32_e32 v6, v4, v9
	v_xor_b32_e32 v5, v5, v9
	s_delay_alu instid0(VALU_DEP_1) | instskip(NEXT) | instid1(VALU_DEP_3)
	v_sub_co_u32 v4, vcc_lo, v5, v9
	v_sub_co_ci_u32_e32 v5, vcc_lo, v6, v9, vcc_lo
.LBB81_64:
	s_and_not1_saveexec_b32 s3, s20
	s_cbranch_execz .LBB81_66
; %bb.65:
	v_cvt_f32_u32_e32 v4, s10
	s_sub_i32 s14, 0, s10
	s_delay_alu instid0(VALU_DEP_1) | instskip(SKIP_2) | instid1(VALU_DEP_1)
	v_rcp_iflag_f32_e32 v4, v4
	s_waitcnt_depctr 0xfff
	v_mul_f32_e32 v4, 0x4f7ffffe, v4
	v_cvt_u32_f32_e32 v4, v4
	s_delay_alu instid0(VALU_DEP_1) | instskip(NEXT) | instid1(VALU_DEP_1)
	v_mul_lo_u32 v5, s14, v4
	v_mul_hi_u32 v5, v4, v5
	s_delay_alu instid0(VALU_DEP_1) | instskip(NEXT) | instid1(VALU_DEP_1)
	v_add_nc_u32_e32 v4, v4, v5
	v_mul_hi_u32 v4, v2, v4
	s_delay_alu instid0(VALU_DEP_1) | instskip(SKIP_1) | instid1(VALU_DEP_2)
	v_mul_lo_u32 v5, v4, s10
	v_add_nc_u32_e32 v6, 1, v4
	v_sub_nc_u32_e32 v5, v2, v5
	s_delay_alu instid0(VALU_DEP_1) | instskip(SKIP_1) | instid1(VALU_DEP_2)
	v_subrev_nc_u32_e32 v7, s10, v5
	v_cmp_le_u32_e32 vcc_lo, s10, v5
	v_dual_cndmask_b32 v5, v5, v7 :: v_dual_cndmask_b32 v4, v4, v6
	s_delay_alu instid0(VALU_DEP_1) | instskip(NEXT) | instid1(VALU_DEP_2)
	v_cmp_le_u32_e32 vcc_lo, s10, v5
	v_dual_mov_b32 v5, 0 :: v_dual_add_nc_u32 v6, 1, v4
	s_delay_alu instid0(VALU_DEP_1)
	v_cndmask_b32_e32 v4, v4, v6, vcc_lo
.LBB81_66:
	s_or_b32 exec_lo, exec_lo, s3
	s_waitcnt lgkmcnt(0)
	s_delay_alu instid0(VALU_DEP_1) | instskip(SKIP_1) | instid1(VALU_DEP_1)
	v_or_b32_e32 v7, s13, v5
	v_mov_b32_e32 v6, 0
	v_cmp_ne_u64_e32 vcc_lo, 0, v[6:7]
                                        ; implicit-def: $vgpr6_vgpr7
	s_and_saveexec_b32 s3, vcc_lo
	s_delay_alu instid0(SALU_CYCLE_1)
	s_xor_b32 s16, exec_lo, s3
	s_cbranch_execz .LBB81_68
; %bb.67:
	s_ashr_i32 s14, s13, 31
	s_delay_alu instid0(SALU_CYCLE_1) | instskip(SKIP_2) | instid1(SALU_CYCLE_1)
	s_add_u32 s20, s12, s14
	s_mov_b32 s15, s14
	s_addc_u32 s21, s13, s14
	s_xor_b64 s[14:15], s[20:21], s[14:15]
	s_delay_alu instid0(SALU_CYCLE_1) | instskip(SKIP_3) | instid1(VALU_DEP_1)
	v_cvt_f32_u32_e32 v6, s14
	v_cvt_f32_u32_e32 v7, s15
	s_sub_u32 s3, 0, s14
	s_subb_u32 s17, 0, s15
	v_fmamk_f32 v6, v7, 0x4f800000, v6
	s_delay_alu instid0(VALU_DEP_1) | instskip(SKIP_2) | instid1(VALU_DEP_1)
	v_rcp_f32_e32 v6, v6
	s_waitcnt_depctr 0xfff
	v_mul_f32_e32 v6, 0x5f7ffffc, v6
	v_mul_f32_e32 v7, 0x2f800000, v6
	s_delay_alu instid0(VALU_DEP_1) | instskip(NEXT) | instid1(VALU_DEP_1)
	v_trunc_f32_e32 v7, v7
	v_fmamk_f32 v6, v7, 0xcf800000, v6
	v_cvt_u32_f32_e32 v7, v7
	s_delay_alu instid0(VALU_DEP_2) | instskip(NEXT) | instid1(VALU_DEP_2)
	v_cvt_u32_f32_e32 v6, v6
	v_mul_lo_u32 v8, s3, v7
	s_delay_alu instid0(VALU_DEP_2) | instskip(SKIP_1) | instid1(VALU_DEP_2)
	v_mul_hi_u32 v9, s3, v6
	v_mul_lo_u32 v10, s17, v6
	v_add_nc_u32_e32 v8, v9, v8
	v_mul_lo_u32 v9, s3, v6
	s_delay_alu instid0(VALU_DEP_2) | instskip(NEXT) | instid1(VALU_DEP_2)
	v_add_nc_u32_e32 v8, v8, v10
	v_mul_hi_u32 v10, v6, v9
	s_delay_alu instid0(VALU_DEP_2)
	v_mul_lo_u32 v11, v6, v8
	v_mul_hi_u32 v12, v6, v8
	v_mul_hi_u32 v13, v7, v9
	v_mul_lo_u32 v9, v7, v9
	v_mul_hi_u32 v14, v7, v8
	v_mul_lo_u32 v8, v7, v8
	v_add_co_u32 v10, vcc_lo, v10, v11
	v_add_co_ci_u32_e32 v11, vcc_lo, 0, v12, vcc_lo
	s_delay_alu instid0(VALU_DEP_2) | instskip(NEXT) | instid1(VALU_DEP_2)
	v_add_co_u32 v9, vcc_lo, v10, v9
	v_add_co_ci_u32_e32 v9, vcc_lo, v11, v13, vcc_lo
	v_add_co_ci_u32_e32 v10, vcc_lo, 0, v14, vcc_lo
	v_ashrrev_i32_e32 v13, 31, v5
	s_delay_alu instid0(VALU_DEP_3) | instskip(NEXT) | instid1(VALU_DEP_3)
	v_add_co_u32 v8, vcc_lo, v9, v8
	v_add_co_ci_u32_e32 v9, vcc_lo, 0, v10, vcc_lo
	s_delay_alu instid0(VALU_DEP_2) | instskip(NEXT) | instid1(VALU_DEP_2)
	v_add_co_u32 v6, vcc_lo, v6, v8
	v_add_co_ci_u32_e32 v7, vcc_lo, v7, v9, vcc_lo
	s_delay_alu instid0(VALU_DEP_2) | instskip(SKIP_1) | instid1(VALU_DEP_3)
	v_mul_hi_u32 v8, s3, v6
	v_mul_lo_u32 v10, s17, v6
	v_mul_lo_u32 v9, s3, v7
	s_delay_alu instid0(VALU_DEP_1) | instskip(SKIP_1) | instid1(VALU_DEP_2)
	v_add_nc_u32_e32 v8, v8, v9
	v_mul_lo_u32 v9, s3, v6
	v_add_nc_u32_e32 v8, v8, v10
	s_delay_alu instid0(VALU_DEP_2) | instskip(NEXT) | instid1(VALU_DEP_2)
	v_mul_hi_u32 v10, v6, v9
	v_mul_lo_u32 v11, v6, v8
	v_mul_hi_u32 v12, v6, v8
	v_mul_hi_u32 v14, v7, v9
	v_mul_lo_u32 v9, v7, v9
	v_mul_hi_u32 v15, v7, v8
	v_mul_lo_u32 v8, v7, v8
	v_add_co_u32 v10, vcc_lo, v10, v11
	v_add_co_ci_u32_e32 v11, vcc_lo, 0, v12, vcc_lo
	s_delay_alu instid0(VALU_DEP_2) | instskip(NEXT) | instid1(VALU_DEP_2)
	v_add_co_u32 v9, vcc_lo, v10, v9
	v_add_co_ci_u32_e32 v9, vcc_lo, v11, v14, vcc_lo
	v_add_co_ci_u32_e32 v10, vcc_lo, 0, v15, vcc_lo
	v_add_co_u32 v4, vcc_lo, v4, v13
	v_add_co_ci_u32_e32 v5, vcc_lo, v5, v13, vcc_lo
	s_delay_alu instid0(VALU_DEP_4) | instskip(NEXT) | instid1(VALU_DEP_4)
	v_add_co_u32 v8, vcc_lo, v9, v8
	v_add_co_ci_u32_e32 v9, vcc_lo, 0, v10, vcc_lo
	s_delay_alu instid0(VALU_DEP_4) | instskip(NEXT) | instid1(VALU_DEP_3)
	v_xor_b32_e32 v10, v4, v13
	v_add_co_u32 v8, vcc_lo, v6, v8
	s_delay_alu instid0(VALU_DEP_3) | instskip(SKIP_1) | instid1(VALU_DEP_3)
	v_add_co_ci_u32_e32 v11, vcc_lo, v7, v9, vcc_lo
	v_xor_b32_e32 v12, v5, v13
	v_mul_hi_u32 v14, v10, v8
	s_delay_alu instid0(VALU_DEP_3) | instskip(NEXT) | instid1(VALU_DEP_3)
	v_mad_u64_u32 v[4:5], null, v10, v11, 0
	v_mad_u64_u32 v[6:7], null, v12, v8, 0
	v_mad_u64_u32 v[8:9], null, v12, v11, 0
	s_delay_alu instid0(VALU_DEP_3) | instskip(NEXT) | instid1(VALU_DEP_4)
	v_add_co_u32 v4, vcc_lo, v14, v4
	v_add_co_ci_u32_e32 v5, vcc_lo, 0, v5, vcc_lo
	s_delay_alu instid0(VALU_DEP_2) | instskip(NEXT) | instid1(VALU_DEP_2)
	v_add_co_u32 v4, vcc_lo, v4, v6
	v_add_co_ci_u32_e32 v4, vcc_lo, v5, v7, vcc_lo
	v_add_co_ci_u32_e32 v5, vcc_lo, 0, v9, vcc_lo
	s_delay_alu instid0(VALU_DEP_2) | instskip(NEXT) | instid1(VALU_DEP_2)
	v_add_co_u32 v6, vcc_lo, v4, v8
	v_add_co_ci_u32_e32 v7, vcc_lo, 0, v5, vcc_lo
	s_delay_alu instid0(VALU_DEP_2) | instskip(SKIP_1) | instid1(VALU_DEP_3)
	v_mul_lo_u32 v8, s15, v6
	v_mad_u64_u32 v[4:5], null, s14, v6, 0
	v_mul_lo_u32 v6, s14, v7
	s_delay_alu instid0(VALU_DEP_2) | instskip(NEXT) | instid1(VALU_DEP_2)
	v_sub_co_u32 v4, vcc_lo, v10, v4
	v_add3_u32 v5, v5, v6, v8
	s_delay_alu instid0(VALU_DEP_1) | instskip(NEXT) | instid1(VALU_DEP_1)
	v_sub_nc_u32_e32 v6, v12, v5
	v_subrev_co_ci_u32_e64 v6, s3, s15, v6, vcc_lo
	v_sub_co_ci_u32_e32 v5, vcc_lo, v12, v5, vcc_lo
	v_sub_co_u32 v7, vcc_lo, v4, s14
	s_delay_alu instid0(VALU_DEP_1) | instskip(SKIP_3) | instid1(VALU_DEP_3)
	v_subrev_co_ci_u32_e64 v8, s3, 0, v6, vcc_lo
	v_cmp_le_u32_e64 s3, s14, v4
	v_subrev_co_ci_u32_e32 v6, vcc_lo, s15, v6, vcc_lo
	v_cmp_le_u32_e32 vcc_lo, s15, v5
	v_cndmask_b32_e64 v9, 0, -1, s3
	v_cmp_le_u32_e64 s3, s14, v7
	v_cndmask_b32_e64 v12, 0, -1, vcc_lo
	v_cmp_eq_u32_e32 vcc_lo, s15, v8
	s_delay_alu instid0(VALU_DEP_3) | instskip(SKIP_1) | instid1(VALU_DEP_1)
	v_cndmask_b32_e64 v10, 0, -1, s3
	v_cmp_le_u32_e64 s3, s15, v8
	v_cndmask_b32_e64 v11, 0, -1, s3
	v_cmp_eq_u32_e64 s3, s15, v5
	s_delay_alu instid0(VALU_DEP_2) | instskip(SKIP_2) | instid1(VALU_DEP_3)
	v_cndmask_b32_e32 v10, v11, v10, vcc_lo
	v_sub_co_u32 v11, vcc_lo, v7, s14
	v_subrev_co_ci_u32_e32 v6, vcc_lo, 0, v6, vcc_lo
	v_cmp_ne_u32_e32 vcc_lo, 0, v10
	v_cndmask_b32_e64 v9, v12, v9, s3
	s_delay_alu instid0(VALU_DEP_3) | instskip(NEXT) | instid1(VALU_DEP_2)
	v_dual_cndmask_b32 v6, v8, v6 :: v_dual_cndmask_b32 v7, v7, v11
	v_cmp_ne_u32_e32 vcc_lo, 0, v9
	s_delay_alu instid0(VALU_DEP_2) | instskip(NEXT) | instid1(VALU_DEP_1)
	v_dual_cndmask_b32 v5, v5, v6 :: v_dual_cndmask_b32 v4, v4, v7
	v_xor_b32_e32 v5, v5, v13
	s_delay_alu instid0(VALU_DEP_2) | instskip(NEXT) | instid1(VALU_DEP_1)
	v_xor_b32_e32 v4, v4, v13
	v_sub_co_u32 v6, vcc_lo, v4, v13
	s_delay_alu instid0(VALU_DEP_3)
	v_sub_co_ci_u32_e32 v7, vcc_lo, v5, v13, vcc_lo
                                        ; implicit-def: $vgpr4_vgpr5
.LBB81_68:
	s_and_not1_saveexec_b32 s3, s16
	s_cbranch_execz .LBB81_70
; %bb.69:
	v_cvt_f32_u32_e32 v5, s12
	s_sub_i32 s14, 0, s12
	v_mov_b32_e32 v7, 0
	s_delay_alu instid0(VALU_DEP_2) | instskip(SKIP_2) | instid1(VALU_DEP_1)
	v_rcp_iflag_f32_e32 v5, v5
	s_waitcnt_depctr 0xfff
	v_mul_f32_e32 v5, 0x4f7ffffe, v5
	v_cvt_u32_f32_e32 v5, v5
	s_delay_alu instid0(VALU_DEP_1) | instskip(NEXT) | instid1(VALU_DEP_1)
	v_mul_lo_u32 v6, s14, v5
	v_mul_hi_u32 v6, v5, v6
	s_delay_alu instid0(VALU_DEP_1) | instskip(NEXT) | instid1(VALU_DEP_1)
	v_add_nc_u32_e32 v5, v5, v6
	v_mul_hi_u32 v5, v4, v5
	s_delay_alu instid0(VALU_DEP_1) | instskip(NEXT) | instid1(VALU_DEP_1)
	v_mul_lo_u32 v5, v5, s12
	v_sub_nc_u32_e32 v4, v4, v5
	s_delay_alu instid0(VALU_DEP_1) | instskip(SKIP_1) | instid1(VALU_DEP_2)
	v_subrev_nc_u32_e32 v5, s12, v4
	v_cmp_le_u32_e32 vcc_lo, s12, v4
	v_cndmask_b32_e32 v4, v4, v5, vcc_lo
	s_delay_alu instid0(VALU_DEP_1) | instskip(SKIP_1) | instid1(VALU_DEP_2)
	v_subrev_nc_u32_e32 v5, s12, v4
	v_cmp_le_u32_e32 vcc_lo, s12, v4
	v_cndmask_b32_e32 v6, v4, v5, vcc_lo
.LBB81_70:
	s_or_b32 exec_lo, exec_lo, s3
	v_mad_u64_u32 v[4:5], null, 0x58, s4, v[0:1]
	s_mul_i32 s3, s12, s11
	s_mul_hi_u32 s11, s12, s10
	s_delay_alu instid0(SALU_CYCLE_1) | instskip(SKIP_2) | instid1(VALU_DEP_1)
	s_add_i32 s3, s11, s3
	s_mul_i32 s11, s13, s10
	s_mul_i32 s10, s12, s10
	v_mad_u64_u32 v[8:9], null, 0x58, s5, v[5:6]
	s_add_i32 s11, s3, s11
	s_delay_alu instid0(VALU_DEP_1)
	v_mov_b32_e32 v5, v8
	global_store_b64 v[4:5], v[6:7], off
	s_cmp_lt_i32 s18, 11
	s_cbranch_scc1 .LBB81_10
.LBB81_71:
	s_load_b64 s[12:13], s[0:1], 0x58
	s_waitcnt vmcnt(0)
	v_or_b32_e32 v5, s11, v3
	v_mov_b32_e32 v4, 0
	s_delay_alu instid0(VALU_DEP_1) | instskip(SKIP_1) | instid1(SALU_CYCLE_1)
	v_cmp_ne_u64_e32 vcc_lo, 0, v[4:5]
                                        ; implicit-def: $vgpr4_vgpr5
	s_and_saveexec_b32 s3, vcc_lo
	s_xor_b32 s20, exec_lo, s3
	s_cbranch_execz .LBB81_73
; %bb.72:
	s_ashr_i32 s14, s11, 31
	s_delay_alu instid0(SALU_CYCLE_1) | instskip(SKIP_2) | instid1(SALU_CYCLE_1)
	s_add_u32 s16, s10, s14
	s_mov_b32 s15, s14
	s_addc_u32 s17, s11, s14
	s_xor_b64 s[16:17], s[16:17], s[14:15]
	s_delay_alu instid0(SALU_CYCLE_1) | instskip(SKIP_3) | instid1(VALU_DEP_1)
	v_cvt_f32_u32_e32 v4, s16
	v_cvt_f32_u32_e32 v5, s17
	s_sub_u32 s3, 0, s16
	s_subb_u32 s15, 0, s17
	v_fmamk_f32 v4, v5, 0x4f800000, v4
	s_delay_alu instid0(VALU_DEP_1) | instskip(SKIP_2) | instid1(VALU_DEP_1)
	v_rcp_f32_e32 v4, v4
	s_waitcnt_depctr 0xfff
	v_mul_f32_e32 v4, 0x5f7ffffc, v4
	v_mul_f32_e32 v5, 0x2f800000, v4
	s_delay_alu instid0(VALU_DEP_1) | instskip(NEXT) | instid1(VALU_DEP_1)
	v_trunc_f32_e32 v5, v5
	v_fmamk_f32 v4, v5, 0xcf800000, v4
	v_cvt_u32_f32_e32 v5, v5
	s_delay_alu instid0(VALU_DEP_2) | instskip(NEXT) | instid1(VALU_DEP_2)
	v_cvt_u32_f32_e32 v4, v4
	v_mul_lo_u32 v6, s3, v5
	s_delay_alu instid0(VALU_DEP_2) | instskip(SKIP_1) | instid1(VALU_DEP_2)
	v_mul_hi_u32 v7, s3, v4
	v_mul_lo_u32 v8, s15, v4
	v_add_nc_u32_e32 v6, v7, v6
	v_mul_lo_u32 v7, s3, v4
	s_delay_alu instid0(VALU_DEP_2) | instskip(NEXT) | instid1(VALU_DEP_2)
	v_add_nc_u32_e32 v6, v6, v8
	v_mul_hi_u32 v8, v4, v7
	s_delay_alu instid0(VALU_DEP_2)
	v_mul_lo_u32 v9, v4, v6
	v_mul_hi_u32 v10, v4, v6
	v_mul_hi_u32 v11, v5, v7
	v_mul_lo_u32 v7, v5, v7
	v_mul_hi_u32 v12, v5, v6
	v_mul_lo_u32 v6, v5, v6
	v_add_co_u32 v8, vcc_lo, v8, v9
	v_add_co_ci_u32_e32 v9, vcc_lo, 0, v10, vcc_lo
	s_delay_alu instid0(VALU_DEP_2) | instskip(NEXT) | instid1(VALU_DEP_2)
	v_add_co_u32 v7, vcc_lo, v8, v7
	v_add_co_ci_u32_e32 v7, vcc_lo, v9, v11, vcc_lo
	v_add_co_ci_u32_e32 v8, vcc_lo, 0, v12, vcc_lo
	v_ashrrev_i32_e32 v11, 31, v3
	s_delay_alu instid0(VALU_DEP_3) | instskip(NEXT) | instid1(VALU_DEP_3)
	v_add_co_u32 v6, vcc_lo, v7, v6
	v_add_co_ci_u32_e32 v7, vcc_lo, 0, v8, vcc_lo
	s_delay_alu instid0(VALU_DEP_2) | instskip(NEXT) | instid1(VALU_DEP_2)
	v_add_co_u32 v4, vcc_lo, v4, v6
	v_add_co_ci_u32_e32 v5, vcc_lo, v5, v7, vcc_lo
	s_delay_alu instid0(VALU_DEP_2) | instskip(SKIP_1) | instid1(VALU_DEP_3)
	v_mul_hi_u32 v6, s3, v4
	v_mul_lo_u32 v8, s15, v4
	v_mul_lo_u32 v7, s3, v5
	s_delay_alu instid0(VALU_DEP_1) | instskip(SKIP_1) | instid1(VALU_DEP_2)
	v_add_nc_u32_e32 v6, v6, v7
	v_mul_lo_u32 v7, s3, v4
	v_add_nc_u32_e32 v6, v6, v8
	s_delay_alu instid0(VALU_DEP_2) | instskip(NEXT) | instid1(VALU_DEP_2)
	v_mul_hi_u32 v8, v4, v7
	v_mul_lo_u32 v9, v4, v6
	v_mul_hi_u32 v10, v4, v6
	v_mul_hi_u32 v12, v5, v7
	v_mul_lo_u32 v7, v5, v7
	v_mul_hi_u32 v13, v5, v6
	v_mul_lo_u32 v6, v5, v6
	v_add_co_u32 v8, vcc_lo, v8, v9
	v_add_co_ci_u32_e32 v9, vcc_lo, 0, v10, vcc_lo
	s_delay_alu instid0(VALU_DEP_2) | instskip(NEXT) | instid1(VALU_DEP_2)
	v_add_co_u32 v7, vcc_lo, v8, v7
	v_add_co_ci_u32_e32 v7, vcc_lo, v9, v12, vcc_lo
	v_add_co_ci_u32_e32 v8, vcc_lo, 0, v13, vcc_lo
	v_add_co_u32 v9, vcc_lo, v2, v11
	v_add_co_ci_u32_e32 v10, vcc_lo, v3, v11, vcc_lo
	s_delay_alu instid0(VALU_DEP_4) | instskip(NEXT) | instid1(VALU_DEP_4)
	v_add_co_u32 v6, vcc_lo, v7, v6
	v_add_co_ci_u32_e32 v7, vcc_lo, 0, v8, vcc_lo
	s_delay_alu instid0(VALU_DEP_4) | instskip(NEXT) | instid1(VALU_DEP_3)
	v_xor_b32_e32 v12, v9, v11
	v_add_co_u32 v8, vcc_lo, v4, v6
	s_delay_alu instid0(VALU_DEP_3) | instskip(SKIP_1) | instid1(VALU_DEP_3)
	v_add_co_ci_u32_e32 v13, vcc_lo, v5, v7, vcc_lo
	v_xor_b32_e32 v10, v10, v11
	v_mul_hi_u32 v14, v12, v8
	s_delay_alu instid0(VALU_DEP_3) | instskip(NEXT) | instid1(VALU_DEP_3)
	v_mad_u64_u32 v[4:5], null, v12, v13, 0
	v_mad_u64_u32 v[6:7], null, v10, v8, 0
	;; [unrolled: 1-line block ×3, first 2 shown]
	s_delay_alu instid0(VALU_DEP_3) | instskip(NEXT) | instid1(VALU_DEP_4)
	v_add_co_u32 v4, vcc_lo, v14, v4
	v_add_co_ci_u32_e32 v5, vcc_lo, 0, v5, vcc_lo
	s_delay_alu instid0(VALU_DEP_2) | instskip(NEXT) | instid1(VALU_DEP_2)
	v_add_co_u32 v4, vcc_lo, v4, v6
	v_add_co_ci_u32_e32 v4, vcc_lo, v5, v7, vcc_lo
	v_add_co_ci_u32_e32 v5, vcc_lo, 0, v9, vcc_lo
	s_delay_alu instid0(VALU_DEP_2) | instskip(NEXT) | instid1(VALU_DEP_2)
	v_add_co_u32 v6, vcc_lo, v4, v8
	v_add_co_ci_u32_e32 v7, vcc_lo, 0, v5, vcc_lo
	s_delay_alu instid0(VALU_DEP_2) | instskip(SKIP_1) | instid1(VALU_DEP_3)
	v_mul_lo_u32 v8, s17, v6
	v_mad_u64_u32 v[4:5], null, s16, v6, 0
	v_mul_lo_u32 v9, s16, v7
	s_delay_alu instid0(VALU_DEP_2) | instskip(NEXT) | instid1(VALU_DEP_2)
	v_sub_co_u32 v4, vcc_lo, v12, v4
	v_add3_u32 v5, v5, v9, v8
	s_delay_alu instid0(VALU_DEP_1) | instskip(NEXT) | instid1(VALU_DEP_1)
	v_sub_nc_u32_e32 v8, v10, v5
	v_subrev_co_ci_u32_e64 v8, s3, s17, v8, vcc_lo
	v_add_co_u32 v9, s3, v6, 2
	s_delay_alu instid0(VALU_DEP_1) | instskip(SKIP_3) | instid1(VALU_DEP_3)
	v_add_co_ci_u32_e64 v12, s3, 0, v7, s3
	v_sub_co_u32 v13, s3, v4, s16
	v_sub_co_ci_u32_e32 v5, vcc_lo, v10, v5, vcc_lo
	v_subrev_co_ci_u32_e64 v8, s3, 0, v8, s3
	v_cmp_le_u32_e32 vcc_lo, s16, v13
	s_delay_alu instid0(VALU_DEP_3) | instskip(SKIP_1) | instid1(VALU_DEP_4)
	v_cmp_eq_u32_e64 s3, s17, v5
	v_cndmask_b32_e64 v10, 0, -1, vcc_lo
	v_cmp_le_u32_e32 vcc_lo, s17, v8
	v_cndmask_b32_e64 v13, 0, -1, vcc_lo
	v_cmp_le_u32_e32 vcc_lo, s16, v4
	;; [unrolled: 2-line block ×3, first 2 shown]
	v_cndmask_b32_e64 v14, 0, -1, vcc_lo
	v_cmp_eq_u32_e32 vcc_lo, s17, v8
	s_delay_alu instid0(VALU_DEP_2) | instskip(SKIP_3) | instid1(VALU_DEP_3)
	v_cndmask_b32_e64 v4, v14, v4, s3
	v_cndmask_b32_e32 v8, v13, v10, vcc_lo
	v_add_co_u32 v10, vcc_lo, v6, 1
	v_add_co_ci_u32_e32 v13, vcc_lo, 0, v7, vcc_lo
	v_cmp_ne_u32_e32 vcc_lo, 0, v8
	s_delay_alu instid0(VALU_DEP_2) | instskip(SKIP_2) | instid1(VALU_DEP_3)
	v_dual_cndmask_b32 v5, v13, v12 :: v_dual_cndmask_b32 v8, v10, v9
	v_cmp_ne_u32_e32 vcc_lo, 0, v4
	v_xor_b32_e32 v9, s14, v11
	v_dual_cndmask_b32 v4, v7, v5 :: v_dual_cndmask_b32 v5, v6, v8
	s_delay_alu instid0(VALU_DEP_1) | instskip(NEXT) | instid1(VALU_DEP_2)
	v_xor_b32_e32 v6, v4, v9
	v_xor_b32_e32 v5, v5, v9
	s_delay_alu instid0(VALU_DEP_1) | instskip(NEXT) | instid1(VALU_DEP_3)
	v_sub_co_u32 v4, vcc_lo, v5, v9
	v_sub_co_ci_u32_e32 v5, vcc_lo, v6, v9, vcc_lo
.LBB81_73:
	s_and_not1_saveexec_b32 s3, s20
	s_cbranch_execz .LBB81_75
; %bb.74:
	v_cvt_f32_u32_e32 v4, s10
	s_sub_i32 s14, 0, s10
	s_delay_alu instid0(VALU_DEP_1) | instskip(SKIP_2) | instid1(VALU_DEP_1)
	v_rcp_iflag_f32_e32 v4, v4
	s_waitcnt_depctr 0xfff
	v_mul_f32_e32 v4, 0x4f7ffffe, v4
	v_cvt_u32_f32_e32 v4, v4
	s_delay_alu instid0(VALU_DEP_1) | instskip(NEXT) | instid1(VALU_DEP_1)
	v_mul_lo_u32 v5, s14, v4
	v_mul_hi_u32 v5, v4, v5
	s_delay_alu instid0(VALU_DEP_1) | instskip(NEXT) | instid1(VALU_DEP_1)
	v_add_nc_u32_e32 v4, v4, v5
	v_mul_hi_u32 v4, v2, v4
	s_delay_alu instid0(VALU_DEP_1) | instskip(SKIP_1) | instid1(VALU_DEP_2)
	v_mul_lo_u32 v5, v4, s10
	v_add_nc_u32_e32 v6, 1, v4
	v_sub_nc_u32_e32 v5, v2, v5
	s_delay_alu instid0(VALU_DEP_1) | instskip(SKIP_1) | instid1(VALU_DEP_2)
	v_subrev_nc_u32_e32 v7, s10, v5
	v_cmp_le_u32_e32 vcc_lo, s10, v5
	v_dual_cndmask_b32 v5, v5, v7 :: v_dual_cndmask_b32 v4, v4, v6
	s_delay_alu instid0(VALU_DEP_1) | instskip(NEXT) | instid1(VALU_DEP_2)
	v_cmp_le_u32_e32 vcc_lo, s10, v5
	v_dual_mov_b32 v5, 0 :: v_dual_add_nc_u32 v6, 1, v4
	s_delay_alu instid0(VALU_DEP_1)
	v_cndmask_b32_e32 v4, v4, v6, vcc_lo
.LBB81_75:
	s_or_b32 exec_lo, exec_lo, s3
	s_waitcnt lgkmcnt(0)
	s_delay_alu instid0(VALU_DEP_1) | instskip(SKIP_1) | instid1(VALU_DEP_1)
	v_or_b32_e32 v7, s13, v5
	v_mov_b32_e32 v6, 0
	v_cmp_ne_u64_e32 vcc_lo, 0, v[6:7]
                                        ; implicit-def: $vgpr6_vgpr7
	s_and_saveexec_b32 s3, vcc_lo
	s_delay_alu instid0(SALU_CYCLE_1)
	s_xor_b32 s16, exec_lo, s3
	s_cbranch_execz .LBB81_77
; %bb.76:
	s_ashr_i32 s14, s13, 31
	s_delay_alu instid0(SALU_CYCLE_1) | instskip(SKIP_2) | instid1(SALU_CYCLE_1)
	s_add_u32 s20, s12, s14
	s_mov_b32 s15, s14
	s_addc_u32 s21, s13, s14
	s_xor_b64 s[14:15], s[20:21], s[14:15]
	s_delay_alu instid0(SALU_CYCLE_1) | instskip(SKIP_3) | instid1(VALU_DEP_1)
	v_cvt_f32_u32_e32 v6, s14
	v_cvt_f32_u32_e32 v7, s15
	s_sub_u32 s3, 0, s14
	s_subb_u32 s17, 0, s15
	v_fmamk_f32 v6, v7, 0x4f800000, v6
	s_delay_alu instid0(VALU_DEP_1) | instskip(SKIP_2) | instid1(VALU_DEP_1)
	v_rcp_f32_e32 v6, v6
	s_waitcnt_depctr 0xfff
	v_mul_f32_e32 v6, 0x5f7ffffc, v6
	v_mul_f32_e32 v7, 0x2f800000, v6
	s_delay_alu instid0(VALU_DEP_1) | instskip(NEXT) | instid1(VALU_DEP_1)
	v_trunc_f32_e32 v7, v7
	v_fmamk_f32 v6, v7, 0xcf800000, v6
	v_cvt_u32_f32_e32 v7, v7
	s_delay_alu instid0(VALU_DEP_2) | instskip(NEXT) | instid1(VALU_DEP_2)
	v_cvt_u32_f32_e32 v6, v6
	v_mul_lo_u32 v8, s3, v7
	s_delay_alu instid0(VALU_DEP_2) | instskip(SKIP_1) | instid1(VALU_DEP_2)
	v_mul_hi_u32 v9, s3, v6
	v_mul_lo_u32 v10, s17, v6
	v_add_nc_u32_e32 v8, v9, v8
	v_mul_lo_u32 v9, s3, v6
	s_delay_alu instid0(VALU_DEP_2) | instskip(NEXT) | instid1(VALU_DEP_2)
	v_add_nc_u32_e32 v8, v8, v10
	v_mul_hi_u32 v10, v6, v9
	s_delay_alu instid0(VALU_DEP_2)
	v_mul_lo_u32 v11, v6, v8
	v_mul_hi_u32 v12, v6, v8
	v_mul_hi_u32 v13, v7, v9
	v_mul_lo_u32 v9, v7, v9
	v_mul_hi_u32 v14, v7, v8
	v_mul_lo_u32 v8, v7, v8
	v_add_co_u32 v10, vcc_lo, v10, v11
	v_add_co_ci_u32_e32 v11, vcc_lo, 0, v12, vcc_lo
	s_delay_alu instid0(VALU_DEP_2) | instskip(NEXT) | instid1(VALU_DEP_2)
	v_add_co_u32 v9, vcc_lo, v10, v9
	v_add_co_ci_u32_e32 v9, vcc_lo, v11, v13, vcc_lo
	v_add_co_ci_u32_e32 v10, vcc_lo, 0, v14, vcc_lo
	v_ashrrev_i32_e32 v13, 31, v5
	s_delay_alu instid0(VALU_DEP_3) | instskip(NEXT) | instid1(VALU_DEP_3)
	v_add_co_u32 v8, vcc_lo, v9, v8
	v_add_co_ci_u32_e32 v9, vcc_lo, 0, v10, vcc_lo
	s_delay_alu instid0(VALU_DEP_2) | instskip(NEXT) | instid1(VALU_DEP_2)
	v_add_co_u32 v6, vcc_lo, v6, v8
	v_add_co_ci_u32_e32 v7, vcc_lo, v7, v9, vcc_lo
	s_delay_alu instid0(VALU_DEP_2) | instskip(SKIP_1) | instid1(VALU_DEP_3)
	v_mul_hi_u32 v8, s3, v6
	v_mul_lo_u32 v10, s17, v6
	v_mul_lo_u32 v9, s3, v7
	s_delay_alu instid0(VALU_DEP_1) | instskip(SKIP_1) | instid1(VALU_DEP_2)
	v_add_nc_u32_e32 v8, v8, v9
	v_mul_lo_u32 v9, s3, v6
	v_add_nc_u32_e32 v8, v8, v10
	s_delay_alu instid0(VALU_DEP_2) | instskip(NEXT) | instid1(VALU_DEP_2)
	v_mul_hi_u32 v10, v6, v9
	v_mul_lo_u32 v11, v6, v8
	v_mul_hi_u32 v12, v6, v8
	v_mul_hi_u32 v14, v7, v9
	v_mul_lo_u32 v9, v7, v9
	v_mul_hi_u32 v15, v7, v8
	v_mul_lo_u32 v8, v7, v8
	v_add_co_u32 v10, vcc_lo, v10, v11
	v_add_co_ci_u32_e32 v11, vcc_lo, 0, v12, vcc_lo
	s_delay_alu instid0(VALU_DEP_2) | instskip(NEXT) | instid1(VALU_DEP_2)
	v_add_co_u32 v9, vcc_lo, v10, v9
	v_add_co_ci_u32_e32 v9, vcc_lo, v11, v14, vcc_lo
	v_add_co_ci_u32_e32 v10, vcc_lo, 0, v15, vcc_lo
	v_add_co_u32 v4, vcc_lo, v4, v13
	v_add_co_ci_u32_e32 v5, vcc_lo, v5, v13, vcc_lo
	s_delay_alu instid0(VALU_DEP_4) | instskip(NEXT) | instid1(VALU_DEP_4)
	v_add_co_u32 v8, vcc_lo, v9, v8
	v_add_co_ci_u32_e32 v9, vcc_lo, 0, v10, vcc_lo
	s_delay_alu instid0(VALU_DEP_4) | instskip(NEXT) | instid1(VALU_DEP_3)
	v_xor_b32_e32 v10, v4, v13
	v_add_co_u32 v8, vcc_lo, v6, v8
	s_delay_alu instid0(VALU_DEP_3) | instskip(SKIP_1) | instid1(VALU_DEP_3)
	v_add_co_ci_u32_e32 v11, vcc_lo, v7, v9, vcc_lo
	v_xor_b32_e32 v12, v5, v13
	v_mul_hi_u32 v14, v10, v8
	s_delay_alu instid0(VALU_DEP_3) | instskip(NEXT) | instid1(VALU_DEP_3)
	v_mad_u64_u32 v[4:5], null, v10, v11, 0
	v_mad_u64_u32 v[6:7], null, v12, v8, 0
	;; [unrolled: 1-line block ×3, first 2 shown]
	s_delay_alu instid0(VALU_DEP_3) | instskip(NEXT) | instid1(VALU_DEP_4)
	v_add_co_u32 v4, vcc_lo, v14, v4
	v_add_co_ci_u32_e32 v5, vcc_lo, 0, v5, vcc_lo
	s_delay_alu instid0(VALU_DEP_2) | instskip(NEXT) | instid1(VALU_DEP_2)
	v_add_co_u32 v4, vcc_lo, v4, v6
	v_add_co_ci_u32_e32 v4, vcc_lo, v5, v7, vcc_lo
	v_add_co_ci_u32_e32 v5, vcc_lo, 0, v9, vcc_lo
	s_delay_alu instid0(VALU_DEP_2) | instskip(NEXT) | instid1(VALU_DEP_2)
	v_add_co_u32 v6, vcc_lo, v4, v8
	v_add_co_ci_u32_e32 v7, vcc_lo, 0, v5, vcc_lo
	s_delay_alu instid0(VALU_DEP_2) | instskip(SKIP_1) | instid1(VALU_DEP_3)
	v_mul_lo_u32 v8, s15, v6
	v_mad_u64_u32 v[4:5], null, s14, v6, 0
	v_mul_lo_u32 v6, s14, v7
	s_delay_alu instid0(VALU_DEP_2) | instskip(NEXT) | instid1(VALU_DEP_2)
	v_sub_co_u32 v4, vcc_lo, v10, v4
	v_add3_u32 v5, v5, v6, v8
	s_delay_alu instid0(VALU_DEP_1) | instskip(NEXT) | instid1(VALU_DEP_1)
	v_sub_nc_u32_e32 v6, v12, v5
	v_subrev_co_ci_u32_e64 v6, s3, s15, v6, vcc_lo
	v_sub_co_ci_u32_e32 v5, vcc_lo, v12, v5, vcc_lo
	v_sub_co_u32 v7, vcc_lo, v4, s14
	s_delay_alu instid0(VALU_DEP_1) | instskip(SKIP_3) | instid1(VALU_DEP_3)
	v_subrev_co_ci_u32_e64 v8, s3, 0, v6, vcc_lo
	v_cmp_le_u32_e64 s3, s14, v4
	v_subrev_co_ci_u32_e32 v6, vcc_lo, s15, v6, vcc_lo
	v_cmp_le_u32_e32 vcc_lo, s15, v5
	v_cndmask_b32_e64 v9, 0, -1, s3
	v_cmp_le_u32_e64 s3, s14, v7
	v_cndmask_b32_e64 v12, 0, -1, vcc_lo
	v_cmp_eq_u32_e32 vcc_lo, s15, v8
	s_delay_alu instid0(VALU_DEP_3) | instskip(SKIP_1) | instid1(VALU_DEP_1)
	v_cndmask_b32_e64 v10, 0, -1, s3
	v_cmp_le_u32_e64 s3, s15, v8
	v_cndmask_b32_e64 v11, 0, -1, s3
	v_cmp_eq_u32_e64 s3, s15, v5
	s_delay_alu instid0(VALU_DEP_2) | instskip(SKIP_2) | instid1(VALU_DEP_3)
	v_cndmask_b32_e32 v10, v11, v10, vcc_lo
	v_sub_co_u32 v11, vcc_lo, v7, s14
	v_subrev_co_ci_u32_e32 v6, vcc_lo, 0, v6, vcc_lo
	v_cmp_ne_u32_e32 vcc_lo, 0, v10
	v_cndmask_b32_e64 v9, v12, v9, s3
	s_delay_alu instid0(VALU_DEP_3) | instskip(NEXT) | instid1(VALU_DEP_2)
	v_dual_cndmask_b32 v6, v8, v6 :: v_dual_cndmask_b32 v7, v7, v11
	v_cmp_ne_u32_e32 vcc_lo, 0, v9
	s_delay_alu instid0(VALU_DEP_2) | instskip(NEXT) | instid1(VALU_DEP_1)
	v_dual_cndmask_b32 v5, v5, v6 :: v_dual_cndmask_b32 v4, v4, v7
	v_xor_b32_e32 v5, v5, v13
	s_delay_alu instid0(VALU_DEP_2) | instskip(NEXT) | instid1(VALU_DEP_1)
	v_xor_b32_e32 v4, v4, v13
	v_sub_co_u32 v6, vcc_lo, v4, v13
	s_delay_alu instid0(VALU_DEP_3)
	v_sub_co_ci_u32_e32 v7, vcc_lo, v5, v13, vcc_lo
                                        ; implicit-def: $vgpr4_vgpr5
.LBB81_77:
	s_and_not1_saveexec_b32 s3, s16
	s_cbranch_execz .LBB81_79
; %bb.78:
	v_cvt_f32_u32_e32 v5, s12
	s_sub_i32 s14, 0, s12
	v_mov_b32_e32 v7, 0
	s_delay_alu instid0(VALU_DEP_2) | instskip(SKIP_2) | instid1(VALU_DEP_1)
	v_rcp_iflag_f32_e32 v5, v5
	s_waitcnt_depctr 0xfff
	v_mul_f32_e32 v5, 0x4f7ffffe, v5
	v_cvt_u32_f32_e32 v5, v5
	s_delay_alu instid0(VALU_DEP_1) | instskip(NEXT) | instid1(VALU_DEP_1)
	v_mul_lo_u32 v6, s14, v5
	v_mul_hi_u32 v6, v5, v6
	s_delay_alu instid0(VALU_DEP_1) | instskip(NEXT) | instid1(VALU_DEP_1)
	v_add_nc_u32_e32 v5, v5, v6
	v_mul_hi_u32 v5, v4, v5
	s_delay_alu instid0(VALU_DEP_1) | instskip(NEXT) | instid1(VALU_DEP_1)
	v_mul_lo_u32 v5, v5, s12
	v_sub_nc_u32_e32 v4, v4, v5
	s_delay_alu instid0(VALU_DEP_1) | instskip(SKIP_1) | instid1(VALU_DEP_2)
	v_subrev_nc_u32_e32 v5, s12, v4
	v_cmp_le_u32_e32 vcc_lo, s12, v4
	v_cndmask_b32_e32 v4, v4, v5, vcc_lo
	s_delay_alu instid0(VALU_DEP_1) | instskip(SKIP_1) | instid1(VALU_DEP_2)
	v_subrev_nc_u32_e32 v5, s12, v4
	v_cmp_le_u32_e32 vcc_lo, s12, v4
	v_cndmask_b32_e32 v6, v4, v5, vcc_lo
.LBB81_79:
	s_or_b32 exec_lo, exec_lo, s3
	v_mad_u64_u32 v[4:5], null, 0x50, s4, v[0:1]
	s_mul_i32 s3, s12, s11
	s_mul_hi_u32 s11, s12, s10
	s_delay_alu instid0(SALU_CYCLE_1) | instskip(SKIP_2) | instid1(VALU_DEP_1)
	s_add_i32 s3, s11, s3
	s_mul_i32 s11, s13, s10
	s_mul_i32 s10, s12, s10
	v_mad_u64_u32 v[8:9], null, 0x50, s5, v[5:6]
	s_add_i32 s11, s3, s11
	s_delay_alu instid0(VALU_DEP_1)
	v_mov_b32_e32 v5, v8
	global_store_b64 v[4:5], v[6:7], off
	s_cmp_lt_i32 s18, 10
	s_cbranch_scc1 .LBB81_11
.LBB81_80:
	s_load_b64 s[12:13], s[0:1], 0x50
	s_waitcnt vmcnt(0)
	v_or_b32_e32 v5, s11, v3
	v_mov_b32_e32 v4, 0
	s_delay_alu instid0(VALU_DEP_1) | instskip(SKIP_1) | instid1(SALU_CYCLE_1)
	v_cmp_ne_u64_e32 vcc_lo, 0, v[4:5]
                                        ; implicit-def: $vgpr4_vgpr5
	s_and_saveexec_b32 s3, vcc_lo
	s_xor_b32 s20, exec_lo, s3
	s_cbranch_execz .LBB81_82
; %bb.81:
	s_ashr_i32 s14, s11, 31
	s_delay_alu instid0(SALU_CYCLE_1) | instskip(SKIP_2) | instid1(SALU_CYCLE_1)
	s_add_u32 s16, s10, s14
	s_mov_b32 s15, s14
	s_addc_u32 s17, s11, s14
	s_xor_b64 s[16:17], s[16:17], s[14:15]
	s_delay_alu instid0(SALU_CYCLE_1) | instskip(SKIP_3) | instid1(VALU_DEP_1)
	v_cvt_f32_u32_e32 v4, s16
	v_cvt_f32_u32_e32 v5, s17
	s_sub_u32 s3, 0, s16
	s_subb_u32 s15, 0, s17
	v_fmamk_f32 v4, v5, 0x4f800000, v4
	s_delay_alu instid0(VALU_DEP_1) | instskip(SKIP_2) | instid1(VALU_DEP_1)
	v_rcp_f32_e32 v4, v4
	s_waitcnt_depctr 0xfff
	v_mul_f32_e32 v4, 0x5f7ffffc, v4
	v_mul_f32_e32 v5, 0x2f800000, v4
	s_delay_alu instid0(VALU_DEP_1) | instskip(NEXT) | instid1(VALU_DEP_1)
	v_trunc_f32_e32 v5, v5
	v_fmamk_f32 v4, v5, 0xcf800000, v4
	v_cvt_u32_f32_e32 v5, v5
	s_delay_alu instid0(VALU_DEP_2) | instskip(NEXT) | instid1(VALU_DEP_2)
	v_cvt_u32_f32_e32 v4, v4
	v_mul_lo_u32 v6, s3, v5
	s_delay_alu instid0(VALU_DEP_2) | instskip(SKIP_1) | instid1(VALU_DEP_2)
	v_mul_hi_u32 v7, s3, v4
	v_mul_lo_u32 v8, s15, v4
	v_add_nc_u32_e32 v6, v7, v6
	v_mul_lo_u32 v7, s3, v4
	s_delay_alu instid0(VALU_DEP_2) | instskip(NEXT) | instid1(VALU_DEP_2)
	v_add_nc_u32_e32 v6, v6, v8
	v_mul_hi_u32 v8, v4, v7
	s_delay_alu instid0(VALU_DEP_2)
	v_mul_lo_u32 v9, v4, v6
	v_mul_hi_u32 v10, v4, v6
	v_mul_hi_u32 v11, v5, v7
	v_mul_lo_u32 v7, v5, v7
	v_mul_hi_u32 v12, v5, v6
	v_mul_lo_u32 v6, v5, v6
	v_add_co_u32 v8, vcc_lo, v8, v9
	v_add_co_ci_u32_e32 v9, vcc_lo, 0, v10, vcc_lo
	s_delay_alu instid0(VALU_DEP_2) | instskip(NEXT) | instid1(VALU_DEP_2)
	v_add_co_u32 v7, vcc_lo, v8, v7
	v_add_co_ci_u32_e32 v7, vcc_lo, v9, v11, vcc_lo
	v_add_co_ci_u32_e32 v8, vcc_lo, 0, v12, vcc_lo
	v_ashrrev_i32_e32 v11, 31, v3
	s_delay_alu instid0(VALU_DEP_3) | instskip(NEXT) | instid1(VALU_DEP_3)
	v_add_co_u32 v6, vcc_lo, v7, v6
	v_add_co_ci_u32_e32 v7, vcc_lo, 0, v8, vcc_lo
	s_delay_alu instid0(VALU_DEP_2) | instskip(NEXT) | instid1(VALU_DEP_2)
	v_add_co_u32 v4, vcc_lo, v4, v6
	v_add_co_ci_u32_e32 v5, vcc_lo, v5, v7, vcc_lo
	s_delay_alu instid0(VALU_DEP_2) | instskip(SKIP_1) | instid1(VALU_DEP_3)
	v_mul_hi_u32 v6, s3, v4
	v_mul_lo_u32 v8, s15, v4
	v_mul_lo_u32 v7, s3, v5
	s_delay_alu instid0(VALU_DEP_1) | instskip(SKIP_1) | instid1(VALU_DEP_2)
	v_add_nc_u32_e32 v6, v6, v7
	v_mul_lo_u32 v7, s3, v4
	v_add_nc_u32_e32 v6, v6, v8
	s_delay_alu instid0(VALU_DEP_2) | instskip(NEXT) | instid1(VALU_DEP_2)
	v_mul_hi_u32 v8, v4, v7
	v_mul_lo_u32 v9, v4, v6
	v_mul_hi_u32 v10, v4, v6
	v_mul_hi_u32 v12, v5, v7
	v_mul_lo_u32 v7, v5, v7
	v_mul_hi_u32 v13, v5, v6
	v_mul_lo_u32 v6, v5, v6
	v_add_co_u32 v8, vcc_lo, v8, v9
	v_add_co_ci_u32_e32 v9, vcc_lo, 0, v10, vcc_lo
	s_delay_alu instid0(VALU_DEP_2) | instskip(NEXT) | instid1(VALU_DEP_2)
	v_add_co_u32 v7, vcc_lo, v8, v7
	v_add_co_ci_u32_e32 v7, vcc_lo, v9, v12, vcc_lo
	v_add_co_ci_u32_e32 v8, vcc_lo, 0, v13, vcc_lo
	v_add_co_u32 v9, vcc_lo, v2, v11
	v_add_co_ci_u32_e32 v10, vcc_lo, v3, v11, vcc_lo
	s_delay_alu instid0(VALU_DEP_4) | instskip(NEXT) | instid1(VALU_DEP_4)
	v_add_co_u32 v6, vcc_lo, v7, v6
	v_add_co_ci_u32_e32 v7, vcc_lo, 0, v8, vcc_lo
	s_delay_alu instid0(VALU_DEP_4) | instskip(NEXT) | instid1(VALU_DEP_3)
	v_xor_b32_e32 v12, v9, v11
	v_add_co_u32 v8, vcc_lo, v4, v6
	s_delay_alu instid0(VALU_DEP_3) | instskip(SKIP_1) | instid1(VALU_DEP_3)
	v_add_co_ci_u32_e32 v13, vcc_lo, v5, v7, vcc_lo
	v_xor_b32_e32 v10, v10, v11
	v_mul_hi_u32 v14, v12, v8
	s_delay_alu instid0(VALU_DEP_3) | instskip(NEXT) | instid1(VALU_DEP_3)
	v_mad_u64_u32 v[4:5], null, v12, v13, 0
	v_mad_u64_u32 v[6:7], null, v10, v8, 0
	;; [unrolled: 1-line block ×3, first 2 shown]
	s_delay_alu instid0(VALU_DEP_3) | instskip(NEXT) | instid1(VALU_DEP_4)
	v_add_co_u32 v4, vcc_lo, v14, v4
	v_add_co_ci_u32_e32 v5, vcc_lo, 0, v5, vcc_lo
	s_delay_alu instid0(VALU_DEP_2) | instskip(NEXT) | instid1(VALU_DEP_2)
	v_add_co_u32 v4, vcc_lo, v4, v6
	v_add_co_ci_u32_e32 v4, vcc_lo, v5, v7, vcc_lo
	v_add_co_ci_u32_e32 v5, vcc_lo, 0, v9, vcc_lo
	s_delay_alu instid0(VALU_DEP_2) | instskip(NEXT) | instid1(VALU_DEP_2)
	v_add_co_u32 v6, vcc_lo, v4, v8
	v_add_co_ci_u32_e32 v7, vcc_lo, 0, v5, vcc_lo
	s_delay_alu instid0(VALU_DEP_2) | instskip(SKIP_1) | instid1(VALU_DEP_3)
	v_mul_lo_u32 v8, s17, v6
	v_mad_u64_u32 v[4:5], null, s16, v6, 0
	v_mul_lo_u32 v9, s16, v7
	s_delay_alu instid0(VALU_DEP_2) | instskip(NEXT) | instid1(VALU_DEP_2)
	v_sub_co_u32 v4, vcc_lo, v12, v4
	v_add3_u32 v5, v5, v9, v8
	s_delay_alu instid0(VALU_DEP_1) | instskip(NEXT) | instid1(VALU_DEP_1)
	v_sub_nc_u32_e32 v8, v10, v5
	v_subrev_co_ci_u32_e64 v8, s3, s17, v8, vcc_lo
	v_add_co_u32 v9, s3, v6, 2
	s_delay_alu instid0(VALU_DEP_1) | instskip(SKIP_3) | instid1(VALU_DEP_3)
	v_add_co_ci_u32_e64 v12, s3, 0, v7, s3
	v_sub_co_u32 v13, s3, v4, s16
	v_sub_co_ci_u32_e32 v5, vcc_lo, v10, v5, vcc_lo
	v_subrev_co_ci_u32_e64 v8, s3, 0, v8, s3
	v_cmp_le_u32_e32 vcc_lo, s16, v13
	s_delay_alu instid0(VALU_DEP_3) | instskip(SKIP_1) | instid1(VALU_DEP_4)
	v_cmp_eq_u32_e64 s3, s17, v5
	v_cndmask_b32_e64 v10, 0, -1, vcc_lo
	v_cmp_le_u32_e32 vcc_lo, s17, v8
	v_cndmask_b32_e64 v13, 0, -1, vcc_lo
	v_cmp_le_u32_e32 vcc_lo, s16, v4
	;; [unrolled: 2-line block ×3, first 2 shown]
	v_cndmask_b32_e64 v14, 0, -1, vcc_lo
	v_cmp_eq_u32_e32 vcc_lo, s17, v8
	s_delay_alu instid0(VALU_DEP_2) | instskip(SKIP_3) | instid1(VALU_DEP_3)
	v_cndmask_b32_e64 v4, v14, v4, s3
	v_cndmask_b32_e32 v8, v13, v10, vcc_lo
	v_add_co_u32 v10, vcc_lo, v6, 1
	v_add_co_ci_u32_e32 v13, vcc_lo, 0, v7, vcc_lo
	v_cmp_ne_u32_e32 vcc_lo, 0, v8
	s_delay_alu instid0(VALU_DEP_2) | instskip(SKIP_2) | instid1(VALU_DEP_3)
	v_dual_cndmask_b32 v5, v13, v12 :: v_dual_cndmask_b32 v8, v10, v9
	v_cmp_ne_u32_e32 vcc_lo, 0, v4
	v_xor_b32_e32 v9, s14, v11
	v_dual_cndmask_b32 v4, v7, v5 :: v_dual_cndmask_b32 v5, v6, v8
	s_delay_alu instid0(VALU_DEP_1) | instskip(NEXT) | instid1(VALU_DEP_2)
	v_xor_b32_e32 v6, v4, v9
	v_xor_b32_e32 v5, v5, v9
	s_delay_alu instid0(VALU_DEP_1) | instskip(NEXT) | instid1(VALU_DEP_3)
	v_sub_co_u32 v4, vcc_lo, v5, v9
	v_sub_co_ci_u32_e32 v5, vcc_lo, v6, v9, vcc_lo
.LBB81_82:
	s_and_not1_saveexec_b32 s3, s20
	s_cbranch_execz .LBB81_84
; %bb.83:
	v_cvt_f32_u32_e32 v4, s10
	s_sub_i32 s14, 0, s10
	s_delay_alu instid0(VALU_DEP_1) | instskip(SKIP_2) | instid1(VALU_DEP_1)
	v_rcp_iflag_f32_e32 v4, v4
	s_waitcnt_depctr 0xfff
	v_mul_f32_e32 v4, 0x4f7ffffe, v4
	v_cvt_u32_f32_e32 v4, v4
	s_delay_alu instid0(VALU_DEP_1) | instskip(NEXT) | instid1(VALU_DEP_1)
	v_mul_lo_u32 v5, s14, v4
	v_mul_hi_u32 v5, v4, v5
	s_delay_alu instid0(VALU_DEP_1) | instskip(NEXT) | instid1(VALU_DEP_1)
	v_add_nc_u32_e32 v4, v4, v5
	v_mul_hi_u32 v4, v2, v4
	s_delay_alu instid0(VALU_DEP_1) | instskip(SKIP_1) | instid1(VALU_DEP_2)
	v_mul_lo_u32 v5, v4, s10
	v_add_nc_u32_e32 v6, 1, v4
	v_sub_nc_u32_e32 v5, v2, v5
	s_delay_alu instid0(VALU_DEP_1) | instskip(SKIP_1) | instid1(VALU_DEP_2)
	v_subrev_nc_u32_e32 v7, s10, v5
	v_cmp_le_u32_e32 vcc_lo, s10, v5
	v_dual_cndmask_b32 v5, v5, v7 :: v_dual_cndmask_b32 v4, v4, v6
	s_delay_alu instid0(VALU_DEP_1) | instskip(NEXT) | instid1(VALU_DEP_2)
	v_cmp_le_u32_e32 vcc_lo, s10, v5
	v_dual_mov_b32 v5, 0 :: v_dual_add_nc_u32 v6, 1, v4
	s_delay_alu instid0(VALU_DEP_1)
	v_cndmask_b32_e32 v4, v4, v6, vcc_lo
.LBB81_84:
	s_or_b32 exec_lo, exec_lo, s3
	s_waitcnt lgkmcnt(0)
	s_delay_alu instid0(VALU_DEP_1) | instskip(SKIP_1) | instid1(VALU_DEP_1)
	v_or_b32_e32 v7, s13, v5
	v_mov_b32_e32 v6, 0
	v_cmp_ne_u64_e32 vcc_lo, 0, v[6:7]
                                        ; implicit-def: $vgpr6_vgpr7
	s_and_saveexec_b32 s3, vcc_lo
	s_delay_alu instid0(SALU_CYCLE_1)
	s_xor_b32 s16, exec_lo, s3
	s_cbranch_execz .LBB81_86
; %bb.85:
	s_ashr_i32 s14, s13, 31
	s_delay_alu instid0(SALU_CYCLE_1) | instskip(SKIP_2) | instid1(SALU_CYCLE_1)
	s_add_u32 s20, s12, s14
	s_mov_b32 s15, s14
	s_addc_u32 s21, s13, s14
	s_xor_b64 s[14:15], s[20:21], s[14:15]
	s_delay_alu instid0(SALU_CYCLE_1) | instskip(SKIP_3) | instid1(VALU_DEP_1)
	v_cvt_f32_u32_e32 v6, s14
	v_cvt_f32_u32_e32 v7, s15
	s_sub_u32 s3, 0, s14
	s_subb_u32 s17, 0, s15
	v_fmamk_f32 v6, v7, 0x4f800000, v6
	s_delay_alu instid0(VALU_DEP_1) | instskip(SKIP_2) | instid1(VALU_DEP_1)
	v_rcp_f32_e32 v6, v6
	s_waitcnt_depctr 0xfff
	v_mul_f32_e32 v6, 0x5f7ffffc, v6
	v_mul_f32_e32 v7, 0x2f800000, v6
	s_delay_alu instid0(VALU_DEP_1) | instskip(NEXT) | instid1(VALU_DEP_1)
	v_trunc_f32_e32 v7, v7
	v_fmamk_f32 v6, v7, 0xcf800000, v6
	v_cvt_u32_f32_e32 v7, v7
	s_delay_alu instid0(VALU_DEP_2) | instskip(NEXT) | instid1(VALU_DEP_2)
	v_cvt_u32_f32_e32 v6, v6
	v_mul_lo_u32 v8, s3, v7
	s_delay_alu instid0(VALU_DEP_2) | instskip(SKIP_1) | instid1(VALU_DEP_2)
	v_mul_hi_u32 v9, s3, v6
	v_mul_lo_u32 v10, s17, v6
	v_add_nc_u32_e32 v8, v9, v8
	v_mul_lo_u32 v9, s3, v6
	s_delay_alu instid0(VALU_DEP_2) | instskip(NEXT) | instid1(VALU_DEP_2)
	v_add_nc_u32_e32 v8, v8, v10
	v_mul_hi_u32 v10, v6, v9
	s_delay_alu instid0(VALU_DEP_2)
	v_mul_lo_u32 v11, v6, v8
	v_mul_hi_u32 v12, v6, v8
	v_mul_hi_u32 v13, v7, v9
	v_mul_lo_u32 v9, v7, v9
	v_mul_hi_u32 v14, v7, v8
	v_mul_lo_u32 v8, v7, v8
	v_add_co_u32 v10, vcc_lo, v10, v11
	v_add_co_ci_u32_e32 v11, vcc_lo, 0, v12, vcc_lo
	s_delay_alu instid0(VALU_DEP_2) | instskip(NEXT) | instid1(VALU_DEP_2)
	v_add_co_u32 v9, vcc_lo, v10, v9
	v_add_co_ci_u32_e32 v9, vcc_lo, v11, v13, vcc_lo
	v_add_co_ci_u32_e32 v10, vcc_lo, 0, v14, vcc_lo
	v_ashrrev_i32_e32 v13, 31, v5
	s_delay_alu instid0(VALU_DEP_3) | instskip(NEXT) | instid1(VALU_DEP_3)
	v_add_co_u32 v8, vcc_lo, v9, v8
	v_add_co_ci_u32_e32 v9, vcc_lo, 0, v10, vcc_lo
	s_delay_alu instid0(VALU_DEP_2) | instskip(NEXT) | instid1(VALU_DEP_2)
	v_add_co_u32 v6, vcc_lo, v6, v8
	v_add_co_ci_u32_e32 v7, vcc_lo, v7, v9, vcc_lo
	s_delay_alu instid0(VALU_DEP_2) | instskip(SKIP_1) | instid1(VALU_DEP_3)
	v_mul_hi_u32 v8, s3, v6
	v_mul_lo_u32 v10, s17, v6
	v_mul_lo_u32 v9, s3, v7
	s_delay_alu instid0(VALU_DEP_1) | instskip(SKIP_1) | instid1(VALU_DEP_2)
	v_add_nc_u32_e32 v8, v8, v9
	v_mul_lo_u32 v9, s3, v6
	v_add_nc_u32_e32 v8, v8, v10
	s_delay_alu instid0(VALU_DEP_2) | instskip(NEXT) | instid1(VALU_DEP_2)
	v_mul_hi_u32 v10, v6, v9
	v_mul_lo_u32 v11, v6, v8
	v_mul_hi_u32 v12, v6, v8
	v_mul_hi_u32 v14, v7, v9
	v_mul_lo_u32 v9, v7, v9
	v_mul_hi_u32 v15, v7, v8
	v_mul_lo_u32 v8, v7, v8
	v_add_co_u32 v10, vcc_lo, v10, v11
	v_add_co_ci_u32_e32 v11, vcc_lo, 0, v12, vcc_lo
	s_delay_alu instid0(VALU_DEP_2) | instskip(NEXT) | instid1(VALU_DEP_2)
	v_add_co_u32 v9, vcc_lo, v10, v9
	v_add_co_ci_u32_e32 v9, vcc_lo, v11, v14, vcc_lo
	v_add_co_ci_u32_e32 v10, vcc_lo, 0, v15, vcc_lo
	v_add_co_u32 v4, vcc_lo, v4, v13
	v_add_co_ci_u32_e32 v5, vcc_lo, v5, v13, vcc_lo
	s_delay_alu instid0(VALU_DEP_4) | instskip(NEXT) | instid1(VALU_DEP_4)
	v_add_co_u32 v8, vcc_lo, v9, v8
	v_add_co_ci_u32_e32 v9, vcc_lo, 0, v10, vcc_lo
	s_delay_alu instid0(VALU_DEP_4) | instskip(NEXT) | instid1(VALU_DEP_3)
	v_xor_b32_e32 v10, v4, v13
	v_add_co_u32 v8, vcc_lo, v6, v8
	s_delay_alu instid0(VALU_DEP_3) | instskip(SKIP_1) | instid1(VALU_DEP_3)
	v_add_co_ci_u32_e32 v11, vcc_lo, v7, v9, vcc_lo
	v_xor_b32_e32 v12, v5, v13
	v_mul_hi_u32 v14, v10, v8
	s_delay_alu instid0(VALU_DEP_3) | instskip(NEXT) | instid1(VALU_DEP_3)
	v_mad_u64_u32 v[4:5], null, v10, v11, 0
	v_mad_u64_u32 v[6:7], null, v12, v8, 0
	;; [unrolled: 1-line block ×3, first 2 shown]
	s_delay_alu instid0(VALU_DEP_3) | instskip(NEXT) | instid1(VALU_DEP_4)
	v_add_co_u32 v4, vcc_lo, v14, v4
	v_add_co_ci_u32_e32 v5, vcc_lo, 0, v5, vcc_lo
	s_delay_alu instid0(VALU_DEP_2) | instskip(NEXT) | instid1(VALU_DEP_2)
	v_add_co_u32 v4, vcc_lo, v4, v6
	v_add_co_ci_u32_e32 v4, vcc_lo, v5, v7, vcc_lo
	v_add_co_ci_u32_e32 v5, vcc_lo, 0, v9, vcc_lo
	s_delay_alu instid0(VALU_DEP_2) | instskip(NEXT) | instid1(VALU_DEP_2)
	v_add_co_u32 v6, vcc_lo, v4, v8
	v_add_co_ci_u32_e32 v7, vcc_lo, 0, v5, vcc_lo
	s_delay_alu instid0(VALU_DEP_2) | instskip(SKIP_1) | instid1(VALU_DEP_3)
	v_mul_lo_u32 v8, s15, v6
	v_mad_u64_u32 v[4:5], null, s14, v6, 0
	v_mul_lo_u32 v6, s14, v7
	s_delay_alu instid0(VALU_DEP_2) | instskip(NEXT) | instid1(VALU_DEP_2)
	v_sub_co_u32 v4, vcc_lo, v10, v4
	v_add3_u32 v5, v5, v6, v8
	s_delay_alu instid0(VALU_DEP_1) | instskip(NEXT) | instid1(VALU_DEP_1)
	v_sub_nc_u32_e32 v6, v12, v5
	v_subrev_co_ci_u32_e64 v6, s3, s15, v6, vcc_lo
	v_sub_co_ci_u32_e32 v5, vcc_lo, v12, v5, vcc_lo
	v_sub_co_u32 v7, vcc_lo, v4, s14
	s_delay_alu instid0(VALU_DEP_1) | instskip(SKIP_3) | instid1(VALU_DEP_3)
	v_subrev_co_ci_u32_e64 v8, s3, 0, v6, vcc_lo
	v_cmp_le_u32_e64 s3, s14, v4
	v_subrev_co_ci_u32_e32 v6, vcc_lo, s15, v6, vcc_lo
	v_cmp_le_u32_e32 vcc_lo, s15, v5
	v_cndmask_b32_e64 v9, 0, -1, s3
	v_cmp_le_u32_e64 s3, s14, v7
	v_cndmask_b32_e64 v12, 0, -1, vcc_lo
	v_cmp_eq_u32_e32 vcc_lo, s15, v8
	s_delay_alu instid0(VALU_DEP_3) | instskip(SKIP_1) | instid1(VALU_DEP_1)
	v_cndmask_b32_e64 v10, 0, -1, s3
	v_cmp_le_u32_e64 s3, s15, v8
	v_cndmask_b32_e64 v11, 0, -1, s3
	v_cmp_eq_u32_e64 s3, s15, v5
	s_delay_alu instid0(VALU_DEP_2) | instskip(SKIP_2) | instid1(VALU_DEP_3)
	v_cndmask_b32_e32 v10, v11, v10, vcc_lo
	v_sub_co_u32 v11, vcc_lo, v7, s14
	v_subrev_co_ci_u32_e32 v6, vcc_lo, 0, v6, vcc_lo
	v_cmp_ne_u32_e32 vcc_lo, 0, v10
	v_cndmask_b32_e64 v9, v12, v9, s3
	s_delay_alu instid0(VALU_DEP_3) | instskip(NEXT) | instid1(VALU_DEP_2)
	v_dual_cndmask_b32 v6, v8, v6 :: v_dual_cndmask_b32 v7, v7, v11
	v_cmp_ne_u32_e32 vcc_lo, 0, v9
	s_delay_alu instid0(VALU_DEP_2) | instskip(NEXT) | instid1(VALU_DEP_1)
	v_dual_cndmask_b32 v5, v5, v6 :: v_dual_cndmask_b32 v4, v4, v7
	v_xor_b32_e32 v5, v5, v13
	s_delay_alu instid0(VALU_DEP_2) | instskip(NEXT) | instid1(VALU_DEP_1)
	v_xor_b32_e32 v4, v4, v13
	v_sub_co_u32 v6, vcc_lo, v4, v13
	s_delay_alu instid0(VALU_DEP_3)
	v_sub_co_ci_u32_e32 v7, vcc_lo, v5, v13, vcc_lo
                                        ; implicit-def: $vgpr4_vgpr5
.LBB81_86:
	s_and_not1_saveexec_b32 s3, s16
	s_cbranch_execz .LBB81_88
; %bb.87:
	v_cvt_f32_u32_e32 v5, s12
	s_sub_i32 s14, 0, s12
	v_mov_b32_e32 v7, 0
	s_delay_alu instid0(VALU_DEP_2) | instskip(SKIP_2) | instid1(VALU_DEP_1)
	v_rcp_iflag_f32_e32 v5, v5
	s_waitcnt_depctr 0xfff
	v_mul_f32_e32 v5, 0x4f7ffffe, v5
	v_cvt_u32_f32_e32 v5, v5
	s_delay_alu instid0(VALU_DEP_1) | instskip(NEXT) | instid1(VALU_DEP_1)
	v_mul_lo_u32 v6, s14, v5
	v_mul_hi_u32 v6, v5, v6
	s_delay_alu instid0(VALU_DEP_1) | instskip(NEXT) | instid1(VALU_DEP_1)
	v_add_nc_u32_e32 v5, v5, v6
	v_mul_hi_u32 v5, v4, v5
	s_delay_alu instid0(VALU_DEP_1) | instskip(NEXT) | instid1(VALU_DEP_1)
	v_mul_lo_u32 v5, v5, s12
	v_sub_nc_u32_e32 v4, v4, v5
	s_delay_alu instid0(VALU_DEP_1) | instskip(SKIP_1) | instid1(VALU_DEP_2)
	v_subrev_nc_u32_e32 v5, s12, v4
	v_cmp_le_u32_e32 vcc_lo, s12, v4
	v_cndmask_b32_e32 v4, v4, v5, vcc_lo
	s_delay_alu instid0(VALU_DEP_1) | instskip(SKIP_1) | instid1(VALU_DEP_2)
	v_subrev_nc_u32_e32 v5, s12, v4
	v_cmp_le_u32_e32 vcc_lo, s12, v4
	v_cndmask_b32_e32 v6, v4, v5, vcc_lo
.LBB81_88:
	s_or_b32 exec_lo, exec_lo, s3
	v_mad_u64_u32 v[4:5], null, 0x48, s4, v[0:1]
	s_mul_i32 s3, s12, s11
	s_mul_hi_u32 s11, s12, s10
	s_delay_alu instid0(SALU_CYCLE_1) | instskip(SKIP_2) | instid1(VALU_DEP_1)
	s_add_i32 s3, s11, s3
	s_mul_i32 s11, s13, s10
	s_mul_i32 s10, s12, s10
	v_mad_u64_u32 v[8:9], null, 0x48, s5, v[5:6]
	s_add_i32 s11, s3, s11
	s_delay_alu instid0(VALU_DEP_1)
	v_mov_b32_e32 v5, v8
	global_store_b64 v[4:5], v[6:7], off
	s_cmp_lt_i32 s18, 9
	s_cbranch_scc1 .LBB81_12
.LBB81_89:
	s_load_b64 s[12:13], s[0:1], 0x48
	s_waitcnt vmcnt(0)
	v_or_b32_e32 v5, s11, v3
	v_mov_b32_e32 v4, 0
	s_delay_alu instid0(VALU_DEP_1) | instskip(SKIP_1) | instid1(SALU_CYCLE_1)
	v_cmp_ne_u64_e32 vcc_lo, 0, v[4:5]
                                        ; implicit-def: $vgpr4_vgpr5
	s_and_saveexec_b32 s3, vcc_lo
	s_xor_b32 s20, exec_lo, s3
	s_cbranch_execz .LBB81_91
; %bb.90:
	s_ashr_i32 s14, s11, 31
	s_delay_alu instid0(SALU_CYCLE_1) | instskip(SKIP_2) | instid1(SALU_CYCLE_1)
	s_add_u32 s16, s10, s14
	s_mov_b32 s15, s14
	s_addc_u32 s17, s11, s14
	s_xor_b64 s[16:17], s[16:17], s[14:15]
	s_delay_alu instid0(SALU_CYCLE_1) | instskip(SKIP_3) | instid1(VALU_DEP_1)
	v_cvt_f32_u32_e32 v4, s16
	v_cvt_f32_u32_e32 v5, s17
	s_sub_u32 s3, 0, s16
	s_subb_u32 s15, 0, s17
	v_fmamk_f32 v4, v5, 0x4f800000, v4
	s_delay_alu instid0(VALU_DEP_1) | instskip(SKIP_2) | instid1(VALU_DEP_1)
	v_rcp_f32_e32 v4, v4
	s_waitcnt_depctr 0xfff
	v_mul_f32_e32 v4, 0x5f7ffffc, v4
	v_mul_f32_e32 v5, 0x2f800000, v4
	s_delay_alu instid0(VALU_DEP_1) | instskip(NEXT) | instid1(VALU_DEP_1)
	v_trunc_f32_e32 v5, v5
	v_fmamk_f32 v4, v5, 0xcf800000, v4
	v_cvt_u32_f32_e32 v5, v5
	s_delay_alu instid0(VALU_DEP_2) | instskip(NEXT) | instid1(VALU_DEP_2)
	v_cvt_u32_f32_e32 v4, v4
	v_mul_lo_u32 v6, s3, v5
	s_delay_alu instid0(VALU_DEP_2) | instskip(SKIP_1) | instid1(VALU_DEP_2)
	v_mul_hi_u32 v7, s3, v4
	v_mul_lo_u32 v8, s15, v4
	v_add_nc_u32_e32 v6, v7, v6
	v_mul_lo_u32 v7, s3, v4
	s_delay_alu instid0(VALU_DEP_2) | instskip(NEXT) | instid1(VALU_DEP_2)
	v_add_nc_u32_e32 v6, v6, v8
	v_mul_hi_u32 v8, v4, v7
	s_delay_alu instid0(VALU_DEP_2)
	v_mul_lo_u32 v9, v4, v6
	v_mul_hi_u32 v10, v4, v6
	v_mul_hi_u32 v11, v5, v7
	v_mul_lo_u32 v7, v5, v7
	v_mul_hi_u32 v12, v5, v6
	v_mul_lo_u32 v6, v5, v6
	v_add_co_u32 v8, vcc_lo, v8, v9
	v_add_co_ci_u32_e32 v9, vcc_lo, 0, v10, vcc_lo
	s_delay_alu instid0(VALU_DEP_2) | instskip(NEXT) | instid1(VALU_DEP_2)
	v_add_co_u32 v7, vcc_lo, v8, v7
	v_add_co_ci_u32_e32 v7, vcc_lo, v9, v11, vcc_lo
	v_add_co_ci_u32_e32 v8, vcc_lo, 0, v12, vcc_lo
	v_ashrrev_i32_e32 v11, 31, v3
	s_delay_alu instid0(VALU_DEP_3) | instskip(NEXT) | instid1(VALU_DEP_3)
	v_add_co_u32 v6, vcc_lo, v7, v6
	v_add_co_ci_u32_e32 v7, vcc_lo, 0, v8, vcc_lo
	s_delay_alu instid0(VALU_DEP_2) | instskip(NEXT) | instid1(VALU_DEP_2)
	v_add_co_u32 v4, vcc_lo, v4, v6
	v_add_co_ci_u32_e32 v5, vcc_lo, v5, v7, vcc_lo
	s_delay_alu instid0(VALU_DEP_2) | instskip(SKIP_1) | instid1(VALU_DEP_3)
	v_mul_hi_u32 v6, s3, v4
	v_mul_lo_u32 v8, s15, v4
	v_mul_lo_u32 v7, s3, v5
	s_delay_alu instid0(VALU_DEP_1) | instskip(SKIP_1) | instid1(VALU_DEP_2)
	v_add_nc_u32_e32 v6, v6, v7
	v_mul_lo_u32 v7, s3, v4
	v_add_nc_u32_e32 v6, v6, v8
	s_delay_alu instid0(VALU_DEP_2) | instskip(NEXT) | instid1(VALU_DEP_2)
	v_mul_hi_u32 v8, v4, v7
	v_mul_lo_u32 v9, v4, v6
	v_mul_hi_u32 v10, v4, v6
	v_mul_hi_u32 v12, v5, v7
	v_mul_lo_u32 v7, v5, v7
	v_mul_hi_u32 v13, v5, v6
	v_mul_lo_u32 v6, v5, v6
	v_add_co_u32 v8, vcc_lo, v8, v9
	v_add_co_ci_u32_e32 v9, vcc_lo, 0, v10, vcc_lo
	s_delay_alu instid0(VALU_DEP_2) | instskip(NEXT) | instid1(VALU_DEP_2)
	v_add_co_u32 v7, vcc_lo, v8, v7
	v_add_co_ci_u32_e32 v7, vcc_lo, v9, v12, vcc_lo
	v_add_co_ci_u32_e32 v8, vcc_lo, 0, v13, vcc_lo
	v_add_co_u32 v9, vcc_lo, v2, v11
	v_add_co_ci_u32_e32 v10, vcc_lo, v3, v11, vcc_lo
	s_delay_alu instid0(VALU_DEP_4) | instskip(NEXT) | instid1(VALU_DEP_4)
	v_add_co_u32 v6, vcc_lo, v7, v6
	v_add_co_ci_u32_e32 v7, vcc_lo, 0, v8, vcc_lo
	s_delay_alu instid0(VALU_DEP_4) | instskip(NEXT) | instid1(VALU_DEP_3)
	v_xor_b32_e32 v12, v9, v11
	v_add_co_u32 v8, vcc_lo, v4, v6
	s_delay_alu instid0(VALU_DEP_3) | instskip(SKIP_1) | instid1(VALU_DEP_3)
	v_add_co_ci_u32_e32 v13, vcc_lo, v5, v7, vcc_lo
	v_xor_b32_e32 v10, v10, v11
	v_mul_hi_u32 v14, v12, v8
	s_delay_alu instid0(VALU_DEP_3) | instskip(NEXT) | instid1(VALU_DEP_3)
	v_mad_u64_u32 v[4:5], null, v12, v13, 0
	v_mad_u64_u32 v[6:7], null, v10, v8, 0
	;; [unrolled: 1-line block ×3, first 2 shown]
	s_delay_alu instid0(VALU_DEP_3) | instskip(NEXT) | instid1(VALU_DEP_4)
	v_add_co_u32 v4, vcc_lo, v14, v4
	v_add_co_ci_u32_e32 v5, vcc_lo, 0, v5, vcc_lo
	s_delay_alu instid0(VALU_DEP_2) | instskip(NEXT) | instid1(VALU_DEP_2)
	v_add_co_u32 v4, vcc_lo, v4, v6
	v_add_co_ci_u32_e32 v4, vcc_lo, v5, v7, vcc_lo
	v_add_co_ci_u32_e32 v5, vcc_lo, 0, v9, vcc_lo
	s_delay_alu instid0(VALU_DEP_2) | instskip(NEXT) | instid1(VALU_DEP_2)
	v_add_co_u32 v6, vcc_lo, v4, v8
	v_add_co_ci_u32_e32 v7, vcc_lo, 0, v5, vcc_lo
	s_delay_alu instid0(VALU_DEP_2) | instskip(SKIP_1) | instid1(VALU_DEP_3)
	v_mul_lo_u32 v8, s17, v6
	v_mad_u64_u32 v[4:5], null, s16, v6, 0
	v_mul_lo_u32 v9, s16, v7
	s_delay_alu instid0(VALU_DEP_2) | instskip(NEXT) | instid1(VALU_DEP_2)
	v_sub_co_u32 v4, vcc_lo, v12, v4
	v_add3_u32 v5, v5, v9, v8
	s_delay_alu instid0(VALU_DEP_1) | instskip(NEXT) | instid1(VALU_DEP_1)
	v_sub_nc_u32_e32 v8, v10, v5
	v_subrev_co_ci_u32_e64 v8, s3, s17, v8, vcc_lo
	v_add_co_u32 v9, s3, v6, 2
	s_delay_alu instid0(VALU_DEP_1) | instskip(SKIP_3) | instid1(VALU_DEP_3)
	v_add_co_ci_u32_e64 v12, s3, 0, v7, s3
	v_sub_co_u32 v13, s3, v4, s16
	v_sub_co_ci_u32_e32 v5, vcc_lo, v10, v5, vcc_lo
	v_subrev_co_ci_u32_e64 v8, s3, 0, v8, s3
	v_cmp_le_u32_e32 vcc_lo, s16, v13
	s_delay_alu instid0(VALU_DEP_3) | instskip(SKIP_1) | instid1(VALU_DEP_4)
	v_cmp_eq_u32_e64 s3, s17, v5
	v_cndmask_b32_e64 v10, 0, -1, vcc_lo
	v_cmp_le_u32_e32 vcc_lo, s17, v8
	v_cndmask_b32_e64 v13, 0, -1, vcc_lo
	v_cmp_le_u32_e32 vcc_lo, s16, v4
	;; [unrolled: 2-line block ×3, first 2 shown]
	v_cndmask_b32_e64 v14, 0, -1, vcc_lo
	v_cmp_eq_u32_e32 vcc_lo, s17, v8
	s_delay_alu instid0(VALU_DEP_2) | instskip(SKIP_3) | instid1(VALU_DEP_3)
	v_cndmask_b32_e64 v4, v14, v4, s3
	v_cndmask_b32_e32 v8, v13, v10, vcc_lo
	v_add_co_u32 v10, vcc_lo, v6, 1
	v_add_co_ci_u32_e32 v13, vcc_lo, 0, v7, vcc_lo
	v_cmp_ne_u32_e32 vcc_lo, 0, v8
	s_delay_alu instid0(VALU_DEP_2) | instskip(SKIP_2) | instid1(VALU_DEP_3)
	v_dual_cndmask_b32 v5, v13, v12 :: v_dual_cndmask_b32 v8, v10, v9
	v_cmp_ne_u32_e32 vcc_lo, 0, v4
	v_xor_b32_e32 v9, s14, v11
	v_dual_cndmask_b32 v4, v7, v5 :: v_dual_cndmask_b32 v5, v6, v8
	s_delay_alu instid0(VALU_DEP_1) | instskip(NEXT) | instid1(VALU_DEP_2)
	v_xor_b32_e32 v6, v4, v9
	v_xor_b32_e32 v5, v5, v9
	s_delay_alu instid0(VALU_DEP_1) | instskip(NEXT) | instid1(VALU_DEP_3)
	v_sub_co_u32 v4, vcc_lo, v5, v9
	v_sub_co_ci_u32_e32 v5, vcc_lo, v6, v9, vcc_lo
.LBB81_91:
	s_and_not1_saveexec_b32 s3, s20
	s_cbranch_execz .LBB81_93
; %bb.92:
	v_cvt_f32_u32_e32 v4, s10
	s_sub_i32 s14, 0, s10
	s_delay_alu instid0(VALU_DEP_1) | instskip(SKIP_2) | instid1(VALU_DEP_1)
	v_rcp_iflag_f32_e32 v4, v4
	s_waitcnt_depctr 0xfff
	v_mul_f32_e32 v4, 0x4f7ffffe, v4
	v_cvt_u32_f32_e32 v4, v4
	s_delay_alu instid0(VALU_DEP_1) | instskip(NEXT) | instid1(VALU_DEP_1)
	v_mul_lo_u32 v5, s14, v4
	v_mul_hi_u32 v5, v4, v5
	s_delay_alu instid0(VALU_DEP_1) | instskip(NEXT) | instid1(VALU_DEP_1)
	v_add_nc_u32_e32 v4, v4, v5
	v_mul_hi_u32 v4, v2, v4
	s_delay_alu instid0(VALU_DEP_1) | instskip(SKIP_1) | instid1(VALU_DEP_2)
	v_mul_lo_u32 v5, v4, s10
	v_add_nc_u32_e32 v6, 1, v4
	v_sub_nc_u32_e32 v5, v2, v5
	s_delay_alu instid0(VALU_DEP_1) | instskip(SKIP_1) | instid1(VALU_DEP_2)
	v_subrev_nc_u32_e32 v7, s10, v5
	v_cmp_le_u32_e32 vcc_lo, s10, v5
	v_dual_cndmask_b32 v5, v5, v7 :: v_dual_cndmask_b32 v4, v4, v6
	s_delay_alu instid0(VALU_DEP_1) | instskip(NEXT) | instid1(VALU_DEP_2)
	v_cmp_le_u32_e32 vcc_lo, s10, v5
	v_dual_mov_b32 v5, 0 :: v_dual_add_nc_u32 v6, 1, v4
	s_delay_alu instid0(VALU_DEP_1)
	v_cndmask_b32_e32 v4, v4, v6, vcc_lo
.LBB81_93:
	s_or_b32 exec_lo, exec_lo, s3
	s_waitcnt lgkmcnt(0)
	s_delay_alu instid0(VALU_DEP_1) | instskip(SKIP_1) | instid1(VALU_DEP_1)
	v_or_b32_e32 v7, s13, v5
	v_mov_b32_e32 v6, 0
	v_cmp_ne_u64_e32 vcc_lo, 0, v[6:7]
                                        ; implicit-def: $vgpr6_vgpr7
	s_and_saveexec_b32 s3, vcc_lo
	s_delay_alu instid0(SALU_CYCLE_1)
	s_xor_b32 s16, exec_lo, s3
	s_cbranch_execz .LBB81_95
; %bb.94:
	s_ashr_i32 s14, s13, 31
	s_delay_alu instid0(SALU_CYCLE_1) | instskip(SKIP_2) | instid1(SALU_CYCLE_1)
	s_add_u32 s20, s12, s14
	s_mov_b32 s15, s14
	s_addc_u32 s21, s13, s14
	s_xor_b64 s[14:15], s[20:21], s[14:15]
	s_delay_alu instid0(SALU_CYCLE_1) | instskip(SKIP_3) | instid1(VALU_DEP_1)
	v_cvt_f32_u32_e32 v6, s14
	v_cvt_f32_u32_e32 v7, s15
	s_sub_u32 s3, 0, s14
	s_subb_u32 s17, 0, s15
	v_fmamk_f32 v6, v7, 0x4f800000, v6
	s_delay_alu instid0(VALU_DEP_1) | instskip(SKIP_2) | instid1(VALU_DEP_1)
	v_rcp_f32_e32 v6, v6
	s_waitcnt_depctr 0xfff
	v_mul_f32_e32 v6, 0x5f7ffffc, v6
	v_mul_f32_e32 v7, 0x2f800000, v6
	s_delay_alu instid0(VALU_DEP_1) | instskip(NEXT) | instid1(VALU_DEP_1)
	v_trunc_f32_e32 v7, v7
	v_fmamk_f32 v6, v7, 0xcf800000, v6
	v_cvt_u32_f32_e32 v7, v7
	s_delay_alu instid0(VALU_DEP_2) | instskip(NEXT) | instid1(VALU_DEP_2)
	v_cvt_u32_f32_e32 v6, v6
	v_mul_lo_u32 v8, s3, v7
	s_delay_alu instid0(VALU_DEP_2) | instskip(SKIP_1) | instid1(VALU_DEP_2)
	v_mul_hi_u32 v9, s3, v6
	v_mul_lo_u32 v10, s17, v6
	v_add_nc_u32_e32 v8, v9, v8
	v_mul_lo_u32 v9, s3, v6
	s_delay_alu instid0(VALU_DEP_2) | instskip(NEXT) | instid1(VALU_DEP_2)
	v_add_nc_u32_e32 v8, v8, v10
	v_mul_hi_u32 v10, v6, v9
	s_delay_alu instid0(VALU_DEP_2)
	v_mul_lo_u32 v11, v6, v8
	v_mul_hi_u32 v12, v6, v8
	v_mul_hi_u32 v13, v7, v9
	v_mul_lo_u32 v9, v7, v9
	v_mul_hi_u32 v14, v7, v8
	v_mul_lo_u32 v8, v7, v8
	v_add_co_u32 v10, vcc_lo, v10, v11
	v_add_co_ci_u32_e32 v11, vcc_lo, 0, v12, vcc_lo
	s_delay_alu instid0(VALU_DEP_2) | instskip(NEXT) | instid1(VALU_DEP_2)
	v_add_co_u32 v9, vcc_lo, v10, v9
	v_add_co_ci_u32_e32 v9, vcc_lo, v11, v13, vcc_lo
	v_add_co_ci_u32_e32 v10, vcc_lo, 0, v14, vcc_lo
	v_ashrrev_i32_e32 v13, 31, v5
	s_delay_alu instid0(VALU_DEP_3) | instskip(NEXT) | instid1(VALU_DEP_3)
	v_add_co_u32 v8, vcc_lo, v9, v8
	v_add_co_ci_u32_e32 v9, vcc_lo, 0, v10, vcc_lo
	s_delay_alu instid0(VALU_DEP_2) | instskip(NEXT) | instid1(VALU_DEP_2)
	v_add_co_u32 v6, vcc_lo, v6, v8
	v_add_co_ci_u32_e32 v7, vcc_lo, v7, v9, vcc_lo
	s_delay_alu instid0(VALU_DEP_2) | instskip(SKIP_1) | instid1(VALU_DEP_3)
	v_mul_hi_u32 v8, s3, v6
	v_mul_lo_u32 v10, s17, v6
	v_mul_lo_u32 v9, s3, v7
	s_delay_alu instid0(VALU_DEP_1) | instskip(SKIP_1) | instid1(VALU_DEP_2)
	v_add_nc_u32_e32 v8, v8, v9
	v_mul_lo_u32 v9, s3, v6
	v_add_nc_u32_e32 v8, v8, v10
	s_delay_alu instid0(VALU_DEP_2) | instskip(NEXT) | instid1(VALU_DEP_2)
	v_mul_hi_u32 v10, v6, v9
	v_mul_lo_u32 v11, v6, v8
	v_mul_hi_u32 v12, v6, v8
	v_mul_hi_u32 v14, v7, v9
	v_mul_lo_u32 v9, v7, v9
	v_mul_hi_u32 v15, v7, v8
	v_mul_lo_u32 v8, v7, v8
	v_add_co_u32 v10, vcc_lo, v10, v11
	v_add_co_ci_u32_e32 v11, vcc_lo, 0, v12, vcc_lo
	s_delay_alu instid0(VALU_DEP_2) | instskip(NEXT) | instid1(VALU_DEP_2)
	v_add_co_u32 v9, vcc_lo, v10, v9
	v_add_co_ci_u32_e32 v9, vcc_lo, v11, v14, vcc_lo
	v_add_co_ci_u32_e32 v10, vcc_lo, 0, v15, vcc_lo
	v_add_co_u32 v4, vcc_lo, v4, v13
	v_add_co_ci_u32_e32 v5, vcc_lo, v5, v13, vcc_lo
	s_delay_alu instid0(VALU_DEP_4) | instskip(NEXT) | instid1(VALU_DEP_4)
	v_add_co_u32 v8, vcc_lo, v9, v8
	v_add_co_ci_u32_e32 v9, vcc_lo, 0, v10, vcc_lo
	s_delay_alu instid0(VALU_DEP_4) | instskip(NEXT) | instid1(VALU_DEP_3)
	v_xor_b32_e32 v10, v4, v13
	v_add_co_u32 v8, vcc_lo, v6, v8
	s_delay_alu instid0(VALU_DEP_3) | instskip(SKIP_1) | instid1(VALU_DEP_3)
	v_add_co_ci_u32_e32 v11, vcc_lo, v7, v9, vcc_lo
	v_xor_b32_e32 v12, v5, v13
	v_mul_hi_u32 v14, v10, v8
	s_delay_alu instid0(VALU_DEP_3) | instskip(NEXT) | instid1(VALU_DEP_3)
	v_mad_u64_u32 v[4:5], null, v10, v11, 0
	v_mad_u64_u32 v[6:7], null, v12, v8, 0
	;; [unrolled: 1-line block ×3, first 2 shown]
	s_delay_alu instid0(VALU_DEP_3) | instskip(NEXT) | instid1(VALU_DEP_4)
	v_add_co_u32 v4, vcc_lo, v14, v4
	v_add_co_ci_u32_e32 v5, vcc_lo, 0, v5, vcc_lo
	s_delay_alu instid0(VALU_DEP_2) | instskip(NEXT) | instid1(VALU_DEP_2)
	v_add_co_u32 v4, vcc_lo, v4, v6
	v_add_co_ci_u32_e32 v4, vcc_lo, v5, v7, vcc_lo
	v_add_co_ci_u32_e32 v5, vcc_lo, 0, v9, vcc_lo
	s_delay_alu instid0(VALU_DEP_2) | instskip(NEXT) | instid1(VALU_DEP_2)
	v_add_co_u32 v6, vcc_lo, v4, v8
	v_add_co_ci_u32_e32 v7, vcc_lo, 0, v5, vcc_lo
	s_delay_alu instid0(VALU_DEP_2) | instskip(SKIP_1) | instid1(VALU_DEP_3)
	v_mul_lo_u32 v8, s15, v6
	v_mad_u64_u32 v[4:5], null, s14, v6, 0
	v_mul_lo_u32 v6, s14, v7
	s_delay_alu instid0(VALU_DEP_2) | instskip(NEXT) | instid1(VALU_DEP_2)
	v_sub_co_u32 v4, vcc_lo, v10, v4
	v_add3_u32 v5, v5, v6, v8
	s_delay_alu instid0(VALU_DEP_1) | instskip(NEXT) | instid1(VALU_DEP_1)
	v_sub_nc_u32_e32 v6, v12, v5
	v_subrev_co_ci_u32_e64 v6, s3, s15, v6, vcc_lo
	v_sub_co_ci_u32_e32 v5, vcc_lo, v12, v5, vcc_lo
	v_sub_co_u32 v7, vcc_lo, v4, s14
	s_delay_alu instid0(VALU_DEP_1) | instskip(SKIP_3) | instid1(VALU_DEP_3)
	v_subrev_co_ci_u32_e64 v8, s3, 0, v6, vcc_lo
	v_cmp_le_u32_e64 s3, s14, v4
	v_subrev_co_ci_u32_e32 v6, vcc_lo, s15, v6, vcc_lo
	v_cmp_le_u32_e32 vcc_lo, s15, v5
	v_cndmask_b32_e64 v9, 0, -1, s3
	v_cmp_le_u32_e64 s3, s14, v7
	v_cndmask_b32_e64 v12, 0, -1, vcc_lo
	v_cmp_eq_u32_e32 vcc_lo, s15, v8
	s_delay_alu instid0(VALU_DEP_3) | instskip(SKIP_1) | instid1(VALU_DEP_1)
	v_cndmask_b32_e64 v10, 0, -1, s3
	v_cmp_le_u32_e64 s3, s15, v8
	v_cndmask_b32_e64 v11, 0, -1, s3
	v_cmp_eq_u32_e64 s3, s15, v5
	s_delay_alu instid0(VALU_DEP_2) | instskip(SKIP_2) | instid1(VALU_DEP_3)
	v_cndmask_b32_e32 v10, v11, v10, vcc_lo
	v_sub_co_u32 v11, vcc_lo, v7, s14
	v_subrev_co_ci_u32_e32 v6, vcc_lo, 0, v6, vcc_lo
	v_cmp_ne_u32_e32 vcc_lo, 0, v10
	v_cndmask_b32_e64 v9, v12, v9, s3
	s_delay_alu instid0(VALU_DEP_3) | instskip(NEXT) | instid1(VALU_DEP_2)
	v_dual_cndmask_b32 v6, v8, v6 :: v_dual_cndmask_b32 v7, v7, v11
	v_cmp_ne_u32_e32 vcc_lo, 0, v9
	s_delay_alu instid0(VALU_DEP_2) | instskip(NEXT) | instid1(VALU_DEP_1)
	v_dual_cndmask_b32 v5, v5, v6 :: v_dual_cndmask_b32 v4, v4, v7
	v_xor_b32_e32 v5, v5, v13
	s_delay_alu instid0(VALU_DEP_2) | instskip(NEXT) | instid1(VALU_DEP_1)
	v_xor_b32_e32 v4, v4, v13
	v_sub_co_u32 v6, vcc_lo, v4, v13
	s_delay_alu instid0(VALU_DEP_3)
	v_sub_co_ci_u32_e32 v7, vcc_lo, v5, v13, vcc_lo
                                        ; implicit-def: $vgpr4_vgpr5
.LBB81_95:
	s_and_not1_saveexec_b32 s3, s16
	s_cbranch_execz .LBB81_97
; %bb.96:
	v_cvt_f32_u32_e32 v5, s12
	s_sub_i32 s14, 0, s12
	v_mov_b32_e32 v7, 0
	s_delay_alu instid0(VALU_DEP_2) | instskip(SKIP_2) | instid1(VALU_DEP_1)
	v_rcp_iflag_f32_e32 v5, v5
	s_waitcnt_depctr 0xfff
	v_mul_f32_e32 v5, 0x4f7ffffe, v5
	v_cvt_u32_f32_e32 v5, v5
	s_delay_alu instid0(VALU_DEP_1) | instskip(NEXT) | instid1(VALU_DEP_1)
	v_mul_lo_u32 v6, s14, v5
	v_mul_hi_u32 v6, v5, v6
	s_delay_alu instid0(VALU_DEP_1) | instskip(NEXT) | instid1(VALU_DEP_1)
	v_add_nc_u32_e32 v5, v5, v6
	v_mul_hi_u32 v5, v4, v5
	s_delay_alu instid0(VALU_DEP_1) | instskip(NEXT) | instid1(VALU_DEP_1)
	v_mul_lo_u32 v5, v5, s12
	v_sub_nc_u32_e32 v4, v4, v5
	s_delay_alu instid0(VALU_DEP_1) | instskip(SKIP_1) | instid1(VALU_DEP_2)
	v_subrev_nc_u32_e32 v5, s12, v4
	v_cmp_le_u32_e32 vcc_lo, s12, v4
	v_cndmask_b32_e32 v4, v4, v5, vcc_lo
	s_delay_alu instid0(VALU_DEP_1) | instskip(SKIP_1) | instid1(VALU_DEP_2)
	v_subrev_nc_u32_e32 v5, s12, v4
	v_cmp_le_u32_e32 vcc_lo, s12, v4
	v_cndmask_b32_e32 v6, v4, v5, vcc_lo
.LBB81_97:
	s_or_b32 exec_lo, exec_lo, s3
	s_lshl_b64 s[14:15], s[4:5], 6
	s_mul_i32 s3, s12, s11
	v_add_co_u32 v4, vcc_lo, v0, s14
	s_mul_hi_u32 s11, s12, s10
	v_add_co_ci_u32_e32 v5, vcc_lo, s15, v1, vcc_lo
	s_add_i32 s3, s11, s3
	s_mul_i32 s11, s13, s10
	s_mul_i32 s10, s12, s10
	s_add_i32 s11, s3, s11
	global_store_b64 v[4:5], v[6:7], off
	s_cmp_lt_i32 s18, 8
	s_cbranch_scc1 .LBB81_13
.LBB81_98:
	s_load_b64 s[12:13], s[0:1], 0x40
	s_waitcnt vmcnt(0)
	v_or_b32_e32 v5, s11, v3
	v_mov_b32_e32 v4, 0
	s_delay_alu instid0(VALU_DEP_1) | instskip(SKIP_1) | instid1(SALU_CYCLE_1)
	v_cmp_ne_u64_e32 vcc_lo, 0, v[4:5]
                                        ; implicit-def: $vgpr4_vgpr5
	s_and_saveexec_b32 s3, vcc_lo
	s_xor_b32 s20, exec_lo, s3
	s_cbranch_execz .LBB81_100
; %bb.99:
	s_ashr_i32 s14, s11, 31
	s_delay_alu instid0(SALU_CYCLE_1) | instskip(SKIP_2) | instid1(SALU_CYCLE_1)
	s_add_u32 s16, s10, s14
	s_mov_b32 s15, s14
	s_addc_u32 s17, s11, s14
	s_xor_b64 s[16:17], s[16:17], s[14:15]
	s_delay_alu instid0(SALU_CYCLE_1) | instskip(SKIP_3) | instid1(VALU_DEP_1)
	v_cvt_f32_u32_e32 v4, s16
	v_cvt_f32_u32_e32 v5, s17
	s_sub_u32 s3, 0, s16
	s_subb_u32 s15, 0, s17
	v_fmamk_f32 v4, v5, 0x4f800000, v4
	s_delay_alu instid0(VALU_DEP_1) | instskip(SKIP_2) | instid1(VALU_DEP_1)
	v_rcp_f32_e32 v4, v4
	s_waitcnt_depctr 0xfff
	v_mul_f32_e32 v4, 0x5f7ffffc, v4
	v_mul_f32_e32 v5, 0x2f800000, v4
	s_delay_alu instid0(VALU_DEP_1) | instskip(NEXT) | instid1(VALU_DEP_1)
	v_trunc_f32_e32 v5, v5
	v_fmamk_f32 v4, v5, 0xcf800000, v4
	v_cvt_u32_f32_e32 v5, v5
	s_delay_alu instid0(VALU_DEP_2) | instskip(NEXT) | instid1(VALU_DEP_2)
	v_cvt_u32_f32_e32 v4, v4
	v_mul_lo_u32 v6, s3, v5
	s_delay_alu instid0(VALU_DEP_2) | instskip(SKIP_1) | instid1(VALU_DEP_2)
	v_mul_hi_u32 v7, s3, v4
	v_mul_lo_u32 v8, s15, v4
	v_add_nc_u32_e32 v6, v7, v6
	v_mul_lo_u32 v7, s3, v4
	s_delay_alu instid0(VALU_DEP_2) | instskip(NEXT) | instid1(VALU_DEP_2)
	v_add_nc_u32_e32 v6, v6, v8
	v_mul_hi_u32 v8, v4, v7
	s_delay_alu instid0(VALU_DEP_2)
	v_mul_lo_u32 v9, v4, v6
	v_mul_hi_u32 v10, v4, v6
	v_mul_hi_u32 v11, v5, v7
	v_mul_lo_u32 v7, v5, v7
	v_mul_hi_u32 v12, v5, v6
	v_mul_lo_u32 v6, v5, v6
	v_add_co_u32 v8, vcc_lo, v8, v9
	v_add_co_ci_u32_e32 v9, vcc_lo, 0, v10, vcc_lo
	s_delay_alu instid0(VALU_DEP_2) | instskip(NEXT) | instid1(VALU_DEP_2)
	v_add_co_u32 v7, vcc_lo, v8, v7
	v_add_co_ci_u32_e32 v7, vcc_lo, v9, v11, vcc_lo
	v_add_co_ci_u32_e32 v8, vcc_lo, 0, v12, vcc_lo
	v_ashrrev_i32_e32 v11, 31, v3
	s_delay_alu instid0(VALU_DEP_3) | instskip(NEXT) | instid1(VALU_DEP_3)
	v_add_co_u32 v6, vcc_lo, v7, v6
	v_add_co_ci_u32_e32 v7, vcc_lo, 0, v8, vcc_lo
	s_delay_alu instid0(VALU_DEP_2) | instskip(NEXT) | instid1(VALU_DEP_2)
	v_add_co_u32 v4, vcc_lo, v4, v6
	v_add_co_ci_u32_e32 v5, vcc_lo, v5, v7, vcc_lo
	s_delay_alu instid0(VALU_DEP_2) | instskip(SKIP_1) | instid1(VALU_DEP_3)
	v_mul_hi_u32 v6, s3, v4
	v_mul_lo_u32 v8, s15, v4
	v_mul_lo_u32 v7, s3, v5
	s_delay_alu instid0(VALU_DEP_1) | instskip(SKIP_1) | instid1(VALU_DEP_2)
	v_add_nc_u32_e32 v6, v6, v7
	v_mul_lo_u32 v7, s3, v4
	v_add_nc_u32_e32 v6, v6, v8
	s_delay_alu instid0(VALU_DEP_2) | instskip(NEXT) | instid1(VALU_DEP_2)
	v_mul_hi_u32 v8, v4, v7
	v_mul_lo_u32 v9, v4, v6
	v_mul_hi_u32 v10, v4, v6
	v_mul_hi_u32 v12, v5, v7
	v_mul_lo_u32 v7, v5, v7
	v_mul_hi_u32 v13, v5, v6
	v_mul_lo_u32 v6, v5, v6
	v_add_co_u32 v8, vcc_lo, v8, v9
	v_add_co_ci_u32_e32 v9, vcc_lo, 0, v10, vcc_lo
	s_delay_alu instid0(VALU_DEP_2) | instskip(NEXT) | instid1(VALU_DEP_2)
	v_add_co_u32 v7, vcc_lo, v8, v7
	v_add_co_ci_u32_e32 v7, vcc_lo, v9, v12, vcc_lo
	v_add_co_ci_u32_e32 v8, vcc_lo, 0, v13, vcc_lo
	v_add_co_u32 v9, vcc_lo, v2, v11
	v_add_co_ci_u32_e32 v10, vcc_lo, v3, v11, vcc_lo
	s_delay_alu instid0(VALU_DEP_4) | instskip(NEXT) | instid1(VALU_DEP_4)
	v_add_co_u32 v6, vcc_lo, v7, v6
	v_add_co_ci_u32_e32 v7, vcc_lo, 0, v8, vcc_lo
	s_delay_alu instid0(VALU_DEP_4) | instskip(NEXT) | instid1(VALU_DEP_3)
	v_xor_b32_e32 v12, v9, v11
	v_add_co_u32 v8, vcc_lo, v4, v6
	s_delay_alu instid0(VALU_DEP_3) | instskip(SKIP_1) | instid1(VALU_DEP_3)
	v_add_co_ci_u32_e32 v13, vcc_lo, v5, v7, vcc_lo
	v_xor_b32_e32 v10, v10, v11
	v_mul_hi_u32 v14, v12, v8
	s_delay_alu instid0(VALU_DEP_3) | instskip(NEXT) | instid1(VALU_DEP_3)
	v_mad_u64_u32 v[4:5], null, v12, v13, 0
	v_mad_u64_u32 v[6:7], null, v10, v8, 0
	;; [unrolled: 1-line block ×3, first 2 shown]
	s_delay_alu instid0(VALU_DEP_3) | instskip(NEXT) | instid1(VALU_DEP_4)
	v_add_co_u32 v4, vcc_lo, v14, v4
	v_add_co_ci_u32_e32 v5, vcc_lo, 0, v5, vcc_lo
	s_delay_alu instid0(VALU_DEP_2) | instskip(NEXT) | instid1(VALU_DEP_2)
	v_add_co_u32 v4, vcc_lo, v4, v6
	v_add_co_ci_u32_e32 v4, vcc_lo, v5, v7, vcc_lo
	v_add_co_ci_u32_e32 v5, vcc_lo, 0, v9, vcc_lo
	s_delay_alu instid0(VALU_DEP_2) | instskip(NEXT) | instid1(VALU_DEP_2)
	v_add_co_u32 v6, vcc_lo, v4, v8
	v_add_co_ci_u32_e32 v7, vcc_lo, 0, v5, vcc_lo
	s_delay_alu instid0(VALU_DEP_2) | instskip(SKIP_1) | instid1(VALU_DEP_3)
	v_mul_lo_u32 v8, s17, v6
	v_mad_u64_u32 v[4:5], null, s16, v6, 0
	v_mul_lo_u32 v9, s16, v7
	s_delay_alu instid0(VALU_DEP_2) | instskip(NEXT) | instid1(VALU_DEP_2)
	v_sub_co_u32 v4, vcc_lo, v12, v4
	v_add3_u32 v5, v5, v9, v8
	s_delay_alu instid0(VALU_DEP_1) | instskip(NEXT) | instid1(VALU_DEP_1)
	v_sub_nc_u32_e32 v8, v10, v5
	v_subrev_co_ci_u32_e64 v8, s3, s17, v8, vcc_lo
	v_add_co_u32 v9, s3, v6, 2
	s_delay_alu instid0(VALU_DEP_1) | instskip(SKIP_3) | instid1(VALU_DEP_3)
	v_add_co_ci_u32_e64 v12, s3, 0, v7, s3
	v_sub_co_u32 v13, s3, v4, s16
	v_sub_co_ci_u32_e32 v5, vcc_lo, v10, v5, vcc_lo
	v_subrev_co_ci_u32_e64 v8, s3, 0, v8, s3
	v_cmp_le_u32_e32 vcc_lo, s16, v13
	s_delay_alu instid0(VALU_DEP_3) | instskip(SKIP_1) | instid1(VALU_DEP_4)
	v_cmp_eq_u32_e64 s3, s17, v5
	v_cndmask_b32_e64 v10, 0, -1, vcc_lo
	v_cmp_le_u32_e32 vcc_lo, s17, v8
	v_cndmask_b32_e64 v13, 0, -1, vcc_lo
	v_cmp_le_u32_e32 vcc_lo, s16, v4
	v_cndmask_b32_e64 v4, 0, -1, vcc_lo
	v_cmp_le_u32_e32 vcc_lo, s17, v5
	v_cndmask_b32_e64 v14, 0, -1, vcc_lo
	v_cmp_eq_u32_e32 vcc_lo, s17, v8
	s_delay_alu instid0(VALU_DEP_2) | instskip(SKIP_3) | instid1(VALU_DEP_3)
	v_cndmask_b32_e64 v4, v14, v4, s3
	v_cndmask_b32_e32 v8, v13, v10, vcc_lo
	v_add_co_u32 v10, vcc_lo, v6, 1
	v_add_co_ci_u32_e32 v13, vcc_lo, 0, v7, vcc_lo
	v_cmp_ne_u32_e32 vcc_lo, 0, v8
	s_delay_alu instid0(VALU_DEP_2) | instskip(SKIP_2) | instid1(VALU_DEP_3)
	v_dual_cndmask_b32 v5, v13, v12 :: v_dual_cndmask_b32 v8, v10, v9
	v_cmp_ne_u32_e32 vcc_lo, 0, v4
	v_xor_b32_e32 v9, s14, v11
	v_dual_cndmask_b32 v4, v7, v5 :: v_dual_cndmask_b32 v5, v6, v8
	s_delay_alu instid0(VALU_DEP_1) | instskip(NEXT) | instid1(VALU_DEP_2)
	v_xor_b32_e32 v6, v4, v9
	v_xor_b32_e32 v5, v5, v9
	s_delay_alu instid0(VALU_DEP_1) | instskip(NEXT) | instid1(VALU_DEP_3)
	v_sub_co_u32 v4, vcc_lo, v5, v9
	v_sub_co_ci_u32_e32 v5, vcc_lo, v6, v9, vcc_lo
.LBB81_100:
	s_and_not1_saveexec_b32 s3, s20
	s_cbranch_execz .LBB81_102
; %bb.101:
	v_cvt_f32_u32_e32 v4, s10
	s_sub_i32 s14, 0, s10
	s_delay_alu instid0(VALU_DEP_1) | instskip(SKIP_2) | instid1(VALU_DEP_1)
	v_rcp_iflag_f32_e32 v4, v4
	s_waitcnt_depctr 0xfff
	v_mul_f32_e32 v4, 0x4f7ffffe, v4
	v_cvt_u32_f32_e32 v4, v4
	s_delay_alu instid0(VALU_DEP_1) | instskip(NEXT) | instid1(VALU_DEP_1)
	v_mul_lo_u32 v5, s14, v4
	v_mul_hi_u32 v5, v4, v5
	s_delay_alu instid0(VALU_DEP_1) | instskip(NEXT) | instid1(VALU_DEP_1)
	v_add_nc_u32_e32 v4, v4, v5
	v_mul_hi_u32 v4, v2, v4
	s_delay_alu instid0(VALU_DEP_1) | instskip(SKIP_1) | instid1(VALU_DEP_2)
	v_mul_lo_u32 v5, v4, s10
	v_add_nc_u32_e32 v6, 1, v4
	v_sub_nc_u32_e32 v5, v2, v5
	s_delay_alu instid0(VALU_DEP_1) | instskip(SKIP_1) | instid1(VALU_DEP_2)
	v_subrev_nc_u32_e32 v7, s10, v5
	v_cmp_le_u32_e32 vcc_lo, s10, v5
	v_dual_cndmask_b32 v5, v5, v7 :: v_dual_cndmask_b32 v4, v4, v6
	s_delay_alu instid0(VALU_DEP_1) | instskip(NEXT) | instid1(VALU_DEP_2)
	v_cmp_le_u32_e32 vcc_lo, s10, v5
	v_dual_mov_b32 v5, 0 :: v_dual_add_nc_u32 v6, 1, v4
	s_delay_alu instid0(VALU_DEP_1)
	v_cndmask_b32_e32 v4, v4, v6, vcc_lo
.LBB81_102:
	s_or_b32 exec_lo, exec_lo, s3
	s_waitcnt lgkmcnt(0)
	s_delay_alu instid0(VALU_DEP_1) | instskip(SKIP_1) | instid1(VALU_DEP_1)
	v_or_b32_e32 v7, s13, v5
	v_mov_b32_e32 v6, 0
	v_cmp_ne_u64_e32 vcc_lo, 0, v[6:7]
                                        ; implicit-def: $vgpr6_vgpr7
	s_and_saveexec_b32 s3, vcc_lo
	s_delay_alu instid0(SALU_CYCLE_1)
	s_xor_b32 s16, exec_lo, s3
	s_cbranch_execz .LBB81_104
; %bb.103:
	s_ashr_i32 s14, s13, 31
	s_delay_alu instid0(SALU_CYCLE_1) | instskip(SKIP_2) | instid1(SALU_CYCLE_1)
	s_add_u32 s20, s12, s14
	s_mov_b32 s15, s14
	s_addc_u32 s21, s13, s14
	s_xor_b64 s[14:15], s[20:21], s[14:15]
	s_delay_alu instid0(SALU_CYCLE_1) | instskip(SKIP_3) | instid1(VALU_DEP_1)
	v_cvt_f32_u32_e32 v6, s14
	v_cvt_f32_u32_e32 v7, s15
	s_sub_u32 s3, 0, s14
	s_subb_u32 s17, 0, s15
	v_fmamk_f32 v6, v7, 0x4f800000, v6
	s_delay_alu instid0(VALU_DEP_1) | instskip(SKIP_2) | instid1(VALU_DEP_1)
	v_rcp_f32_e32 v6, v6
	s_waitcnt_depctr 0xfff
	v_mul_f32_e32 v6, 0x5f7ffffc, v6
	v_mul_f32_e32 v7, 0x2f800000, v6
	s_delay_alu instid0(VALU_DEP_1) | instskip(NEXT) | instid1(VALU_DEP_1)
	v_trunc_f32_e32 v7, v7
	v_fmamk_f32 v6, v7, 0xcf800000, v6
	v_cvt_u32_f32_e32 v7, v7
	s_delay_alu instid0(VALU_DEP_2) | instskip(NEXT) | instid1(VALU_DEP_2)
	v_cvt_u32_f32_e32 v6, v6
	v_mul_lo_u32 v8, s3, v7
	s_delay_alu instid0(VALU_DEP_2) | instskip(SKIP_1) | instid1(VALU_DEP_2)
	v_mul_hi_u32 v9, s3, v6
	v_mul_lo_u32 v10, s17, v6
	v_add_nc_u32_e32 v8, v9, v8
	v_mul_lo_u32 v9, s3, v6
	s_delay_alu instid0(VALU_DEP_2) | instskip(NEXT) | instid1(VALU_DEP_2)
	v_add_nc_u32_e32 v8, v8, v10
	v_mul_hi_u32 v10, v6, v9
	s_delay_alu instid0(VALU_DEP_2)
	v_mul_lo_u32 v11, v6, v8
	v_mul_hi_u32 v12, v6, v8
	v_mul_hi_u32 v13, v7, v9
	v_mul_lo_u32 v9, v7, v9
	v_mul_hi_u32 v14, v7, v8
	v_mul_lo_u32 v8, v7, v8
	v_add_co_u32 v10, vcc_lo, v10, v11
	v_add_co_ci_u32_e32 v11, vcc_lo, 0, v12, vcc_lo
	s_delay_alu instid0(VALU_DEP_2) | instskip(NEXT) | instid1(VALU_DEP_2)
	v_add_co_u32 v9, vcc_lo, v10, v9
	v_add_co_ci_u32_e32 v9, vcc_lo, v11, v13, vcc_lo
	v_add_co_ci_u32_e32 v10, vcc_lo, 0, v14, vcc_lo
	v_ashrrev_i32_e32 v13, 31, v5
	s_delay_alu instid0(VALU_DEP_3) | instskip(NEXT) | instid1(VALU_DEP_3)
	v_add_co_u32 v8, vcc_lo, v9, v8
	v_add_co_ci_u32_e32 v9, vcc_lo, 0, v10, vcc_lo
	s_delay_alu instid0(VALU_DEP_2) | instskip(NEXT) | instid1(VALU_DEP_2)
	v_add_co_u32 v6, vcc_lo, v6, v8
	v_add_co_ci_u32_e32 v7, vcc_lo, v7, v9, vcc_lo
	s_delay_alu instid0(VALU_DEP_2) | instskip(SKIP_1) | instid1(VALU_DEP_3)
	v_mul_hi_u32 v8, s3, v6
	v_mul_lo_u32 v10, s17, v6
	v_mul_lo_u32 v9, s3, v7
	s_delay_alu instid0(VALU_DEP_1) | instskip(SKIP_1) | instid1(VALU_DEP_2)
	v_add_nc_u32_e32 v8, v8, v9
	v_mul_lo_u32 v9, s3, v6
	v_add_nc_u32_e32 v8, v8, v10
	s_delay_alu instid0(VALU_DEP_2) | instskip(NEXT) | instid1(VALU_DEP_2)
	v_mul_hi_u32 v10, v6, v9
	v_mul_lo_u32 v11, v6, v8
	v_mul_hi_u32 v12, v6, v8
	v_mul_hi_u32 v14, v7, v9
	v_mul_lo_u32 v9, v7, v9
	v_mul_hi_u32 v15, v7, v8
	v_mul_lo_u32 v8, v7, v8
	v_add_co_u32 v10, vcc_lo, v10, v11
	v_add_co_ci_u32_e32 v11, vcc_lo, 0, v12, vcc_lo
	s_delay_alu instid0(VALU_DEP_2) | instskip(NEXT) | instid1(VALU_DEP_2)
	v_add_co_u32 v9, vcc_lo, v10, v9
	v_add_co_ci_u32_e32 v9, vcc_lo, v11, v14, vcc_lo
	v_add_co_ci_u32_e32 v10, vcc_lo, 0, v15, vcc_lo
	v_add_co_u32 v4, vcc_lo, v4, v13
	v_add_co_ci_u32_e32 v5, vcc_lo, v5, v13, vcc_lo
	s_delay_alu instid0(VALU_DEP_4) | instskip(NEXT) | instid1(VALU_DEP_4)
	v_add_co_u32 v8, vcc_lo, v9, v8
	v_add_co_ci_u32_e32 v9, vcc_lo, 0, v10, vcc_lo
	s_delay_alu instid0(VALU_DEP_4) | instskip(NEXT) | instid1(VALU_DEP_3)
	v_xor_b32_e32 v10, v4, v13
	v_add_co_u32 v8, vcc_lo, v6, v8
	s_delay_alu instid0(VALU_DEP_3) | instskip(SKIP_1) | instid1(VALU_DEP_3)
	v_add_co_ci_u32_e32 v11, vcc_lo, v7, v9, vcc_lo
	v_xor_b32_e32 v12, v5, v13
	v_mul_hi_u32 v14, v10, v8
	s_delay_alu instid0(VALU_DEP_3) | instskip(NEXT) | instid1(VALU_DEP_3)
	v_mad_u64_u32 v[4:5], null, v10, v11, 0
	v_mad_u64_u32 v[6:7], null, v12, v8, 0
	;; [unrolled: 1-line block ×3, first 2 shown]
	s_delay_alu instid0(VALU_DEP_3) | instskip(NEXT) | instid1(VALU_DEP_4)
	v_add_co_u32 v4, vcc_lo, v14, v4
	v_add_co_ci_u32_e32 v5, vcc_lo, 0, v5, vcc_lo
	s_delay_alu instid0(VALU_DEP_2) | instskip(NEXT) | instid1(VALU_DEP_2)
	v_add_co_u32 v4, vcc_lo, v4, v6
	v_add_co_ci_u32_e32 v4, vcc_lo, v5, v7, vcc_lo
	v_add_co_ci_u32_e32 v5, vcc_lo, 0, v9, vcc_lo
	s_delay_alu instid0(VALU_DEP_2) | instskip(NEXT) | instid1(VALU_DEP_2)
	v_add_co_u32 v6, vcc_lo, v4, v8
	v_add_co_ci_u32_e32 v7, vcc_lo, 0, v5, vcc_lo
	s_delay_alu instid0(VALU_DEP_2) | instskip(SKIP_1) | instid1(VALU_DEP_3)
	v_mul_lo_u32 v8, s15, v6
	v_mad_u64_u32 v[4:5], null, s14, v6, 0
	v_mul_lo_u32 v6, s14, v7
	s_delay_alu instid0(VALU_DEP_2) | instskip(NEXT) | instid1(VALU_DEP_2)
	v_sub_co_u32 v4, vcc_lo, v10, v4
	v_add3_u32 v5, v5, v6, v8
	s_delay_alu instid0(VALU_DEP_1) | instskip(NEXT) | instid1(VALU_DEP_1)
	v_sub_nc_u32_e32 v6, v12, v5
	v_subrev_co_ci_u32_e64 v6, s3, s15, v6, vcc_lo
	v_sub_co_ci_u32_e32 v5, vcc_lo, v12, v5, vcc_lo
	v_sub_co_u32 v7, vcc_lo, v4, s14
	s_delay_alu instid0(VALU_DEP_1) | instskip(SKIP_3) | instid1(VALU_DEP_3)
	v_subrev_co_ci_u32_e64 v8, s3, 0, v6, vcc_lo
	v_cmp_le_u32_e64 s3, s14, v4
	v_subrev_co_ci_u32_e32 v6, vcc_lo, s15, v6, vcc_lo
	v_cmp_le_u32_e32 vcc_lo, s15, v5
	v_cndmask_b32_e64 v9, 0, -1, s3
	v_cmp_le_u32_e64 s3, s14, v7
	v_cndmask_b32_e64 v12, 0, -1, vcc_lo
	v_cmp_eq_u32_e32 vcc_lo, s15, v8
	s_delay_alu instid0(VALU_DEP_3) | instskip(SKIP_1) | instid1(VALU_DEP_1)
	v_cndmask_b32_e64 v10, 0, -1, s3
	v_cmp_le_u32_e64 s3, s15, v8
	v_cndmask_b32_e64 v11, 0, -1, s3
	v_cmp_eq_u32_e64 s3, s15, v5
	s_delay_alu instid0(VALU_DEP_2) | instskip(SKIP_2) | instid1(VALU_DEP_3)
	v_cndmask_b32_e32 v10, v11, v10, vcc_lo
	v_sub_co_u32 v11, vcc_lo, v7, s14
	v_subrev_co_ci_u32_e32 v6, vcc_lo, 0, v6, vcc_lo
	v_cmp_ne_u32_e32 vcc_lo, 0, v10
	v_cndmask_b32_e64 v9, v12, v9, s3
	s_delay_alu instid0(VALU_DEP_3) | instskip(NEXT) | instid1(VALU_DEP_2)
	v_dual_cndmask_b32 v6, v8, v6 :: v_dual_cndmask_b32 v7, v7, v11
	v_cmp_ne_u32_e32 vcc_lo, 0, v9
	s_delay_alu instid0(VALU_DEP_2) | instskip(NEXT) | instid1(VALU_DEP_1)
	v_dual_cndmask_b32 v5, v5, v6 :: v_dual_cndmask_b32 v4, v4, v7
	v_xor_b32_e32 v5, v5, v13
	s_delay_alu instid0(VALU_DEP_2) | instskip(NEXT) | instid1(VALU_DEP_1)
	v_xor_b32_e32 v4, v4, v13
	v_sub_co_u32 v6, vcc_lo, v4, v13
	s_delay_alu instid0(VALU_DEP_3)
	v_sub_co_ci_u32_e32 v7, vcc_lo, v5, v13, vcc_lo
                                        ; implicit-def: $vgpr4_vgpr5
.LBB81_104:
	s_and_not1_saveexec_b32 s3, s16
	s_cbranch_execz .LBB81_106
; %bb.105:
	v_cvt_f32_u32_e32 v5, s12
	s_sub_i32 s14, 0, s12
	v_mov_b32_e32 v7, 0
	s_delay_alu instid0(VALU_DEP_2) | instskip(SKIP_2) | instid1(VALU_DEP_1)
	v_rcp_iflag_f32_e32 v5, v5
	s_waitcnt_depctr 0xfff
	v_mul_f32_e32 v5, 0x4f7ffffe, v5
	v_cvt_u32_f32_e32 v5, v5
	s_delay_alu instid0(VALU_DEP_1) | instskip(NEXT) | instid1(VALU_DEP_1)
	v_mul_lo_u32 v6, s14, v5
	v_mul_hi_u32 v6, v5, v6
	s_delay_alu instid0(VALU_DEP_1) | instskip(NEXT) | instid1(VALU_DEP_1)
	v_add_nc_u32_e32 v5, v5, v6
	v_mul_hi_u32 v5, v4, v5
	s_delay_alu instid0(VALU_DEP_1) | instskip(NEXT) | instid1(VALU_DEP_1)
	v_mul_lo_u32 v5, v5, s12
	v_sub_nc_u32_e32 v4, v4, v5
	s_delay_alu instid0(VALU_DEP_1) | instskip(SKIP_1) | instid1(VALU_DEP_2)
	v_subrev_nc_u32_e32 v5, s12, v4
	v_cmp_le_u32_e32 vcc_lo, s12, v4
	v_cndmask_b32_e32 v4, v4, v5, vcc_lo
	s_delay_alu instid0(VALU_DEP_1) | instskip(SKIP_1) | instid1(VALU_DEP_2)
	v_subrev_nc_u32_e32 v5, s12, v4
	v_cmp_le_u32_e32 vcc_lo, s12, v4
	v_cndmask_b32_e32 v6, v4, v5, vcc_lo
.LBB81_106:
	s_or_b32 exec_lo, exec_lo, s3
	v_mad_u64_u32 v[4:5], null, s4, 56, v[0:1]
	s_mul_i32 s3, s12, s11
	s_mul_hi_u32 s11, s12, s10
	s_delay_alu instid0(SALU_CYCLE_1) | instskip(SKIP_2) | instid1(VALU_DEP_1)
	s_add_i32 s3, s11, s3
	s_mul_i32 s11, s13, s10
	s_mul_i32 s10, s12, s10
	v_mad_u64_u32 v[8:9], null, s5, 56, v[5:6]
	s_add_i32 s11, s3, s11
	s_delay_alu instid0(VALU_DEP_1)
	v_mov_b32_e32 v5, v8
	global_store_b64 v[4:5], v[6:7], off
	s_cmp_lt_i32 s18, 7
	s_cbranch_scc1 .LBB81_14
.LBB81_107:
	s_load_b64 s[12:13], s[0:1], 0x38
	s_waitcnt vmcnt(0)
	v_or_b32_e32 v5, s11, v3
	v_mov_b32_e32 v4, 0
	s_delay_alu instid0(VALU_DEP_1) | instskip(SKIP_1) | instid1(SALU_CYCLE_1)
	v_cmp_ne_u64_e32 vcc_lo, 0, v[4:5]
                                        ; implicit-def: $vgpr4_vgpr5
	s_and_saveexec_b32 s3, vcc_lo
	s_xor_b32 s20, exec_lo, s3
	s_cbranch_execz .LBB81_109
; %bb.108:
	s_ashr_i32 s14, s11, 31
	s_delay_alu instid0(SALU_CYCLE_1) | instskip(SKIP_2) | instid1(SALU_CYCLE_1)
	s_add_u32 s16, s10, s14
	s_mov_b32 s15, s14
	s_addc_u32 s17, s11, s14
	s_xor_b64 s[16:17], s[16:17], s[14:15]
	s_delay_alu instid0(SALU_CYCLE_1) | instskip(SKIP_3) | instid1(VALU_DEP_1)
	v_cvt_f32_u32_e32 v4, s16
	v_cvt_f32_u32_e32 v5, s17
	s_sub_u32 s3, 0, s16
	s_subb_u32 s15, 0, s17
	v_fmamk_f32 v4, v5, 0x4f800000, v4
	s_delay_alu instid0(VALU_DEP_1) | instskip(SKIP_2) | instid1(VALU_DEP_1)
	v_rcp_f32_e32 v4, v4
	s_waitcnt_depctr 0xfff
	v_mul_f32_e32 v4, 0x5f7ffffc, v4
	v_mul_f32_e32 v5, 0x2f800000, v4
	s_delay_alu instid0(VALU_DEP_1) | instskip(NEXT) | instid1(VALU_DEP_1)
	v_trunc_f32_e32 v5, v5
	v_fmamk_f32 v4, v5, 0xcf800000, v4
	v_cvt_u32_f32_e32 v5, v5
	s_delay_alu instid0(VALU_DEP_2) | instskip(NEXT) | instid1(VALU_DEP_2)
	v_cvt_u32_f32_e32 v4, v4
	v_mul_lo_u32 v6, s3, v5
	s_delay_alu instid0(VALU_DEP_2) | instskip(SKIP_1) | instid1(VALU_DEP_2)
	v_mul_hi_u32 v7, s3, v4
	v_mul_lo_u32 v8, s15, v4
	v_add_nc_u32_e32 v6, v7, v6
	v_mul_lo_u32 v7, s3, v4
	s_delay_alu instid0(VALU_DEP_2) | instskip(NEXT) | instid1(VALU_DEP_2)
	v_add_nc_u32_e32 v6, v6, v8
	v_mul_hi_u32 v8, v4, v7
	s_delay_alu instid0(VALU_DEP_2)
	v_mul_lo_u32 v9, v4, v6
	v_mul_hi_u32 v10, v4, v6
	v_mul_hi_u32 v11, v5, v7
	v_mul_lo_u32 v7, v5, v7
	v_mul_hi_u32 v12, v5, v6
	v_mul_lo_u32 v6, v5, v6
	v_add_co_u32 v8, vcc_lo, v8, v9
	v_add_co_ci_u32_e32 v9, vcc_lo, 0, v10, vcc_lo
	s_delay_alu instid0(VALU_DEP_2) | instskip(NEXT) | instid1(VALU_DEP_2)
	v_add_co_u32 v7, vcc_lo, v8, v7
	v_add_co_ci_u32_e32 v7, vcc_lo, v9, v11, vcc_lo
	v_add_co_ci_u32_e32 v8, vcc_lo, 0, v12, vcc_lo
	v_ashrrev_i32_e32 v11, 31, v3
	s_delay_alu instid0(VALU_DEP_3) | instskip(NEXT) | instid1(VALU_DEP_3)
	v_add_co_u32 v6, vcc_lo, v7, v6
	v_add_co_ci_u32_e32 v7, vcc_lo, 0, v8, vcc_lo
	s_delay_alu instid0(VALU_DEP_2) | instskip(NEXT) | instid1(VALU_DEP_2)
	v_add_co_u32 v4, vcc_lo, v4, v6
	v_add_co_ci_u32_e32 v5, vcc_lo, v5, v7, vcc_lo
	s_delay_alu instid0(VALU_DEP_2) | instskip(SKIP_1) | instid1(VALU_DEP_3)
	v_mul_hi_u32 v6, s3, v4
	v_mul_lo_u32 v8, s15, v4
	v_mul_lo_u32 v7, s3, v5
	s_delay_alu instid0(VALU_DEP_1) | instskip(SKIP_1) | instid1(VALU_DEP_2)
	v_add_nc_u32_e32 v6, v6, v7
	v_mul_lo_u32 v7, s3, v4
	v_add_nc_u32_e32 v6, v6, v8
	s_delay_alu instid0(VALU_DEP_2) | instskip(NEXT) | instid1(VALU_DEP_2)
	v_mul_hi_u32 v8, v4, v7
	v_mul_lo_u32 v9, v4, v6
	v_mul_hi_u32 v10, v4, v6
	v_mul_hi_u32 v12, v5, v7
	v_mul_lo_u32 v7, v5, v7
	v_mul_hi_u32 v13, v5, v6
	v_mul_lo_u32 v6, v5, v6
	v_add_co_u32 v8, vcc_lo, v8, v9
	v_add_co_ci_u32_e32 v9, vcc_lo, 0, v10, vcc_lo
	s_delay_alu instid0(VALU_DEP_2) | instskip(NEXT) | instid1(VALU_DEP_2)
	v_add_co_u32 v7, vcc_lo, v8, v7
	v_add_co_ci_u32_e32 v7, vcc_lo, v9, v12, vcc_lo
	v_add_co_ci_u32_e32 v8, vcc_lo, 0, v13, vcc_lo
	v_add_co_u32 v9, vcc_lo, v2, v11
	v_add_co_ci_u32_e32 v10, vcc_lo, v3, v11, vcc_lo
	s_delay_alu instid0(VALU_DEP_4) | instskip(NEXT) | instid1(VALU_DEP_4)
	v_add_co_u32 v6, vcc_lo, v7, v6
	v_add_co_ci_u32_e32 v7, vcc_lo, 0, v8, vcc_lo
	s_delay_alu instid0(VALU_DEP_4) | instskip(NEXT) | instid1(VALU_DEP_3)
	v_xor_b32_e32 v12, v9, v11
	v_add_co_u32 v8, vcc_lo, v4, v6
	s_delay_alu instid0(VALU_DEP_3) | instskip(SKIP_1) | instid1(VALU_DEP_3)
	v_add_co_ci_u32_e32 v13, vcc_lo, v5, v7, vcc_lo
	v_xor_b32_e32 v10, v10, v11
	v_mul_hi_u32 v14, v12, v8
	s_delay_alu instid0(VALU_DEP_3) | instskip(NEXT) | instid1(VALU_DEP_3)
	v_mad_u64_u32 v[4:5], null, v12, v13, 0
	v_mad_u64_u32 v[6:7], null, v10, v8, 0
	;; [unrolled: 1-line block ×3, first 2 shown]
	s_delay_alu instid0(VALU_DEP_3) | instskip(NEXT) | instid1(VALU_DEP_4)
	v_add_co_u32 v4, vcc_lo, v14, v4
	v_add_co_ci_u32_e32 v5, vcc_lo, 0, v5, vcc_lo
	s_delay_alu instid0(VALU_DEP_2) | instskip(NEXT) | instid1(VALU_DEP_2)
	v_add_co_u32 v4, vcc_lo, v4, v6
	v_add_co_ci_u32_e32 v4, vcc_lo, v5, v7, vcc_lo
	v_add_co_ci_u32_e32 v5, vcc_lo, 0, v9, vcc_lo
	s_delay_alu instid0(VALU_DEP_2) | instskip(NEXT) | instid1(VALU_DEP_2)
	v_add_co_u32 v6, vcc_lo, v4, v8
	v_add_co_ci_u32_e32 v7, vcc_lo, 0, v5, vcc_lo
	s_delay_alu instid0(VALU_DEP_2) | instskip(SKIP_1) | instid1(VALU_DEP_3)
	v_mul_lo_u32 v8, s17, v6
	v_mad_u64_u32 v[4:5], null, s16, v6, 0
	v_mul_lo_u32 v9, s16, v7
	s_delay_alu instid0(VALU_DEP_2) | instskip(NEXT) | instid1(VALU_DEP_2)
	v_sub_co_u32 v4, vcc_lo, v12, v4
	v_add3_u32 v5, v5, v9, v8
	s_delay_alu instid0(VALU_DEP_1) | instskip(NEXT) | instid1(VALU_DEP_1)
	v_sub_nc_u32_e32 v8, v10, v5
	v_subrev_co_ci_u32_e64 v8, s3, s17, v8, vcc_lo
	v_add_co_u32 v9, s3, v6, 2
	s_delay_alu instid0(VALU_DEP_1) | instskip(SKIP_3) | instid1(VALU_DEP_3)
	v_add_co_ci_u32_e64 v12, s3, 0, v7, s3
	v_sub_co_u32 v13, s3, v4, s16
	v_sub_co_ci_u32_e32 v5, vcc_lo, v10, v5, vcc_lo
	v_subrev_co_ci_u32_e64 v8, s3, 0, v8, s3
	v_cmp_le_u32_e32 vcc_lo, s16, v13
	s_delay_alu instid0(VALU_DEP_3) | instskip(SKIP_1) | instid1(VALU_DEP_4)
	v_cmp_eq_u32_e64 s3, s17, v5
	v_cndmask_b32_e64 v10, 0, -1, vcc_lo
	v_cmp_le_u32_e32 vcc_lo, s17, v8
	v_cndmask_b32_e64 v13, 0, -1, vcc_lo
	v_cmp_le_u32_e32 vcc_lo, s16, v4
	v_cndmask_b32_e64 v4, 0, -1, vcc_lo
	v_cmp_le_u32_e32 vcc_lo, s17, v5
	v_cndmask_b32_e64 v14, 0, -1, vcc_lo
	v_cmp_eq_u32_e32 vcc_lo, s17, v8
	s_delay_alu instid0(VALU_DEP_2) | instskip(SKIP_3) | instid1(VALU_DEP_3)
	v_cndmask_b32_e64 v4, v14, v4, s3
	v_cndmask_b32_e32 v8, v13, v10, vcc_lo
	v_add_co_u32 v10, vcc_lo, v6, 1
	v_add_co_ci_u32_e32 v13, vcc_lo, 0, v7, vcc_lo
	v_cmp_ne_u32_e32 vcc_lo, 0, v8
	s_delay_alu instid0(VALU_DEP_2) | instskip(SKIP_2) | instid1(VALU_DEP_3)
	v_dual_cndmask_b32 v5, v13, v12 :: v_dual_cndmask_b32 v8, v10, v9
	v_cmp_ne_u32_e32 vcc_lo, 0, v4
	v_xor_b32_e32 v9, s14, v11
	v_dual_cndmask_b32 v4, v7, v5 :: v_dual_cndmask_b32 v5, v6, v8
	s_delay_alu instid0(VALU_DEP_1) | instskip(NEXT) | instid1(VALU_DEP_2)
	v_xor_b32_e32 v6, v4, v9
	v_xor_b32_e32 v5, v5, v9
	s_delay_alu instid0(VALU_DEP_1) | instskip(NEXT) | instid1(VALU_DEP_3)
	v_sub_co_u32 v4, vcc_lo, v5, v9
	v_sub_co_ci_u32_e32 v5, vcc_lo, v6, v9, vcc_lo
.LBB81_109:
	s_and_not1_saveexec_b32 s3, s20
	s_cbranch_execz .LBB81_111
; %bb.110:
	v_cvt_f32_u32_e32 v4, s10
	s_sub_i32 s14, 0, s10
	s_delay_alu instid0(VALU_DEP_1) | instskip(SKIP_2) | instid1(VALU_DEP_1)
	v_rcp_iflag_f32_e32 v4, v4
	s_waitcnt_depctr 0xfff
	v_mul_f32_e32 v4, 0x4f7ffffe, v4
	v_cvt_u32_f32_e32 v4, v4
	s_delay_alu instid0(VALU_DEP_1) | instskip(NEXT) | instid1(VALU_DEP_1)
	v_mul_lo_u32 v5, s14, v4
	v_mul_hi_u32 v5, v4, v5
	s_delay_alu instid0(VALU_DEP_1) | instskip(NEXT) | instid1(VALU_DEP_1)
	v_add_nc_u32_e32 v4, v4, v5
	v_mul_hi_u32 v4, v2, v4
	s_delay_alu instid0(VALU_DEP_1) | instskip(SKIP_1) | instid1(VALU_DEP_2)
	v_mul_lo_u32 v5, v4, s10
	v_add_nc_u32_e32 v6, 1, v4
	v_sub_nc_u32_e32 v5, v2, v5
	s_delay_alu instid0(VALU_DEP_1) | instskip(SKIP_1) | instid1(VALU_DEP_2)
	v_subrev_nc_u32_e32 v7, s10, v5
	v_cmp_le_u32_e32 vcc_lo, s10, v5
	v_dual_cndmask_b32 v5, v5, v7 :: v_dual_cndmask_b32 v4, v4, v6
	s_delay_alu instid0(VALU_DEP_1) | instskip(NEXT) | instid1(VALU_DEP_2)
	v_cmp_le_u32_e32 vcc_lo, s10, v5
	v_dual_mov_b32 v5, 0 :: v_dual_add_nc_u32 v6, 1, v4
	s_delay_alu instid0(VALU_DEP_1)
	v_cndmask_b32_e32 v4, v4, v6, vcc_lo
.LBB81_111:
	s_or_b32 exec_lo, exec_lo, s3
	s_waitcnt lgkmcnt(0)
	s_delay_alu instid0(VALU_DEP_1) | instskip(SKIP_1) | instid1(VALU_DEP_1)
	v_or_b32_e32 v7, s13, v5
	v_mov_b32_e32 v6, 0
	v_cmp_ne_u64_e32 vcc_lo, 0, v[6:7]
                                        ; implicit-def: $vgpr6_vgpr7
	s_and_saveexec_b32 s3, vcc_lo
	s_delay_alu instid0(SALU_CYCLE_1)
	s_xor_b32 s16, exec_lo, s3
	s_cbranch_execz .LBB81_113
; %bb.112:
	s_ashr_i32 s14, s13, 31
	s_delay_alu instid0(SALU_CYCLE_1) | instskip(SKIP_2) | instid1(SALU_CYCLE_1)
	s_add_u32 s20, s12, s14
	s_mov_b32 s15, s14
	s_addc_u32 s21, s13, s14
	s_xor_b64 s[14:15], s[20:21], s[14:15]
	s_delay_alu instid0(SALU_CYCLE_1) | instskip(SKIP_3) | instid1(VALU_DEP_1)
	v_cvt_f32_u32_e32 v6, s14
	v_cvt_f32_u32_e32 v7, s15
	s_sub_u32 s3, 0, s14
	s_subb_u32 s17, 0, s15
	v_fmamk_f32 v6, v7, 0x4f800000, v6
	s_delay_alu instid0(VALU_DEP_1) | instskip(SKIP_2) | instid1(VALU_DEP_1)
	v_rcp_f32_e32 v6, v6
	s_waitcnt_depctr 0xfff
	v_mul_f32_e32 v6, 0x5f7ffffc, v6
	v_mul_f32_e32 v7, 0x2f800000, v6
	s_delay_alu instid0(VALU_DEP_1) | instskip(NEXT) | instid1(VALU_DEP_1)
	v_trunc_f32_e32 v7, v7
	v_fmamk_f32 v6, v7, 0xcf800000, v6
	v_cvt_u32_f32_e32 v7, v7
	s_delay_alu instid0(VALU_DEP_2) | instskip(NEXT) | instid1(VALU_DEP_2)
	v_cvt_u32_f32_e32 v6, v6
	v_mul_lo_u32 v8, s3, v7
	s_delay_alu instid0(VALU_DEP_2) | instskip(SKIP_1) | instid1(VALU_DEP_2)
	v_mul_hi_u32 v9, s3, v6
	v_mul_lo_u32 v10, s17, v6
	v_add_nc_u32_e32 v8, v9, v8
	v_mul_lo_u32 v9, s3, v6
	s_delay_alu instid0(VALU_DEP_2) | instskip(NEXT) | instid1(VALU_DEP_2)
	v_add_nc_u32_e32 v8, v8, v10
	v_mul_hi_u32 v10, v6, v9
	s_delay_alu instid0(VALU_DEP_2)
	v_mul_lo_u32 v11, v6, v8
	v_mul_hi_u32 v12, v6, v8
	v_mul_hi_u32 v13, v7, v9
	v_mul_lo_u32 v9, v7, v9
	v_mul_hi_u32 v14, v7, v8
	v_mul_lo_u32 v8, v7, v8
	v_add_co_u32 v10, vcc_lo, v10, v11
	v_add_co_ci_u32_e32 v11, vcc_lo, 0, v12, vcc_lo
	s_delay_alu instid0(VALU_DEP_2) | instskip(NEXT) | instid1(VALU_DEP_2)
	v_add_co_u32 v9, vcc_lo, v10, v9
	v_add_co_ci_u32_e32 v9, vcc_lo, v11, v13, vcc_lo
	v_add_co_ci_u32_e32 v10, vcc_lo, 0, v14, vcc_lo
	v_ashrrev_i32_e32 v13, 31, v5
	s_delay_alu instid0(VALU_DEP_3) | instskip(NEXT) | instid1(VALU_DEP_3)
	v_add_co_u32 v8, vcc_lo, v9, v8
	v_add_co_ci_u32_e32 v9, vcc_lo, 0, v10, vcc_lo
	s_delay_alu instid0(VALU_DEP_2) | instskip(NEXT) | instid1(VALU_DEP_2)
	v_add_co_u32 v6, vcc_lo, v6, v8
	v_add_co_ci_u32_e32 v7, vcc_lo, v7, v9, vcc_lo
	s_delay_alu instid0(VALU_DEP_2) | instskip(SKIP_1) | instid1(VALU_DEP_3)
	v_mul_hi_u32 v8, s3, v6
	v_mul_lo_u32 v10, s17, v6
	v_mul_lo_u32 v9, s3, v7
	s_delay_alu instid0(VALU_DEP_1) | instskip(SKIP_1) | instid1(VALU_DEP_2)
	v_add_nc_u32_e32 v8, v8, v9
	v_mul_lo_u32 v9, s3, v6
	v_add_nc_u32_e32 v8, v8, v10
	s_delay_alu instid0(VALU_DEP_2) | instskip(NEXT) | instid1(VALU_DEP_2)
	v_mul_hi_u32 v10, v6, v9
	v_mul_lo_u32 v11, v6, v8
	v_mul_hi_u32 v12, v6, v8
	v_mul_hi_u32 v14, v7, v9
	v_mul_lo_u32 v9, v7, v9
	v_mul_hi_u32 v15, v7, v8
	v_mul_lo_u32 v8, v7, v8
	v_add_co_u32 v10, vcc_lo, v10, v11
	v_add_co_ci_u32_e32 v11, vcc_lo, 0, v12, vcc_lo
	s_delay_alu instid0(VALU_DEP_2) | instskip(NEXT) | instid1(VALU_DEP_2)
	v_add_co_u32 v9, vcc_lo, v10, v9
	v_add_co_ci_u32_e32 v9, vcc_lo, v11, v14, vcc_lo
	v_add_co_ci_u32_e32 v10, vcc_lo, 0, v15, vcc_lo
	v_add_co_u32 v4, vcc_lo, v4, v13
	v_add_co_ci_u32_e32 v5, vcc_lo, v5, v13, vcc_lo
	s_delay_alu instid0(VALU_DEP_4) | instskip(NEXT) | instid1(VALU_DEP_4)
	v_add_co_u32 v8, vcc_lo, v9, v8
	v_add_co_ci_u32_e32 v9, vcc_lo, 0, v10, vcc_lo
	s_delay_alu instid0(VALU_DEP_4) | instskip(NEXT) | instid1(VALU_DEP_3)
	v_xor_b32_e32 v10, v4, v13
	v_add_co_u32 v8, vcc_lo, v6, v8
	s_delay_alu instid0(VALU_DEP_3) | instskip(SKIP_1) | instid1(VALU_DEP_3)
	v_add_co_ci_u32_e32 v11, vcc_lo, v7, v9, vcc_lo
	v_xor_b32_e32 v12, v5, v13
	v_mul_hi_u32 v14, v10, v8
	s_delay_alu instid0(VALU_DEP_3) | instskip(NEXT) | instid1(VALU_DEP_3)
	v_mad_u64_u32 v[4:5], null, v10, v11, 0
	v_mad_u64_u32 v[6:7], null, v12, v8, 0
	;; [unrolled: 1-line block ×3, first 2 shown]
	s_delay_alu instid0(VALU_DEP_3) | instskip(NEXT) | instid1(VALU_DEP_4)
	v_add_co_u32 v4, vcc_lo, v14, v4
	v_add_co_ci_u32_e32 v5, vcc_lo, 0, v5, vcc_lo
	s_delay_alu instid0(VALU_DEP_2) | instskip(NEXT) | instid1(VALU_DEP_2)
	v_add_co_u32 v4, vcc_lo, v4, v6
	v_add_co_ci_u32_e32 v4, vcc_lo, v5, v7, vcc_lo
	v_add_co_ci_u32_e32 v5, vcc_lo, 0, v9, vcc_lo
	s_delay_alu instid0(VALU_DEP_2) | instskip(NEXT) | instid1(VALU_DEP_2)
	v_add_co_u32 v6, vcc_lo, v4, v8
	v_add_co_ci_u32_e32 v7, vcc_lo, 0, v5, vcc_lo
	s_delay_alu instid0(VALU_DEP_2) | instskip(SKIP_1) | instid1(VALU_DEP_3)
	v_mul_lo_u32 v8, s15, v6
	v_mad_u64_u32 v[4:5], null, s14, v6, 0
	v_mul_lo_u32 v6, s14, v7
	s_delay_alu instid0(VALU_DEP_2) | instskip(NEXT) | instid1(VALU_DEP_2)
	v_sub_co_u32 v4, vcc_lo, v10, v4
	v_add3_u32 v5, v5, v6, v8
	s_delay_alu instid0(VALU_DEP_1) | instskip(NEXT) | instid1(VALU_DEP_1)
	v_sub_nc_u32_e32 v6, v12, v5
	v_subrev_co_ci_u32_e64 v6, s3, s15, v6, vcc_lo
	v_sub_co_ci_u32_e32 v5, vcc_lo, v12, v5, vcc_lo
	v_sub_co_u32 v7, vcc_lo, v4, s14
	s_delay_alu instid0(VALU_DEP_1) | instskip(SKIP_3) | instid1(VALU_DEP_3)
	v_subrev_co_ci_u32_e64 v8, s3, 0, v6, vcc_lo
	v_cmp_le_u32_e64 s3, s14, v4
	v_subrev_co_ci_u32_e32 v6, vcc_lo, s15, v6, vcc_lo
	v_cmp_le_u32_e32 vcc_lo, s15, v5
	v_cndmask_b32_e64 v9, 0, -1, s3
	v_cmp_le_u32_e64 s3, s14, v7
	v_cndmask_b32_e64 v12, 0, -1, vcc_lo
	v_cmp_eq_u32_e32 vcc_lo, s15, v8
	s_delay_alu instid0(VALU_DEP_3) | instskip(SKIP_1) | instid1(VALU_DEP_1)
	v_cndmask_b32_e64 v10, 0, -1, s3
	v_cmp_le_u32_e64 s3, s15, v8
	v_cndmask_b32_e64 v11, 0, -1, s3
	v_cmp_eq_u32_e64 s3, s15, v5
	s_delay_alu instid0(VALU_DEP_2) | instskip(SKIP_2) | instid1(VALU_DEP_3)
	v_cndmask_b32_e32 v10, v11, v10, vcc_lo
	v_sub_co_u32 v11, vcc_lo, v7, s14
	v_subrev_co_ci_u32_e32 v6, vcc_lo, 0, v6, vcc_lo
	v_cmp_ne_u32_e32 vcc_lo, 0, v10
	v_cndmask_b32_e64 v9, v12, v9, s3
	s_delay_alu instid0(VALU_DEP_3) | instskip(NEXT) | instid1(VALU_DEP_2)
	v_dual_cndmask_b32 v6, v8, v6 :: v_dual_cndmask_b32 v7, v7, v11
	v_cmp_ne_u32_e32 vcc_lo, 0, v9
	s_delay_alu instid0(VALU_DEP_2) | instskip(NEXT) | instid1(VALU_DEP_1)
	v_dual_cndmask_b32 v5, v5, v6 :: v_dual_cndmask_b32 v4, v4, v7
	v_xor_b32_e32 v5, v5, v13
	s_delay_alu instid0(VALU_DEP_2) | instskip(NEXT) | instid1(VALU_DEP_1)
	v_xor_b32_e32 v4, v4, v13
	v_sub_co_u32 v6, vcc_lo, v4, v13
	s_delay_alu instid0(VALU_DEP_3)
	v_sub_co_ci_u32_e32 v7, vcc_lo, v5, v13, vcc_lo
                                        ; implicit-def: $vgpr4_vgpr5
.LBB81_113:
	s_and_not1_saveexec_b32 s3, s16
	s_cbranch_execz .LBB81_115
; %bb.114:
	v_cvt_f32_u32_e32 v5, s12
	s_sub_i32 s14, 0, s12
	v_mov_b32_e32 v7, 0
	s_delay_alu instid0(VALU_DEP_2) | instskip(SKIP_2) | instid1(VALU_DEP_1)
	v_rcp_iflag_f32_e32 v5, v5
	s_waitcnt_depctr 0xfff
	v_mul_f32_e32 v5, 0x4f7ffffe, v5
	v_cvt_u32_f32_e32 v5, v5
	s_delay_alu instid0(VALU_DEP_1) | instskip(NEXT) | instid1(VALU_DEP_1)
	v_mul_lo_u32 v6, s14, v5
	v_mul_hi_u32 v6, v5, v6
	s_delay_alu instid0(VALU_DEP_1) | instskip(NEXT) | instid1(VALU_DEP_1)
	v_add_nc_u32_e32 v5, v5, v6
	v_mul_hi_u32 v5, v4, v5
	s_delay_alu instid0(VALU_DEP_1) | instskip(NEXT) | instid1(VALU_DEP_1)
	v_mul_lo_u32 v5, v5, s12
	v_sub_nc_u32_e32 v4, v4, v5
	s_delay_alu instid0(VALU_DEP_1) | instskip(SKIP_1) | instid1(VALU_DEP_2)
	v_subrev_nc_u32_e32 v5, s12, v4
	v_cmp_le_u32_e32 vcc_lo, s12, v4
	v_cndmask_b32_e32 v4, v4, v5, vcc_lo
	s_delay_alu instid0(VALU_DEP_1) | instskip(SKIP_1) | instid1(VALU_DEP_2)
	v_subrev_nc_u32_e32 v5, s12, v4
	v_cmp_le_u32_e32 vcc_lo, s12, v4
	v_cndmask_b32_e32 v6, v4, v5, vcc_lo
.LBB81_115:
	s_or_b32 exec_lo, exec_lo, s3
	v_mad_u64_u32 v[4:5], null, s4, 48, v[0:1]
	s_mul_i32 s3, s12, s11
	s_mul_hi_u32 s11, s12, s10
	s_delay_alu instid0(SALU_CYCLE_1) | instskip(SKIP_2) | instid1(VALU_DEP_1)
	s_add_i32 s3, s11, s3
	s_mul_i32 s11, s13, s10
	s_mul_i32 s10, s12, s10
	v_mad_u64_u32 v[8:9], null, s5, 48, v[5:6]
	s_add_i32 s11, s3, s11
	s_delay_alu instid0(VALU_DEP_1)
	v_mov_b32_e32 v5, v8
	global_store_b64 v[4:5], v[6:7], off
	s_cmp_lt_i32 s18, 6
	s_cbranch_scc1 .LBB81_15
.LBB81_116:
	s_load_b64 s[12:13], s[0:1], 0x30
	s_waitcnt vmcnt(0)
	v_or_b32_e32 v5, s11, v3
	v_mov_b32_e32 v4, 0
	s_delay_alu instid0(VALU_DEP_1) | instskip(SKIP_1) | instid1(SALU_CYCLE_1)
	v_cmp_ne_u64_e32 vcc_lo, 0, v[4:5]
                                        ; implicit-def: $vgpr4_vgpr5
	s_and_saveexec_b32 s3, vcc_lo
	s_xor_b32 s20, exec_lo, s3
	s_cbranch_execz .LBB81_118
; %bb.117:
	s_ashr_i32 s14, s11, 31
	s_delay_alu instid0(SALU_CYCLE_1) | instskip(SKIP_2) | instid1(SALU_CYCLE_1)
	s_add_u32 s16, s10, s14
	s_mov_b32 s15, s14
	s_addc_u32 s17, s11, s14
	s_xor_b64 s[16:17], s[16:17], s[14:15]
	s_delay_alu instid0(SALU_CYCLE_1) | instskip(SKIP_3) | instid1(VALU_DEP_1)
	v_cvt_f32_u32_e32 v4, s16
	v_cvt_f32_u32_e32 v5, s17
	s_sub_u32 s3, 0, s16
	s_subb_u32 s15, 0, s17
	v_fmamk_f32 v4, v5, 0x4f800000, v4
	s_delay_alu instid0(VALU_DEP_1) | instskip(SKIP_2) | instid1(VALU_DEP_1)
	v_rcp_f32_e32 v4, v4
	s_waitcnt_depctr 0xfff
	v_mul_f32_e32 v4, 0x5f7ffffc, v4
	v_mul_f32_e32 v5, 0x2f800000, v4
	s_delay_alu instid0(VALU_DEP_1) | instskip(NEXT) | instid1(VALU_DEP_1)
	v_trunc_f32_e32 v5, v5
	v_fmamk_f32 v4, v5, 0xcf800000, v4
	v_cvt_u32_f32_e32 v5, v5
	s_delay_alu instid0(VALU_DEP_2) | instskip(NEXT) | instid1(VALU_DEP_2)
	v_cvt_u32_f32_e32 v4, v4
	v_mul_lo_u32 v6, s3, v5
	s_delay_alu instid0(VALU_DEP_2) | instskip(SKIP_1) | instid1(VALU_DEP_2)
	v_mul_hi_u32 v7, s3, v4
	v_mul_lo_u32 v8, s15, v4
	v_add_nc_u32_e32 v6, v7, v6
	v_mul_lo_u32 v7, s3, v4
	s_delay_alu instid0(VALU_DEP_2) | instskip(NEXT) | instid1(VALU_DEP_2)
	v_add_nc_u32_e32 v6, v6, v8
	v_mul_hi_u32 v8, v4, v7
	s_delay_alu instid0(VALU_DEP_2)
	v_mul_lo_u32 v9, v4, v6
	v_mul_hi_u32 v10, v4, v6
	v_mul_hi_u32 v11, v5, v7
	v_mul_lo_u32 v7, v5, v7
	v_mul_hi_u32 v12, v5, v6
	v_mul_lo_u32 v6, v5, v6
	v_add_co_u32 v8, vcc_lo, v8, v9
	v_add_co_ci_u32_e32 v9, vcc_lo, 0, v10, vcc_lo
	s_delay_alu instid0(VALU_DEP_2) | instskip(NEXT) | instid1(VALU_DEP_2)
	v_add_co_u32 v7, vcc_lo, v8, v7
	v_add_co_ci_u32_e32 v7, vcc_lo, v9, v11, vcc_lo
	v_add_co_ci_u32_e32 v8, vcc_lo, 0, v12, vcc_lo
	v_ashrrev_i32_e32 v11, 31, v3
	s_delay_alu instid0(VALU_DEP_3) | instskip(NEXT) | instid1(VALU_DEP_3)
	v_add_co_u32 v6, vcc_lo, v7, v6
	v_add_co_ci_u32_e32 v7, vcc_lo, 0, v8, vcc_lo
	s_delay_alu instid0(VALU_DEP_2) | instskip(NEXT) | instid1(VALU_DEP_2)
	v_add_co_u32 v4, vcc_lo, v4, v6
	v_add_co_ci_u32_e32 v5, vcc_lo, v5, v7, vcc_lo
	s_delay_alu instid0(VALU_DEP_2) | instskip(SKIP_1) | instid1(VALU_DEP_3)
	v_mul_hi_u32 v6, s3, v4
	v_mul_lo_u32 v8, s15, v4
	v_mul_lo_u32 v7, s3, v5
	s_delay_alu instid0(VALU_DEP_1) | instskip(SKIP_1) | instid1(VALU_DEP_2)
	v_add_nc_u32_e32 v6, v6, v7
	v_mul_lo_u32 v7, s3, v4
	v_add_nc_u32_e32 v6, v6, v8
	s_delay_alu instid0(VALU_DEP_2) | instskip(NEXT) | instid1(VALU_DEP_2)
	v_mul_hi_u32 v8, v4, v7
	v_mul_lo_u32 v9, v4, v6
	v_mul_hi_u32 v10, v4, v6
	v_mul_hi_u32 v12, v5, v7
	v_mul_lo_u32 v7, v5, v7
	v_mul_hi_u32 v13, v5, v6
	v_mul_lo_u32 v6, v5, v6
	v_add_co_u32 v8, vcc_lo, v8, v9
	v_add_co_ci_u32_e32 v9, vcc_lo, 0, v10, vcc_lo
	s_delay_alu instid0(VALU_DEP_2) | instskip(NEXT) | instid1(VALU_DEP_2)
	v_add_co_u32 v7, vcc_lo, v8, v7
	v_add_co_ci_u32_e32 v7, vcc_lo, v9, v12, vcc_lo
	v_add_co_ci_u32_e32 v8, vcc_lo, 0, v13, vcc_lo
	v_add_co_u32 v9, vcc_lo, v2, v11
	v_add_co_ci_u32_e32 v10, vcc_lo, v3, v11, vcc_lo
	s_delay_alu instid0(VALU_DEP_4) | instskip(NEXT) | instid1(VALU_DEP_4)
	v_add_co_u32 v6, vcc_lo, v7, v6
	v_add_co_ci_u32_e32 v7, vcc_lo, 0, v8, vcc_lo
	s_delay_alu instid0(VALU_DEP_4) | instskip(NEXT) | instid1(VALU_DEP_3)
	v_xor_b32_e32 v12, v9, v11
	v_add_co_u32 v8, vcc_lo, v4, v6
	s_delay_alu instid0(VALU_DEP_3) | instskip(SKIP_1) | instid1(VALU_DEP_3)
	v_add_co_ci_u32_e32 v13, vcc_lo, v5, v7, vcc_lo
	v_xor_b32_e32 v10, v10, v11
	v_mul_hi_u32 v14, v12, v8
	s_delay_alu instid0(VALU_DEP_3) | instskip(NEXT) | instid1(VALU_DEP_3)
	v_mad_u64_u32 v[4:5], null, v12, v13, 0
	v_mad_u64_u32 v[6:7], null, v10, v8, 0
	;; [unrolled: 1-line block ×3, first 2 shown]
	s_delay_alu instid0(VALU_DEP_3) | instskip(NEXT) | instid1(VALU_DEP_4)
	v_add_co_u32 v4, vcc_lo, v14, v4
	v_add_co_ci_u32_e32 v5, vcc_lo, 0, v5, vcc_lo
	s_delay_alu instid0(VALU_DEP_2) | instskip(NEXT) | instid1(VALU_DEP_2)
	v_add_co_u32 v4, vcc_lo, v4, v6
	v_add_co_ci_u32_e32 v4, vcc_lo, v5, v7, vcc_lo
	v_add_co_ci_u32_e32 v5, vcc_lo, 0, v9, vcc_lo
	s_delay_alu instid0(VALU_DEP_2) | instskip(NEXT) | instid1(VALU_DEP_2)
	v_add_co_u32 v6, vcc_lo, v4, v8
	v_add_co_ci_u32_e32 v7, vcc_lo, 0, v5, vcc_lo
	s_delay_alu instid0(VALU_DEP_2) | instskip(SKIP_1) | instid1(VALU_DEP_3)
	v_mul_lo_u32 v8, s17, v6
	v_mad_u64_u32 v[4:5], null, s16, v6, 0
	v_mul_lo_u32 v9, s16, v7
	s_delay_alu instid0(VALU_DEP_2) | instskip(NEXT) | instid1(VALU_DEP_2)
	v_sub_co_u32 v4, vcc_lo, v12, v4
	v_add3_u32 v5, v5, v9, v8
	s_delay_alu instid0(VALU_DEP_1) | instskip(NEXT) | instid1(VALU_DEP_1)
	v_sub_nc_u32_e32 v8, v10, v5
	v_subrev_co_ci_u32_e64 v8, s3, s17, v8, vcc_lo
	v_add_co_u32 v9, s3, v6, 2
	s_delay_alu instid0(VALU_DEP_1) | instskip(SKIP_3) | instid1(VALU_DEP_3)
	v_add_co_ci_u32_e64 v12, s3, 0, v7, s3
	v_sub_co_u32 v13, s3, v4, s16
	v_sub_co_ci_u32_e32 v5, vcc_lo, v10, v5, vcc_lo
	v_subrev_co_ci_u32_e64 v8, s3, 0, v8, s3
	v_cmp_le_u32_e32 vcc_lo, s16, v13
	s_delay_alu instid0(VALU_DEP_3) | instskip(SKIP_1) | instid1(VALU_DEP_4)
	v_cmp_eq_u32_e64 s3, s17, v5
	v_cndmask_b32_e64 v10, 0, -1, vcc_lo
	v_cmp_le_u32_e32 vcc_lo, s17, v8
	v_cndmask_b32_e64 v13, 0, -1, vcc_lo
	v_cmp_le_u32_e32 vcc_lo, s16, v4
	;; [unrolled: 2-line block ×3, first 2 shown]
	v_cndmask_b32_e64 v14, 0, -1, vcc_lo
	v_cmp_eq_u32_e32 vcc_lo, s17, v8
	s_delay_alu instid0(VALU_DEP_2) | instskip(SKIP_3) | instid1(VALU_DEP_3)
	v_cndmask_b32_e64 v4, v14, v4, s3
	v_cndmask_b32_e32 v8, v13, v10, vcc_lo
	v_add_co_u32 v10, vcc_lo, v6, 1
	v_add_co_ci_u32_e32 v13, vcc_lo, 0, v7, vcc_lo
	v_cmp_ne_u32_e32 vcc_lo, 0, v8
	s_delay_alu instid0(VALU_DEP_2) | instskip(SKIP_2) | instid1(VALU_DEP_3)
	v_dual_cndmask_b32 v5, v13, v12 :: v_dual_cndmask_b32 v8, v10, v9
	v_cmp_ne_u32_e32 vcc_lo, 0, v4
	v_xor_b32_e32 v9, s14, v11
	v_dual_cndmask_b32 v4, v7, v5 :: v_dual_cndmask_b32 v5, v6, v8
	s_delay_alu instid0(VALU_DEP_1) | instskip(NEXT) | instid1(VALU_DEP_2)
	v_xor_b32_e32 v6, v4, v9
	v_xor_b32_e32 v5, v5, v9
	s_delay_alu instid0(VALU_DEP_1) | instskip(NEXT) | instid1(VALU_DEP_3)
	v_sub_co_u32 v4, vcc_lo, v5, v9
	v_sub_co_ci_u32_e32 v5, vcc_lo, v6, v9, vcc_lo
.LBB81_118:
	s_and_not1_saveexec_b32 s3, s20
	s_cbranch_execz .LBB81_120
; %bb.119:
	v_cvt_f32_u32_e32 v4, s10
	s_sub_i32 s14, 0, s10
	s_delay_alu instid0(VALU_DEP_1) | instskip(SKIP_2) | instid1(VALU_DEP_1)
	v_rcp_iflag_f32_e32 v4, v4
	s_waitcnt_depctr 0xfff
	v_mul_f32_e32 v4, 0x4f7ffffe, v4
	v_cvt_u32_f32_e32 v4, v4
	s_delay_alu instid0(VALU_DEP_1) | instskip(NEXT) | instid1(VALU_DEP_1)
	v_mul_lo_u32 v5, s14, v4
	v_mul_hi_u32 v5, v4, v5
	s_delay_alu instid0(VALU_DEP_1) | instskip(NEXT) | instid1(VALU_DEP_1)
	v_add_nc_u32_e32 v4, v4, v5
	v_mul_hi_u32 v4, v2, v4
	s_delay_alu instid0(VALU_DEP_1) | instskip(SKIP_1) | instid1(VALU_DEP_2)
	v_mul_lo_u32 v5, v4, s10
	v_add_nc_u32_e32 v6, 1, v4
	v_sub_nc_u32_e32 v5, v2, v5
	s_delay_alu instid0(VALU_DEP_1) | instskip(SKIP_1) | instid1(VALU_DEP_2)
	v_subrev_nc_u32_e32 v7, s10, v5
	v_cmp_le_u32_e32 vcc_lo, s10, v5
	v_dual_cndmask_b32 v5, v5, v7 :: v_dual_cndmask_b32 v4, v4, v6
	s_delay_alu instid0(VALU_DEP_1) | instskip(NEXT) | instid1(VALU_DEP_2)
	v_cmp_le_u32_e32 vcc_lo, s10, v5
	v_dual_mov_b32 v5, 0 :: v_dual_add_nc_u32 v6, 1, v4
	s_delay_alu instid0(VALU_DEP_1)
	v_cndmask_b32_e32 v4, v4, v6, vcc_lo
.LBB81_120:
	s_or_b32 exec_lo, exec_lo, s3
	s_waitcnt lgkmcnt(0)
	s_delay_alu instid0(VALU_DEP_1) | instskip(SKIP_1) | instid1(VALU_DEP_1)
	v_or_b32_e32 v7, s13, v5
	v_mov_b32_e32 v6, 0
	v_cmp_ne_u64_e32 vcc_lo, 0, v[6:7]
                                        ; implicit-def: $vgpr6_vgpr7
	s_and_saveexec_b32 s3, vcc_lo
	s_delay_alu instid0(SALU_CYCLE_1)
	s_xor_b32 s16, exec_lo, s3
	s_cbranch_execz .LBB81_122
; %bb.121:
	s_ashr_i32 s14, s13, 31
	s_delay_alu instid0(SALU_CYCLE_1) | instskip(SKIP_2) | instid1(SALU_CYCLE_1)
	s_add_u32 s20, s12, s14
	s_mov_b32 s15, s14
	s_addc_u32 s21, s13, s14
	s_xor_b64 s[14:15], s[20:21], s[14:15]
	s_delay_alu instid0(SALU_CYCLE_1) | instskip(SKIP_3) | instid1(VALU_DEP_1)
	v_cvt_f32_u32_e32 v6, s14
	v_cvt_f32_u32_e32 v7, s15
	s_sub_u32 s3, 0, s14
	s_subb_u32 s17, 0, s15
	v_fmamk_f32 v6, v7, 0x4f800000, v6
	s_delay_alu instid0(VALU_DEP_1) | instskip(SKIP_2) | instid1(VALU_DEP_1)
	v_rcp_f32_e32 v6, v6
	s_waitcnt_depctr 0xfff
	v_mul_f32_e32 v6, 0x5f7ffffc, v6
	v_mul_f32_e32 v7, 0x2f800000, v6
	s_delay_alu instid0(VALU_DEP_1) | instskip(NEXT) | instid1(VALU_DEP_1)
	v_trunc_f32_e32 v7, v7
	v_fmamk_f32 v6, v7, 0xcf800000, v6
	v_cvt_u32_f32_e32 v7, v7
	s_delay_alu instid0(VALU_DEP_2) | instskip(NEXT) | instid1(VALU_DEP_2)
	v_cvt_u32_f32_e32 v6, v6
	v_mul_lo_u32 v8, s3, v7
	s_delay_alu instid0(VALU_DEP_2) | instskip(SKIP_1) | instid1(VALU_DEP_2)
	v_mul_hi_u32 v9, s3, v6
	v_mul_lo_u32 v10, s17, v6
	v_add_nc_u32_e32 v8, v9, v8
	v_mul_lo_u32 v9, s3, v6
	s_delay_alu instid0(VALU_DEP_2) | instskip(NEXT) | instid1(VALU_DEP_2)
	v_add_nc_u32_e32 v8, v8, v10
	v_mul_hi_u32 v10, v6, v9
	s_delay_alu instid0(VALU_DEP_2)
	v_mul_lo_u32 v11, v6, v8
	v_mul_hi_u32 v12, v6, v8
	v_mul_hi_u32 v13, v7, v9
	v_mul_lo_u32 v9, v7, v9
	v_mul_hi_u32 v14, v7, v8
	v_mul_lo_u32 v8, v7, v8
	v_add_co_u32 v10, vcc_lo, v10, v11
	v_add_co_ci_u32_e32 v11, vcc_lo, 0, v12, vcc_lo
	s_delay_alu instid0(VALU_DEP_2) | instskip(NEXT) | instid1(VALU_DEP_2)
	v_add_co_u32 v9, vcc_lo, v10, v9
	v_add_co_ci_u32_e32 v9, vcc_lo, v11, v13, vcc_lo
	v_add_co_ci_u32_e32 v10, vcc_lo, 0, v14, vcc_lo
	v_ashrrev_i32_e32 v13, 31, v5
	s_delay_alu instid0(VALU_DEP_3) | instskip(NEXT) | instid1(VALU_DEP_3)
	v_add_co_u32 v8, vcc_lo, v9, v8
	v_add_co_ci_u32_e32 v9, vcc_lo, 0, v10, vcc_lo
	s_delay_alu instid0(VALU_DEP_2) | instskip(NEXT) | instid1(VALU_DEP_2)
	v_add_co_u32 v6, vcc_lo, v6, v8
	v_add_co_ci_u32_e32 v7, vcc_lo, v7, v9, vcc_lo
	s_delay_alu instid0(VALU_DEP_2) | instskip(SKIP_1) | instid1(VALU_DEP_3)
	v_mul_hi_u32 v8, s3, v6
	v_mul_lo_u32 v10, s17, v6
	v_mul_lo_u32 v9, s3, v7
	s_delay_alu instid0(VALU_DEP_1) | instskip(SKIP_1) | instid1(VALU_DEP_2)
	v_add_nc_u32_e32 v8, v8, v9
	v_mul_lo_u32 v9, s3, v6
	v_add_nc_u32_e32 v8, v8, v10
	s_delay_alu instid0(VALU_DEP_2) | instskip(NEXT) | instid1(VALU_DEP_2)
	v_mul_hi_u32 v10, v6, v9
	v_mul_lo_u32 v11, v6, v8
	v_mul_hi_u32 v12, v6, v8
	v_mul_hi_u32 v14, v7, v9
	v_mul_lo_u32 v9, v7, v9
	v_mul_hi_u32 v15, v7, v8
	v_mul_lo_u32 v8, v7, v8
	v_add_co_u32 v10, vcc_lo, v10, v11
	v_add_co_ci_u32_e32 v11, vcc_lo, 0, v12, vcc_lo
	s_delay_alu instid0(VALU_DEP_2) | instskip(NEXT) | instid1(VALU_DEP_2)
	v_add_co_u32 v9, vcc_lo, v10, v9
	v_add_co_ci_u32_e32 v9, vcc_lo, v11, v14, vcc_lo
	v_add_co_ci_u32_e32 v10, vcc_lo, 0, v15, vcc_lo
	v_add_co_u32 v4, vcc_lo, v4, v13
	v_add_co_ci_u32_e32 v5, vcc_lo, v5, v13, vcc_lo
	s_delay_alu instid0(VALU_DEP_4) | instskip(NEXT) | instid1(VALU_DEP_4)
	v_add_co_u32 v8, vcc_lo, v9, v8
	v_add_co_ci_u32_e32 v9, vcc_lo, 0, v10, vcc_lo
	s_delay_alu instid0(VALU_DEP_4) | instskip(NEXT) | instid1(VALU_DEP_3)
	v_xor_b32_e32 v10, v4, v13
	v_add_co_u32 v8, vcc_lo, v6, v8
	s_delay_alu instid0(VALU_DEP_3) | instskip(SKIP_1) | instid1(VALU_DEP_3)
	v_add_co_ci_u32_e32 v11, vcc_lo, v7, v9, vcc_lo
	v_xor_b32_e32 v12, v5, v13
	v_mul_hi_u32 v14, v10, v8
	s_delay_alu instid0(VALU_DEP_3) | instskip(NEXT) | instid1(VALU_DEP_3)
	v_mad_u64_u32 v[4:5], null, v10, v11, 0
	v_mad_u64_u32 v[6:7], null, v12, v8, 0
	;; [unrolled: 1-line block ×3, first 2 shown]
	s_delay_alu instid0(VALU_DEP_3) | instskip(NEXT) | instid1(VALU_DEP_4)
	v_add_co_u32 v4, vcc_lo, v14, v4
	v_add_co_ci_u32_e32 v5, vcc_lo, 0, v5, vcc_lo
	s_delay_alu instid0(VALU_DEP_2) | instskip(NEXT) | instid1(VALU_DEP_2)
	v_add_co_u32 v4, vcc_lo, v4, v6
	v_add_co_ci_u32_e32 v4, vcc_lo, v5, v7, vcc_lo
	v_add_co_ci_u32_e32 v5, vcc_lo, 0, v9, vcc_lo
	s_delay_alu instid0(VALU_DEP_2) | instskip(NEXT) | instid1(VALU_DEP_2)
	v_add_co_u32 v6, vcc_lo, v4, v8
	v_add_co_ci_u32_e32 v7, vcc_lo, 0, v5, vcc_lo
	s_delay_alu instid0(VALU_DEP_2) | instskip(SKIP_1) | instid1(VALU_DEP_3)
	v_mul_lo_u32 v8, s15, v6
	v_mad_u64_u32 v[4:5], null, s14, v6, 0
	v_mul_lo_u32 v6, s14, v7
	s_delay_alu instid0(VALU_DEP_2) | instskip(NEXT) | instid1(VALU_DEP_2)
	v_sub_co_u32 v4, vcc_lo, v10, v4
	v_add3_u32 v5, v5, v6, v8
	s_delay_alu instid0(VALU_DEP_1) | instskip(NEXT) | instid1(VALU_DEP_1)
	v_sub_nc_u32_e32 v6, v12, v5
	v_subrev_co_ci_u32_e64 v6, s3, s15, v6, vcc_lo
	v_sub_co_ci_u32_e32 v5, vcc_lo, v12, v5, vcc_lo
	v_sub_co_u32 v7, vcc_lo, v4, s14
	s_delay_alu instid0(VALU_DEP_1) | instskip(SKIP_3) | instid1(VALU_DEP_3)
	v_subrev_co_ci_u32_e64 v8, s3, 0, v6, vcc_lo
	v_cmp_le_u32_e64 s3, s14, v4
	v_subrev_co_ci_u32_e32 v6, vcc_lo, s15, v6, vcc_lo
	v_cmp_le_u32_e32 vcc_lo, s15, v5
	v_cndmask_b32_e64 v9, 0, -1, s3
	v_cmp_le_u32_e64 s3, s14, v7
	v_cndmask_b32_e64 v12, 0, -1, vcc_lo
	v_cmp_eq_u32_e32 vcc_lo, s15, v8
	s_delay_alu instid0(VALU_DEP_3) | instskip(SKIP_1) | instid1(VALU_DEP_1)
	v_cndmask_b32_e64 v10, 0, -1, s3
	v_cmp_le_u32_e64 s3, s15, v8
	v_cndmask_b32_e64 v11, 0, -1, s3
	v_cmp_eq_u32_e64 s3, s15, v5
	s_delay_alu instid0(VALU_DEP_2) | instskip(SKIP_2) | instid1(VALU_DEP_3)
	v_cndmask_b32_e32 v10, v11, v10, vcc_lo
	v_sub_co_u32 v11, vcc_lo, v7, s14
	v_subrev_co_ci_u32_e32 v6, vcc_lo, 0, v6, vcc_lo
	v_cmp_ne_u32_e32 vcc_lo, 0, v10
	v_cndmask_b32_e64 v9, v12, v9, s3
	s_delay_alu instid0(VALU_DEP_3) | instskip(NEXT) | instid1(VALU_DEP_2)
	v_dual_cndmask_b32 v6, v8, v6 :: v_dual_cndmask_b32 v7, v7, v11
	v_cmp_ne_u32_e32 vcc_lo, 0, v9
	s_delay_alu instid0(VALU_DEP_2) | instskip(NEXT) | instid1(VALU_DEP_1)
	v_dual_cndmask_b32 v5, v5, v6 :: v_dual_cndmask_b32 v4, v4, v7
	v_xor_b32_e32 v5, v5, v13
	s_delay_alu instid0(VALU_DEP_2) | instskip(NEXT) | instid1(VALU_DEP_1)
	v_xor_b32_e32 v4, v4, v13
	v_sub_co_u32 v6, vcc_lo, v4, v13
	s_delay_alu instid0(VALU_DEP_3)
	v_sub_co_ci_u32_e32 v7, vcc_lo, v5, v13, vcc_lo
                                        ; implicit-def: $vgpr4_vgpr5
.LBB81_122:
	s_and_not1_saveexec_b32 s3, s16
	s_cbranch_execz .LBB81_124
; %bb.123:
	v_cvt_f32_u32_e32 v5, s12
	s_sub_i32 s14, 0, s12
	v_mov_b32_e32 v7, 0
	s_delay_alu instid0(VALU_DEP_2) | instskip(SKIP_2) | instid1(VALU_DEP_1)
	v_rcp_iflag_f32_e32 v5, v5
	s_waitcnt_depctr 0xfff
	v_mul_f32_e32 v5, 0x4f7ffffe, v5
	v_cvt_u32_f32_e32 v5, v5
	s_delay_alu instid0(VALU_DEP_1) | instskip(NEXT) | instid1(VALU_DEP_1)
	v_mul_lo_u32 v6, s14, v5
	v_mul_hi_u32 v6, v5, v6
	s_delay_alu instid0(VALU_DEP_1) | instskip(NEXT) | instid1(VALU_DEP_1)
	v_add_nc_u32_e32 v5, v5, v6
	v_mul_hi_u32 v5, v4, v5
	s_delay_alu instid0(VALU_DEP_1) | instskip(NEXT) | instid1(VALU_DEP_1)
	v_mul_lo_u32 v5, v5, s12
	v_sub_nc_u32_e32 v4, v4, v5
	s_delay_alu instid0(VALU_DEP_1) | instskip(SKIP_1) | instid1(VALU_DEP_2)
	v_subrev_nc_u32_e32 v5, s12, v4
	v_cmp_le_u32_e32 vcc_lo, s12, v4
	v_cndmask_b32_e32 v4, v4, v5, vcc_lo
	s_delay_alu instid0(VALU_DEP_1) | instskip(SKIP_1) | instid1(VALU_DEP_2)
	v_subrev_nc_u32_e32 v5, s12, v4
	v_cmp_le_u32_e32 vcc_lo, s12, v4
	v_cndmask_b32_e32 v6, v4, v5, vcc_lo
.LBB81_124:
	s_or_b32 exec_lo, exec_lo, s3
	v_mad_u64_u32 v[4:5], null, s4, 40, v[0:1]
	s_mul_i32 s3, s12, s11
	s_mul_hi_u32 s11, s12, s10
	s_delay_alu instid0(SALU_CYCLE_1) | instskip(SKIP_2) | instid1(VALU_DEP_1)
	s_add_i32 s3, s11, s3
	s_mul_i32 s11, s13, s10
	s_mul_i32 s10, s12, s10
	v_mad_u64_u32 v[8:9], null, s5, 40, v[5:6]
	s_add_i32 s11, s3, s11
	s_delay_alu instid0(VALU_DEP_1)
	v_mov_b32_e32 v5, v8
	global_store_b64 v[4:5], v[6:7], off
	s_cmp_lt_i32 s18, 5
	s_cbranch_scc1 .LBB81_16
.LBB81_125:
	s_load_b64 s[12:13], s[0:1], 0x28
	s_waitcnt vmcnt(0)
	v_or_b32_e32 v5, s11, v3
	v_mov_b32_e32 v4, 0
	s_delay_alu instid0(VALU_DEP_1) | instskip(SKIP_1) | instid1(SALU_CYCLE_1)
	v_cmp_ne_u64_e32 vcc_lo, 0, v[4:5]
                                        ; implicit-def: $vgpr4_vgpr5
	s_and_saveexec_b32 s3, vcc_lo
	s_xor_b32 s20, exec_lo, s3
	s_cbranch_execz .LBB81_127
; %bb.126:
	s_ashr_i32 s14, s11, 31
	s_delay_alu instid0(SALU_CYCLE_1) | instskip(SKIP_2) | instid1(SALU_CYCLE_1)
	s_add_u32 s16, s10, s14
	s_mov_b32 s15, s14
	s_addc_u32 s17, s11, s14
	s_xor_b64 s[16:17], s[16:17], s[14:15]
	s_delay_alu instid0(SALU_CYCLE_1) | instskip(SKIP_3) | instid1(VALU_DEP_1)
	v_cvt_f32_u32_e32 v4, s16
	v_cvt_f32_u32_e32 v5, s17
	s_sub_u32 s3, 0, s16
	s_subb_u32 s15, 0, s17
	v_fmamk_f32 v4, v5, 0x4f800000, v4
	s_delay_alu instid0(VALU_DEP_1) | instskip(SKIP_2) | instid1(VALU_DEP_1)
	v_rcp_f32_e32 v4, v4
	s_waitcnt_depctr 0xfff
	v_mul_f32_e32 v4, 0x5f7ffffc, v4
	v_mul_f32_e32 v5, 0x2f800000, v4
	s_delay_alu instid0(VALU_DEP_1) | instskip(NEXT) | instid1(VALU_DEP_1)
	v_trunc_f32_e32 v5, v5
	v_fmamk_f32 v4, v5, 0xcf800000, v4
	v_cvt_u32_f32_e32 v5, v5
	s_delay_alu instid0(VALU_DEP_2) | instskip(NEXT) | instid1(VALU_DEP_2)
	v_cvt_u32_f32_e32 v4, v4
	v_mul_lo_u32 v6, s3, v5
	s_delay_alu instid0(VALU_DEP_2) | instskip(SKIP_1) | instid1(VALU_DEP_2)
	v_mul_hi_u32 v7, s3, v4
	v_mul_lo_u32 v8, s15, v4
	v_add_nc_u32_e32 v6, v7, v6
	v_mul_lo_u32 v7, s3, v4
	s_delay_alu instid0(VALU_DEP_2) | instskip(NEXT) | instid1(VALU_DEP_2)
	v_add_nc_u32_e32 v6, v6, v8
	v_mul_hi_u32 v8, v4, v7
	s_delay_alu instid0(VALU_DEP_2)
	v_mul_lo_u32 v9, v4, v6
	v_mul_hi_u32 v10, v4, v6
	v_mul_hi_u32 v11, v5, v7
	v_mul_lo_u32 v7, v5, v7
	v_mul_hi_u32 v12, v5, v6
	v_mul_lo_u32 v6, v5, v6
	v_add_co_u32 v8, vcc_lo, v8, v9
	v_add_co_ci_u32_e32 v9, vcc_lo, 0, v10, vcc_lo
	s_delay_alu instid0(VALU_DEP_2) | instskip(NEXT) | instid1(VALU_DEP_2)
	v_add_co_u32 v7, vcc_lo, v8, v7
	v_add_co_ci_u32_e32 v7, vcc_lo, v9, v11, vcc_lo
	v_add_co_ci_u32_e32 v8, vcc_lo, 0, v12, vcc_lo
	v_ashrrev_i32_e32 v11, 31, v3
	s_delay_alu instid0(VALU_DEP_3) | instskip(NEXT) | instid1(VALU_DEP_3)
	v_add_co_u32 v6, vcc_lo, v7, v6
	v_add_co_ci_u32_e32 v7, vcc_lo, 0, v8, vcc_lo
	s_delay_alu instid0(VALU_DEP_2) | instskip(NEXT) | instid1(VALU_DEP_2)
	v_add_co_u32 v4, vcc_lo, v4, v6
	v_add_co_ci_u32_e32 v5, vcc_lo, v5, v7, vcc_lo
	s_delay_alu instid0(VALU_DEP_2) | instskip(SKIP_1) | instid1(VALU_DEP_3)
	v_mul_hi_u32 v6, s3, v4
	v_mul_lo_u32 v8, s15, v4
	v_mul_lo_u32 v7, s3, v5
	s_delay_alu instid0(VALU_DEP_1) | instskip(SKIP_1) | instid1(VALU_DEP_2)
	v_add_nc_u32_e32 v6, v6, v7
	v_mul_lo_u32 v7, s3, v4
	v_add_nc_u32_e32 v6, v6, v8
	s_delay_alu instid0(VALU_DEP_2) | instskip(NEXT) | instid1(VALU_DEP_2)
	v_mul_hi_u32 v8, v4, v7
	v_mul_lo_u32 v9, v4, v6
	v_mul_hi_u32 v10, v4, v6
	v_mul_hi_u32 v12, v5, v7
	v_mul_lo_u32 v7, v5, v7
	v_mul_hi_u32 v13, v5, v6
	v_mul_lo_u32 v6, v5, v6
	v_add_co_u32 v8, vcc_lo, v8, v9
	v_add_co_ci_u32_e32 v9, vcc_lo, 0, v10, vcc_lo
	s_delay_alu instid0(VALU_DEP_2) | instskip(NEXT) | instid1(VALU_DEP_2)
	v_add_co_u32 v7, vcc_lo, v8, v7
	v_add_co_ci_u32_e32 v7, vcc_lo, v9, v12, vcc_lo
	v_add_co_ci_u32_e32 v8, vcc_lo, 0, v13, vcc_lo
	v_add_co_u32 v9, vcc_lo, v2, v11
	v_add_co_ci_u32_e32 v10, vcc_lo, v3, v11, vcc_lo
	s_delay_alu instid0(VALU_DEP_4) | instskip(NEXT) | instid1(VALU_DEP_4)
	v_add_co_u32 v6, vcc_lo, v7, v6
	v_add_co_ci_u32_e32 v7, vcc_lo, 0, v8, vcc_lo
	s_delay_alu instid0(VALU_DEP_4) | instskip(NEXT) | instid1(VALU_DEP_3)
	v_xor_b32_e32 v12, v9, v11
	v_add_co_u32 v8, vcc_lo, v4, v6
	s_delay_alu instid0(VALU_DEP_3) | instskip(SKIP_1) | instid1(VALU_DEP_3)
	v_add_co_ci_u32_e32 v13, vcc_lo, v5, v7, vcc_lo
	v_xor_b32_e32 v10, v10, v11
	v_mul_hi_u32 v14, v12, v8
	s_delay_alu instid0(VALU_DEP_3) | instskip(NEXT) | instid1(VALU_DEP_3)
	v_mad_u64_u32 v[4:5], null, v12, v13, 0
	v_mad_u64_u32 v[6:7], null, v10, v8, 0
	;; [unrolled: 1-line block ×3, first 2 shown]
	s_delay_alu instid0(VALU_DEP_3) | instskip(NEXT) | instid1(VALU_DEP_4)
	v_add_co_u32 v4, vcc_lo, v14, v4
	v_add_co_ci_u32_e32 v5, vcc_lo, 0, v5, vcc_lo
	s_delay_alu instid0(VALU_DEP_2) | instskip(NEXT) | instid1(VALU_DEP_2)
	v_add_co_u32 v4, vcc_lo, v4, v6
	v_add_co_ci_u32_e32 v4, vcc_lo, v5, v7, vcc_lo
	v_add_co_ci_u32_e32 v5, vcc_lo, 0, v9, vcc_lo
	s_delay_alu instid0(VALU_DEP_2) | instskip(NEXT) | instid1(VALU_DEP_2)
	v_add_co_u32 v6, vcc_lo, v4, v8
	v_add_co_ci_u32_e32 v7, vcc_lo, 0, v5, vcc_lo
	s_delay_alu instid0(VALU_DEP_2) | instskip(SKIP_1) | instid1(VALU_DEP_3)
	v_mul_lo_u32 v8, s17, v6
	v_mad_u64_u32 v[4:5], null, s16, v6, 0
	v_mul_lo_u32 v9, s16, v7
	s_delay_alu instid0(VALU_DEP_2) | instskip(NEXT) | instid1(VALU_DEP_2)
	v_sub_co_u32 v4, vcc_lo, v12, v4
	v_add3_u32 v5, v5, v9, v8
	s_delay_alu instid0(VALU_DEP_1) | instskip(NEXT) | instid1(VALU_DEP_1)
	v_sub_nc_u32_e32 v8, v10, v5
	v_subrev_co_ci_u32_e64 v8, s3, s17, v8, vcc_lo
	v_add_co_u32 v9, s3, v6, 2
	s_delay_alu instid0(VALU_DEP_1) | instskip(SKIP_3) | instid1(VALU_DEP_3)
	v_add_co_ci_u32_e64 v12, s3, 0, v7, s3
	v_sub_co_u32 v13, s3, v4, s16
	v_sub_co_ci_u32_e32 v5, vcc_lo, v10, v5, vcc_lo
	v_subrev_co_ci_u32_e64 v8, s3, 0, v8, s3
	v_cmp_le_u32_e32 vcc_lo, s16, v13
	s_delay_alu instid0(VALU_DEP_3) | instskip(SKIP_1) | instid1(VALU_DEP_4)
	v_cmp_eq_u32_e64 s3, s17, v5
	v_cndmask_b32_e64 v10, 0, -1, vcc_lo
	v_cmp_le_u32_e32 vcc_lo, s17, v8
	v_cndmask_b32_e64 v13, 0, -1, vcc_lo
	v_cmp_le_u32_e32 vcc_lo, s16, v4
	;; [unrolled: 2-line block ×3, first 2 shown]
	v_cndmask_b32_e64 v14, 0, -1, vcc_lo
	v_cmp_eq_u32_e32 vcc_lo, s17, v8
	s_delay_alu instid0(VALU_DEP_2) | instskip(SKIP_3) | instid1(VALU_DEP_3)
	v_cndmask_b32_e64 v4, v14, v4, s3
	v_cndmask_b32_e32 v8, v13, v10, vcc_lo
	v_add_co_u32 v10, vcc_lo, v6, 1
	v_add_co_ci_u32_e32 v13, vcc_lo, 0, v7, vcc_lo
	v_cmp_ne_u32_e32 vcc_lo, 0, v8
	s_delay_alu instid0(VALU_DEP_2) | instskip(SKIP_2) | instid1(VALU_DEP_3)
	v_dual_cndmask_b32 v5, v13, v12 :: v_dual_cndmask_b32 v8, v10, v9
	v_cmp_ne_u32_e32 vcc_lo, 0, v4
	v_xor_b32_e32 v9, s14, v11
	v_dual_cndmask_b32 v4, v7, v5 :: v_dual_cndmask_b32 v5, v6, v8
	s_delay_alu instid0(VALU_DEP_1) | instskip(NEXT) | instid1(VALU_DEP_2)
	v_xor_b32_e32 v6, v4, v9
	v_xor_b32_e32 v5, v5, v9
	s_delay_alu instid0(VALU_DEP_1) | instskip(NEXT) | instid1(VALU_DEP_3)
	v_sub_co_u32 v4, vcc_lo, v5, v9
	v_sub_co_ci_u32_e32 v5, vcc_lo, v6, v9, vcc_lo
.LBB81_127:
	s_and_not1_saveexec_b32 s3, s20
	s_cbranch_execz .LBB81_129
; %bb.128:
	v_cvt_f32_u32_e32 v4, s10
	s_sub_i32 s14, 0, s10
	s_delay_alu instid0(VALU_DEP_1) | instskip(SKIP_2) | instid1(VALU_DEP_1)
	v_rcp_iflag_f32_e32 v4, v4
	s_waitcnt_depctr 0xfff
	v_mul_f32_e32 v4, 0x4f7ffffe, v4
	v_cvt_u32_f32_e32 v4, v4
	s_delay_alu instid0(VALU_DEP_1) | instskip(NEXT) | instid1(VALU_DEP_1)
	v_mul_lo_u32 v5, s14, v4
	v_mul_hi_u32 v5, v4, v5
	s_delay_alu instid0(VALU_DEP_1) | instskip(NEXT) | instid1(VALU_DEP_1)
	v_add_nc_u32_e32 v4, v4, v5
	v_mul_hi_u32 v4, v2, v4
	s_delay_alu instid0(VALU_DEP_1) | instskip(SKIP_1) | instid1(VALU_DEP_2)
	v_mul_lo_u32 v5, v4, s10
	v_add_nc_u32_e32 v6, 1, v4
	v_sub_nc_u32_e32 v5, v2, v5
	s_delay_alu instid0(VALU_DEP_1) | instskip(SKIP_1) | instid1(VALU_DEP_2)
	v_subrev_nc_u32_e32 v7, s10, v5
	v_cmp_le_u32_e32 vcc_lo, s10, v5
	v_dual_cndmask_b32 v5, v5, v7 :: v_dual_cndmask_b32 v4, v4, v6
	s_delay_alu instid0(VALU_DEP_1) | instskip(NEXT) | instid1(VALU_DEP_2)
	v_cmp_le_u32_e32 vcc_lo, s10, v5
	v_dual_mov_b32 v5, 0 :: v_dual_add_nc_u32 v6, 1, v4
	s_delay_alu instid0(VALU_DEP_1)
	v_cndmask_b32_e32 v4, v4, v6, vcc_lo
.LBB81_129:
	s_or_b32 exec_lo, exec_lo, s3
	s_waitcnt lgkmcnt(0)
	s_delay_alu instid0(VALU_DEP_1) | instskip(SKIP_1) | instid1(VALU_DEP_1)
	v_or_b32_e32 v7, s13, v5
	v_mov_b32_e32 v6, 0
	v_cmp_ne_u64_e32 vcc_lo, 0, v[6:7]
                                        ; implicit-def: $vgpr6_vgpr7
	s_and_saveexec_b32 s3, vcc_lo
	s_delay_alu instid0(SALU_CYCLE_1)
	s_xor_b32 s16, exec_lo, s3
	s_cbranch_execz .LBB81_131
; %bb.130:
	s_ashr_i32 s14, s13, 31
	s_delay_alu instid0(SALU_CYCLE_1) | instskip(SKIP_2) | instid1(SALU_CYCLE_1)
	s_add_u32 s20, s12, s14
	s_mov_b32 s15, s14
	s_addc_u32 s21, s13, s14
	s_xor_b64 s[14:15], s[20:21], s[14:15]
	s_delay_alu instid0(SALU_CYCLE_1) | instskip(SKIP_3) | instid1(VALU_DEP_1)
	v_cvt_f32_u32_e32 v6, s14
	v_cvt_f32_u32_e32 v7, s15
	s_sub_u32 s3, 0, s14
	s_subb_u32 s17, 0, s15
	v_fmamk_f32 v6, v7, 0x4f800000, v6
	s_delay_alu instid0(VALU_DEP_1) | instskip(SKIP_2) | instid1(VALU_DEP_1)
	v_rcp_f32_e32 v6, v6
	s_waitcnt_depctr 0xfff
	v_mul_f32_e32 v6, 0x5f7ffffc, v6
	v_mul_f32_e32 v7, 0x2f800000, v6
	s_delay_alu instid0(VALU_DEP_1) | instskip(NEXT) | instid1(VALU_DEP_1)
	v_trunc_f32_e32 v7, v7
	v_fmamk_f32 v6, v7, 0xcf800000, v6
	v_cvt_u32_f32_e32 v7, v7
	s_delay_alu instid0(VALU_DEP_2) | instskip(NEXT) | instid1(VALU_DEP_2)
	v_cvt_u32_f32_e32 v6, v6
	v_mul_lo_u32 v8, s3, v7
	s_delay_alu instid0(VALU_DEP_2) | instskip(SKIP_1) | instid1(VALU_DEP_2)
	v_mul_hi_u32 v9, s3, v6
	v_mul_lo_u32 v10, s17, v6
	v_add_nc_u32_e32 v8, v9, v8
	v_mul_lo_u32 v9, s3, v6
	s_delay_alu instid0(VALU_DEP_2) | instskip(NEXT) | instid1(VALU_DEP_2)
	v_add_nc_u32_e32 v8, v8, v10
	v_mul_hi_u32 v10, v6, v9
	s_delay_alu instid0(VALU_DEP_2)
	v_mul_lo_u32 v11, v6, v8
	v_mul_hi_u32 v12, v6, v8
	v_mul_hi_u32 v13, v7, v9
	v_mul_lo_u32 v9, v7, v9
	v_mul_hi_u32 v14, v7, v8
	v_mul_lo_u32 v8, v7, v8
	v_add_co_u32 v10, vcc_lo, v10, v11
	v_add_co_ci_u32_e32 v11, vcc_lo, 0, v12, vcc_lo
	s_delay_alu instid0(VALU_DEP_2) | instskip(NEXT) | instid1(VALU_DEP_2)
	v_add_co_u32 v9, vcc_lo, v10, v9
	v_add_co_ci_u32_e32 v9, vcc_lo, v11, v13, vcc_lo
	v_add_co_ci_u32_e32 v10, vcc_lo, 0, v14, vcc_lo
	v_ashrrev_i32_e32 v13, 31, v5
	s_delay_alu instid0(VALU_DEP_3) | instskip(NEXT) | instid1(VALU_DEP_3)
	v_add_co_u32 v8, vcc_lo, v9, v8
	v_add_co_ci_u32_e32 v9, vcc_lo, 0, v10, vcc_lo
	s_delay_alu instid0(VALU_DEP_2) | instskip(NEXT) | instid1(VALU_DEP_2)
	v_add_co_u32 v6, vcc_lo, v6, v8
	v_add_co_ci_u32_e32 v7, vcc_lo, v7, v9, vcc_lo
	s_delay_alu instid0(VALU_DEP_2) | instskip(SKIP_1) | instid1(VALU_DEP_3)
	v_mul_hi_u32 v8, s3, v6
	v_mul_lo_u32 v10, s17, v6
	v_mul_lo_u32 v9, s3, v7
	s_delay_alu instid0(VALU_DEP_1) | instskip(SKIP_1) | instid1(VALU_DEP_2)
	v_add_nc_u32_e32 v8, v8, v9
	v_mul_lo_u32 v9, s3, v6
	v_add_nc_u32_e32 v8, v8, v10
	s_delay_alu instid0(VALU_DEP_2) | instskip(NEXT) | instid1(VALU_DEP_2)
	v_mul_hi_u32 v10, v6, v9
	v_mul_lo_u32 v11, v6, v8
	v_mul_hi_u32 v12, v6, v8
	v_mul_hi_u32 v14, v7, v9
	v_mul_lo_u32 v9, v7, v9
	v_mul_hi_u32 v15, v7, v8
	v_mul_lo_u32 v8, v7, v8
	v_add_co_u32 v10, vcc_lo, v10, v11
	v_add_co_ci_u32_e32 v11, vcc_lo, 0, v12, vcc_lo
	s_delay_alu instid0(VALU_DEP_2) | instskip(NEXT) | instid1(VALU_DEP_2)
	v_add_co_u32 v9, vcc_lo, v10, v9
	v_add_co_ci_u32_e32 v9, vcc_lo, v11, v14, vcc_lo
	v_add_co_ci_u32_e32 v10, vcc_lo, 0, v15, vcc_lo
	v_add_co_u32 v4, vcc_lo, v4, v13
	v_add_co_ci_u32_e32 v5, vcc_lo, v5, v13, vcc_lo
	s_delay_alu instid0(VALU_DEP_4) | instskip(NEXT) | instid1(VALU_DEP_4)
	v_add_co_u32 v8, vcc_lo, v9, v8
	v_add_co_ci_u32_e32 v9, vcc_lo, 0, v10, vcc_lo
	s_delay_alu instid0(VALU_DEP_4) | instskip(NEXT) | instid1(VALU_DEP_3)
	v_xor_b32_e32 v10, v4, v13
	v_add_co_u32 v8, vcc_lo, v6, v8
	s_delay_alu instid0(VALU_DEP_3) | instskip(SKIP_1) | instid1(VALU_DEP_3)
	v_add_co_ci_u32_e32 v11, vcc_lo, v7, v9, vcc_lo
	v_xor_b32_e32 v12, v5, v13
	v_mul_hi_u32 v14, v10, v8
	s_delay_alu instid0(VALU_DEP_3) | instskip(NEXT) | instid1(VALU_DEP_3)
	v_mad_u64_u32 v[4:5], null, v10, v11, 0
	v_mad_u64_u32 v[6:7], null, v12, v8, 0
	;; [unrolled: 1-line block ×3, first 2 shown]
	s_delay_alu instid0(VALU_DEP_3) | instskip(NEXT) | instid1(VALU_DEP_4)
	v_add_co_u32 v4, vcc_lo, v14, v4
	v_add_co_ci_u32_e32 v5, vcc_lo, 0, v5, vcc_lo
	s_delay_alu instid0(VALU_DEP_2) | instskip(NEXT) | instid1(VALU_DEP_2)
	v_add_co_u32 v4, vcc_lo, v4, v6
	v_add_co_ci_u32_e32 v4, vcc_lo, v5, v7, vcc_lo
	v_add_co_ci_u32_e32 v5, vcc_lo, 0, v9, vcc_lo
	s_delay_alu instid0(VALU_DEP_2) | instskip(NEXT) | instid1(VALU_DEP_2)
	v_add_co_u32 v6, vcc_lo, v4, v8
	v_add_co_ci_u32_e32 v7, vcc_lo, 0, v5, vcc_lo
	s_delay_alu instid0(VALU_DEP_2) | instskip(SKIP_1) | instid1(VALU_DEP_3)
	v_mul_lo_u32 v8, s15, v6
	v_mad_u64_u32 v[4:5], null, s14, v6, 0
	v_mul_lo_u32 v6, s14, v7
	s_delay_alu instid0(VALU_DEP_2) | instskip(NEXT) | instid1(VALU_DEP_2)
	v_sub_co_u32 v4, vcc_lo, v10, v4
	v_add3_u32 v5, v5, v6, v8
	s_delay_alu instid0(VALU_DEP_1) | instskip(NEXT) | instid1(VALU_DEP_1)
	v_sub_nc_u32_e32 v6, v12, v5
	v_subrev_co_ci_u32_e64 v6, s3, s15, v6, vcc_lo
	v_sub_co_ci_u32_e32 v5, vcc_lo, v12, v5, vcc_lo
	v_sub_co_u32 v7, vcc_lo, v4, s14
	s_delay_alu instid0(VALU_DEP_1) | instskip(SKIP_3) | instid1(VALU_DEP_3)
	v_subrev_co_ci_u32_e64 v8, s3, 0, v6, vcc_lo
	v_cmp_le_u32_e64 s3, s14, v4
	v_subrev_co_ci_u32_e32 v6, vcc_lo, s15, v6, vcc_lo
	v_cmp_le_u32_e32 vcc_lo, s15, v5
	v_cndmask_b32_e64 v9, 0, -1, s3
	v_cmp_le_u32_e64 s3, s14, v7
	v_cndmask_b32_e64 v12, 0, -1, vcc_lo
	v_cmp_eq_u32_e32 vcc_lo, s15, v8
	s_delay_alu instid0(VALU_DEP_3) | instskip(SKIP_1) | instid1(VALU_DEP_1)
	v_cndmask_b32_e64 v10, 0, -1, s3
	v_cmp_le_u32_e64 s3, s15, v8
	v_cndmask_b32_e64 v11, 0, -1, s3
	v_cmp_eq_u32_e64 s3, s15, v5
	s_delay_alu instid0(VALU_DEP_2) | instskip(SKIP_2) | instid1(VALU_DEP_3)
	v_cndmask_b32_e32 v10, v11, v10, vcc_lo
	v_sub_co_u32 v11, vcc_lo, v7, s14
	v_subrev_co_ci_u32_e32 v6, vcc_lo, 0, v6, vcc_lo
	v_cmp_ne_u32_e32 vcc_lo, 0, v10
	v_cndmask_b32_e64 v9, v12, v9, s3
	s_delay_alu instid0(VALU_DEP_3) | instskip(NEXT) | instid1(VALU_DEP_2)
	v_dual_cndmask_b32 v6, v8, v6 :: v_dual_cndmask_b32 v7, v7, v11
	v_cmp_ne_u32_e32 vcc_lo, 0, v9
	s_delay_alu instid0(VALU_DEP_2) | instskip(NEXT) | instid1(VALU_DEP_1)
	v_dual_cndmask_b32 v5, v5, v6 :: v_dual_cndmask_b32 v4, v4, v7
	v_xor_b32_e32 v5, v5, v13
	s_delay_alu instid0(VALU_DEP_2) | instskip(NEXT) | instid1(VALU_DEP_1)
	v_xor_b32_e32 v4, v4, v13
	v_sub_co_u32 v6, vcc_lo, v4, v13
	s_delay_alu instid0(VALU_DEP_3)
	v_sub_co_ci_u32_e32 v7, vcc_lo, v5, v13, vcc_lo
                                        ; implicit-def: $vgpr4_vgpr5
.LBB81_131:
	s_and_not1_saveexec_b32 s3, s16
	s_cbranch_execz .LBB81_133
; %bb.132:
	v_cvt_f32_u32_e32 v5, s12
	s_sub_i32 s14, 0, s12
	v_mov_b32_e32 v7, 0
	s_delay_alu instid0(VALU_DEP_2) | instskip(SKIP_2) | instid1(VALU_DEP_1)
	v_rcp_iflag_f32_e32 v5, v5
	s_waitcnt_depctr 0xfff
	v_mul_f32_e32 v5, 0x4f7ffffe, v5
	v_cvt_u32_f32_e32 v5, v5
	s_delay_alu instid0(VALU_DEP_1) | instskip(NEXT) | instid1(VALU_DEP_1)
	v_mul_lo_u32 v6, s14, v5
	v_mul_hi_u32 v6, v5, v6
	s_delay_alu instid0(VALU_DEP_1) | instskip(NEXT) | instid1(VALU_DEP_1)
	v_add_nc_u32_e32 v5, v5, v6
	v_mul_hi_u32 v5, v4, v5
	s_delay_alu instid0(VALU_DEP_1) | instskip(NEXT) | instid1(VALU_DEP_1)
	v_mul_lo_u32 v5, v5, s12
	v_sub_nc_u32_e32 v4, v4, v5
	s_delay_alu instid0(VALU_DEP_1) | instskip(SKIP_1) | instid1(VALU_DEP_2)
	v_subrev_nc_u32_e32 v5, s12, v4
	v_cmp_le_u32_e32 vcc_lo, s12, v4
	v_cndmask_b32_e32 v4, v4, v5, vcc_lo
	s_delay_alu instid0(VALU_DEP_1) | instskip(SKIP_1) | instid1(VALU_DEP_2)
	v_subrev_nc_u32_e32 v5, s12, v4
	v_cmp_le_u32_e32 vcc_lo, s12, v4
	v_cndmask_b32_e32 v6, v4, v5, vcc_lo
.LBB81_133:
	s_or_b32 exec_lo, exec_lo, s3
	s_lshl_b64 s[14:15], s[4:5], 5
	s_mul_i32 s3, s12, s11
	v_add_co_u32 v4, vcc_lo, v0, s14
	s_mul_hi_u32 s11, s12, s10
	v_add_co_ci_u32_e32 v5, vcc_lo, s15, v1, vcc_lo
	s_add_i32 s3, s11, s3
	s_mul_i32 s11, s13, s10
	s_mul_i32 s10, s12, s10
	s_add_i32 s11, s3, s11
	global_store_b64 v[4:5], v[6:7], off
	s_cmp_lt_i32 s18, 4
	s_cbranch_scc1 .LBB81_17
.LBB81_134:
	s_load_b64 s[12:13], s[0:1], 0x20
	s_waitcnt vmcnt(0)
	v_or_b32_e32 v5, s11, v3
	v_mov_b32_e32 v4, 0
	s_delay_alu instid0(VALU_DEP_1) | instskip(SKIP_1) | instid1(SALU_CYCLE_1)
	v_cmp_ne_u64_e32 vcc_lo, 0, v[4:5]
                                        ; implicit-def: $vgpr4_vgpr5
	s_and_saveexec_b32 s3, vcc_lo
	s_xor_b32 s20, exec_lo, s3
	s_cbranch_execz .LBB81_136
; %bb.135:
	s_ashr_i32 s14, s11, 31
	s_delay_alu instid0(SALU_CYCLE_1) | instskip(SKIP_2) | instid1(SALU_CYCLE_1)
	s_add_u32 s16, s10, s14
	s_mov_b32 s15, s14
	s_addc_u32 s17, s11, s14
	s_xor_b64 s[16:17], s[16:17], s[14:15]
	s_delay_alu instid0(SALU_CYCLE_1) | instskip(SKIP_3) | instid1(VALU_DEP_1)
	v_cvt_f32_u32_e32 v4, s16
	v_cvt_f32_u32_e32 v5, s17
	s_sub_u32 s3, 0, s16
	s_subb_u32 s15, 0, s17
	v_fmamk_f32 v4, v5, 0x4f800000, v4
	s_delay_alu instid0(VALU_DEP_1) | instskip(SKIP_2) | instid1(VALU_DEP_1)
	v_rcp_f32_e32 v4, v4
	s_waitcnt_depctr 0xfff
	v_mul_f32_e32 v4, 0x5f7ffffc, v4
	v_mul_f32_e32 v5, 0x2f800000, v4
	s_delay_alu instid0(VALU_DEP_1) | instskip(NEXT) | instid1(VALU_DEP_1)
	v_trunc_f32_e32 v5, v5
	v_fmamk_f32 v4, v5, 0xcf800000, v4
	v_cvt_u32_f32_e32 v5, v5
	s_delay_alu instid0(VALU_DEP_2) | instskip(NEXT) | instid1(VALU_DEP_2)
	v_cvt_u32_f32_e32 v4, v4
	v_mul_lo_u32 v6, s3, v5
	s_delay_alu instid0(VALU_DEP_2) | instskip(SKIP_1) | instid1(VALU_DEP_2)
	v_mul_hi_u32 v7, s3, v4
	v_mul_lo_u32 v8, s15, v4
	v_add_nc_u32_e32 v6, v7, v6
	v_mul_lo_u32 v7, s3, v4
	s_delay_alu instid0(VALU_DEP_2) | instskip(NEXT) | instid1(VALU_DEP_2)
	v_add_nc_u32_e32 v6, v6, v8
	v_mul_hi_u32 v8, v4, v7
	s_delay_alu instid0(VALU_DEP_2)
	v_mul_lo_u32 v9, v4, v6
	v_mul_hi_u32 v10, v4, v6
	v_mul_hi_u32 v11, v5, v7
	v_mul_lo_u32 v7, v5, v7
	v_mul_hi_u32 v12, v5, v6
	v_mul_lo_u32 v6, v5, v6
	v_add_co_u32 v8, vcc_lo, v8, v9
	v_add_co_ci_u32_e32 v9, vcc_lo, 0, v10, vcc_lo
	s_delay_alu instid0(VALU_DEP_2) | instskip(NEXT) | instid1(VALU_DEP_2)
	v_add_co_u32 v7, vcc_lo, v8, v7
	v_add_co_ci_u32_e32 v7, vcc_lo, v9, v11, vcc_lo
	v_add_co_ci_u32_e32 v8, vcc_lo, 0, v12, vcc_lo
	v_ashrrev_i32_e32 v11, 31, v3
	s_delay_alu instid0(VALU_DEP_3) | instskip(NEXT) | instid1(VALU_DEP_3)
	v_add_co_u32 v6, vcc_lo, v7, v6
	v_add_co_ci_u32_e32 v7, vcc_lo, 0, v8, vcc_lo
	s_delay_alu instid0(VALU_DEP_2) | instskip(NEXT) | instid1(VALU_DEP_2)
	v_add_co_u32 v4, vcc_lo, v4, v6
	v_add_co_ci_u32_e32 v5, vcc_lo, v5, v7, vcc_lo
	s_delay_alu instid0(VALU_DEP_2) | instskip(SKIP_1) | instid1(VALU_DEP_3)
	v_mul_hi_u32 v6, s3, v4
	v_mul_lo_u32 v8, s15, v4
	v_mul_lo_u32 v7, s3, v5
	s_delay_alu instid0(VALU_DEP_1) | instskip(SKIP_1) | instid1(VALU_DEP_2)
	v_add_nc_u32_e32 v6, v6, v7
	v_mul_lo_u32 v7, s3, v4
	v_add_nc_u32_e32 v6, v6, v8
	s_delay_alu instid0(VALU_DEP_2) | instskip(NEXT) | instid1(VALU_DEP_2)
	v_mul_hi_u32 v8, v4, v7
	v_mul_lo_u32 v9, v4, v6
	v_mul_hi_u32 v10, v4, v6
	v_mul_hi_u32 v12, v5, v7
	v_mul_lo_u32 v7, v5, v7
	v_mul_hi_u32 v13, v5, v6
	v_mul_lo_u32 v6, v5, v6
	v_add_co_u32 v8, vcc_lo, v8, v9
	v_add_co_ci_u32_e32 v9, vcc_lo, 0, v10, vcc_lo
	s_delay_alu instid0(VALU_DEP_2) | instskip(NEXT) | instid1(VALU_DEP_2)
	v_add_co_u32 v7, vcc_lo, v8, v7
	v_add_co_ci_u32_e32 v7, vcc_lo, v9, v12, vcc_lo
	v_add_co_ci_u32_e32 v8, vcc_lo, 0, v13, vcc_lo
	v_add_co_u32 v9, vcc_lo, v2, v11
	v_add_co_ci_u32_e32 v10, vcc_lo, v3, v11, vcc_lo
	s_delay_alu instid0(VALU_DEP_4) | instskip(NEXT) | instid1(VALU_DEP_4)
	v_add_co_u32 v6, vcc_lo, v7, v6
	v_add_co_ci_u32_e32 v7, vcc_lo, 0, v8, vcc_lo
	s_delay_alu instid0(VALU_DEP_4) | instskip(NEXT) | instid1(VALU_DEP_3)
	v_xor_b32_e32 v12, v9, v11
	v_add_co_u32 v8, vcc_lo, v4, v6
	s_delay_alu instid0(VALU_DEP_3) | instskip(SKIP_1) | instid1(VALU_DEP_3)
	v_add_co_ci_u32_e32 v13, vcc_lo, v5, v7, vcc_lo
	v_xor_b32_e32 v10, v10, v11
	v_mul_hi_u32 v14, v12, v8
	s_delay_alu instid0(VALU_DEP_3) | instskip(NEXT) | instid1(VALU_DEP_3)
	v_mad_u64_u32 v[4:5], null, v12, v13, 0
	v_mad_u64_u32 v[6:7], null, v10, v8, 0
	;; [unrolled: 1-line block ×3, first 2 shown]
	s_delay_alu instid0(VALU_DEP_3) | instskip(NEXT) | instid1(VALU_DEP_4)
	v_add_co_u32 v4, vcc_lo, v14, v4
	v_add_co_ci_u32_e32 v5, vcc_lo, 0, v5, vcc_lo
	s_delay_alu instid0(VALU_DEP_2) | instskip(NEXT) | instid1(VALU_DEP_2)
	v_add_co_u32 v4, vcc_lo, v4, v6
	v_add_co_ci_u32_e32 v4, vcc_lo, v5, v7, vcc_lo
	v_add_co_ci_u32_e32 v5, vcc_lo, 0, v9, vcc_lo
	s_delay_alu instid0(VALU_DEP_2) | instskip(NEXT) | instid1(VALU_DEP_2)
	v_add_co_u32 v6, vcc_lo, v4, v8
	v_add_co_ci_u32_e32 v7, vcc_lo, 0, v5, vcc_lo
	s_delay_alu instid0(VALU_DEP_2) | instskip(SKIP_1) | instid1(VALU_DEP_3)
	v_mul_lo_u32 v8, s17, v6
	v_mad_u64_u32 v[4:5], null, s16, v6, 0
	v_mul_lo_u32 v9, s16, v7
	s_delay_alu instid0(VALU_DEP_2) | instskip(NEXT) | instid1(VALU_DEP_2)
	v_sub_co_u32 v4, vcc_lo, v12, v4
	v_add3_u32 v5, v5, v9, v8
	s_delay_alu instid0(VALU_DEP_1) | instskip(NEXT) | instid1(VALU_DEP_1)
	v_sub_nc_u32_e32 v8, v10, v5
	v_subrev_co_ci_u32_e64 v8, s3, s17, v8, vcc_lo
	v_add_co_u32 v9, s3, v6, 2
	s_delay_alu instid0(VALU_DEP_1) | instskip(SKIP_3) | instid1(VALU_DEP_3)
	v_add_co_ci_u32_e64 v12, s3, 0, v7, s3
	v_sub_co_u32 v13, s3, v4, s16
	v_sub_co_ci_u32_e32 v5, vcc_lo, v10, v5, vcc_lo
	v_subrev_co_ci_u32_e64 v8, s3, 0, v8, s3
	v_cmp_le_u32_e32 vcc_lo, s16, v13
	s_delay_alu instid0(VALU_DEP_3) | instskip(SKIP_1) | instid1(VALU_DEP_4)
	v_cmp_eq_u32_e64 s3, s17, v5
	v_cndmask_b32_e64 v10, 0, -1, vcc_lo
	v_cmp_le_u32_e32 vcc_lo, s17, v8
	v_cndmask_b32_e64 v13, 0, -1, vcc_lo
	v_cmp_le_u32_e32 vcc_lo, s16, v4
	;; [unrolled: 2-line block ×3, first 2 shown]
	v_cndmask_b32_e64 v14, 0, -1, vcc_lo
	v_cmp_eq_u32_e32 vcc_lo, s17, v8
	s_delay_alu instid0(VALU_DEP_2) | instskip(SKIP_3) | instid1(VALU_DEP_3)
	v_cndmask_b32_e64 v4, v14, v4, s3
	v_cndmask_b32_e32 v8, v13, v10, vcc_lo
	v_add_co_u32 v10, vcc_lo, v6, 1
	v_add_co_ci_u32_e32 v13, vcc_lo, 0, v7, vcc_lo
	v_cmp_ne_u32_e32 vcc_lo, 0, v8
	s_delay_alu instid0(VALU_DEP_2) | instskip(SKIP_2) | instid1(VALU_DEP_3)
	v_dual_cndmask_b32 v5, v13, v12 :: v_dual_cndmask_b32 v8, v10, v9
	v_cmp_ne_u32_e32 vcc_lo, 0, v4
	v_xor_b32_e32 v9, s14, v11
	v_dual_cndmask_b32 v4, v7, v5 :: v_dual_cndmask_b32 v5, v6, v8
	s_delay_alu instid0(VALU_DEP_1) | instskip(NEXT) | instid1(VALU_DEP_2)
	v_xor_b32_e32 v6, v4, v9
	v_xor_b32_e32 v5, v5, v9
	s_delay_alu instid0(VALU_DEP_1) | instskip(NEXT) | instid1(VALU_DEP_3)
	v_sub_co_u32 v4, vcc_lo, v5, v9
	v_sub_co_ci_u32_e32 v5, vcc_lo, v6, v9, vcc_lo
.LBB81_136:
	s_and_not1_saveexec_b32 s3, s20
	s_cbranch_execz .LBB81_138
; %bb.137:
	v_cvt_f32_u32_e32 v4, s10
	s_sub_i32 s14, 0, s10
	s_delay_alu instid0(VALU_DEP_1) | instskip(SKIP_2) | instid1(VALU_DEP_1)
	v_rcp_iflag_f32_e32 v4, v4
	s_waitcnt_depctr 0xfff
	v_mul_f32_e32 v4, 0x4f7ffffe, v4
	v_cvt_u32_f32_e32 v4, v4
	s_delay_alu instid0(VALU_DEP_1) | instskip(NEXT) | instid1(VALU_DEP_1)
	v_mul_lo_u32 v5, s14, v4
	v_mul_hi_u32 v5, v4, v5
	s_delay_alu instid0(VALU_DEP_1) | instskip(NEXT) | instid1(VALU_DEP_1)
	v_add_nc_u32_e32 v4, v4, v5
	v_mul_hi_u32 v4, v2, v4
	s_delay_alu instid0(VALU_DEP_1) | instskip(SKIP_1) | instid1(VALU_DEP_2)
	v_mul_lo_u32 v5, v4, s10
	v_add_nc_u32_e32 v6, 1, v4
	v_sub_nc_u32_e32 v5, v2, v5
	s_delay_alu instid0(VALU_DEP_1) | instskip(SKIP_1) | instid1(VALU_DEP_2)
	v_subrev_nc_u32_e32 v7, s10, v5
	v_cmp_le_u32_e32 vcc_lo, s10, v5
	v_dual_cndmask_b32 v5, v5, v7 :: v_dual_cndmask_b32 v4, v4, v6
	s_delay_alu instid0(VALU_DEP_1) | instskip(NEXT) | instid1(VALU_DEP_2)
	v_cmp_le_u32_e32 vcc_lo, s10, v5
	v_dual_mov_b32 v5, 0 :: v_dual_add_nc_u32 v6, 1, v4
	s_delay_alu instid0(VALU_DEP_1)
	v_cndmask_b32_e32 v4, v4, v6, vcc_lo
.LBB81_138:
	s_or_b32 exec_lo, exec_lo, s3
	s_waitcnt lgkmcnt(0)
	s_delay_alu instid0(VALU_DEP_1) | instskip(SKIP_1) | instid1(VALU_DEP_1)
	v_or_b32_e32 v7, s13, v5
	v_mov_b32_e32 v6, 0
	v_cmp_ne_u64_e32 vcc_lo, 0, v[6:7]
                                        ; implicit-def: $vgpr6_vgpr7
	s_and_saveexec_b32 s3, vcc_lo
	s_delay_alu instid0(SALU_CYCLE_1)
	s_xor_b32 s16, exec_lo, s3
	s_cbranch_execz .LBB81_140
; %bb.139:
	s_ashr_i32 s14, s13, 31
	s_delay_alu instid0(SALU_CYCLE_1) | instskip(SKIP_2) | instid1(SALU_CYCLE_1)
	s_add_u32 s20, s12, s14
	s_mov_b32 s15, s14
	s_addc_u32 s21, s13, s14
	s_xor_b64 s[14:15], s[20:21], s[14:15]
	s_delay_alu instid0(SALU_CYCLE_1) | instskip(SKIP_3) | instid1(VALU_DEP_1)
	v_cvt_f32_u32_e32 v6, s14
	v_cvt_f32_u32_e32 v7, s15
	s_sub_u32 s3, 0, s14
	s_subb_u32 s17, 0, s15
	v_fmamk_f32 v6, v7, 0x4f800000, v6
	s_delay_alu instid0(VALU_DEP_1) | instskip(SKIP_2) | instid1(VALU_DEP_1)
	v_rcp_f32_e32 v6, v6
	s_waitcnt_depctr 0xfff
	v_mul_f32_e32 v6, 0x5f7ffffc, v6
	v_mul_f32_e32 v7, 0x2f800000, v6
	s_delay_alu instid0(VALU_DEP_1) | instskip(NEXT) | instid1(VALU_DEP_1)
	v_trunc_f32_e32 v7, v7
	v_fmamk_f32 v6, v7, 0xcf800000, v6
	v_cvt_u32_f32_e32 v7, v7
	s_delay_alu instid0(VALU_DEP_2) | instskip(NEXT) | instid1(VALU_DEP_2)
	v_cvt_u32_f32_e32 v6, v6
	v_mul_lo_u32 v8, s3, v7
	s_delay_alu instid0(VALU_DEP_2) | instskip(SKIP_1) | instid1(VALU_DEP_2)
	v_mul_hi_u32 v9, s3, v6
	v_mul_lo_u32 v10, s17, v6
	v_add_nc_u32_e32 v8, v9, v8
	v_mul_lo_u32 v9, s3, v6
	s_delay_alu instid0(VALU_DEP_2) | instskip(NEXT) | instid1(VALU_DEP_2)
	v_add_nc_u32_e32 v8, v8, v10
	v_mul_hi_u32 v10, v6, v9
	s_delay_alu instid0(VALU_DEP_2)
	v_mul_lo_u32 v11, v6, v8
	v_mul_hi_u32 v12, v6, v8
	v_mul_hi_u32 v13, v7, v9
	v_mul_lo_u32 v9, v7, v9
	v_mul_hi_u32 v14, v7, v8
	v_mul_lo_u32 v8, v7, v8
	v_add_co_u32 v10, vcc_lo, v10, v11
	v_add_co_ci_u32_e32 v11, vcc_lo, 0, v12, vcc_lo
	s_delay_alu instid0(VALU_DEP_2) | instskip(NEXT) | instid1(VALU_DEP_2)
	v_add_co_u32 v9, vcc_lo, v10, v9
	v_add_co_ci_u32_e32 v9, vcc_lo, v11, v13, vcc_lo
	v_add_co_ci_u32_e32 v10, vcc_lo, 0, v14, vcc_lo
	v_ashrrev_i32_e32 v13, 31, v5
	s_delay_alu instid0(VALU_DEP_3) | instskip(NEXT) | instid1(VALU_DEP_3)
	v_add_co_u32 v8, vcc_lo, v9, v8
	v_add_co_ci_u32_e32 v9, vcc_lo, 0, v10, vcc_lo
	s_delay_alu instid0(VALU_DEP_2) | instskip(NEXT) | instid1(VALU_DEP_2)
	v_add_co_u32 v6, vcc_lo, v6, v8
	v_add_co_ci_u32_e32 v7, vcc_lo, v7, v9, vcc_lo
	s_delay_alu instid0(VALU_DEP_2) | instskip(SKIP_1) | instid1(VALU_DEP_3)
	v_mul_hi_u32 v8, s3, v6
	v_mul_lo_u32 v10, s17, v6
	v_mul_lo_u32 v9, s3, v7
	s_delay_alu instid0(VALU_DEP_1) | instskip(SKIP_1) | instid1(VALU_DEP_2)
	v_add_nc_u32_e32 v8, v8, v9
	v_mul_lo_u32 v9, s3, v6
	v_add_nc_u32_e32 v8, v8, v10
	s_delay_alu instid0(VALU_DEP_2) | instskip(NEXT) | instid1(VALU_DEP_2)
	v_mul_hi_u32 v10, v6, v9
	v_mul_lo_u32 v11, v6, v8
	v_mul_hi_u32 v12, v6, v8
	v_mul_hi_u32 v14, v7, v9
	v_mul_lo_u32 v9, v7, v9
	v_mul_hi_u32 v15, v7, v8
	v_mul_lo_u32 v8, v7, v8
	v_add_co_u32 v10, vcc_lo, v10, v11
	v_add_co_ci_u32_e32 v11, vcc_lo, 0, v12, vcc_lo
	s_delay_alu instid0(VALU_DEP_2) | instskip(NEXT) | instid1(VALU_DEP_2)
	v_add_co_u32 v9, vcc_lo, v10, v9
	v_add_co_ci_u32_e32 v9, vcc_lo, v11, v14, vcc_lo
	v_add_co_ci_u32_e32 v10, vcc_lo, 0, v15, vcc_lo
	v_add_co_u32 v4, vcc_lo, v4, v13
	v_add_co_ci_u32_e32 v5, vcc_lo, v5, v13, vcc_lo
	s_delay_alu instid0(VALU_DEP_4) | instskip(NEXT) | instid1(VALU_DEP_4)
	v_add_co_u32 v8, vcc_lo, v9, v8
	v_add_co_ci_u32_e32 v9, vcc_lo, 0, v10, vcc_lo
	s_delay_alu instid0(VALU_DEP_4) | instskip(NEXT) | instid1(VALU_DEP_3)
	v_xor_b32_e32 v10, v4, v13
	v_add_co_u32 v8, vcc_lo, v6, v8
	s_delay_alu instid0(VALU_DEP_3) | instskip(SKIP_1) | instid1(VALU_DEP_3)
	v_add_co_ci_u32_e32 v11, vcc_lo, v7, v9, vcc_lo
	v_xor_b32_e32 v12, v5, v13
	v_mul_hi_u32 v14, v10, v8
	s_delay_alu instid0(VALU_DEP_3) | instskip(NEXT) | instid1(VALU_DEP_3)
	v_mad_u64_u32 v[4:5], null, v10, v11, 0
	v_mad_u64_u32 v[6:7], null, v12, v8, 0
	v_mad_u64_u32 v[8:9], null, v12, v11, 0
	s_delay_alu instid0(VALU_DEP_3) | instskip(NEXT) | instid1(VALU_DEP_4)
	v_add_co_u32 v4, vcc_lo, v14, v4
	v_add_co_ci_u32_e32 v5, vcc_lo, 0, v5, vcc_lo
	s_delay_alu instid0(VALU_DEP_2) | instskip(NEXT) | instid1(VALU_DEP_2)
	v_add_co_u32 v4, vcc_lo, v4, v6
	v_add_co_ci_u32_e32 v4, vcc_lo, v5, v7, vcc_lo
	v_add_co_ci_u32_e32 v5, vcc_lo, 0, v9, vcc_lo
	s_delay_alu instid0(VALU_DEP_2) | instskip(NEXT) | instid1(VALU_DEP_2)
	v_add_co_u32 v6, vcc_lo, v4, v8
	v_add_co_ci_u32_e32 v7, vcc_lo, 0, v5, vcc_lo
	s_delay_alu instid0(VALU_DEP_2) | instskip(SKIP_1) | instid1(VALU_DEP_3)
	v_mul_lo_u32 v8, s15, v6
	v_mad_u64_u32 v[4:5], null, s14, v6, 0
	v_mul_lo_u32 v6, s14, v7
	s_delay_alu instid0(VALU_DEP_2) | instskip(NEXT) | instid1(VALU_DEP_2)
	v_sub_co_u32 v4, vcc_lo, v10, v4
	v_add3_u32 v5, v5, v6, v8
	s_delay_alu instid0(VALU_DEP_1) | instskip(NEXT) | instid1(VALU_DEP_1)
	v_sub_nc_u32_e32 v6, v12, v5
	v_subrev_co_ci_u32_e64 v6, s3, s15, v6, vcc_lo
	v_sub_co_ci_u32_e32 v5, vcc_lo, v12, v5, vcc_lo
	v_sub_co_u32 v7, vcc_lo, v4, s14
	s_delay_alu instid0(VALU_DEP_1) | instskip(SKIP_3) | instid1(VALU_DEP_3)
	v_subrev_co_ci_u32_e64 v8, s3, 0, v6, vcc_lo
	v_cmp_le_u32_e64 s3, s14, v4
	v_subrev_co_ci_u32_e32 v6, vcc_lo, s15, v6, vcc_lo
	v_cmp_le_u32_e32 vcc_lo, s15, v5
	v_cndmask_b32_e64 v9, 0, -1, s3
	v_cmp_le_u32_e64 s3, s14, v7
	v_cndmask_b32_e64 v12, 0, -1, vcc_lo
	v_cmp_eq_u32_e32 vcc_lo, s15, v8
	s_delay_alu instid0(VALU_DEP_3) | instskip(SKIP_1) | instid1(VALU_DEP_1)
	v_cndmask_b32_e64 v10, 0, -1, s3
	v_cmp_le_u32_e64 s3, s15, v8
	v_cndmask_b32_e64 v11, 0, -1, s3
	v_cmp_eq_u32_e64 s3, s15, v5
	s_delay_alu instid0(VALU_DEP_2) | instskip(SKIP_2) | instid1(VALU_DEP_3)
	v_cndmask_b32_e32 v10, v11, v10, vcc_lo
	v_sub_co_u32 v11, vcc_lo, v7, s14
	v_subrev_co_ci_u32_e32 v6, vcc_lo, 0, v6, vcc_lo
	v_cmp_ne_u32_e32 vcc_lo, 0, v10
	v_cndmask_b32_e64 v9, v12, v9, s3
	s_delay_alu instid0(VALU_DEP_3) | instskip(NEXT) | instid1(VALU_DEP_2)
	v_dual_cndmask_b32 v6, v8, v6 :: v_dual_cndmask_b32 v7, v7, v11
	v_cmp_ne_u32_e32 vcc_lo, 0, v9
	s_delay_alu instid0(VALU_DEP_2) | instskip(NEXT) | instid1(VALU_DEP_1)
	v_dual_cndmask_b32 v5, v5, v6 :: v_dual_cndmask_b32 v4, v4, v7
	v_xor_b32_e32 v5, v5, v13
	s_delay_alu instid0(VALU_DEP_2) | instskip(NEXT) | instid1(VALU_DEP_1)
	v_xor_b32_e32 v4, v4, v13
	v_sub_co_u32 v6, vcc_lo, v4, v13
	s_delay_alu instid0(VALU_DEP_3)
	v_sub_co_ci_u32_e32 v7, vcc_lo, v5, v13, vcc_lo
                                        ; implicit-def: $vgpr4_vgpr5
.LBB81_140:
	s_and_not1_saveexec_b32 s3, s16
	s_cbranch_execz .LBB81_142
; %bb.141:
	v_cvt_f32_u32_e32 v5, s12
	s_sub_i32 s14, 0, s12
	v_mov_b32_e32 v7, 0
	s_delay_alu instid0(VALU_DEP_2) | instskip(SKIP_2) | instid1(VALU_DEP_1)
	v_rcp_iflag_f32_e32 v5, v5
	s_waitcnt_depctr 0xfff
	v_mul_f32_e32 v5, 0x4f7ffffe, v5
	v_cvt_u32_f32_e32 v5, v5
	s_delay_alu instid0(VALU_DEP_1) | instskip(NEXT) | instid1(VALU_DEP_1)
	v_mul_lo_u32 v6, s14, v5
	v_mul_hi_u32 v6, v5, v6
	s_delay_alu instid0(VALU_DEP_1) | instskip(NEXT) | instid1(VALU_DEP_1)
	v_add_nc_u32_e32 v5, v5, v6
	v_mul_hi_u32 v5, v4, v5
	s_delay_alu instid0(VALU_DEP_1) | instskip(NEXT) | instid1(VALU_DEP_1)
	v_mul_lo_u32 v5, v5, s12
	v_sub_nc_u32_e32 v4, v4, v5
	s_delay_alu instid0(VALU_DEP_1) | instskip(SKIP_1) | instid1(VALU_DEP_2)
	v_subrev_nc_u32_e32 v5, s12, v4
	v_cmp_le_u32_e32 vcc_lo, s12, v4
	v_cndmask_b32_e32 v4, v4, v5, vcc_lo
	s_delay_alu instid0(VALU_DEP_1) | instskip(SKIP_1) | instid1(VALU_DEP_2)
	v_subrev_nc_u32_e32 v5, s12, v4
	v_cmp_le_u32_e32 vcc_lo, s12, v4
	v_cndmask_b32_e32 v6, v4, v5, vcc_lo
.LBB81_142:
	s_or_b32 exec_lo, exec_lo, s3
	v_mad_u64_u32 v[4:5], null, s4, 24, v[0:1]
	s_mul_i32 s3, s12, s11
	s_mul_hi_u32 s11, s12, s10
	s_delay_alu instid0(SALU_CYCLE_1) | instskip(SKIP_2) | instid1(VALU_DEP_1)
	s_add_i32 s3, s11, s3
	s_mul_i32 s11, s13, s10
	s_mul_i32 s10, s12, s10
	v_mad_u64_u32 v[8:9], null, s5, 24, v[5:6]
	s_add_i32 s11, s3, s11
	s_delay_alu instid0(VALU_DEP_1)
	v_mov_b32_e32 v5, v8
	global_store_b64 v[4:5], v[6:7], off
	s_cmp_lt_i32 s18, 3
	s_cbranch_scc1 .LBB81_18
.LBB81_143:
	s_load_b64 s[12:13], s[0:1], 0x18
	s_waitcnt vmcnt(0)
	v_or_b32_e32 v5, s11, v3
	v_mov_b32_e32 v4, 0
	s_delay_alu instid0(VALU_DEP_1) | instskip(SKIP_1) | instid1(SALU_CYCLE_1)
	v_cmp_ne_u64_e32 vcc_lo, 0, v[4:5]
                                        ; implicit-def: $vgpr4_vgpr5
	s_and_saveexec_b32 s3, vcc_lo
	s_xor_b32 s20, exec_lo, s3
	s_cbranch_execz .LBB81_145
; %bb.144:
	s_ashr_i32 s14, s11, 31
	s_delay_alu instid0(SALU_CYCLE_1) | instskip(SKIP_2) | instid1(SALU_CYCLE_1)
	s_add_u32 s16, s10, s14
	s_mov_b32 s15, s14
	s_addc_u32 s17, s11, s14
	s_xor_b64 s[16:17], s[16:17], s[14:15]
	s_delay_alu instid0(SALU_CYCLE_1) | instskip(SKIP_3) | instid1(VALU_DEP_1)
	v_cvt_f32_u32_e32 v4, s16
	v_cvt_f32_u32_e32 v5, s17
	s_sub_u32 s3, 0, s16
	s_subb_u32 s15, 0, s17
	v_fmamk_f32 v4, v5, 0x4f800000, v4
	s_delay_alu instid0(VALU_DEP_1) | instskip(SKIP_2) | instid1(VALU_DEP_1)
	v_rcp_f32_e32 v4, v4
	s_waitcnt_depctr 0xfff
	v_mul_f32_e32 v4, 0x5f7ffffc, v4
	v_mul_f32_e32 v5, 0x2f800000, v4
	s_delay_alu instid0(VALU_DEP_1) | instskip(NEXT) | instid1(VALU_DEP_1)
	v_trunc_f32_e32 v5, v5
	v_fmamk_f32 v4, v5, 0xcf800000, v4
	v_cvt_u32_f32_e32 v5, v5
	s_delay_alu instid0(VALU_DEP_2) | instskip(NEXT) | instid1(VALU_DEP_2)
	v_cvt_u32_f32_e32 v4, v4
	v_mul_lo_u32 v6, s3, v5
	s_delay_alu instid0(VALU_DEP_2) | instskip(SKIP_1) | instid1(VALU_DEP_2)
	v_mul_hi_u32 v7, s3, v4
	v_mul_lo_u32 v8, s15, v4
	v_add_nc_u32_e32 v6, v7, v6
	v_mul_lo_u32 v7, s3, v4
	s_delay_alu instid0(VALU_DEP_2) | instskip(NEXT) | instid1(VALU_DEP_2)
	v_add_nc_u32_e32 v6, v6, v8
	v_mul_hi_u32 v8, v4, v7
	s_delay_alu instid0(VALU_DEP_2)
	v_mul_lo_u32 v9, v4, v6
	v_mul_hi_u32 v10, v4, v6
	v_mul_hi_u32 v11, v5, v7
	v_mul_lo_u32 v7, v5, v7
	v_mul_hi_u32 v12, v5, v6
	v_mul_lo_u32 v6, v5, v6
	v_add_co_u32 v8, vcc_lo, v8, v9
	v_add_co_ci_u32_e32 v9, vcc_lo, 0, v10, vcc_lo
	s_delay_alu instid0(VALU_DEP_2) | instskip(NEXT) | instid1(VALU_DEP_2)
	v_add_co_u32 v7, vcc_lo, v8, v7
	v_add_co_ci_u32_e32 v7, vcc_lo, v9, v11, vcc_lo
	v_add_co_ci_u32_e32 v8, vcc_lo, 0, v12, vcc_lo
	v_ashrrev_i32_e32 v11, 31, v3
	s_delay_alu instid0(VALU_DEP_3) | instskip(NEXT) | instid1(VALU_DEP_3)
	v_add_co_u32 v6, vcc_lo, v7, v6
	v_add_co_ci_u32_e32 v7, vcc_lo, 0, v8, vcc_lo
	s_delay_alu instid0(VALU_DEP_2) | instskip(NEXT) | instid1(VALU_DEP_2)
	v_add_co_u32 v4, vcc_lo, v4, v6
	v_add_co_ci_u32_e32 v5, vcc_lo, v5, v7, vcc_lo
	s_delay_alu instid0(VALU_DEP_2) | instskip(SKIP_1) | instid1(VALU_DEP_3)
	v_mul_hi_u32 v6, s3, v4
	v_mul_lo_u32 v8, s15, v4
	v_mul_lo_u32 v7, s3, v5
	s_delay_alu instid0(VALU_DEP_1) | instskip(SKIP_1) | instid1(VALU_DEP_2)
	v_add_nc_u32_e32 v6, v6, v7
	v_mul_lo_u32 v7, s3, v4
	v_add_nc_u32_e32 v6, v6, v8
	s_delay_alu instid0(VALU_DEP_2) | instskip(NEXT) | instid1(VALU_DEP_2)
	v_mul_hi_u32 v8, v4, v7
	v_mul_lo_u32 v9, v4, v6
	v_mul_hi_u32 v10, v4, v6
	v_mul_hi_u32 v12, v5, v7
	v_mul_lo_u32 v7, v5, v7
	v_mul_hi_u32 v13, v5, v6
	v_mul_lo_u32 v6, v5, v6
	v_add_co_u32 v8, vcc_lo, v8, v9
	v_add_co_ci_u32_e32 v9, vcc_lo, 0, v10, vcc_lo
	s_delay_alu instid0(VALU_DEP_2) | instskip(NEXT) | instid1(VALU_DEP_2)
	v_add_co_u32 v7, vcc_lo, v8, v7
	v_add_co_ci_u32_e32 v7, vcc_lo, v9, v12, vcc_lo
	v_add_co_ci_u32_e32 v8, vcc_lo, 0, v13, vcc_lo
	v_add_co_u32 v9, vcc_lo, v2, v11
	v_add_co_ci_u32_e32 v10, vcc_lo, v3, v11, vcc_lo
	s_delay_alu instid0(VALU_DEP_4) | instskip(NEXT) | instid1(VALU_DEP_4)
	v_add_co_u32 v6, vcc_lo, v7, v6
	v_add_co_ci_u32_e32 v7, vcc_lo, 0, v8, vcc_lo
	s_delay_alu instid0(VALU_DEP_4) | instskip(NEXT) | instid1(VALU_DEP_3)
	v_xor_b32_e32 v12, v9, v11
	v_add_co_u32 v8, vcc_lo, v4, v6
	s_delay_alu instid0(VALU_DEP_3) | instskip(SKIP_1) | instid1(VALU_DEP_3)
	v_add_co_ci_u32_e32 v13, vcc_lo, v5, v7, vcc_lo
	v_xor_b32_e32 v10, v10, v11
	v_mul_hi_u32 v14, v12, v8
	s_delay_alu instid0(VALU_DEP_3) | instskip(NEXT) | instid1(VALU_DEP_3)
	v_mad_u64_u32 v[4:5], null, v12, v13, 0
	v_mad_u64_u32 v[6:7], null, v10, v8, 0
	;; [unrolled: 1-line block ×3, first 2 shown]
	s_delay_alu instid0(VALU_DEP_3) | instskip(NEXT) | instid1(VALU_DEP_4)
	v_add_co_u32 v4, vcc_lo, v14, v4
	v_add_co_ci_u32_e32 v5, vcc_lo, 0, v5, vcc_lo
	s_delay_alu instid0(VALU_DEP_2) | instskip(NEXT) | instid1(VALU_DEP_2)
	v_add_co_u32 v4, vcc_lo, v4, v6
	v_add_co_ci_u32_e32 v4, vcc_lo, v5, v7, vcc_lo
	v_add_co_ci_u32_e32 v5, vcc_lo, 0, v9, vcc_lo
	s_delay_alu instid0(VALU_DEP_2) | instskip(NEXT) | instid1(VALU_DEP_2)
	v_add_co_u32 v6, vcc_lo, v4, v8
	v_add_co_ci_u32_e32 v7, vcc_lo, 0, v5, vcc_lo
	s_delay_alu instid0(VALU_DEP_2) | instskip(SKIP_1) | instid1(VALU_DEP_3)
	v_mul_lo_u32 v8, s17, v6
	v_mad_u64_u32 v[4:5], null, s16, v6, 0
	v_mul_lo_u32 v9, s16, v7
	s_delay_alu instid0(VALU_DEP_2) | instskip(NEXT) | instid1(VALU_DEP_2)
	v_sub_co_u32 v4, vcc_lo, v12, v4
	v_add3_u32 v5, v5, v9, v8
	s_delay_alu instid0(VALU_DEP_1) | instskip(NEXT) | instid1(VALU_DEP_1)
	v_sub_nc_u32_e32 v8, v10, v5
	v_subrev_co_ci_u32_e64 v8, s3, s17, v8, vcc_lo
	v_add_co_u32 v9, s3, v6, 2
	s_delay_alu instid0(VALU_DEP_1) | instskip(SKIP_3) | instid1(VALU_DEP_3)
	v_add_co_ci_u32_e64 v12, s3, 0, v7, s3
	v_sub_co_u32 v13, s3, v4, s16
	v_sub_co_ci_u32_e32 v5, vcc_lo, v10, v5, vcc_lo
	v_subrev_co_ci_u32_e64 v8, s3, 0, v8, s3
	v_cmp_le_u32_e32 vcc_lo, s16, v13
	s_delay_alu instid0(VALU_DEP_3) | instskip(SKIP_1) | instid1(VALU_DEP_4)
	v_cmp_eq_u32_e64 s3, s17, v5
	v_cndmask_b32_e64 v10, 0, -1, vcc_lo
	v_cmp_le_u32_e32 vcc_lo, s17, v8
	v_cndmask_b32_e64 v13, 0, -1, vcc_lo
	v_cmp_le_u32_e32 vcc_lo, s16, v4
	;; [unrolled: 2-line block ×3, first 2 shown]
	v_cndmask_b32_e64 v14, 0, -1, vcc_lo
	v_cmp_eq_u32_e32 vcc_lo, s17, v8
	s_delay_alu instid0(VALU_DEP_2) | instskip(SKIP_3) | instid1(VALU_DEP_3)
	v_cndmask_b32_e64 v4, v14, v4, s3
	v_cndmask_b32_e32 v8, v13, v10, vcc_lo
	v_add_co_u32 v10, vcc_lo, v6, 1
	v_add_co_ci_u32_e32 v13, vcc_lo, 0, v7, vcc_lo
	v_cmp_ne_u32_e32 vcc_lo, 0, v8
	s_delay_alu instid0(VALU_DEP_2) | instskip(SKIP_2) | instid1(VALU_DEP_3)
	v_dual_cndmask_b32 v5, v13, v12 :: v_dual_cndmask_b32 v8, v10, v9
	v_cmp_ne_u32_e32 vcc_lo, 0, v4
	v_xor_b32_e32 v9, s14, v11
	v_dual_cndmask_b32 v4, v7, v5 :: v_dual_cndmask_b32 v5, v6, v8
	s_delay_alu instid0(VALU_DEP_1) | instskip(NEXT) | instid1(VALU_DEP_2)
	v_xor_b32_e32 v6, v4, v9
	v_xor_b32_e32 v5, v5, v9
	s_delay_alu instid0(VALU_DEP_1) | instskip(NEXT) | instid1(VALU_DEP_3)
	v_sub_co_u32 v4, vcc_lo, v5, v9
	v_sub_co_ci_u32_e32 v5, vcc_lo, v6, v9, vcc_lo
.LBB81_145:
	s_and_not1_saveexec_b32 s3, s20
	s_cbranch_execz .LBB81_147
; %bb.146:
	v_cvt_f32_u32_e32 v4, s10
	s_sub_i32 s14, 0, s10
	s_delay_alu instid0(VALU_DEP_1) | instskip(SKIP_2) | instid1(VALU_DEP_1)
	v_rcp_iflag_f32_e32 v4, v4
	s_waitcnt_depctr 0xfff
	v_mul_f32_e32 v4, 0x4f7ffffe, v4
	v_cvt_u32_f32_e32 v4, v4
	s_delay_alu instid0(VALU_DEP_1) | instskip(NEXT) | instid1(VALU_DEP_1)
	v_mul_lo_u32 v5, s14, v4
	v_mul_hi_u32 v5, v4, v5
	s_delay_alu instid0(VALU_DEP_1) | instskip(NEXT) | instid1(VALU_DEP_1)
	v_add_nc_u32_e32 v4, v4, v5
	v_mul_hi_u32 v4, v2, v4
	s_delay_alu instid0(VALU_DEP_1) | instskip(SKIP_1) | instid1(VALU_DEP_2)
	v_mul_lo_u32 v5, v4, s10
	v_add_nc_u32_e32 v6, 1, v4
	v_sub_nc_u32_e32 v5, v2, v5
	s_delay_alu instid0(VALU_DEP_1) | instskip(SKIP_1) | instid1(VALU_DEP_2)
	v_subrev_nc_u32_e32 v7, s10, v5
	v_cmp_le_u32_e32 vcc_lo, s10, v5
	v_dual_cndmask_b32 v5, v5, v7 :: v_dual_cndmask_b32 v4, v4, v6
	s_delay_alu instid0(VALU_DEP_1) | instskip(NEXT) | instid1(VALU_DEP_2)
	v_cmp_le_u32_e32 vcc_lo, s10, v5
	v_dual_mov_b32 v5, 0 :: v_dual_add_nc_u32 v6, 1, v4
	s_delay_alu instid0(VALU_DEP_1)
	v_cndmask_b32_e32 v4, v4, v6, vcc_lo
.LBB81_147:
	s_or_b32 exec_lo, exec_lo, s3
	s_waitcnt lgkmcnt(0)
	s_delay_alu instid0(VALU_DEP_1) | instskip(SKIP_1) | instid1(VALU_DEP_1)
	v_or_b32_e32 v7, s13, v5
	v_mov_b32_e32 v6, 0
	v_cmp_ne_u64_e32 vcc_lo, 0, v[6:7]
                                        ; implicit-def: $vgpr6_vgpr7
	s_and_saveexec_b32 s3, vcc_lo
	s_delay_alu instid0(SALU_CYCLE_1)
	s_xor_b32 s16, exec_lo, s3
	s_cbranch_execz .LBB81_149
; %bb.148:
	s_ashr_i32 s14, s13, 31
	s_delay_alu instid0(SALU_CYCLE_1) | instskip(SKIP_2) | instid1(SALU_CYCLE_1)
	s_add_u32 s20, s12, s14
	s_mov_b32 s15, s14
	s_addc_u32 s21, s13, s14
	s_xor_b64 s[14:15], s[20:21], s[14:15]
	s_delay_alu instid0(SALU_CYCLE_1) | instskip(SKIP_3) | instid1(VALU_DEP_1)
	v_cvt_f32_u32_e32 v6, s14
	v_cvt_f32_u32_e32 v7, s15
	s_sub_u32 s3, 0, s14
	s_subb_u32 s17, 0, s15
	v_fmamk_f32 v6, v7, 0x4f800000, v6
	s_delay_alu instid0(VALU_DEP_1) | instskip(SKIP_2) | instid1(VALU_DEP_1)
	v_rcp_f32_e32 v6, v6
	s_waitcnt_depctr 0xfff
	v_mul_f32_e32 v6, 0x5f7ffffc, v6
	v_mul_f32_e32 v7, 0x2f800000, v6
	s_delay_alu instid0(VALU_DEP_1) | instskip(NEXT) | instid1(VALU_DEP_1)
	v_trunc_f32_e32 v7, v7
	v_fmamk_f32 v6, v7, 0xcf800000, v6
	v_cvt_u32_f32_e32 v7, v7
	s_delay_alu instid0(VALU_DEP_2) | instskip(NEXT) | instid1(VALU_DEP_2)
	v_cvt_u32_f32_e32 v6, v6
	v_mul_lo_u32 v8, s3, v7
	s_delay_alu instid0(VALU_DEP_2) | instskip(SKIP_1) | instid1(VALU_DEP_2)
	v_mul_hi_u32 v9, s3, v6
	v_mul_lo_u32 v10, s17, v6
	v_add_nc_u32_e32 v8, v9, v8
	v_mul_lo_u32 v9, s3, v6
	s_delay_alu instid0(VALU_DEP_2) | instskip(NEXT) | instid1(VALU_DEP_2)
	v_add_nc_u32_e32 v8, v8, v10
	v_mul_hi_u32 v10, v6, v9
	s_delay_alu instid0(VALU_DEP_2)
	v_mul_lo_u32 v11, v6, v8
	v_mul_hi_u32 v12, v6, v8
	v_mul_hi_u32 v13, v7, v9
	v_mul_lo_u32 v9, v7, v9
	v_mul_hi_u32 v14, v7, v8
	v_mul_lo_u32 v8, v7, v8
	v_add_co_u32 v10, vcc_lo, v10, v11
	v_add_co_ci_u32_e32 v11, vcc_lo, 0, v12, vcc_lo
	s_delay_alu instid0(VALU_DEP_2) | instskip(NEXT) | instid1(VALU_DEP_2)
	v_add_co_u32 v9, vcc_lo, v10, v9
	v_add_co_ci_u32_e32 v9, vcc_lo, v11, v13, vcc_lo
	v_add_co_ci_u32_e32 v10, vcc_lo, 0, v14, vcc_lo
	v_ashrrev_i32_e32 v13, 31, v5
	s_delay_alu instid0(VALU_DEP_3) | instskip(NEXT) | instid1(VALU_DEP_3)
	v_add_co_u32 v8, vcc_lo, v9, v8
	v_add_co_ci_u32_e32 v9, vcc_lo, 0, v10, vcc_lo
	s_delay_alu instid0(VALU_DEP_2) | instskip(NEXT) | instid1(VALU_DEP_2)
	v_add_co_u32 v6, vcc_lo, v6, v8
	v_add_co_ci_u32_e32 v7, vcc_lo, v7, v9, vcc_lo
	s_delay_alu instid0(VALU_DEP_2) | instskip(SKIP_1) | instid1(VALU_DEP_3)
	v_mul_hi_u32 v8, s3, v6
	v_mul_lo_u32 v10, s17, v6
	v_mul_lo_u32 v9, s3, v7
	s_delay_alu instid0(VALU_DEP_1) | instskip(SKIP_1) | instid1(VALU_DEP_2)
	v_add_nc_u32_e32 v8, v8, v9
	v_mul_lo_u32 v9, s3, v6
	v_add_nc_u32_e32 v8, v8, v10
	s_delay_alu instid0(VALU_DEP_2) | instskip(NEXT) | instid1(VALU_DEP_2)
	v_mul_hi_u32 v10, v6, v9
	v_mul_lo_u32 v11, v6, v8
	v_mul_hi_u32 v12, v6, v8
	v_mul_hi_u32 v14, v7, v9
	v_mul_lo_u32 v9, v7, v9
	v_mul_hi_u32 v15, v7, v8
	v_mul_lo_u32 v8, v7, v8
	v_add_co_u32 v10, vcc_lo, v10, v11
	v_add_co_ci_u32_e32 v11, vcc_lo, 0, v12, vcc_lo
	s_delay_alu instid0(VALU_DEP_2) | instskip(NEXT) | instid1(VALU_DEP_2)
	v_add_co_u32 v9, vcc_lo, v10, v9
	v_add_co_ci_u32_e32 v9, vcc_lo, v11, v14, vcc_lo
	v_add_co_ci_u32_e32 v10, vcc_lo, 0, v15, vcc_lo
	v_add_co_u32 v4, vcc_lo, v4, v13
	v_add_co_ci_u32_e32 v5, vcc_lo, v5, v13, vcc_lo
	s_delay_alu instid0(VALU_DEP_4) | instskip(NEXT) | instid1(VALU_DEP_4)
	v_add_co_u32 v8, vcc_lo, v9, v8
	v_add_co_ci_u32_e32 v9, vcc_lo, 0, v10, vcc_lo
	s_delay_alu instid0(VALU_DEP_4) | instskip(NEXT) | instid1(VALU_DEP_3)
	v_xor_b32_e32 v10, v4, v13
	v_add_co_u32 v8, vcc_lo, v6, v8
	s_delay_alu instid0(VALU_DEP_3) | instskip(SKIP_1) | instid1(VALU_DEP_3)
	v_add_co_ci_u32_e32 v11, vcc_lo, v7, v9, vcc_lo
	v_xor_b32_e32 v12, v5, v13
	v_mul_hi_u32 v14, v10, v8
	s_delay_alu instid0(VALU_DEP_3) | instskip(NEXT) | instid1(VALU_DEP_3)
	v_mad_u64_u32 v[4:5], null, v10, v11, 0
	v_mad_u64_u32 v[6:7], null, v12, v8, 0
	;; [unrolled: 1-line block ×3, first 2 shown]
	s_delay_alu instid0(VALU_DEP_3) | instskip(NEXT) | instid1(VALU_DEP_4)
	v_add_co_u32 v4, vcc_lo, v14, v4
	v_add_co_ci_u32_e32 v5, vcc_lo, 0, v5, vcc_lo
	s_delay_alu instid0(VALU_DEP_2) | instskip(NEXT) | instid1(VALU_DEP_2)
	v_add_co_u32 v4, vcc_lo, v4, v6
	v_add_co_ci_u32_e32 v4, vcc_lo, v5, v7, vcc_lo
	v_add_co_ci_u32_e32 v5, vcc_lo, 0, v9, vcc_lo
	s_delay_alu instid0(VALU_DEP_2) | instskip(NEXT) | instid1(VALU_DEP_2)
	v_add_co_u32 v6, vcc_lo, v4, v8
	v_add_co_ci_u32_e32 v7, vcc_lo, 0, v5, vcc_lo
	s_delay_alu instid0(VALU_DEP_2) | instskip(SKIP_1) | instid1(VALU_DEP_3)
	v_mul_lo_u32 v8, s15, v6
	v_mad_u64_u32 v[4:5], null, s14, v6, 0
	v_mul_lo_u32 v6, s14, v7
	s_delay_alu instid0(VALU_DEP_2) | instskip(NEXT) | instid1(VALU_DEP_2)
	v_sub_co_u32 v4, vcc_lo, v10, v4
	v_add3_u32 v5, v5, v6, v8
	s_delay_alu instid0(VALU_DEP_1) | instskip(NEXT) | instid1(VALU_DEP_1)
	v_sub_nc_u32_e32 v6, v12, v5
	v_subrev_co_ci_u32_e64 v6, s3, s15, v6, vcc_lo
	v_sub_co_ci_u32_e32 v5, vcc_lo, v12, v5, vcc_lo
	v_sub_co_u32 v7, vcc_lo, v4, s14
	s_delay_alu instid0(VALU_DEP_1) | instskip(SKIP_3) | instid1(VALU_DEP_3)
	v_subrev_co_ci_u32_e64 v8, s3, 0, v6, vcc_lo
	v_cmp_le_u32_e64 s3, s14, v4
	v_subrev_co_ci_u32_e32 v6, vcc_lo, s15, v6, vcc_lo
	v_cmp_le_u32_e32 vcc_lo, s15, v5
	v_cndmask_b32_e64 v9, 0, -1, s3
	v_cmp_le_u32_e64 s3, s14, v7
	v_cndmask_b32_e64 v12, 0, -1, vcc_lo
	v_cmp_eq_u32_e32 vcc_lo, s15, v8
	s_delay_alu instid0(VALU_DEP_3) | instskip(SKIP_1) | instid1(VALU_DEP_1)
	v_cndmask_b32_e64 v10, 0, -1, s3
	v_cmp_le_u32_e64 s3, s15, v8
	v_cndmask_b32_e64 v11, 0, -1, s3
	v_cmp_eq_u32_e64 s3, s15, v5
	s_delay_alu instid0(VALU_DEP_2) | instskip(SKIP_2) | instid1(VALU_DEP_3)
	v_cndmask_b32_e32 v10, v11, v10, vcc_lo
	v_sub_co_u32 v11, vcc_lo, v7, s14
	v_subrev_co_ci_u32_e32 v6, vcc_lo, 0, v6, vcc_lo
	v_cmp_ne_u32_e32 vcc_lo, 0, v10
	v_cndmask_b32_e64 v9, v12, v9, s3
	s_delay_alu instid0(VALU_DEP_3) | instskip(NEXT) | instid1(VALU_DEP_2)
	v_dual_cndmask_b32 v6, v8, v6 :: v_dual_cndmask_b32 v7, v7, v11
	v_cmp_ne_u32_e32 vcc_lo, 0, v9
	s_delay_alu instid0(VALU_DEP_2) | instskip(NEXT) | instid1(VALU_DEP_1)
	v_dual_cndmask_b32 v5, v5, v6 :: v_dual_cndmask_b32 v4, v4, v7
	v_xor_b32_e32 v5, v5, v13
	s_delay_alu instid0(VALU_DEP_2) | instskip(NEXT) | instid1(VALU_DEP_1)
	v_xor_b32_e32 v4, v4, v13
	v_sub_co_u32 v6, vcc_lo, v4, v13
	s_delay_alu instid0(VALU_DEP_3)
	v_sub_co_ci_u32_e32 v7, vcc_lo, v5, v13, vcc_lo
                                        ; implicit-def: $vgpr4_vgpr5
.LBB81_149:
	s_and_not1_saveexec_b32 s3, s16
	s_cbranch_execz .LBB81_151
; %bb.150:
	v_cvt_f32_u32_e32 v5, s12
	s_sub_i32 s14, 0, s12
	v_mov_b32_e32 v7, 0
	s_delay_alu instid0(VALU_DEP_2) | instskip(SKIP_2) | instid1(VALU_DEP_1)
	v_rcp_iflag_f32_e32 v5, v5
	s_waitcnt_depctr 0xfff
	v_mul_f32_e32 v5, 0x4f7ffffe, v5
	v_cvt_u32_f32_e32 v5, v5
	s_delay_alu instid0(VALU_DEP_1) | instskip(NEXT) | instid1(VALU_DEP_1)
	v_mul_lo_u32 v6, s14, v5
	v_mul_hi_u32 v6, v5, v6
	s_delay_alu instid0(VALU_DEP_1) | instskip(NEXT) | instid1(VALU_DEP_1)
	v_add_nc_u32_e32 v5, v5, v6
	v_mul_hi_u32 v5, v4, v5
	s_delay_alu instid0(VALU_DEP_1) | instskip(NEXT) | instid1(VALU_DEP_1)
	v_mul_lo_u32 v5, v5, s12
	v_sub_nc_u32_e32 v4, v4, v5
	s_delay_alu instid0(VALU_DEP_1) | instskip(SKIP_1) | instid1(VALU_DEP_2)
	v_subrev_nc_u32_e32 v5, s12, v4
	v_cmp_le_u32_e32 vcc_lo, s12, v4
	v_cndmask_b32_e32 v4, v4, v5, vcc_lo
	s_delay_alu instid0(VALU_DEP_1) | instskip(SKIP_1) | instid1(VALU_DEP_2)
	v_subrev_nc_u32_e32 v5, s12, v4
	v_cmp_le_u32_e32 vcc_lo, s12, v4
	v_cndmask_b32_e32 v6, v4, v5, vcc_lo
.LBB81_151:
	s_or_b32 exec_lo, exec_lo, s3
	s_lshl_b64 s[14:15], s[4:5], 4
	s_mul_i32 s3, s12, s11
	v_add_co_u32 v4, vcc_lo, v0, s14
	s_mul_hi_u32 s11, s12, s10
	v_add_co_ci_u32_e32 v5, vcc_lo, s15, v1, vcc_lo
	s_add_i32 s3, s11, s3
	s_mul_i32 s11, s13, s10
	s_mul_i32 s10, s12, s10
	s_add_i32 s11, s3, s11
	global_store_b64 v[4:5], v[6:7], off
	s_cmp_lt_i32 s18, 2
	s_cbranch_scc1 .LBB81_19
.LBB81_152:
	s_load_b64 s[12:13], s[0:1], 0x10
	s_waitcnt vmcnt(0)
	v_or_b32_e32 v5, s11, v3
	v_mov_b32_e32 v4, 0
	s_delay_alu instid0(VALU_DEP_1) | instskip(SKIP_1) | instid1(SALU_CYCLE_1)
	v_cmp_ne_u64_e32 vcc_lo, 0, v[4:5]
                                        ; implicit-def: $vgpr4_vgpr5
	s_and_saveexec_b32 s3, vcc_lo
	s_xor_b32 s20, exec_lo, s3
	s_cbranch_execz .LBB81_154
; %bb.153:
	s_ashr_i32 s14, s11, 31
	s_delay_alu instid0(SALU_CYCLE_1) | instskip(SKIP_2) | instid1(SALU_CYCLE_1)
	s_add_u32 s16, s10, s14
	s_mov_b32 s15, s14
	s_addc_u32 s17, s11, s14
	s_xor_b64 s[16:17], s[16:17], s[14:15]
	s_delay_alu instid0(SALU_CYCLE_1) | instskip(SKIP_3) | instid1(VALU_DEP_1)
	v_cvt_f32_u32_e32 v4, s16
	v_cvt_f32_u32_e32 v5, s17
	s_sub_u32 s3, 0, s16
	s_subb_u32 s15, 0, s17
	v_fmamk_f32 v4, v5, 0x4f800000, v4
	s_delay_alu instid0(VALU_DEP_1) | instskip(SKIP_2) | instid1(VALU_DEP_1)
	v_rcp_f32_e32 v4, v4
	s_waitcnt_depctr 0xfff
	v_mul_f32_e32 v4, 0x5f7ffffc, v4
	v_mul_f32_e32 v5, 0x2f800000, v4
	s_delay_alu instid0(VALU_DEP_1) | instskip(NEXT) | instid1(VALU_DEP_1)
	v_trunc_f32_e32 v5, v5
	v_fmamk_f32 v4, v5, 0xcf800000, v4
	v_cvt_u32_f32_e32 v5, v5
	s_delay_alu instid0(VALU_DEP_2) | instskip(NEXT) | instid1(VALU_DEP_2)
	v_cvt_u32_f32_e32 v4, v4
	v_mul_lo_u32 v6, s3, v5
	s_delay_alu instid0(VALU_DEP_2) | instskip(SKIP_1) | instid1(VALU_DEP_2)
	v_mul_hi_u32 v7, s3, v4
	v_mul_lo_u32 v8, s15, v4
	v_add_nc_u32_e32 v6, v7, v6
	v_mul_lo_u32 v7, s3, v4
	s_delay_alu instid0(VALU_DEP_2) | instskip(NEXT) | instid1(VALU_DEP_2)
	v_add_nc_u32_e32 v6, v6, v8
	v_mul_hi_u32 v8, v4, v7
	s_delay_alu instid0(VALU_DEP_2)
	v_mul_lo_u32 v9, v4, v6
	v_mul_hi_u32 v10, v4, v6
	v_mul_hi_u32 v11, v5, v7
	v_mul_lo_u32 v7, v5, v7
	v_mul_hi_u32 v12, v5, v6
	v_mul_lo_u32 v6, v5, v6
	v_add_co_u32 v8, vcc_lo, v8, v9
	v_add_co_ci_u32_e32 v9, vcc_lo, 0, v10, vcc_lo
	s_delay_alu instid0(VALU_DEP_2) | instskip(NEXT) | instid1(VALU_DEP_2)
	v_add_co_u32 v7, vcc_lo, v8, v7
	v_add_co_ci_u32_e32 v7, vcc_lo, v9, v11, vcc_lo
	v_add_co_ci_u32_e32 v8, vcc_lo, 0, v12, vcc_lo
	v_ashrrev_i32_e32 v11, 31, v3
	s_delay_alu instid0(VALU_DEP_3) | instskip(NEXT) | instid1(VALU_DEP_3)
	v_add_co_u32 v6, vcc_lo, v7, v6
	v_add_co_ci_u32_e32 v7, vcc_lo, 0, v8, vcc_lo
	s_delay_alu instid0(VALU_DEP_2) | instskip(NEXT) | instid1(VALU_DEP_2)
	v_add_co_u32 v4, vcc_lo, v4, v6
	v_add_co_ci_u32_e32 v5, vcc_lo, v5, v7, vcc_lo
	s_delay_alu instid0(VALU_DEP_2) | instskip(SKIP_1) | instid1(VALU_DEP_3)
	v_mul_hi_u32 v6, s3, v4
	v_mul_lo_u32 v8, s15, v4
	v_mul_lo_u32 v7, s3, v5
	s_delay_alu instid0(VALU_DEP_1) | instskip(SKIP_1) | instid1(VALU_DEP_2)
	v_add_nc_u32_e32 v6, v6, v7
	v_mul_lo_u32 v7, s3, v4
	v_add_nc_u32_e32 v6, v6, v8
	s_delay_alu instid0(VALU_DEP_2) | instskip(NEXT) | instid1(VALU_DEP_2)
	v_mul_hi_u32 v8, v4, v7
	v_mul_lo_u32 v9, v4, v6
	v_mul_hi_u32 v10, v4, v6
	v_mul_hi_u32 v12, v5, v7
	v_mul_lo_u32 v7, v5, v7
	v_mul_hi_u32 v13, v5, v6
	v_mul_lo_u32 v6, v5, v6
	v_add_co_u32 v8, vcc_lo, v8, v9
	v_add_co_ci_u32_e32 v9, vcc_lo, 0, v10, vcc_lo
	s_delay_alu instid0(VALU_DEP_2) | instskip(NEXT) | instid1(VALU_DEP_2)
	v_add_co_u32 v7, vcc_lo, v8, v7
	v_add_co_ci_u32_e32 v7, vcc_lo, v9, v12, vcc_lo
	v_add_co_ci_u32_e32 v8, vcc_lo, 0, v13, vcc_lo
	v_add_co_u32 v9, vcc_lo, v2, v11
	v_add_co_ci_u32_e32 v10, vcc_lo, v3, v11, vcc_lo
	s_delay_alu instid0(VALU_DEP_4) | instskip(NEXT) | instid1(VALU_DEP_4)
	v_add_co_u32 v6, vcc_lo, v7, v6
	v_add_co_ci_u32_e32 v7, vcc_lo, 0, v8, vcc_lo
	s_delay_alu instid0(VALU_DEP_4) | instskip(NEXT) | instid1(VALU_DEP_3)
	v_xor_b32_e32 v12, v9, v11
	v_add_co_u32 v8, vcc_lo, v4, v6
	s_delay_alu instid0(VALU_DEP_3) | instskip(SKIP_1) | instid1(VALU_DEP_3)
	v_add_co_ci_u32_e32 v13, vcc_lo, v5, v7, vcc_lo
	v_xor_b32_e32 v10, v10, v11
	v_mul_hi_u32 v14, v12, v8
	s_delay_alu instid0(VALU_DEP_3) | instskip(NEXT) | instid1(VALU_DEP_3)
	v_mad_u64_u32 v[4:5], null, v12, v13, 0
	v_mad_u64_u32 v[6:7], null, v10, v8, 0
	;; [unrolled: 1-line block ×3, first 2 shown]
	s_delay_alu instid0(VALU_DEP_3) | instskip(NEXT) | instid1(VALU_DEP_4)
	v_add_co_u32 v4, vcc_lo, v14, v4
	v_add_co_ci_u32_e32 v5, vcc_lo, 0, v5, vcc_lo
	s_delay_alu instid0(VALU_DEP_2) | instskip(NEXT) | instid1(VALU_DEP_2)
	v_add_co_u32 v4, vcc_lo, v4, v6
	v_add_co_ci_u32_e32 v4, vcc_lo, v5, v7, vcc_lo
	v_add_co_ci_u32_e32 v5, vcc_lo, 0, v9, vcc_lo
	s_delay_alu instid0(VALU_DEP_2) | instskip(NEXT) | instid1(VALU_DEP_2)
	v_add_co_u32 v6, vcc_lo, v4, v8
	v_add_co_ci_u32_e32 v7, vcc_lo, 0, v5, vcc_lo
	s_delay_alu instid0(VALU_DEP_2) | instskip(SKIP_1) | instid1(VALU_DEP_3)
	v_mul_lo_u32 v8, s17, v6
	v_mad_u64_u32 v[4:5], null, s16, v6, 0
	v_mul_lo_u32 v9, s16, v7
	s_delay_alu instid0(VALU_DEP_2) | instskip(NEXT) | instid1(VALU_DEP_2)
	v_sub_co_u32 v4, vcc_lo, v12, v4
	v_add3_u32 v5, v5, v9, v8
	s_delay_alu instid0(VALU_DEP_1) | instskip(NEXT) | instid1(VALU_DEP_1)
	v_sub_nc_u32_e32 v8, v10, v5
	v_subrev_co_ci_u32_e64 v8, s3, s17, v8, vcc_lo
	v_add_co_u32 v9, s3, v6, 2
	s_delay_alu instid0(VALU_DEP_1) | instskip(SKIP_3) | instid1(VALU_DEP_3)
	v_add_co_ci_u32_e64 v12, s3, 0, v7, s3
	v_sub_co_u32 v13, s3, v4, s16
	v_sub_co_ci_u32_e32 v5, vcc_lo, v10, v5, vcc_lo
	v_subrev_co_ci_u32_e64 v8, s3, 0, v8, s3
	v_cmp_le_u32_e32 vcc_lo, s16, v13
	s_delay_alu instid0(VALU_DEP_3) | instskip(SKIP_1) | instid1(VALU_DEP_4)
	v_cmp_eq_u32_e64 s3, s17, v5
	v_cndmask_b32_e64 v10, 0, -1, vcc_lo
	v_cmp_le_u32_e32 vcc_lo, s17, v8
	v_cndmask_b32_e64 v13, 0, -1, vcc_lo
	v_cmp_le_u32_e32 vcc_lo, s16, v4
	;; [unrolled: 2-line block ×3, first 2 shown]
	v_cndmask_b32_e64 v14, 0, -1, vcc_lo
	v_cmp_eq_u32_e32 vcc_lo, s17, v8
	s_delay_alu instid0(VALU_DEP_2) | instskip(SKIP_3) | instid1(VALU_DEP_3)
	v_cndmask_b32_e64 v4, v14, v4, s3
	v_cndmask_b32_e32 v8, v13, v10, vcc_lo
	v_add_co_u32 v10, vcc_lo, v6, 1
	v_add_co_ci_u32_e32 v13, vcc_lo, 0, v7, vcc_lo
	v_cmp_ne_u32_e32 vcc_lo, 0, v8
	s_delay_alu instid0(VALU_DEP_2) | instskip(SKIP_2) | instid1(VALU_DEP_3)
	v_dual_cndmask_b32 v5, v13, v12 :: v_dual_cndmask_b32 v8, v10, v9
	v_cmp_ne_u32_e32 vcc_lo, 0, v4
	v_xor_b32_e32 v9, s14, v11
	v_dual_cndmask_b32 v4, v7, v5 :: v_dual_cndmask_b32 v5, v6, v8
	s_delay_alu instid0(VALU_DEP_1) | instskip(NEXT) | instid1(VALU_DEP_2)
	v_xor_b32_e32 v6, v4, v9
	v_xor_b32_e32 v5, v5, v9
	s_delay_alu instid0(VALU_DEP_1) | instskip(NEXT) | instid1(VALU_DEP_3)
	v_sub_co_u32 v4, vcc_lo, v5, v9
	v_sub_co_ci_u32_e32 v5, vcc_lo, v6, v9, vcc_lo
.LBB81_154:
	s_and_not1_saveexec_b32 s3, s20
	s_cbranch_execz .LBB81_156
; %bb.155:
	v_cvt_f32_u32_e32 v4, s10
	s_sub_i32 s14, 0, s10
	s_delay_alu instid0(VALU_DEP_1) | instskip(SKIP_2) | instid1(VALU_DEP_1)
	v_rcp_iflag_f32_e32 v4, v4
	s_waitcnt_depctr 0xfff
	v_mul_f32_e32 v4, 0x4f7ffffe, v4
	v_cvt_u32_f32_e32 v4, v4
	s_delay_alu instid0(VALU_DEP_1) | instskip(NEXT) | instid1(VALU_DEP_1)
	v_mul_lo_u32 v5, s14, v4
	v_mul_hi_u32 v5, v4, v5
	s_delay_alu instid0(VALU_DEP_1) | instskip(NEXT) | instid1(VALU_DEP_1)
	v_add_nc_u32_e32 v4, v4, v5
	v_mul_hi_u32 v4, v2, v4
	s_delay_alu instid0(VALU_DEP_1) | instskip(SKIP_1) | instid1(VALU_DEP_2)
	v_mul_lo_u32 v5, v4, s10
	v_add_nc_u32_e32 v6, 1, v4
	v_sub_nc_u32_e32 v5, v2, v5
	s_delay_alu instid0(VALU_DEP_1) | instskip(SKIP_1) | instid1(VALU_DEP_2)
	v_subrev_nc_u32_e32 v7, s10, v5
	v_cmp_le_u32_e32 vcc_lo, s10, v5
	v_dual_cndmask_b32 v5, v5, v7 :: v_dual_cndmask_b32 v4, v4, v6
	s_delay_alu instid0(VALU_DEP_1) | instskip(NEXT) | instid1(VALU_DEP_2)
	v_cmp_le_u32_e32 vcc_lo, s10, v5
	v_dual_mov_b32 v5, 0 :: v_dual_add_nc_u32 v6, 1, v4
	s_delay_alu instid0(VALU_DEP_1)
	v_cndmask_b32_e32 v4, v4, v6, vcc_lo
.LBB81_156:
	s_or_b32 exec_lo, exec_lo, s3
	s_waitcnt lgkmcnt(0)
	s_delay_alu instid0(VALU_DEP_1) | instskip(SKIP_1) | instid1(VALU_DEP_1)
	v_or_b32_e32 v7, s13, v5
	v_mov_b32_e32 v6, 0
	v_cmp_ne_u64_e32 vcc_lo, 0, v[6:7]
                                        ; implicit-def: $vgpr6_vgpr7
	s_and_saveexec_b32 s3, vcc_lo
	s_delay_alu instid0(SALU_CYCLE_1)
	s_xor_b32 s16, exec_lo, s3
	s_cbranch_execz .LBB81_158
; %bb.157:
	s_ashr_i32 s14, s13, 31
	s_delay_alu instid0(SALU_CYCLE_1) | instskip(SKIP_2) | instid1(SALU_CYCLE_1)
	s_add_u32 s20, s12, s14
	s_mov_b32 s15, s14
	s_addc_u32 s21, s13, s14
	s_xor_b64 s[14:15], s[20:21], s[14:15]
	s_delay_alu instid0(SALU_CYCLE_1) | instskip(SKIP_3) | instid1(VALU_DEP_1)
	v_cvt_f32_u32_e32 v6, s14
	v_cvt_f32_u32_e32 v7, s15
	s_sub_u32 s3, 0, s14
	s_subb_u32 s17, 0, s15
	v_fmamk_f32 v6, v7, 0x4f800000, v6
	s_delay_alu instid0(VALU_DEP_1) | instskip(SKIP_2) | instid1(VALU_DEP_1)
	v_rcp_f32_e32 v6, v6
	s_waitcnt_depctr 0xfff
	v_mul_f32_e32 v6, 0x5f7ffffc, v6
	v_mul_f32_e32 v7, 0x2f800000, v6
	s_delay_alu instid0(VALU_DEP_1) | instskip(NEXT) | instid1(VALU_DEP_1)
	v_trunc_f32_e32 v7, v7
	v_fmamk_f32 v6, v7, 0xcf800000, v6
	v_cvt_u32_f32_e32 v7, v7
	s_delay_alu instid0(VALU_DEP_2) | instskip(NEXT) | instid1(VALU_DEP_2)
	v_cvt_u32_f32_e32 v6, v6
	v_mul_lo_u32 v8, s3, v7
	s_delay_alu instid0(VALU_DEP_2) | instskip(SKIP_1) | instid1(VALU_DEP_2)
	v_mul_hi_u32 v9, s3, v6
	v_mul_lo_u32 v10, s17, v6
	v_add_nc_u32_e32 v8, v9, v8
	v_mul_lo_u32 v9, s3, v6
	s_delay_alu instid0(VALU_DEP_2) | instskip(NEXT) | instid1(VALU_DEP_2)
	v_add_nc_u32_e32 v8, v8, v10
	v_mul_hi_u32 v10, v6, v9
	s_delay_alu instid0(VALU_DEP_2)
	v_mul_lo_u32 v11, v6, v8
	v_mul_hi_u32 v12, v6, v8
	v_mul_hi_u32 v13, v7, v9
	v_mul_lo_u32 v9, v7, v9
	v_mul_hi_u32 v14, v7, v8
	v_mul_lo_u32 v8, v7, v8
	v_add_co_u32 v10, vcc_lo, v10, v11
	v_add_co_ci_u32_e32 v11, vcc_lo, 0, v12, vcc_lo
	s_delay_alu instid0(VALU_DEP_2) | instskip(NEXT) | instid1(VALU_DEP_2)
	v_add_co_u32 v9, vcc_lo, v10, v9
	v_add_co_ci_u32_e32 v9, vcc_lo, v11, v13, vcc_lo
	v_add_co_ci_u32_e32 v10, vcc_lo, 0, v14, vcc_lo
	v_ashrrev_i32_e32 v13, 31, v5
	s_delay_alu instid0(VALU_DEP_3) | instskip(NEXT) | instid1(VALU_DEP_3)
	v_add_co_u32 v8, vcc_lo, v9, v8
	v_add_co_ci_u32_e32 v9, vcc_lo, 0, v10, vcc_lo
	s_delay_alu instid0(VALU_DEP_2) | instskip(NEXT) | instid1(VALU_DEP_2)
	v_add_co_u32 v6, vcc_lo, v6, v8
	v_add_co_ci_u32_e32 v7, vcc_lo, v7, v9, vcc_lo
	s_delay_alu instid0(VALU_DEP_2) | instskip(SKIP_1) | instid1(VALU_DEP_3)
	v_mul_hi_u32 v8, s3, v6
	v_mul_lo_u32 v10, s17, v6
	v_mul_lo_u32 v9, s3, v7
	s_delay_alu instid0(VALU_DEP_1) | instskip(SKIP_1) | instid1(VALU_DEP_2)
	v_add_nc_u32_e32 v8, v8, v9
	v_mul_lo_u32 v9, s3, v6
	v_add_nc_u32_e32 v8, v8, v10
	s_delay_alu instid0(VALU_DEP_2) | instskip(NEXT) | instid1(VALU_DEP_2)
	v_mul_hi_u32 v10, v6, v9
	v_mul_lo_u32 v11, v6, v8
	v_mul_hi_u32 v12, v6, v8
	v_mul_hi_u32 v14, v7, v9
	v_mul_lo_u32 v9, v7, v9
	v_mul_hi_u32 v15, v7, v8
	v_mul_lo_u32 v8, v7, v8
	v_add_co_u32 v10, vcc_lo, v10, v11
	v_add_co_ci_u32_e32 v11, vcc_lo, 0, v12, vcc_lo
	s_delay_alu instid0(VALU_DEP_2) | instskip(NEXT) | instid1(VALU_DEP_2)
	v_add_co_u32 v9, vcc_lo, v10, v9
	v_add_co_ci_u32_e32 v9, vcc_lo, v11, v14, vcc_lo
	v_add_co_ci_u32_e32 v10, vcc_lo, 0, v15, vcc_lo
	v_add_co_u32 v4, vcc_lo, v4, v13
	v_add_co_ci_u32_e32 v5, vcc_lo, v5, v13, vcc_lo
	s_delay_alu instid0(VALU_DEP_4) | instskip(NEXT) | instid1(VALU_DEP_4)
	v_add_co_u32 v8, vcc_lo, v9, v8
	v_add_co_ci_u32_e32 v9, vcc_lo, 0, v10, vcc_lo
	s_delay_alu instid0(VALU_DEP_4) | instskip(NEXT) | instid1(VALU_DEP_3)
	v_xor_b32_e32 v10, v4, v13
	v_add_co_u32 v8, vcc_lo, v6, v8
	s_delay_alu instid0(VALU_DEP_3) | instskip(SKIP_1) | instid1(VALU_DEP_3)
	v_add_co_ci_u32_e32 v11, vcc_lo, v7, v9, vcc_lo
	v_xor_b32_e32 v12, v5, v13
	v_mul_hi_u32 v14, v10, v8
	s_delay_alu instid0(VALU_DEP_3) | instskip(NEXT) | instid1(VALU_DEP_3)
	v_mad_u64_u32 v[4:5], null, v10, v11, 0
	v_mad_u64_u32 v[6:7], null, v12, v8, 0
	;; [unrolled: 1-line block ×3, first 2 shown]
	s_delay_alu instid0(VALU_DEP_3) | instskip(NEXT) | instid1(VALU_DEP_4)
	v_add_co_u32 v4, vcc_lo, v14, v4
	v_add_co_ci_u32_e32 v5, vcc_lo, 0, v5, vcc_lo
	s_delay_alu instid0(VALU_DEP_2) | instskip(NEXT) | instid1(VALU_DEP_2)
	v_add_co_u32 v4, vcc_lo, v4, v6
	v_add_co_ci_u32_e32 v4, vcc_lo, v5, v7, vcc_lo
	v_add_co_ci_u32_e32 v5, vcc_lo, 0, v9, vcc_lo
	s_delay_alu instid0(VALU_DEP_2) | instskip(NEXT) | instid1(VALU_DEP_2)
	v_add_co_u32 v6, vcc_lo, v4, v8
	v_add_co_ci_u32_e32 v7, vcc_lo, 0, v5, vcc_lo
	s_delay_alu instid0(VALU_DEP_2) | instskip(SKIP_1) | instid1(VALU_DEP_3)
	v_mul_lo_u32 v8, s15, v6
	v_mad_u64_u32 v[4:5], null, s14, v6, 0
	v_mul_lo_u32 v6, s14, v7
	s_delay_alu instid0(VALU_DEP_2) | instskip(NEXT) | instid1(VALU_DEP_2)
	v_sub_co_u32 v4, vcc_lo, v10, v4
	v_add3_u32 v5, v5, v6, v8
	s_delay_alu instid0(VALU_DEP_1) | instskip(NEXT) | instid1(VALU_DEP_1)
	v_sub_nc_u32_e32 v6, v12, v5
	v_subrev_co_ci_u32_e64 v6, s3, s15, v6, vcc_lo
	v_sub_co_ci_u32_e32 v5, vcc_lo, v12, v5, vcc_lo
	v_sub_co_u32 v7, vcc_lo, v4, s14
	s_delay_alu instid0(VALU_DEP_1) | instskip(SKIP_3) | instid1(VALU_DEP_3)
	v_subrev_co_ci_u32_e64 v8, s3, 0, v6, vcc_lo
	v_cmp_le_u32_e64 s3, s14, v4
	v_subrev_co_ci_u32_e32 v6, vcc_lo, s15, v6, vcc_lo
	v_cmp_le_u32_e32 vcc_lo, s15, v5
	v_cndmask_b32_e64 v9, 0, -1, s3
	v_cmp_le_u32_e64 s3, s14, v7
	v_cndmask_b32_e64 v12, 0, -1, vcc_lo
	v_cmp_eq_u32_e32 vcc_lo, s15, v8
	s_delay_alu instid0(VALU_DEP_3) | instskip(SKIP_1) | instid1(VALU_DEP_1)
	v_cndmask_b32_e64 v10, 0, -1, s3
	v_cmp_le_u32_e64 s3, s15, v8
	v_cndmask_b32_e64 v11, 0, -1, s3
	v_cmp_eq_u32_e64 s3, s15, v5
	s_delay_alu instid0(VALU_DEP_2) | instskip(SKIP_2) | instid1(VALU_DEP_3)
	v_cndmask_b32_e32 v10, v11, v10, vcc_lo
	v_sub_co_u32 v11, vcc_lo, v7, s14
	v_subrev_co_ci_u32_e32 v6, vcc_lo, 0, v6, vcc_lo
	v_cmp_ne_u32_e32 vcc_lo, 0, v10
	v_cndmask_b32_e64 v9, v12, v9, s3
	s_delay_alu instid0(VALU_DEP_3) | instskip(NEXT) | instid1(VALU_DEP_2)
	v_dual_cndmask_b32 v6, v8, v6 :: v_dual_cndmask_b32 v7, v7, v11
	v_cmp_ne_u32_e32 vcc_lo, 0, v9
	s_delay_alu instid0(VALU_DEP_2) | instskip(NEXT) | instid1(VALU_DEP_1)
	v_dual_cndmask_b32 v5, v5, v6 :: v_dual_cndmask_b32 v4, v4, v7
	v_xor_b32_e32 v5, v5, v13
	s_delay_alu instid0(VALU_DEP_2) | instskip(NEXT) | instid1(VALU_DEP_1)
	v_xor_b32_e32 v4, v4, v13
	v_sub_co_u32 v6, vcc_lo, v4, v13
	s_delay_alu instid0(VALU_DEP_3)
	v_sub_co_ci_u32_e32 v7, vcc_lo, v5, v13, vcc_lo
                                        ; implicit-def: $vgpr4_vgpr5
.LBB81_158:
	s_and_not1_saveexec_b32 s3, s16
	s_cbranch_execz .LBB81_160
; %bb.159:
	v_cvt_f32_u32_e32 v5, s12
	s_sub_i32 s14, 0, s12
	v_mov_b32_e32 v7, 0
	s_delay_alu instid0(VALU_DEP_2) | instskip(SKIP_2) | instid1(VALU_DEP_1)
	v_rcp_iflag_f32_e32 v5, v5
	s_waitcnt_depctr 0xfff
	v_mul_f32_e32 v5, 0x4f7ffffe, v5
	v_cvt_u32_f32_e32 v5, v5
	s_delay_alu instid0(VALU_DEP_1) | instskip(NEXT) | instid1(VALU_DEP_1)
	v_mul_lo_u32 v6, s14, v5
	v_mul_hi_u32 v6, v5, v6
	s_delay_alu instid0(VALU_DEP_1) | instskip(NEXT) | instid1(VALU_DEP_1)
	v_add_nc_u32_e32 v5, v5, v6
	v_mul_hi_u32 v5, v4, v5
	s_delay_alu instid0(VALU_DEP_1) | instskip(NEXT) | instid1(VALU_DEP_1)
	v_mul_lo_u32 v5, v5, s12
	v_sub_nc_u32_e32 v4, v4, v5
	s_delay_alu instid0(VALU_DEP_1) | instskip(SKIP_1) | instid1(VALU_DEP_2)
	v_subrev_nc_u32_e32 v5, s12, v4
	v_cmp_le_u32_e32 vcc_lo, s12, v4
	v_cndmask_b32_e32 v4, v4, v5, vcc_lo
	s_delay_alu instid0(VALU_DEP_1) | instskip(SKIP_1) | instid1(VALU_DEP_2)
	v_subrev_nc_u32_e32 v5, s12, v4
	v_cmp_le_u32_e32 vcc_lo, s12, v4
	v_cndmask_b32_e32 v6, v4, v5, vcc_lo
.LBB81_160:
	s_or_b32 exec_lo, exec_lo, s3
	s_lshl_b64 s[14:15], s[4:5], 3
	s_mul_i32 s3, s12, s11
	v_add_co_u32 v4, vcc_lo, v0, s14
	s_mul_hi_u32 s11, s12, s10
	v_add_co_ci_u32_e32 v5, vcc_lo, s15, v1, vcc_lo
	s_add_i32 s3, s11, s3
	s_mul_i32 s11, s13, s10
	s_mul_i32 s10, s12, s10
	s_add_i32 s11, s3, s11
	global_store_b64 v[4:5], v[6:7], off
	s_cmp_lt_i32 s18, 1
                                        ; implicit-def: $vgpr4_vgpr5
	s_cbranch_scc1 .LBB81_20
.LBB81_161:
	s_load_b64 s[12:13], s[0:1], 0x8
	s_waitcnt vmcnt(0)
	v_or_b32_e32 v5, s11, v3
	v_mov_b32_e32 v4, 0
	s_delay_alu instid0(VALU_DEP_1) | instskip(SKIP_1) | instid1(SALU_CYCLE_1)
	v_cmp_ne_u64_e32 vcc_lo, 0, v[4:5]
                                        ; implicit-def: $vgpr4_vgpr5
	s_and_saveexec_b32 s0, vcc_lo
	s_xor_b32 s1, exec_lo, s0
	s_cbranch_execz .LBB81_163
; %bb.162:
	s_ashr_i32 s14, s11, 31
	s_delay_alu instid0(SALU_CYCLE_1) | instskip(SKIP_2) | instid1(SALU_CYCLE_1)
	s_add_u32 s16, s10, s14
	s_mov_b32 s15, s14
	s_addc_u32 s17, s11, s14
	s_xor_b64 s[16:17], s[16:17], s[14:15]
	s_delay_alu instid0(SALU_CYCLE_1) | instskip(SKIP_3) | instid1(VALU_DEP_1)
	v_cvt_f32_u32_e32 v4, s16
	v_cvt_f32_u32_e32 v5, s17
	s_sub_u32 s0, 0, s16
	s_subb_u32 s3, 0, s17
	v_fmamk_f32 v4, v5, 0x4f800000, v4
	s_delay_alu instid0(VALU_DEP_1) | instskip(SKIP_2) | instid1(VALU_DEP_1)
	v_rcp_f32_e32 v4, v4
	s_waitcnt_depctr 0xfff
	v_mul_f32_e32 v4, 0x5f7ffffc, v4
	v_mul_f32_e32 v5, 0x2f800000, v4
	s_delay_alu instid0(VALU_DEP_1) | instskip(NEXT) | instid1(VALU_DEP_1)
	v_trunc_f32_e32 v5, v5
	v_fmamk_f32 v4, v5, 0xcf800000, v4
	v_cvt_u32_f32_e32 v5, v5
	s_delay_alu instid0(VALU_DEP_2) | instskip(NEXT) | instid1(VALU_DEP_2)
	v_cvt_u32_f32_e32 v4, v4
	v_mul_lo_u32 v6, s0, v5
	s_delay_alu instid0(VALU_DEP_2) | instskip(SKIP_1) | instid1(VALU_DEP_2)
	v_mul_hi_u32 v7, s0, v4
	v_mul_lo_u32 v8, s3, v4
	v_add_nc_u32_e32 v6, v7, v6
	v_mul_lo_u32 v7, s0, v4
	s_delay_alu instid0(VALU_DEP_2) | instskip(NEXT) | instid1(VALU_DEP_2)
	v_add_nc_u32_e32 v6, v6, v8
	v_mul_hi_u32 v8, v4, v7
	s_delay_alu instid0(VALU_DEP_2)
	v_mul_lo_u32 v9, v4, v6
	v_mul_hi_u32 v10, v4, v6
	v_mul_hi_u32 v11, v5, v7
	v_mul_lo_u32 v7, v5, v7
	v_mul_hi_u32 v12, v5, v6
	v_mul_lo_u32 v6, v5, v6
	v_add_co_u32 v8, vcc_lo, v8, v9
	v_add_co_ci_u32_e32 v9, vcc_lo, 0, v10, vcc_lo
	s_delay_alu instid0(VALU_DEP_2) | instskip(NEXT) | instid1(VALU_DEP_2)
	v_add_co_u32 v7, vcc_lo, v8, v7
	v_add_co_ci_u32_e32 v7, vcc_lo, v9, v11, vcc_lo
	v_add_co_ci_u32_e32 v8, vcc_lo, 0, v12, vcc_lo
	v_ashrrev_i32_e32 v11, 31, v3
	s_delay_alu instid0(VALU_DEP_3) | instskip(NEXT) | instid1(VALU_DEP_3)
	v_add_co_u32 v6, vcc_lo, v7, v6
	v_add_co_ci_u32_e32 v7, vcc_lo, 0, v8, vcc_lo
	s_delay_alu instid0(VALU_DEP_2) | instskip(NEXT) | instid1(VALU_DEP_2)
	v_add_co_u32 v4, vcc_lo, v4, v6
	v_add_co_ci_u32_e32 v5, vcc_lo, v5, v7, vcc_lo
	s_delay_alu instid0(VALU_DEP_2) | instskip(SKIP_1) | instid1(VALU_DEP_3)
	v_mul_hi_u32 v6, s0, v4
	v_mul_lo_u32 v8, s3, v4
	v_mul_lo_u32 v7, s0, v5
	s_delay_alu instid0(VALU_DEP_1) | instskip(SKIP_1) | instid1(VALU_DEP_2)
	v_add_nc_u32_e32 v6, v6, v7
	v_mul_lo_u32 v7, s0, v4
	v_add_nc_u32_e32 v6, v6, v8
	s_delay_alu instid0(VALU_DEP_2) | instskip(NEXT) | instid1(VALU_DEP_2)
	v_mul_hi_u32 v8, v4, v7
	v_mul_lo_u32 v9, v4, v6
	v_mul_hi_u32 v10, v4, v6
	v_mul_hi_u32 v12, v5, v7
	v_mul_lo_u32 v7, v5, v7
	v_mul_hi_u32 v13, v5, v6
	v_mul_lo_u32 v6, v5, v6
	v_add_co_u32 v8, vcc_lo, v8, v9
	v_add_co_ci_u32_e32 v9, vcc_lo, 0, v10, vcc_lo
	s_delay_alu instid0(VALU_DEP_2) | instskip(NEXT) | instid1(VALU_DEP_2)
	v_add_co_u32 v7, vcc_lo, v8, v7
	v_add_co_ci_u32_e32 v7, vcc_lo, v9, v12, vcc_lo
	v_add_co_ci_u32_e32 v8, vcc_lo, 0, v13, vcc_lo
	v_add_co_u32 v2, vcc_lo, v2, v11
	v_add_co_ci_u32_e32 v3, vcc_lo, v3, v11, vcc_lo
	s_delay_alu instid0(VALU_DEP_4) | instskip(NEXT) | instid1(VALU_DEP_4)
	v_add_co_u32 v6, vcc_lo, v7, v6
	v_add_co_ci_u32_e32 v7, vcc_lo, 0, v8, vcc_lo
	s_delay_alu instid0(VALU_DEP_4) | instskip(NEXT) | instid1(VALU_DEP_3)
	v_xor_b32_e32 v8, v2, v11
	v_add_co_u32 v6, vcc_lo, v4, v6
	s_delay_alu instid0(VALU_DEP_3) | instskip(SKIP_1) | instid1(VALU_DEP_3)
	v_add_co_ci_u32_e32 v9, vcc_lo, v5, v7, vcc_lo
	v_xor_b32_e32 v10, v3, v11
	v_mul_hi_u32 v12, v8, v6
	s_delay_alu instid0(VALU_DEP_3) | instskip(NEXT) | instid1(VALU_DEP_3)
	v_mad_u64_u32 v[2:3], null, v8, v9, 0
	v_mad_u64_u32 v[4:5], null, v10, v6, 0
	;; [unrolled: 1-line block ×3, first 2 shown]
	s_delay_alu instid0(VALU_DEP_3) | instskip(NEXT) | instid1(VALU_DEP_4)
	v_add_co_u32 v2, vcc_lo, v12, v2
	v_add_co_ci_u32_e32 v3, vcc_lo, 0, v3, vcc_lo
	s_delay_alu instid0(VALU_DEP_2) | instskip(NEXT) | instid1(VALU_DEP_2)
	v_add_co_u32 v2, vcc_lo, v2, v4
	v_add_co_ci_u32_e32 v2, vcc_lo, v3, v5, vcc_lo
	v_add_co_ci_u32_e32 v3, vcc_lo, 0, v7, vcc_lo
	s_delay_alu instid0(VALU_DEP_2) | instskip(NEXT) | instid1(VALU_DEP_2)
	v_add_co_u32 v4, vcc_lo, v2, v6
	v_add_co_ci_u32_e32 v5, vcc_lo, 0, v3, vcc_lo
	s_delay_alu instid0(VALU_DEP_2) | instskip(SKIP_1) | instid1(VALU_DEP_3)
	v_mul_lo_u32 v6, s17, v4
	v_mad_u64_u32 v[2:3], null, s16, v4, 0
	v_mul_lo_u32 v7, s16, v5
	s_delay_alu instid0(VALU_DEP_2) | instskip(NEXT) | instid1(VALU_DEP_2)
	v_sub_co_u32 v2, vcc_lo, v8, v2
	v_add3_u32 v3, v3, v7, v6
	s_delay_alu instid0(VALU_DEP_1) | instskip(NEXT) | instid1(VALU_DEP_1)
	v_sub_nc_u32_e32 v6, v10, v3
	v_subrev_co_ci_u32_e64 v6, s0, s17, v6, vcc_lo
	v_add_co_u32 v7, s0, v4, 2
	s_delay_alu instid0(VALU_DEP_1) | instskip(SKIP_3) | instid1(VALU_DEP_3)
	v_add_co_ci_u32_e64 v8, s0, 0, v5, s0
	v_sub_co_u32 v9, s0, v2, s16
	v_sub_co_ci_u32_e32 v3, vcc_lo, v10, v3, vcc_lo
	v_subrev_co_ci_u32_e64 v6, s0, 0, v6, s0
	v_cmp_le_u32_e32 vcc_lo, s16, v9
	s_delay_alu instid0(VALU_DEP_3) | instskip(SKIP_1) | instid1(VALU_DEP_4)
	v_cmp_eq_u32_e64 s0, s17, v3
	v_cndmask_b32_e64 v9, 0, -1, vcc_lo
	v_cmp_le_u32_e32 vcc_lo, s17, v6
	v_cndmask_b32_e64 v10, 0, -1, vcc_lo
	v_cmp_le_u32_e32 vcc_lo, s16, v2
	;; [unrolled: 2-line block ×3, first 2 shown]
	v_cndmask_b32_e64 v12, 0, -1, vcc_lo
	v_cmp_eq_u32_e32 vcc_lo, s17, v6
	s_delay_alu instid0(VALU_DEP_2) | instskip(SKIP_3) | instid1(VALU_DEP_3)
	v_cndmask_b32_e64 v2, v12, v2, s0
	v_cndmask_b32_e32 v6, v10, v9, vcc_lo
	v_add_co_u32 v9, vcc_lo, v4, 1
	v_add_co_ci_u32_e32 v10, vcc_lo, 0, v5, vcc_lo
	v_cmp_ne_u32_e32 vcc_lo, 0, v6
	s_delay_alu instid0(VALU_DEP_2) | instskip(SKIP_2) | instid1(VALU_DEP_3)
	v_dual_cndmask_b32 v3, v10, v8 :: v_dual_cndmask_b32 v6, v9, v7
	v_cmp_ne_u32_e32 vcc_lo, 0, v2
	v_xor_b32_e32 v2, s14, v11
	v_dual_cndmask_b32 v4, v4, v6 :: v_dual_cndmask_b32 v3, v5, v3
	s_delay_alu instid0(VALU_DEP_1) | instskip(NEXT) | instid1(VALU_DEP_2)
	v_xor_b32_e32 v4, v4, v2
	v_xor_b32_e32 v3, v3, v2
	s_delay_alu instid0(VALU_DEP_2) | instskip(NEXT) | instid1(VALU_DEP_2)
	v_sub_co_u32 v4, vcc_lo, v4, v2
	v_sub_co_ci_u32_e32 v5, vcc_lo, v3, v2, vcc_lo
                                        ; implicit-def: $vgpr2_vgpr3
.LBB81_163:
	s_and_not1_saveexec_b32 s0, s1
	s_cbranch_execz .LBB81_165
; %bb.164:
	v_cvt_f32_u32_e32 v3, s10
	s_sub_i32 s1, 0, s10
	s_delay_alu instid0(VALU_DEP_1) | instskip(SKIP_2) | instid1(VALU_DEP_1)
	v_rcp_iflag_f32_e32 v3, v3
	s_waitcnt_depctr 0xfff
	v_mul_f32_e32 v3, 0x4f7ffffe, v3
	v_cvt_u32_f32_e32 v3, v3
	s_delay_alu instid0(VALU_DEP_1) | instskip(NEXT) | instid1(VALU_DEP_1)
	v_mul_lo_u32 v4, s1, v3
	v_mul_hi_u32 v4, v3, v4
	s_delay_alu instid0(VALU_DEP_1) | instskip(NEXT) | instid1(VALU_DEP_1)
	v_add_nc_u32_e32 v3, v3, v4
	v_mul_hi_u32 v3, v2, v3
	s_delay_alu instid0(VALU_DEP_1) | instskip(NEXT) | instid1(VALU_DEP_1)
	v_mul_lo_u32 v4, v3, s10
	v_sub_nc_u32_e32 v2, v2, v4
	v_add_nc_u32_e32 v4, 1, v3
	s_delay_alu instid0(VALU_DEP_2) | instskip(SKIP_1) | instid1(VALU_DEP_2)
	v_subrev_nc_u32_e32 v5, s10, v2
	v_cmp_le_u32_e32 vcc_lo, s10, v2
	v_dual_cndmask_b32 v2, v2, v5 :: v_dual_mov_b32 v5, 0
	s_delay_alu instid0(VALU_DEP_4) | instskip(NEXT) | instid1(VALU_DEP_2)
	v_cndmask_b32_e32 v3, v3, v4, vcc_lo
	v_cmp_le_u32_e32 vcc_lo, s10, v2
	s_delay_alu instid0(VALU_DEP_2) | instskip(NEXT) | instid1(VALU_DEP_1)
	v_add_nc_u32_e32 v4, 1, v3
	v_cndmask_b32_e32 v4, v3, v4, vcc_lo
.LBB81_165:
	s_or_b32 exec_lo, exec_lo, s0
	s_waitcnt lgkmcnt(0)
	v_or_b32_e32 v3, s13, v5
	v_mov_b32_e32 v2, 0
	s_delay_alu instid0(VALU_DEP_1) | instskip(SKIP_1) | instid1(SALU_CYCLE_1)
	v_cmp_ne_u64_e32 vcc_lo, 0, v[2:3]
                                        ; implicit-def: $vgpr2_vgpr3
	s_and_saveexec_b32 s0, vcc_lo
	s_xor_b32 s1, exec_lo, s0
	s_cbranch_execz .LBB81_167
; %bb.166:
	s_ashr_i32 s10, s13, 31
	s_delay_alu instid0(SALU_CYCLE_1) | instskip(SKIP_2) | instid1(SALU_CYCLE_1)
	s_add_u32 s14, s12, s10
	s_mov_b32 s11, s10
	s_addc_u32 s15, s13, s10
	s_xor_b64 s[10:11], s[14:15], s[10:11]
	s_delay_alu instid0(SALU_CYCLE_1) | instskip(SKIP_3) | instid1(VALU_DEP_1)
	v_cvt_f32_u32_e32 v2, s10
	v_cvt_f32_u32_e32 v3, s11
	s_sub_u32 s0, 0, s10
	s_subb_u32 s3, 0, s11
	v_fmamk_f32 v2, v3, 0x4f800000, v2
	s_delay_alu instid0(VALU_DEP_1) | instskip(SKIP_2) | instid1(VALU_DEP_1)
	v_rcp_f32_e32 v2, v2
	s_waitcnt_depctr 0xfff
	v_mul_f32_e32 v2, 0x5f7ffffc, v2
	v_mul_f32_e32 v3, 0x2f800000, v2
	s_delay_alu instid0(VALU_DEP_1) | instskip(NEXT) | instid1(VALU_DEP_1)
	v_trunc_f32_e32 v3, v3
	v_fmamk_f32 v2, v3, 0xcf800000, v2
	v_cvt_u32_f32_e32 v3, v3
	s_delay_alu instid0(VALU_DEP_2) | instskip(NEXT) | instid1(VALU_DEP_2)
	v_cvt_u32_f32_e32 v2, v2
	v_mul_lo_u32 v6, s0, v3
	s_delay_alu instid0(VALU_DEP_2) | instskip(SKIP_1) | instid1(VALU_DEP_2)
	v_mul_hi_u32 v7, s0, v2
	v_mul_lo_u32 v8, s3, v2
	v_add_nc_u32_e32 v6, v7, v6
	v_mul_lo_u32 v7, s0, v2
	s_delay_alu instid0(VALU_DEP_2) | instskip(NEXT) | instid1(VALU_DEP_2)
	v_add_nc_u32_e32 v6, v6, v8
	v_mul_hi_u32 v8, v2, v7
	s_delay_alu instid0(VALU_DEP_2)
	v_mul_lo_u32 v9, v2, v6
	v_mul_hi_u32 v10, v2, v6
	v_mul_hi_u32 v11, v3, v7
	v_mul_lo_u32 v7, v3, v7
	v_mul_hi_u32 v12, v3, v6
	v_mul_lo_u32 v6, v3, v6
	v_add_co_u32 v8, vcc_lo, v8, v9
	v_add_co_ci_u32_e32 v9, vcc_lo, 0, v10, vcc_lo
	s_delay_alu instid0(VALU_DEP_2) | instskip(NEXT) | instid1(VALU_DEP_2)
	v_add_co_u32 v7, vcc_lo, v8, v7
	v_add_co_ci_u32_e32 v7, vcc_lo, v9, v11, vcc_lo
	v_add_co_ci_u32_e32 v8, vcc_lo, 0, v12, vcc_lo
	v_ashrrev_i32_e32 v11, 31, v5
	s_delay_alu instid0(VALU_DEP_3) | instskip(NEXT) | instid1(VALU_DEP_3)
	v_add_co_u32 v6, vcc_lo, v7, v6
	v_add_co_ci_u32_e32 v7, vcc_lo, 0, v8, vcc_lo
	s_delay_alu instid0(VALU_DEP_2) | instskip(NEXT) | instid1(VALU_DEP_2)
	v_add_co_u32 v2, vcc_lo, v2, v6
	v_add_co_ci_u32_e32 v3, vcc_lo, v3, v7, vcc_lo
	s_delay_alu instid0(VALU_DEP_2) | instskip(SKIP_1) | instid1(VALU_DEP_3)
	v_mul_hi_u32 v6, s0, v2
	v_mul_lo_u32 v8, s3, v2
	v_mul_lo_u32 v7, s0, v3
	s_delay_alu instid0(VALU_DEP_1) | instskip(SKIP_1) | instid1(VALU_DEP_2)
	v_add_nc_u32_e32 v6, v6, v7
	v_mul_lo_u32 v7, s0, v2
	v_add_nc_u32_e32 v6, v6, v8
	s_delay_alu instid0(VALU_DEP_2) | instskip(NEXT) | instid1(VALU_DEP_2)
	v_mul_hi_u32 v8, v2, v7
	v_mul_lo_u32 v9, v2, v6
	v_mul_hi_u32 v10, v2, v6
	v_mul_hi_u32 v12, v3, v7
	v_mul_lo_u32 v7, v3, v7
	v_mul_hi_u32 v13, v3, v6
	v_mul_lo_u32 v6, v3, v6
	v_add_co_u32 v8, vcc_lo, v8, v9
	v_add_co_ci_u32_e32 v9, vcc_lo, 0, v10, vcc_lo
	s_delay_alu instid0(VALU_DEP_2) | instskip(NEXT) | instid1(VALU_DEP_2)
	v_add_co_u32 v7, vcc_lo, v8, v7
	v_add_co_ci_u32_e32 v7, vcc_lo, v9, v12, vcc_lo
	v_add_co_ci_u32_e32 v8, vcc_lo, 0, v13, vcc_lo
	v_add_co_u32 v4, vcc_lo, v4, v11
	v_add_co_ci_u32_e32 v5, vcc_lo, v5, v11, vcc_lo
	s_delay_alu instid0(VALU_DEP_4) | instskip(NEXT) | instid1(VALU_DEP_4)
	v_add_co_u32 v6, vcc_lo, v7, v6
	v_add_co_ci_u32_e32 v7, vcc_lo, 0, v8, vcc_lo
	s_delay_alu instid0(VALU_DEP_4) | instskip(NEXT) | instid1(VALU_DEP_3)
	v_xor_b32_e32 v8, v4, v11
	v_add_co_u32 v6, vcc_lo, v2, v6
	s_delay_alu instid0(VALU_DEP_3) | instskip(SKIP_1) | instid1(VALU_DEP_3)
	v_add_co_ci_u32_e32 v9, vcc_lo, v3, v7, vcc_lo
	v_xor_b32_e32 v10, v5, v11
	v_mul_hi_u32 v12, v8, v6
	s_delay_alu instid0(VALU_DEP_3) | instskip(NEXT) | instid1(VALU_DEP_3)
	v_mad_u64_u32 v[2:3], null, v8, v9, 0
	v_mad_u64_u32 v[4:5], null, v10, v6, 0
	;; [unrolled: 1-line block ×3, first 2 shown]
	s_delay_alu instid0(VALU_DEP_3) | instskip(NEXT) | instid1(VALU_DEP_4)
	v_add_co_u32 v2, vcc_lo, v12, v2
	v_add_co_ci_u32_e32 v3, vcc_lo, 0, v3, vcc_lo
	s_delay_alu instid0(VALU_DEP_2) | instskip(NEXT) | instid1(VALU_DEP_2)
	v_add_co_u32 v2, vcc_lo, v2, v4
	v_add_co_ci_u32_e32 v2, vcc_lo, v3, v5, vcc_lo
	v_add_co_ci_u32_e32 v3, vcc_lo, 0, v7, vcc_lo
	s_delay_alu instid0(VALU_DEP_2) | instskip(NEXT) | instid1(VALU_DEP_2)
	v_add_co_u32 v4, vcc_lo, v2, v6
	v_add_co_ci_u32_e32 v5, vcc_lo, 0, v3, vcc_lo
	s_delay_alu instid0(VALU_DEP_2) | instskip(SKIP_1) | instid1(VALU_DEP_3)
	v_mul_lo_u32 v6, s11, v4
	v_mad_u64_u32 v[2:3], null, s10, v4, 0
	v_mul_lo_u32 v4, s10, v5
	s_delay_alu instid0(VALU_DEP_2) | instskip(NEXT) | instid1(VALU_DEP_2)
	v_sub_co_u32 v2, vcc_lo, v8, v2
	v_add3_u32 v3, v3, v4, v6
	s_delay_alu instid0(VALU_DEP_1) | instskip(NEXT) | instid1(VALU_DEP_1)
	v_sub_nc_u32_e32 v4, v10, v3
	v_subrev_co_ci_u32_e64 v4, s0, s11, v4, vcc_lo
	v_sub_co_ci_u32_e32 v3, vcc_lo, v10, v3, vcc_lo
	v_sub_co_u32 v5, vcc_lo, v2, s10
	s_delay_alu instid0(VALU_DEP_1) | instskip(SKIP_3) | instid1(VALU_DEP_3)
	v_subrev_co_ci_u32_e64 v6, s0, 0, v4, vcc_lo
	v_cmp_le_u32_e64 s0, s10, v2
	v_subrev_co_ci_u32_e32 v4, vcc_lo, s11, v4, vcc_lo
	v_cmp_le_u32_e32 vcc_lo, s11, v3
	v_cndmask_b32_e64 v7, 0, -1, s0
	v_cmp_le_u32_e64 s0, s10, v5
	v_cndmask_b32_e64 v10, 0, -1, vcc_lo
	v_cmp_eq_u32_e32 vcc_lo, s11, v6
	s_delay_alu instid0(VALU_DEP_3) | instskip(SKIP_1) | instid1(VALU_DEP_1)
	v_cndmask_b32_e64 v8, 0, -1, s0
	v_cmp_le_u32_e64 s0, s11, v6
	v_cndmask_b32_e64 v9, 0, -1, s0
	v_cmp_eq_u32_e64 s0, s11, v3
	s_delay_alu instid0(VALU_DEP_2) | instskip(SKIP_2) | instid1(VALU_DEP_3)
	v_cndmask_b32_e32 v8, v9, v8, vcc_lo
	v_sub_co_u32 v9, vcc_lo, v5, s10
	v_subrev_co_ci_u32_e32 v4, vcc_lo, 0, v4, vcc_lo
	v_cmp_ne_u32_e32 vcc_lo, 0, v8
	v_cndmask_b32_e64 v7, v10, v7, s0
	s_delay_alu instid0(VALU_DEP_3) | instskip(NEXT) | instid1(VALU_DEP_2)
	v_dual_cndmask_b32 v4, v6, v4 :: v_dual_cndmask_b32 v5, v5, v9
	v_cmp_ne_u32_e32 vcc_lo, 0, v7
	s_delay_alu instid0(VALU_DEP_2) | instskip(NEXT) | instid1(VALU_DEP_1)
	v_dual_cndmask_b32 v2, v2, v5 :: v_dual_cndmask_b32 v3, v3, v4
                                        ; implicit-def: $vgpr4_vgpr5
	v_xor_b32_e32 v2, v2, v11
	s_delay_alu instid0(VALU_DEP_2) | instskip(NEXT) | instid1(VALU_DEP_2)
	v_xor_b32_e32 v3, v3, v11
	v_sub_co_u32 v2, vcc_lo, v2, v11
	s_delay_alu instid0(VALU_DEP_2)
	v_sub_co_ci_u32_e32 v3, vcc_lo, v3, v11, vcc_lo
.LBB81_167:
	s_and_not1_saveexec_b32 s0, s1
	s_cbranch_execz .LBB81_169
; %bb.168:
	v_cvt_f32_u32_e32 v2, s12
	s_sub_i32 s1, 0, s12
	s_delay_alu instid0(VALU_DEP_1) | instskip(SKIP_2) | instid1(VALU_DEP_1)
	v_rcp_iflag_f32_e32 v2, v2
	s_waitcnt_depctr 0xfff
	v_mul_f32_e32 v2, 0x4f7ffffe, v2
	v_cvt_u32_f32_e32 v2, v2
	s_delay_alu instid0(VALU_DEP_1) | instskip(NEXT) | instid1(VALU_DEP_1)
	v_mul_lo_u32 v3, s1, v2
	v_mul_hi_u32 v3, v2, v3
	s_delay_alu instid0(VALU_DEP_1) | instskip(NEXT) | instid1(VALU_DEP_1)
	v_add_nc_u32_e32 v2, v2, v3
	v_mul_hi_u32 v2, v4, v2
	s_delay_alu instid0(VALU_DEP_1) | instskip(NEXT) | instid1(VALU_DEP_1)
	v_mul_lo_u32 v2, v2, s12
	v_sub_nc_u32_e32 v2, v4, v2
	s_delay_alu instid0(VALU_DEP_1) | instskip(SKIP_1) | instid1(VALU_DEP_2)
	v_subrev_nc_u32_e32 v3, s12, v2
	v_cmp_le_u32_e32 vcc_lo, s12, v2
	v_cndmask_b32_e32 v2, v2, v3, vcc_lo
	s_delay_alu instid0(VALU_DEP_1) | instskip(SKIP_1) | instid1(VALU_DEP_2)
	v_subrev_nc_u32_e32 v3, s12, v2
	v_cmp_le_u32_e32 vcc_lo, s12, v2
	v_dual_cndmask_b32 v2, v2, v3 :: v_dual_mov_b32 v3, 0
.LBB81_169:
	s_or_b32 exec_lo, exec_lo, s0
	global_store_b64 v[0:1], v[2:3], off
                                        ; implicit-def: $vgpr4_vgpr5
	s_and_not1_saveexec_b32 s0, s19
	s_cbranch_execz .LBB81_173
.LBB81_170:
	s_waitcnt lgkmcnt(0)
	s_cmp_gt_i32 s18, 1
	s_cselect_b32 s0, -1, 0
	s_xor_b32 s1, s2, -1
	s_delay_alu instid0(SALU_CYCLE_1) | instskip(NEXT) | instid1(SALU_CYCLE_1)
	s_and_b32 s0, s0, s1
	s_and_saveexec_b32 s1, s0
	s_cbranch_execz .LBB81_173
; %bb.171:
	s_add_i32 s0, s18, -1
	v_lshlrev_b64 v[0:1], 3, v[4:5]
	s_mul_i32 s1, s5, s0
	s_mul_hi_u32 s2, s4, s0
	s_mul_i32 s0, s4, s0
	s_add_i32 s1, s2, s1
	s_waitcnt vmcnt(0)
	v_dual_mov_b32 v2, s8 :: v_dual_mov_b32 v3, s9
	s_lshl_b64 s[2:3], s[0:1], 3
	s_add_i32 s0, s18, 1
	s_add_u32 s1, s6, s2
	s_addc_u32 s2, s7, s3
	v_add_co_u32 v0, vcc_lo, s1, v0
	v_add_co_ci_u32_e32 v1, vcc_lo, s2, v1, vcc_lo
	s_lshl_b64 s[2:3], s[4:5], 3
	s_delay_alu instid0(SALU_CYCLE_1)
	s_sub_u32 s1, 0, s2
	s_subb_u32 s2, 0, s3
.LBB81_172:                             ; =>This Inner Loop Header: Depth=1
	global_store_b64 v[0:1], v[2:3], off
	v_add_co_u32 v0, vcc_lo, v0, s1
	v_add_co_ci_u32_e32 v1, vcc_lo, s2, v1, vcc_lo
	s_add_i32 s0, s0, -1
	s_delay_alu instid0(SALU_CYCLE_1)
	s_cmp_gt_u32 s0, 2
	s_cbranch_scc1 .LBB81_172
.LBB81_173:
	s_nop 0
	s_sendmsg sendmsg(MSG_DEALLOC_VGPRS)
	s_endpgm
	.section	.rodata,"a",@progbits
	.p2align	6, 0x0
	.amdhsa_kernel _ZN2at6native12_GLOBAL__N_113write_indicesIlEEvPlNS1_10TensorDimsIT_EEiS5_S3_l
		.amdhsa_group_segment_fixed_size 0
		.amdhsa_private_segment_fixed_size 0
		.amdhsa_kernarg_size 424
		.amdhsa_user_sgpr_count 15
		.amdhsa_user_sgpr_dispatch_ptr 0
		.amdhsa_user_sgpr_queue_ptr 0
		.amdhsa_user_sgpr_kernarg_segment_ptr 1
		.amdhsa_user_sgpr_dispatch_id 0
		.amdhsa_user_sgpr_private_segment_size 0
		.amdhsa_wavefront_size32 1
		.amdhsa_uses_dynamic_stack 0
		.amdhsa_enable_private_segment 0
		.amdhsa_system_sgpr_workgroup_id_x 1
		.amdhsa_system_sgpr_workgroup_id_y 0
		.amdhsa_system_sgpr_workgroup_id_z 0
		.amdhsa_system_sgpr_workgroup_info 0
		.amdhsa_system_vgpr_workitem_id 0
		.amdhsa_next_free_vgpr 16
		.amdhsa_next_free_sgpr 22
		.amdhsa_reserve_vcc 1
		.amdhsa_float_round_mode_32 0
		.amdhsa_float_round_mode_16_64 0
		.amdhsa_float_denorm_mode_32 3
		.amdhsa_float_denorm_mode_16_64 3
		.amdhsa_dx10_clamp 1
		.amdhsa_ieee_mode 1
		.amdhsa_fp16_overflow 0
		.amdhsa_workgroup_processor_mode 1
		.amdhsa_memory_ordered 1
		.amdhsa_forward_progress 0
		.amdhsa_shared_vgpr_count 0
		.amdhsa_exception_fp_ieee_invalid_op 0
		.amdhsa_exception_fp_denorm_src 0
		.amdhsa_exception_fp_ieee_div_zero 0
		.amdhsa_exception_fp_ieee_overflow 0
		.amdhsa_exception_fp_ieee_underflow 0
		.amdhsa_exception_fp_ieee_inexact 0
		.amdhsa_exception_int_div_zero 0
	.end_amdhsa_kernel
	.section	.text._ZN2at6native12_GLOBAL__N_113write_indicesIlEEvPlNS1_10TensorDimsIT_EEiS5_S3_l,"axG",@progbits,_ZN2at6native12_GLOBAL__N_113write_indicesIlEEvPlNS1_10TensorDimsIT_EEiS5_S3_l,comdat
.Lfunc_end81:
	.size	_ZN2at6native12_GLOBAL__N_113write_indicesIlEEvPlNS1_10TensorDimsIT_EEiS5_S3_l, .Lfunc_end81-_ZN2at6native12_GLOBAL__N_113write_indicesIlEEvPlNS1_10TensorDimsIT_EEiS5_S3_l
                                        ; -- End function
	.section	.AMDGPU.csdata,"",@progbits
; Kernel info:
; codeLenInByte = 34572
; NumSgprs: 24
; NumVgprs: 16
; ScratchSize: 0
; MemoryBound: 1
; FloatMode: 240
; IeeeMode: 1
; LDSByteSize: 0 bytes/workgroup (compile time only)
; SGPRBlocks: 2
; VGPRBlocks: 1
; NumSGPRsForWavesPerEU: 24
; NumVGPRsForWavesPerEU: 16
; Occupancy: 16
; WaveLimiterHint : 1
; COMPUTE_PGM_RSRC2:SCRATCH_EN: 0
; COMPUTE_PGM_RSRC2:USER_SGPR: 15
; COMPUTE_PGM_RSRC2:TRAP_HANDLER: 0
; COMPUTE_PGM_RSRC2:TGID_X_EN: 1
; COMPUTE_PGM_RSRC2:TGID_Y_EN: 0
; COMPUTE_PGM_RSRC2:TGID_Z_EN: 0
; COMPUTE_PGM_RSRC2:TIDIG_COMP_CNT: 0
	.section	.text._ZN7rocprim17ROCPRIM_400000_NS6detail17trampoline_kernelINS0_14default_configENS1_22reduce_config_selectorIiEEZNS1_11reduce_implILb1ES3_PiS7_iN6hipcub16HIPCUB_304000_NS6detail34convert_binary_result_type_wrapperINS9_3SumENS9_22TransformInputIteratorIbN2at6native12_GLOBAL__N_19NonZeroOpIaEEPKalEEiEEEE10hipError_tPvRmT1_T2_T3_mT4_P12ihipStream_tbEUlT_E0_NS1_11comp_targetILNS1_3genE0ELNS1_11target_archE4294967295ELNS1_3gpuE0ELNS1_3repE0EEENS1_30default_config_static_selectorELNS0_4arch9wavefront6targetE0EEEvSQ_,"axG",@progbits,_ZN7rocprim17ROCPRIM_400000_NS6detail17trampoline_kernelINS0_14default_configENS1_22reduce_config_selectorIiEEZNS1_11reduce_implILb1ES3_PiS7_iN6hipcub16HIPCUB_304000_NS6detail34convert_binary_result_type_wrapperINS9_3SumENS9_22TransformInputIteratorIbN2at6native12_GLOBAL__N_19NonZeroOpIaEEPKalEEiEEEE10hipError_tPvRmT1_T2_T3_mT4_P12ihipStream_tbEUlT_E0_NS1_11comp_targetILNS1_3genE0ELNS1_11target_archE4294967295ELNS1_3gpuE0ELNS1_3repE0EEENS1_30default_config_static_selectorELNS0_4arch9wavefront6targetE0EEEvSQ_,comdat
	.globl	_ZN7rocprim17ROCPRIM_400000_NS6detail17trampoline_kernelINS0_14default_configENS1_22reduce_config_selectorIiEEZNS1_11reduce_implILb1ES3_PiS7_iN6hipcub16HIPCUB_304000_NS6detail34convert_binary_result_type_wrapperINS9_3SumENS9_22TransformInputIteratorIbN2at6native12_GLOBAL__N_19NonZeroOpIaEEPKalEEiEEEE10hipError_tPvRmT1_T2_T3_mT4_P12ihipStream_tbEUlT_E0_NS1_11comp_targetILNS1_3genE0ELNS1_11target_archE4294967295ELNS1_3gpuE0ELNS1_3repE0EEENS1_30default_config_static_selectorELNS0_4arch9wavefront6targetE0EEEvSQ_ ; -- Begin function _ZN7rocprim17ROCPRIM_400000_NS6detail17trampoline_kernelINS0_14default_configENS1_22reduce_config_selectorIiEEZNS1_11reduce_implILb1ES3_PiS7_iN6hipcub16HIPCUB_304000_NS6detail34convert_binary_result_type_wrapperINS9_3SumENS9_22TransformInputIteratorIbN2at6native12_GLOBAL__N_19NonZeroOpIaEEPKalEEiEEEE10hipError_tPvRmT1_T2_T3_mT4_P12ihipStream_tbEUlT_E0_NS1_11comp_targetILNS1_3genE0ELNS1_11target_archE4294967295ELNS1_3gpuE0ELNS1_3repE0EEENS1_30default_config_static_selectorELNS0_4arch9wavefront6targetE0EEEvSQ_
	.p2align	8
	.type	_ZN7rocprim17ROCPRIM_400000_NS6detail17trampoline_kernelINS0_14default_configENS1_22reduce_config_selectorIiEEZNS1_11reduce_implILb1ES3_PiS7_iN6hipcub16HIPCUB_304000_NS6detail34convert_binary_result_type_wrapperINS9_3SumENS9_22TransformInputIteratorIbN2at6native12_GLOBAL__N_19NonZeroOpIaEEPKalEEiEEEE10hipError_tPvRmT1_T2_T3_mT4_P12ihipStream_tbEUlT_E0_NS1_11comp_targetILNS1_3genE0ELNS1_11target_archE4294967295ELNS1_3gpuE0ELNS1_3repE0EEENS1_30default_config_static_selectorELNS0_4arch9wavefront6targetE0EEEvSQ_,@function
_ZN7rocprim17ROCPRIM_400000_NS6detail17trampoline_kernelINS0_14default_configENS1_22reduce_config_selectorIiEEZNS1_11reduce_implILb1ES3_PiS7_iN6hipcub16HIPCUB_304000_NS6detail34convert_binary_result_type_wrapperINS9_3SumENS9_22TransformInputIteratorIbN2at6native12_GLOBAL__N_19NonZeroOpIaEEPKalEEiEEEE10hipError_tPvRmT1_T2_T3_mT4_P12ihipStream_tbEUlT_E0_NS1_11comp_targetILNS1_3genE0ELNS1_11target_archE4294967295ELNS1_3gpuE0ELNS1_3repE0EEENS1_30default_config_static_selectorELNS0_4arch9wavefront6targetE0EEEvSQ_: ; @_ZN7rocprim17ROCPRIM_400000_NS6detail17trampoline_kernelINS0_14default_configENS1_22reduce_config_selectorIiEEZNS1_11reduce_implILb1ES3_PiS7_iN6hipcub16HIPCUB_304000_NS6detail34convert_binary_result_type_wrapperINS9_3SumENS9_22TransformInputIteratorIbN2at6native12_GLOBAL__N_19NonZeroOpIaEEPKalEEiEEEE10hipError_tPvRmT1_T2_T3_mT4_P12ihipStream_tbEUlT_E0_NS1_11comp_targetILNS1_3genE0ELNS1_11target_archE4294967295ELNS1_3gpuE0ELNS1_3repE0EEENS1_30default_config_static_selectorELNS0_4arch9wavefront6targetE0EEEvSQ_
; %bb.0:
	.section	.rodata,"a",@progbits
	.p2align	6, 0x0
	.amdhsa_kernel _ZN7rocprim17ROCPRIM_400000_NS6detail17trampoline_kernelINS0_14default_configENS1_22reduce_config_selectorIiEEZNS1_11reduce_implILb1ES3_PiS7_iN6hipcub16HIPCUB_304000_NS6detail34convert_binary_result_type_wrapperINS9_3SumENS9_22TransformInputIteratorIbN2at6native12_GLOBAL__N_19NonZeroOpIaEEPKalEEiEEEE10hipError_tPvRmT1_T2_T3_mT4_P12ihipStream_tbEUlT_E0_NS1_11comp_targetILNS1_3genE0ELNS1_11target_archE4294967295ELNS1_3gpuE0ELNS1_3repE0EEENS1_30default_config_static_selectorELNS0_4arch9wavefront6targetE0EEEvSQ_
		.amdhsa_group_segment_fixed_size 0
		.amdhsa_private_segment_fixed_size 0
		.amdhsa_kernarg_size 56
		.amdhsa_user_sgpr_count 15
		.amdhsa_user_sgpr_dispatch_ptr 0
		.amdhsa_user_sgpr_queue_ptr 0
		.amdhsa_user_sgpr_kernarg_segment_ptr 1
		.amdhsa_user_sgpr_dispatch_id 0
		.amdhsa_user_sgpr_private_segment_size 0
		.amdhsa_wavefront_size32 1
		.amdhsa_uses_dynamic_stack 0
		.amdhsa_enable_private_segment 0
		.amdhsa_system_sgpr_workgroup_id_x 1
		.amdhsa_system_sgpr_workgroup_id_y 0
		.amdhsa_system_sgpr_workgroup_id_z 0
		.amdhsa_system_sgpr_workgroup_info 0
		.amdhsa_system_vgpr_workitem_id 0
		.amdhsa_next_free_vgpr 1
		.amdhsa_next_free_sgpr 1
		.amdhsa_reserve_vcc 0
		.amdhsa_float_round_mode_32 0
		.amdhsa_float_round_mode_16_64 0
		.amdhsa_float_denorm_mode_32 3
		.amdhsa_float_denorm_mode_16_64 3
		.amdhsa_dx10_clamp 1
		.amdhsa_ieee_mode 1
		.amdhsa_fp16_overflow 0
		.amdhsa_workgroup_processor_mode 1
		.amdhsa_memory_ordered 1
		.amdhsa_forward_progress 0
		.amdhsa_shared_vgpr_count 0
		.amdhsa_exception_fp_ieee_invalid_op 0
		.amdhsa_exception_fp_denorm_src 0
		.amdhsa_exception_fp_ieee_div_zero 0
		.amdhsa_exception_fp_ieee_overflow 0
		.amdhsa_exception_fp_ieee_underflow 0
		.amdhsa_exception_fp_ieee_inexact 0
		.amdhsa_exception_int_div_zero 0
	.end_amdhsa_kernel
	.section	.text._ZN7rocprim17ROCPRIM_400000_NS6detail17trampoline_kernelINS0_14default_configENS1_22reduce_config_selectorIiEEZNS1_11reduce_implILb1ES3_PiS7_iN6hipcub16HIPCUB_304000_NS6detail34convert_binary_result_type_wrapperINS9_3SumENS9_22TransformInputIteratorIbN2at6native12_GLOBAL__N_19NonZeroOpIaEEPKalEEiEEEE10hipError_tPvRmT1_T2_T3_mT4_P12ihipStream_tbEUlT_E0_NS1_11comp_targetILNS1_3genE0ELNS1_11target_archE4294967295ELNS1_3gpuE0ELNS1_3repE0EEENS1_30default_config_static_selectorELNS0_4arch9wavefront6targetE0EEEvSQ_,"axG",@progbits,_ZN7rocprim17ROCPRIM_400000_NS6detail17trampoline_kernelINS0_14default_configENS1_22reduce_config_selectorIiEEZNS1_11reduce_implILb1ES3_PiS7_iN6hipcub16HIPCUB_304000_NS6detail34convert_binary_result_type_wrapperINS9_3SumENS9_22TransformInputIteratorIbN2at6native12_GLOBAL__N_19NonZeroOpIaEEPKalEEiEEEE10hipError_tPvRmT1_T2_T3_mT4_P12ihipStream_tbEUlT_E0_NS1_11comp_targetILNS1_3genE0ELNS1_11target_archE4294967295ELNS1_3gpuE0ELNS1_3repE0EEENS1_30default_config_static_selectorELNS0_4arch9wavefront6targetE0EEEvSQ_,comdat
.Lfunc_end82:
	.size	_ZN7rocprim17ROCPRIM_400000_NS6detail17trampoline_kernelINS0_14default_configENS1_22reduce_config_selectorIiEEZNS1_11reduce_implILb1ES3_PiS7_iN6hipcub16HIPCUB_304000_NS6detail34convert_binary_result_type_wrapperINS9_3SumENS9_22TransformInputIteratorIbN2at6native12_GLOBAL__N_19NonZeroOpIaEEPKalEEiEEEE10hipError_tPvRmT1_T2_T3_mT4_P12ihipStream_tbEUlT_E0_NS1_11comp_targetILNS1_3genE0ELNS1_11target_archE4294967295ELNS1_3gpuE0ELNS1_3repE0EEENS1_30default_config_static_selectorELNS0_4arch9wavefront6targetE0EEEvSQ_, .Lfunc_end82-_ZN7rocprim17ROCPRIM_400000_NS6detail17trampoline_kernelINS0_14default_configENS1_22reduce_config_selectorIiEEZNS1_11reduce_implILb1ES3_PiS7_iN6hipcub16HIPCUB_304000_NS6detail34convert_binary_result_type_wrapperINS9_3SumENS9_22TransformInputIteratorIbN2at6native12_GLOBAL__N_19NonZeroOpIaEEPKalEEiEEEE10hipError_tPvRmT1_T2_T3_mT4_P12ihipStream_tbEUlT_E0_NS1_11comp_targetILNS1_3genE0ELNS1_11target_archE4294967295ELNS1_3gpuE0ELNS1_3repE0EEENS1_30default_config_static_selectorELNS0_4arch9wavefront6targetE0EEEvSQ_
                                        ; -- End function
	.section	.AMDGPU.csdata,"",@progbits
; Kernel info:
; codeLenInByte = 0
; NumSgprs: 0
; NumVgprs: 0
; ScratchSize: 0
; MemoryBound: 0
; FloatMode: 240
; IeeeMode: 1
; LDSByteSize: 0 bytes/workgroup (compile time only)
; SGPRBlocks: 0
; VGPRBlocks: 0
; NumSGPRsForWavesPerEU: 1
; NumVGPRsForWavesPerEU: 1
; Occupancy: 16
; WaveLimiterHint : 0
; COMPUTE_PGM_RSRC2:SCRATCH_EN: 0
; COMPUTE_PGM_RSRC2:USER_SGPR: 15
; COMPUTE_PGM_RSRC2:TRAP_HANDLER: 0
; COMPUTE_PGM_RSRC2:TGID_X_EN: 1
; COMPUTE_PGM_RSRC2:TGID_Y_EN: 0
; COMPUTE_PGM_RSRC2:TGID_Z_EN: 0
; COMPUTE_PGM_RSRC2:TIDIG_COMP_CNT: 0
	.section	.text._ZN7rocprim17ROCPRIM_400000_NS6detail17trampoline_kernelINS0_14default_configENS1_22reduce_config_selectorIiEEZNS1_11reduce_implILb1ES3_PiS7_iN6hipcub16HIPCUB_304000_NS6detail34convert_binary_result_type_wrapperINS9_3SumENS9_22TransformInputIteratorIbN2at6native12_GLOBAL__N_19NonZeroOpIaEEPKalEEiEEEE10hipError_tPvRmT1_T2_T3_mT4_P12ihipStream_tbEUlT_E0_NS1_11comp_targetILNS1_3genE5ELNS1_11target_archE942ELNS1_3gpuE9ELNS1_3repE0EEENS1_30default_config_static_selectorELNS0_4arch9wavefront6targetE0EEEvSQ_,"axG",@progbits,_ZN7rocprim17ROCPRIM_400000_NS6detail17trampoline_kernelINS0_14default_configENS1_22reduce_config_selectorIiEEZNS1_11reduce_implILb1ES3_PiS7_iN6hipcub16HIPCUB_304000_NS6detail34convert_binary_result_type_wrapperINS9_3SumENS9_22TransformInputIteratorIbN2at6native12_GLOBAL__N_19NonZeroOpIaEEPKalEEiEEEE10hipError_tPvRmT1_T2_T3_mT4_P12ihipStream_tbEUlT_E0_NS1_11comp_targetILNS1_3genE5ELNS1_11target_archE942ELNS1_3gpuE9ELNS1_3repE0EEENS1_30default_config_static_selectorELNS0_4arch9wavefront6targetE0EEEvSQ_,comdat
	.globl	_ZN7rocprim17ROCPRIM_400000_NS6detail17trampoline_kernelINS0_14default_configENS1_22reduce_config_selectorIiEEZNS1_11reduce_implILb1ES3_PiS7_iN6hipcub16HIPCUB_304000_NS6detail34convert_binary_result_type_wrapperINS9_3SumENS9_22TransformInputIteratorIbN2at6native12_GLOBAL__N_19NonZeroOpIaEEPKalEEiEEEE10hipError_tPvRmT1_T2_T3_mT4_P12ihipStream_tbEUlT_E0_NS1_11comp_targetILNS1_3genE5ELNS1_11target_archE942ELNS1_3gpuE9ELNS1_3repE0EEENS1_30default_config_static_selectorELNS0_4arch9wavefront6targetE0EEEvSQ_ ; -- Begin function _ZN7rocprim17ROCPRIM_400000_NS6detail17trampoline_kernelINS0_14default_configENS1_22reduce_config_selectorIiEEZNS1_11reduce_implILb1ES3_PiS7_iN6hipcub16HIPCUB_304000_NS6detail34convert_binary_result_type_wrapperINS9_3SumENS9_22TransformInputIteratorIbN2at6native12_GLOBAL__N_19NonZeroOpIaEEPKalEEiEEEE10hipError_tPvRmT1_T2_T3_mT4_P12ihipStream_tbEUlT_E0_NS1_11comp_targetILNS1_3genE5ELNS1_11target_archE942ELNS1_3gpuE9ELNS1_3repE0EEENS1_30default_config_static_selectorELNS0_4arch9wavefront6targetE0EEEvSQ_
	.p2align	8
	.type	_ZN7rocprim17ROCPRIM_400000_NS6detail17trampoline_kernelINS0_14default_configENS1_22reduce_config_selectorIiEEZNS1_11reduce_implILb1ES3_PiS7_iN6hipcub16HIPCUB_304000_NS6detail34convert_binary_result_type_wrapperINS9_3SumENS9_22TransformInputIteratorIbN2at6native12_GLOBAL__N_19NonZeroOpIaEEPKalEEiEEEE10hipError_tPvRmT1_T2_T3_mT4_P12ihipStream_tbEUlT_E0_NS1_11comp_targetILNS1_3genE5ELNS1_11target_archE942ELNS1_3gpuE9ELNS1_3repE0EEENS1_30default_config_static_selectorELNS0_4arch9wavefront6targetE0EEEvSQ_,@function
_ZN7rocprim17ROCPRIM_400000_NS6detail17trampoline_kernelINS0_14default_configENS1_22reduce_config_selectorIiEEZNS1_11reduce_implILb1ES3_PiS7_iN6hipcub16HIPCUB_304000_NS6detail34convert_binary_result_type_wrapperINS9_3SumENS9_22TransformInputIteratorIbN2at6native12_GLOBAL__N_19NonZeroOpIaEEPKalEEiEEEE10hipError_tPvRmT1_T2_T3_mT4_P12ihipStream_tbEUlT_E0_NS1_11comp_targetILNS1_3genE5ELNS1_11target_archE942ELNS1_3gpuE9ELNS1_3repE0EEENS1_30default_config_static_selectorELNS0_4arch9wavefront6targetE0EEEvSQ_: ; @_ZN7rocprim17ROCPRIM_400000_NS6detail17trampoline_kernelINS0_14default_configENS1_22reduce_config_selectorIiEEZNS1_11reduce_implILb1ES3_PiS7_iN6hipcub16HIPCUB_304000_NS6detail34convert_binary_result_type_wrapperINS9_3SumENS9_22TransformInputIteratorIbN2at6native12_GLOBAL__N_19NonZeroOpIaEEPKalEEiEEEE10hipError_tPvRmT1_T2_T3_mT4_P12ihipStream_tbEUlT_E0_NS1_11comp_targetILNS1_3genE5ELNS1_11target_archE942ELNS1_3gpuE9ELNS1_3repE0EEENS1_30default_config_static_selectorELNS0_4arch9wavefront6targetE0EEEvSQ_
; %bb.0:
	.section	.rodata,"a",@progbits
	.p2align	6, 0x0
	.amdhsa_kernel _ZN7rocprim17ROCPRIM_400000_NS6detail17trampoline_kernelINS0_14default_configENS1_22reduce_config_selectorIiEEZNS1_11reduce_implILb1ES3_PiS7_iN6hipcub16HIPCUB_304000_NS6detail34convert_binary_result_type_wrapperINS9_3SumENS9_22TransformInputIteratorIbN2at6native12_GLOBAL__N_19NonZeroOpIaEEPKalEEiEEEE10hipError_tPvRmT1_T2_T3_mT4_P12ihipStream_tbEUlT_E0_NS1_11comp_targetILNS1_3genE5ELNS1_11target_archE942ELNS1_3gpuE9ELNS1_3repE0EEENS1_30default_config_static_selectorELNS0_4arch9wavefront6targetE0EEEvSQ_
		.amdhsa_group_segment_fixed_size 0
		.amdhsa_private_segment_fixed_size 0
		.amdhsa_kernarg_size 56
		.amdhsa_user_sgpr_count 15
		.amdhsa_user_sgpr_dispatch_ptr 0
		.amdhsa_user_sgpr_queue_ptr 0
		.amdhsa_user_sgpr_kernarg_segment_ptr 1
		.amdhsa_user_sgpr_dispatch_id 0
		.amdhsa_user_sgpr_private_segment_size 0
		.amdhsa_wavefront_size32 1
		.amdhsa_uses_dynamic_stack 0
		.amdhsa_enable_private_segment 0
		.amdhsa_system_sgpr_workgroup_id_x 1
		.amdhsa_system_sgpr_workgroup_id_y 0
		.amdhsa_system_sgpr_workgroup_id_z 0
		.amdhsa_system_sgpr_workgroup_info 0
		.amdhsa_system_vgpr_workitem_id 0
		.amdhsa_next_free_vgpr 1
		.amdhsa_next_free_sgpr 1
		.amdhsa_reserve_vcc 0
		.amdhsa_float_round_mode_32 0
		.amdhsa_float_round_mode_16_64 0
		.amdhsa_float_denorm_mode_32 3
		.amdhsa_float_denorm_mode_16_64 3
		.amdhsa_dx10_clamp 1
		.amdhsa_ieee_mode 1
		.amdhsa_fp16_overflow 0
		.amdhsa_workgroup_processor_mode 1
		.amdhsa_memory_ordered 1
		.amdhsa_forward_progress 0
		.amdhsa_shared_vgpr_count 0
		.amdhsa_exception_fp_ieee_invalid_op 0
		.amdhsa_exception_fp_denorm_src 0
		.amdhsa_exception_fp_ieee_div_zero 0
		.amdhsa_exception_fp_ieee_overflow 0
		.amdhsa_exception_fp_ieee_underflow 0
		.amdhsa_exception_fp_ieee_inexact 0
		.amdhsa_exception_int_div_zero 0
	.end_amdhsa_kernel
	.section	.text._ZN7rocprim17ROCPRIM_400000_NS6detail17trampoline_kernelINS0_14default_configENS1_22reduce_config_selectorIiEEZNS1_11reduce_implILb1ES3_PiS7_iN6hipcub16HIPCUB_304000_NS6detail34convert_binary_result_type_wrapperINS9_3SumENS9_22TransformInputIteratorIbN2at6native12_GLOBAL__N_19NonZeroOpIaEEPKalEEiEEEE10hipError_tPvRmT1_T2_T3_mT4_P12ihipStream_tbEUlT_E0_NS1_11comp_targetILNS1_3genE5ELNS1_11target_archE942ELNS1_3gpuE9ELNS1_3repE0EEENS1_30default_config_static_selectorELNS0_4arch9wavefront6targetE0EEEvSQ_,"axG",@progbits,_ZN7rocprim17ROCPRIM_400000_NS6detail17trampoline_kernelINS0_14default_configENS1_22reduce_config_selectorIiEEZNS1_11reduce_implILb1ES3_PiS7_iN6hipcub16HIPCUB_304000_NS6detail34convert_binary_result_type_wrapperINS9_3SumENS9_22TransformInputIteratorIbN2at6native12_GLOBAL__N_19NonZeroOpIaEEPKalEEiEEEE10hipError_tPvRmT1_T2_T3_mT4_P12ihipStream_tbEUlT_E0_NS1_11comp_targetILNS1_3genE5ELNS1_11target_archE942ELNS1_3gpuE9ELNS1_3repE0EEENS1_30default_config_static_selectorELNS0_4arch9wavefront6targetE0EEEvSQ_,comdat
.Lfunc_end83:
	.size	_ZN7rocprim17ROCPRIM_400000_NS6detail17trampoline_kernelINS0_14default_configENS1_22reduce_config_selectorIiEEZNS1_11reduce_implILb1ES3_PiS7_iN6hipcub16HIPCUB_304000_NS6detail34convert_binary_result_type_wrapperINS9_3SumENS9_22TransformInputIteratorIbN2at6native12_GLOBAL__N_19NonZeroOpIaEEPKalEEiEEEE10hipError_tPvRmT1_T2_T3_mT4_P12ihipStream_tbEUlT_E0_NS1_11comp_targetILNS1_3genE5ELNS1_11target_archE942ELNS1_3gpuE9ELNS1_3repE0EEENS1_30default_config_static_selectorELNS0_4arch9wavefront6targetE0EEEvSQ_, .Lfunc_end83-_ZN7rocprim17ROCPRIM_400000_NS6detail17trampoline_kernelINS0_14default_configENS1_22reduce_config_selectorIiEEZNS1_11reduce_implILb1ES3_PiS7_iN6hipcub16HIPCUB_304000_NS6detail34convert_binary_result_type_wrapperINS9_3SumENS9_22TransformInputIteratorIbN2at6native12_GLOBAL__N_19NonZeroOpIaEEPKalEEiEEEE10hipError_tPvRmT1_T2_T3_mT4_P12ihipStream_tbEUlT_E0_NS1_11comp_targetILNS1_3genE5ELNS1_11target_archE942ELNS1_3gpuE9ELNS1_3repE0EEENS1_30default_config_static_selectorELNS0_4arch9wavefront6targetE0EEEvSQ_
                                        ; -- End function
	.section	.AMDGPU.csdata,"",@progbits
; Kernel info:
; codeLenInByte = 0
; NumSgprs: 0
; NumVgprs: 0
; ScratchSize: 0
; MemoryBound: 0
; FloatMode: 240
; IeeeMode: 1
; LDSByteSize: 0 bytes/workgroup (compile time only)
; SGPRBlocks: 0
; VGPRBlocks: 0
; NumSGPRsForWavesPerEU: 1
; NumVGPRsForWavesPerEU: 1
; Occupancy: 16
; WaveLimiterHint : 0
; COMPUTE_PGM_RSRC2:SCRATCH_EN: 0
; COMPUTE_PGM_RSRC2:USER_SGPR: 15
; COMPUTE_PGM_RSRC2:TRAP_HANDLER: 0
; COMPUTE_PGM_RSRC2:TGID_X_EN: 1
; COMPUTE_PGM_RSRC2:TGID_Y_EN: 0
; COMPUTE_PGM_RSRC2:TGID_Z_EN: 0
; COMPUTE_PGM_RSRC2:TIDIG_COMP_CNT: 0
	.section	.text._ZN7rocprim17ROCPRIM_400000_NS6detail17trampoline_kernelINS0_14default_configENS1_22reduce_config_selectorIiEEZNS1_11reduce_implILb1ES3_PiS7_iN6hipcub16HIPCUB_304000_NS6detail34convert_binary_result_type_wrapperINS9_3SumENS9_22TransformInputIteratorIbN2at6native12_GLOBAL__N_19NonZeroOpIaEEPKalEEiEEEE10hipError_tPvRmT1_T2_T3_mT4_P12ihipStream_tbEUlT_E0_NS1_11comp_targetILNS1_3genE4ELNS1_11target_archE910ELNS1_3gpuE8ELNS1_3repE0EEENS1_30default_config_static_selectorELNS0_4arch9wavefront6targetE0EEEvSQ_,"axG",@progbits,_ZN7rocprim17ROCPRIM_400000_NS6detail17trampoline_kernelINS0_14default_configENS1_22reduce_config_selectorIiEEZNS1_11reduce_implILb1ES3_PiS7_iN6hipcub16HIPCUB_304000_NS6detail34convert_binary_result_type_wrapperINS9_3SumENS9_22TransformInputIteratorIbN2at6native12_GLOBAL__N_19NonZeroOpIaEEPKalEEiEEEE10hipError_tPvRmT1_T2_T3_mT4_P12ihipStream_tbEUlT_E0_NS1_11comp_targetILNS1_3genE4ELNS1_11target_archE910ELNS1_3gpuE8ELNS1_3repE0EEENS1_30default_config_static_selectorELNS0_4arch9wavefront6targetE0EEEvSQ_,comdat
	.globl	_ZN7rocprim17ROCPRIM_400000_NS6detail17trampoline_kernelINS0_14default_configENS1_22reduce_config_selectorIiEEZNS1_11reduce_implILb1ES3_PiS7_iN6hipcub16HIPCUB_304000_NS6detail34convert_binary_result_type_wrapperINS9_3SumENS9_22TransformInputIteratorIbN2at6native12_GLOBAL__N_19NonZeroOpIaEEPKalEEiEEEE10hipError_tPvRmT1_T2_T3_mT4_P12ihipStream_tbEUlT_E0_NS1_11comp_targetILNS1_3genE4ELNS1_11target_archE910ELNS1_3gpuE8ELNS1_3repE0EEENS1_30default_config_static_selectorELNS0_4arch9wavefront6targetE0EEEvSQ_ ; -- Begin function _ZN7rocprim17ROCPRIM_400000_NS6detail17trampoline_kernelINS0_14default_configENS1_22reduce_config_selectorIiEEZNS1_11reduce_implILb1ES3_PiS7_iN6hipcub16HIPCUB_304000_NS6detail34convert_binary_result_type_wrapperINS9_3SumENS9_22TransformInputIteratorIbN2at6native12_GLOBAL__N_19NonZeroOpIaEEPKalEEiEEEE10hipError_tPvRmT1_T2_T3_mT4_P12ihipStream_tbEUlT_E0_NS1_11comp_targetILNS1_3genE4ELNS1_11target_archE910ELNS1_3gpuE8ELNS1_3repE0EEENS1_30default_config_static_selectorELNS0_4arch9wavefront6targetE0EEEvSQ_
	.p2align	8
	.type	_ZN7rocprim17ROCPRIM_400000_NS6detail17trampoline_kernelINS0_14default_configENS1_22reduce_config_selectorIiEEZNS1_11reduce_implILb1ES3_PiS7_iN6hipcub16HIPCUB_304000_NS6detail34convert_binary_result_type_wrapperINS9_3SumENS9_22TransformInputIteratorIbN2at6native12_GLOBAL__N_19NonZeroOpIaEEPKalEEiEEEE10hipError_tPvRmT1_T2_T3_mT4_P12ihipStream_tbEUlT_E0_NS1_11comp_targetILNS1_3genE4ELNS1_11target_archE910ELNS1_3gpuE8ELNS1_3repE0EEENS1_30default_config_static_selectorELNS0_4arch9wavefront6targetE0EEEvSQ_,@function
_ZN7rocprim17ROCPRIM_400000_NS6detail17trampoline_kernelINS0_14default_configENS1_22reduce_config_selectorIiEEZNS1_11reduce_implILb1ES3_PiS7_iN6hipcub16HIPCUB_304000_NS6detail34convert_binary_result_type_wrapperINS9_3SumENS9_22TransformInputIteratorIbN2at6native12_GLOBAL__N_19NonZeroOpIaEEPKalEEiEEEE10hipError_tPvRmT1_T2_T3_mT4_P12ihipStream_tbEUlT_E0_NS1_11comp_targetILNS1_3genE4ELNS1_11target_archE910ELNS1_3gpuE8ELNS1_3repE0EEENS1_30default_config_static_selectorELNS0_4arch9wavefront6targetE0EEEvSQ_: ; @_ZN7rocprim17ROCPRIM_400000_NS6detail17trampoline_kernelINS0_14default_configENS1_22reduce_config_selectorIiEEZNS1_11reduce_implILb1ES3_PiS7_iN6hipcub16HIPCUB_304000_NS6detail34convert_binary_result_type_wrapperINS9_3SumENS9_22TransformInputIteratorIbN2at6native12_GLOBAL__N_19NonZeroOpIaEEPKalEEiEEEE10hipError_tPvRmT1_T2_T3_mT4_P12ihipStream_tbEUlT_E0_NS1_11comp_targetILNS1_3genE4ELNS1_11target_archE910ELNS1_3gpuE8ELNS1_3repE0EEENS1_30default_config_static_selectorELNS0_4arch9wavefront6targetE0EEEvSQ_
; %bb.0:
	.section	.rodata,"a",@progbits
	.p2align	6, 0x0
	.amdhsa_kernel _ZN7rocprim17ROCPRIM_400000_NS6detail17trampoline_kernelINS0_14default_configENS1_22reduce_config_selectorIiEEZNS1_11reduce_implILb1ES3_PiS7_iN6hipcub16HIPCUB_304000_NS6detail34convert_binary_result_type_wrapperINS9_3SumENS9_22TransformInputIteratorIbN2at6native12_GLOBAL__N_19NonZeroOpIaEEPKalEEiEEEE10hipError_tPvRmT1_T2_T3_mT4_P12ihipStream_tbEUlT_E0_NS1_11comp_targetILNS1_3genE4ELNS1_11target_archE910ELNS1_3gpuE8ELNS1_3repE0EEENS1_30default_config_static_selectorELNS0_4arch9wavefront6targetE0EEEvSQ_
		.amdhsa_group_segment_fixed_size 0
		.amdhsa_private_segment_fixed_size 0
		.amdhsa_kernarg_size 56
		.amdhsa_user_sgpr_count 15
		.amdhsa_user_sgpr_dispatch_ptr 0
		.amdhsa_user_sgpr_queue_ptr 0
		.amdhsa_user_sgpr_kernarg_segment_ptr 1
		.amdhsa_user_sgpr_dispatch_id 0
		.amdhsa_user_sgpr_private_segment_size 0
		.amdhsa_wavefront_size32 1
		.amdhsa_uses_dynamic_stack 0
		.amdhsa_enable_private_segment 0
		.amdhsa_system_sgpr_workgroup_id_x 1
		.amdhsa_system_sgpr_workgroup_id_y 0
		.amdhsa_system_sgpr_workgroup_id_z 0
		.amdhsa_system_sgpr_workgroup_info 0
		.amdhsa_system_vgpr_workitem_id 0
		.amdhsa_next_free_vgpr 1
		.amdhsa_next_free_sgpr 1
		.amdhsa_reserve_vcc 0
		.amdhsa_float_round_mode_32 0
		.amdhsa_float_round_mode_16_64 0
		.amdhsa_float_denorm_mode_32 3
		.amdhsa_float_denorm_mode_16_64 3
		.amdhsa_dx10_clamp 1
		.amdhsa_ieee_mode 1
		.amdhsa_fp16_overflow 0
		.amdhsa_workgroup_processor_mode 1
		.amdhsa_memory_ordered 1
		.amdhsa_forward_progress 0
		.amdhsa_shared_vgpr_count 0
		.amdhsa_exception_fp_ieee_invalid_op 0
		.amdhsa_exception_fp_denorm_src 0
		.amdhsa_exception_fp_ieee_div_zero 0
		.amdhsa_exception_fp_ieee_overflow 0
		.amdhsa_exception_fp_ieee_underflow 0
		.amdhsa_exception_fp_ieee_inexact 0
		.amdhsa_exception_int_div_zero 0
	.end_amdhsa_kernel
	.section	.text._ZN7rocprim17ROCPRIM_400000_NS6detail17trampoline_kernelINS0_14default_configENS1_22reduce_config_selectorIiEEZNS1_11reduce_implILb1ES3_PiS7_iN6hipcub16HIPCUB_304000_NS6detail34convert_binary_result_type_wrapperINS9_3SumENS9_22TransformInputIteratorIbN2at6native12_GLOBAL__N_19NonZeroOpIaEEPKalEEiEEEE10hipError_tPvRmT1_T2_T3_mT4_P12ihipStream_tbEUlT_E0_NS1_11comp_targetILNS1_3genE4ELNS1_11target_archE910ELNS1_3gpuE8ELNS1_3repE0EEENS1_30default_config_static_selectorELNS0_4arch9wavefront6targetE0EEEvSQ_,"axG",@progbits,_ZN7rocprim17ROCPRIM_400000_NS6detail17trampoline_kernelINS0_14default_configENS1_22reduce_config_selectorIiEEZNS1_11reduce_implILb1ES3_PiS7_iN6hipcub16HIPCUB_304000_NS6detail34convert_binary_result_type_wrapperINS9_3SumENS9_22TransformInputIteratorIbN2at6native12_GLOBAL__N_19NonZeroOpIaEEPKalEEiEEEE10hipError_tPvRmT1_T2_T3_mT4_P12ihipStream_tbEUlT_E0_NS1_11comp_targetILNS1_3genE4ELNS1_11target_archE910ELNS1_3gpuE8ELNS1_3repE0EEENS1_30default_config_static_selectorELNS0_4arch9wavefront6targetE0EEEvSQ_,comdat
.Lfunc_end84:
	.size	_ZN7rocprim17ROCPRIM_400000_NS6detail17trampoline_kernelINS0_14default_configENS1_22reduce_config_selectorIiEEZNS1_11reduce_implILb1ES3_PiS7_iN6hipcub16HIPCUB_304000_NS6detail34convert_binary_result_type_wrapperINS9_3SumENS9_22TransformInputIteratorIbN2at6native12_GLOBAL__N_19NonZeroOpIaEEPKalEEiEEEE10hipError_tPvRmT1_T2_T3_mT4_P12ihipStream_tbEUlT_E0_NS1_11comp_targetILNS1_3genE4ELNS1_11target_archE910ELNS1_3gpuE8ELNS1_3repE0EEENS1_30default_config_static_selectorELNS0_4arch9wavefront6targetE0EEEvSQ_, .Lfunc_end84-_ZN7rocprim17ROCPRIM_400000_NS6detail17trampoline_kernelINS0_14default_configENS1_22reduce_config_selectorIiEEZNS1_11reduce_implILb1ES3_PiS7_iN6hipcub16HIPCUB_304000_NS6detail34convert_binary_result_type_wrapperINS9_3SumENS9_22TransformInputIteratorIbN2at6native12_GLOBAL__N_19NonZeroOpIaEEPKalEEiEEEE10hipError_tPvRmT1_T2_T3_mT4_P12ihipStream_tbEUlT_E0_NS1_11comp_targetILNS1_3genE4ELNS1_11target_archE910ELNS1_3gpuE8ELNS1_3repE0EEENS1_30default_config_static_selectorELNS0_4arch9wavefront6targetE0EEEvSQ_
                                        ; -- End function
	.section	.AMDGPU.csdata,"",@progbits
; Kernel info:
; codeLenInByte = 0
; NumSgprs: 0
; NumVgprs: 0
; ScratchSize: 0
; MemoryBound: 0
; FloatMode: 240
; IeeeMode: 1
; LDSByteSize: 0 bytes/workgroup (compile time only)
; SGPRBlocks: 0
; VGPRBlocks: 0
; NumSGPRsForWavesPerEU: 1
; NumVGPRsForWavesPerEU: 1
; Occupancy: 16
; WaveLimiterHint : 0
; COMPUTE_PGM_RSRC2:SCRATCH_EN: 0
; COMPUTE_PGM_RSRC2:USER_SGPR: 15
; COMPUTE_PGM_RSRC2:TRAP_HANDLER: 0
; COMPUTE_PGM_RSRC2:TGID_X_EN: 1
; COMPUTE_PGM_RSRC2:TGID_Y_EN: 0
; COMPUTE_PGM_RSRC2:TGID_Z_EN: 0
; COMPUTE_PGM_RSRC2:TIDIG_COMP_CNT: 0
	.section	.text._ZN7rocprim17ROCPRIM_400000_NS6detail17trampoline_kernelINS0_14default_configENS1_22reduce_config_selectorIiEEZNS1_11reduce_implILb1ES3_PiS7_iN6hipcub16HIPCUB_304000_NS6detail34convert_binary_result_type_wrapperINS9_3SumENS9_22TransformInputIteratorIbN2at6native12_GLOBAL__N_19NonZeroOpIaEEPKalEEiEEEE10hipError_tPvRmT1_T2_T3_mT4_P12ihipStream_tbEUlT_E0_NS1_11comp_targetILNS1_3genE3ELNS1_11target_archE908ELNS1_3gpuE7ELNS1_3repE0EEENS1_30default_config_static_selectorELNS0_4arch9wavefront6targetE0EEEvSQ_,"axG",@progbits,_ZN7rocprim17ROCPRIM_400000_NS6detail17trampoline_kernelINS0_14default_configENS1_22reduce_config_selectorIiEEZNS1_11reduce_implILb1ES3_PiS7_iN6hipcub16HIPCUB_304000_NS6detail34convert_binary_result_type_wrapperINS9_3SumENS9_22TransformInputIteratorIbN2at6native12_GLOBAL__N_19NonZeroOpIaEEPKalEEiEEEE10hipError_tPvRmT1_T2_T3_mT4_P12ihipStream_tbEUlT_E0_NS1_11comp_targetILNS1_3genE3ELNS1_11target_archE908ELNS1_3gpuE7ELNS1_3repE0EEENS1_30default_config_static_selectorELNS0_4arch9wavefront6targetE0EEEvSQ_,comdat
	.globl	_ZN7rocprim17ROCPRIM_400000_NS6detail17trampoline_kernelINS0_14default_configENS1_22reduce_config_selectorIiEEZNS1_11reduce_implILb1ES3_PiS7_iN6hipcub16HIPCUB_304000_NS6detail34convert_binary_result_type_wrapperINS9_3SumENS9_22TransformInputIteratorIbN2at6native12_GLOBAL__N_19NonZeroOpIaEEPKalEEiEEEE10hipError_tPvRmT1_T2_T3_mT4_P12ihipStream_tbEUlT_E0_NS1_11comp_targetILNS1_3genE3ELNS1_11target_archE908ELNS1_3gpuE7ELNS1_3repE0EEENS1_30default_config_static_selectorELNS0_4arch9wavefront6targetE0EEEvSQ_ ; -- Begin function _ZN7rocprim17ROCPRIM_400000_NS6detail17trampoline_kernelINS0_14default_configENS1_22reduce_config_selectorIiEEZNS1_11reduce_implILb1ES3_PiS7_iN6hipcub16HIPCUB_304000_NS6detail34convert_binary_result_type_wrapperINS9_3SumENS9_22TransformInputIteratorIbN2at6native12_GLOBAL__N_19NonZeroOpIaEEPKalEEiEEEE10hipError_tPvRmT1_T2_T3_mT4_P12ihipStream_tbEUlT_E0_NS1_11comp_targetILNS1_3genE3ELNS1_11target_archE908ELNS1_3gpuE7ELNS1_3repE0EEENS1_30default_config_static_selectorELNS0_4arch9wavefront6targetE0EEEvSQ_
	.p2align	8
	.type	_ZN7rocprim17ROCPRIM_400000_NS6detail17trampoline_kernelINS0_14default_configENS1_22reduce_config_selectorIiEEZNS1_11reduce_implILb1ES3_PiS7_iN6hipcub16HIPCUB_304000_NS6detail34convert_binary_result_type_wrapperINS9_3SumENS9_22TransformInputIteratorIbN2at6native12_GLOBAL__N_19NonZeroOpIaEEPKalEEiEEEE10hipError_tPvRmT1_T2_T3_mT4_P12ihipStream_tbEUlT_E0_NS1_11comp_targetILNS1_3genE3ELNS1_11target_archE908ELNS1_3gpuE7ELNS1_3repE0EEENS1_30default_config_static_selectorELNS0_4arch9wavefront6targetE0EEEvSQ_,@function
_ZN7rocprim17ROCPRIM_400000_NS6detail17trampoline_kernelINS0_14default_configENS1_22reduce_config_selectorIiEEZNS1_11reduce_implILb1ES3_PiS7_iN6hipcub16HIPCUB_304000_NS6detail34convert_binary_result_type_wrapperINS9_3SumENS9_22TransformInputIteratorIbN2at6native12_GLOBAL__N_19NonZeroOpIaEEPKalEEiEEEE10hipError_tPvRmT1_T2_T3_mT4_P12ihipStream_tbEUlT_E0_NS1_11comp_targetILNS1_3genE3ELNS1_11target_archE908ELNS1_3gpuE7ELNS1_3repE0EEENS1_30default_config_static_selectorELNS0_4arch9wavefront6targetE0EEEvSQ_: ; @_ZN7rocprim17ROCPRIM_400000_NS6detail17trampoline_kernelINS0_14default_configENS1_22reduce_config_selectorIiEEZNS1_11reduce_implILb1ES3_PiS7_iN6hipcub16HIPCUB_304000_NS6detail34convert_binary_result_type_wrapperINS9_3SumENS9_22TransformInputIteratorIbN2at6native12_GLOBAL__N_19NonZeroOpIaEEPKalEEiEEEE10hipError_tPvRmT1_T2_T3_mT4_P12ihipStream_tbEUlT_E0_NS1_11comp_targetILNS1_3genE3ELNS1_11target_archE908ELNS1_3gpuE7ELNS1_3repE0EEENS1_30default_config_static_selectorELNS0_4arch9wavefront6targetE0EEEvSQ_
; %bb.0:
	.section	.rodata,"a",@progbits
	.p2align	6, 0x0
	.amdhsa_kernel _ZN7rocprim17ROCPRIM_400000_NS6detail17trampoline_kernelINS0_14default_configENS1_22reduce_config_selectorIiEEZNS1_11reduce_implILb1ES3_PiS7_iN6hipcub16HIPCUB_304000_NS6detail34convert_binary_result_type_wrapperINS9_3SumENS9_22TransformInputIteratorIbN2at6native12_GLOBAL__N_19NonZeroOpIaEEPKalEEiEEEE10hipError_tPvRmT1_T2_T3_mT4_P12ihipStream_tbEUlT_E0_NS1_11comp_targetILNS1_3genE3ELNS1_11target_archE908ELNS1_3gpuE7ELNS1_3repE0EEENS1_30default_config_static_selectorELNS0_4arch9wavefront6targetE0EEEvSQ_
		.amdhsa_group_segment_fixed_size 0
		.amdhsa_private_segment_fixed_size 0
		.amdhsa_kernarg_size 56
		.amdhsa_user_sgpr_count 15
		.amdhsa_user_sgpr_dispatch_ptr 0
		.amdhsa_user_sgpr_queue_ptr 0
		.amdhsa_user_sgpr_kernarg_segment_ptr 1
		.amdhsa_user_sgpr_dispatch_id 0
		.amdhsa_user_sgpr_private_segment_size 0
		.amdhsa_wavefront_size32 1
		.amdhsa_uses_dynamic_stack 0
		.amdhsa_enable_private_segment 0
		.amdhsa_system_sgpr_workgroup_id_x 1
		.amdhsa_system_sgpr_workgroup_id_y 0
		.amdhsa_system_sgpr_workgroup_id_z 0
		.amdhsa_system_sgpr_workgroup_info 0
		.amdhsa_system_vgpr_workitem_id 0
		.amdhsa_next_free_vgpr 1
		.amdhsa_next_free_sgpr 1
		.amdhsa_reserve_vcc 0
		.amdhsa_float_round_mode_32 0
		.amdhsa_float_round_mode_16_64 0
		.amdhsa_float_denorm_mode_32 3
		.amdhsa_float_denorm_mode_16_64 3
		.amdhsa_dx10_clamp 1
		.amdhsa_ieee_mode 1
		.amdhsa_fp16_overflow 0
		.amdhsa_workgroup_processor_mode 1
		.amdhsa_memory_ordered 1
		.amdhsa_forward_progress 0
		.amdhsa_shared_vgpr_count 0
		.amdhsa_exception_fp_ieee_invalid_op 0
		.amdhsa_exception_fp_denorm_src 0
		.amdhsa_exception_fp_ieee_div_zero 0
		.amdhsa_exception_fp_ieee_overflow 0
		.amdhsa_exception_fp_ieee_underflow 0
		.amdhsa_exception_fp_ieee_inexact 0
		.amdhsa_exception_int_div_zero 0
	.end_amdhsa_kernel
	.section	.text._ZN7rocprim17ROCPRIM_400000_NS6detail17trampoline_kernelINS0_14default_configENS1_22reduce_config_selectorIiEEZNS1_11reduce_implILb1ES3_PiS7_iN6hipcub16HIPCUB_304000_NS6detail34convert_binary_result_type_wrapperINS9_3SumENS9_22TransformInputIteratorIbN2at6native12_GLOBAL__N_19NonZeroOpIaEEPKalEEiEEEE10hipError_tPvRmT1_T2_T3_mT4_P12ihipStream_tbEUlT_E0_NS1_11comp_targetILNS1_3genE3ELNS1_11target_archE908ELNS1_3gpuE7ELNS1_3repE0EEENS1_30default_config_static_selectorELNS0_4arch9wavefront6targetE0EEEvSQ_,"axG",@progbits,_ZN7rocprim17ROCPRIM_400000_NS6detail17trampoline_kernelINS0_14default_configENS1_22reduce_config_selectorIiEEZNS1_11reduce_implILb1ES3_PiS7_iN6hipcub16HIPCUB_304000_NS6detail34convert_binary_result_type_wrapperINS9_3SumENS9_22TransformInputIteratorIbN2at6native12_GLOBAL__N_19NonZeroOpIaEEPKalEEiEEEE10hipError_tPvRmT1_T2_T3_mT4_P12ihipStream_tbEUlT_E0_NS1_11comp_targetILNS1_3genE3ELNS1_11target_archE908ELNS1_3gpuE7ELNS1_3repE0EEENS1_30default_config_static_selectorELNS0_4arch9wavefront6targetE0EEEvSQ_,comdat
.Lfunc_end85:
	.size	_ZN7rocprim17ROCPRIM_400000_NS6detail17trampoline_kernelINS0_14default_configENS1_22reduce_config_selectorIiEEZNS1_11reduce_implILb1ES3_PiS7_iN6hipcub16HIPCUB_304000_NS6detail34convert_binary_result_type_wrapperINS9_3SumENS9_22TransformInputIteratorIbN2at6native12_GLOBAL__N_19NonZeroOpIaEEPKalEEiEEEE10hipError_tPvRmT1_T2_T3_mT4_P12ihipStream_tbEUlT_E0_NS1_11comp_targetILNS1_3genE3ELNS1_11target_archE908ELNS1_3gpuE7ELNS1_3repE0EEENS1_30default_config_static_selectorELNS0_4arch9wavefront6targetE0EEEvSQ_, .Lfunc_end85-_ZN7rocprim17ROCPRIM_400000_NS6detail17trampoline_kernelINS0_14default_configENS1_22reduce_config_selectorIiEEZNS1_11reduce_implILb1ES3_PiS7_iN6hipcub16HIPCUB_304000_NS6detail34convert_binary_result_type_wrapperINS9_3SumENS9_22TransformInputIteratorIbN2at6native12_GLOBAL__N_19NonZeroOpIaEEPKalEEiEEEE10hipError_tPvRmT1_T2_T3_mT4_P12ihipStream_tbEUlT_E0_NS1_11comp_targetILNS1_3genE3ELNS1_11target_archE908ELNS1_3gpuE7ELNS1_3repE0EEENS1_30default_config_static_selectorELNS0_4arch9wavefront6targetE0EEEvSQ_
                                        ; -- End function
	.section	.AMDGPU.csdata,"",@progbits
; Kernel info:
; codeLenInByte = 0
; NumSgprs: 0
; NumVgprs: 0
; ScratchSize: 0
; MemoryBound: 0
; FloatMode: 240
; IeeeMode: 1
; LDSByteSize: 0 bytes/workgroup (compile time only)
; SGPRBlocks: 0
; VGPRBlocks: 0
; NumSGPRsForWavesPerEU: 1
; NumVGPRsForWavesPerEU: 1
; Occupancy: 16
; WaveLimiterHint : 0
; COMPUTE_PGM_RSRC2:SCRATCH_EN: 0
; COMPUTE_PGM_RSRC2:USER_SGPR: 15
; COMPUTE_PGM_RSRC2:TRAP_HANDLER: 0
; COMPUTE_PGM_RSRC2:TGID_X_EN: 1
; COMPUTE_PGM_RSRC2:TGID_Y_EN: 0
; COMPUTE_PGM_RSRC2:TGID_Z_EN: 0
; COMPUTE_PGM_RSRC2:TIDIG_COMP_CNT: 0
	.section	.text._ZN7rocprim17ROCPRIM_400000_NS6detail17trampoline_kernelINS0_14default_configENS1_22reduce_config_selectorIiEEZNS1_11reduce_implILb1ES3_PiS7_iN6hipcub16HIPCUB_304000_NS6detail34convert_binary_result_type_wrapperINS9_3SumENS9_22TransformInputIteratorIbN2at6native12_GLOBAL__N_19NonZeroOpIaEEPKalEEiEEEE10hipError_tPvRmT1_T2_T3_mT4_P12ihipStream_tbEUlT_E0_NS1_11comp_targetILNS1_3genE2ELNS1_11target_archE906ELNS1_3gpuE6ELNS1_3repE0EEENS1_30default_config_static_selectorELNS0_4arch9wavefront6targetE0EEEvSQ_,"axG",@progbits,_ZN7rocprim17ROCPRIM_400000_NS6detail17trampoline_kernelINS0_14default_configENS1_22reduce_config_selectorIiEEZNS1_11reduce_implILb1ES3_PiS7_iN6hipcub16HIPCUB_304000_NS6detail34convert_binary_result_type_wrapperINS9_3SumENS9_22TransformInputIteratorIbN2at6native12_GLOBAL__N_19NonZeroOpIaEEPKalEEiEEEE10hipError_tPvRmT1_T2_T3_mT4_P12ihipStream_tbEUlT_E0_NS1_11comp_targetILNS1_3genE2ELNS1_11target_archE906ELNS1_3gpuE6ELNS1_3repE0EEENS1_30default_config_static_selectorELNS0_4arch9wavefront6targetE0EEEvSQ_,comdat
	.globl	_ZN7rocprim17ROCPRIM_400000_NS6detail17trampoline_kernelINS0_14default_configENS1_22reduce_config_selectorIiEEZNS1_11reduce_implILb1ES3_PiS7_iN6hipcub16HIPCUB_304000_NS6detail34convert_binary_result_type_wrapperINS9_3SumENS9_22TransformInputIteratorIbN2at6native12_GLOBAL__N_19NonZeroOpIaEEPKalEEiEEEE10hipError_tPvRmT1_T2_T3_mT4_P12ihipStream_tbEUlT_E0_NS1_11comp_targetILNS1_3genE2ELNS1_11target_archE906ELNS1_3gpuE6ELNS1_3repE0EEENS1_30default_config_static_selectorELNS0_4arch9wavefront6targetE0EEEvSQ_ ; -- Begin function _ZN7rocprim17ROCPRIM_400000_NS6detail17trampoline_kernelINS0_14default_configENS1_22reduce_config_selectorIiEEZNS1_11reduce_implILb1ES3_PiS7_iN6hipcub16HIPCUB_304000_NS6detail34convert_binary_result_type_wrapperINS9_3SumENS9_22TransformInputIteratorIbN2at6native12_GLOBAL__N_19NonZeroOpIaEEPKalEEiEEEE10hipError_tPvRmT1_T2_T3_mT4_P12ihipStream_tbEUlT_E0_NS1_11comp_targetILNS1_3genE2ELNS1_11target_archE906ELNS1_3gpuE6ELNS1_3repE0EEENS1_30default_config_static_selectorELNS0_4arch9wavefront6targetE0EEEvSQ_
	.p2align	8
	.type	_ZN7rocprim17ROCPRIM_400000_NS6detail17trampoline_kernelINS0_14default_configENS1_22reduce_config_selectorIiEEZNS1_11reduce_implILb1ES3_PiS7_iN6hipcub16HIPCUB_304000_NS6detail34convert_binary_result_type_wrapperINS9_3SumENS9_22TransformInputIteratorIbN2at6native12_GLOBAL__N_19NonZeroOpIaEEPKalEEiEEEE10hipError_tPvRmT1_T2_T3_mT4_P12ihipStream_tbEUlT_E0_NS1_11comp_targetILNS1_3genE2ELNS1_11target_archE906ELNS1_3gpuE6ELNS1_3repE0EEENS1_30default_config_static_selectorELNS0_4arch9wavefront6targetE0EEEvSQ_,@function
_ZN7rocprim17ROCPRIM_400000_NS6detail17trampoline_kernelINS0_14default_configENS1_22reduce_config_selectorIiEEZNS1_11reduce_implILb1ES3_PiS7_iN6hipcub16HIPCUB_304000_NS6detail34convert_binary_result_type_wrapperINS9_3SumENS9_22TransformInputIteratorIbN2at6native12_GLOBAL__N_19NonZeroOpIaEEPKalEEiEEEE10hipError_tPvRmT1_T2_T3_mT4_P12ihipStream_tbEUlT_E0_NS1_11comp_targetILNS1_3genE2ELNS1_11target_archE906ELNS1_3gpuE6ELNS1_3repE0EEENS1_30default_config_static_selectorELNS0_4arch9wavefront6targetE0EEEvSQ_: ; @_ZN7rocprim17ROCPRIM_400000_NS6detail17trampoline_kernelINS0_14default_configENS1_22reduce_config_selectorIiEEZNS1_11reduce_implILb1ES3_PiS7_iN6hipcub16HIPCUB_304000_NS6detail34convert_binary_result_type_wrapperINS9_3SumENS9_22TransformInputIteratorIbN2at6native12_GLOBAL__N_19NonZeroOpIaEEPKalEEiEEEE10hipError_tPvRmT1_T2_T3_mT4_P12ihipStream_tbEUlT_E0_NS1_11comp_targetILNS1_3genE2ELNS1_11target_archE906ELNS1_3gpuE6ELNS1_3repE0EEENS1_30default_config_static_selectorELNS0_4arch9wavefront6targetE0EEEvSQ_
; %bb.0:
	.section	.rodata,"a",@progbits
	.p2align	6, 0x0
	.amdhsa_kernel _ZN7rocprim17ROCPRIM_400000_NS6detail17trampoline_kernelINS0_14default_configENS1_22reduce_config_selectorIiEEZNS1_11reduce_implILb1ES3_PiS7_iN6hipcub16HIPCUB_304000_NS6detail34convert_binary_result_type_wrapperINS9_3SumENS9_22TransformInputIteratorIbN2at6native12_GLOBAL__N_19NonZeroOpIaEEPKalEEiEEEE10hipError_tPvRmT1_T2_T3_mT4_P12ihipStream_tbEUlT_E0_NS1_11comp_targetILNS1_3genE2ELNS1_11target_archE906ELNS1_3gpuE6ELNS1_3repE0EEENS1_30default_config_static_selectorELNS0_4arch9wavefront6targetE0EEEvSQ_
		.amdhsa_group_segment_fixed_size 0
		.amdhsa_private_segment_fixed_size 0
		.amdhsa_kernarg_size 56
		.amdhsa_user_sgpr_count 15
		.amdhsa_user_sgpr_dispatch_ptr 0
		.amdhsa_user_sgpr_queue_ptr 0
		.amdhsa_user_sgpr_kernarg_segment_ptr 1
		.amdhsa_user_sgpr_dispatch_id 0
		.amdhsa_user_sgpr_private_segment_size 0
		.amdhsa_wavefront_size32 1
		.amdhsa_uses_dynamic_stack 0
		.amdhsa_enable_private_segment 0
		.amdhsa_system_sgpr_workgroup_id_x 1
		.amdhsa_system_sgpr_workgroup_id_y 0
		.amdhsa_system_sgpr_workgroup_id_z 0
		.amdhsa_system_sgpr_workgroup_info 0
		.amdhsa_system_vgpr_workitem_id 0
		.amdhsa_next_free_vgpr 1
		.amdhsa_next_free_sgpr 1
		.amdhsa_reserve_vcc 0
		.amdhsa_float_round_mode_32 0
		.amdhsa_float_round_mode_16_64 0
		.amdhsa_float_denorm_mode_32 3
		.amdhsa_float_denorm_mode_16_64 3
		.amdhsa_dx10_clamp 1
		.amdhsa_ieee_mode 1
		.amdhsa_fp16_overflow 0
		.amdhsa_workgroup_processor_mode 1
		.amdhsa_memory_ordered 1
		.amdhsa_forward_progress 0
		.amdhsa_shared_vgpr_count 0
		.amdhsa_exception_fp_ieee_invalid_op 0
		.amdhsa_exception_fp_denorm_src 0
		.amdhsa_exception_fp_ieee_div_zero 0
		.amdhsa_exception_fp_ieee_overflow 0
		.amdhsa_exception_fp_ieee_underflow 0
		.amdhsa_exception_fp_ieee_inexact 0
		.amdhsa_exception_int_div_zero 0
	.end_amdhsa_kernel
	.section	.text._ZN7rocprim17ROCPRIM_400000_NS6detail17trampoline_kernelINS0_14default_configENS1_22reduce_config_selectorIiEEZNS1_11reduce_implILb1ES3_PiS7_iN6hipcub16HIPCUB_304000_NS6detail34convert_binary_result_type_wrapperINS9_3SumENS9_22TransformInputIteratorIbN2at6native12_GLOBAL__N_19NonZeroOpIaEEPKalEEiEEEE10hipError_tPvRmT1_T2_T3_mT4_P12ihipStream_tbEUlT_E0_NS1_11comp_targetILNS1_3genE2ELNS1_11target_archE906ELNS1_3gpuE6ELNS1_3repE0EEENS1_30default_config_static_selectorELNS0_4arch9wavefront6targetE0EEEvSQ_,"axG",@progbits,_ZN7rocprim17ROCPRIM_400000_NS6detail17trampoline_kernelINS0_14default_configENS1_22reduce_config_selectorIiEEZNS1_11reduce_implILb1ES3_PiS7_iN6hipcub16HIPCUB_304000_NS6detail34convert_binary_result_type_wrapperINS9_3SumENS9_22TransformInputIteratorIbN2at6native12_GLOBAL__N_19NonZeroOpIaEEPKalEEiEEEE10hipError_tPvRmT1_T2_T3_mT4_P12ihipStream_tbEUlT_E0_NS1_11comp_targetILNS1_3genE2ELNS1_11target_archE906ELNS1_3gpuE6ELNS1_3repE0EEENS1_30default_config_static_selectorELNS0_4arch9wavefront6targetE0EEEvSQ_,comdat
.Lfunc_end86:
	.size	_ZN7rocprim17ROCPRIM_400000_NS6detail17trampoline_kernelINS0_14default_configENS1_22reduce_config_selectorIiEEZNS1_11reduce_implILb1ES3_PiS7_iN6hipcub16HIPCUB_304000_NS6detail34convert_binary_result_type_wrapperINS9_3SumENS9_22TransformInputIteratorIbN2at6native12_GLOBAL__N_19NonZeroOpIaEEPKalEEiEEEE10hipError_tPvRmT1_T2_T3_mT4_P12ihipStream_tbEUlT_E0_NS1_11comp_targetILNS1_3genE2ELNS1_11target_archE906ELNS1_3gpuE6ELNS1_3repE0EEENS1_30default_config_static_selectorELNS0_4arch9wavefront6targetE0EEEvSQ_, .Lfunc_end86-_ZN7rocprim17ROCPRIM_400000_NS6detail17trampoline_kernelINS0_14default_configENS1_22reduce_config_selectorIiEEZNS1_11reduce_implILb1ES3_PiS7_iN6hipcub16HIPCUB_304000_NS6detail34convert_binary_result_type_wrapperINS9_3SumENS9_22TransformInputIteratorIbN2at6native12_GLOBAL__N_19NonZeroOpIaEEPKalEEiEEEE10hipError_tPvRmT1_T2_T3_mT4_P12ihipStream_tbEUlT_E0_NS1_11comp_targetILNS1_3genE2ELNS1_11target_archE906ELNS1_3gpuE6ELNS1_3repE0EEENS1_30default_config_static_selectorELNS0_4arch9wavefront6targetE0EEEvSQ_
                                        ; -- End function
	.section	.AMDGPU.csdata,"",@progbits
; Kernel info:
; codeLenInByte = 0
; NumSgprs: 0
; NumVgprs: 0
; ScratchSize: 0
; MemoryBound: 0
; FloatMode: 240
; IeeeMode: 1
; LDSByteSize: 0 bytes/workgroup (compile time only)
; SGPRBlocks: 0
; VGPRBlocks: 0
; NumSGPRsForWavesPerEU: 1
; NumVGPRsForWavesPerEU: 1
; Occupancy: 16
; WaveLimiterHint : 0
; COMPUTE_PGM_RSRC2:SCRATCH_EN: 0
; COMPUTE_PGM_RSRC2:USER_SGPR: 15
; COMPUTE_PGM_RSRC2:TRAP_HANDLER: 0
; COMPUTE_PGM_RSRC2:TGID_X_EN: 1
; COMPUTE_PGM_RSRC2:TGID_Y_EN: 0
; COMPUTE_PGM_RSRC2:TGID_Z_EN: 0
; COMPUTE_PGM_RSRC2:TIDIG_COMP_CNT: 0
	.section	.text._ZN7rocprim17ROCPRIM_400000_NS6detail17trampoline_kernelINS0_14default_configENS1_22reduce_config_selectorIiEEZNS1_11reduce_implILb1ES3_PiS7_iN6hipcub16HIPCUB_304000_NS6detail34convert_binary_result_type_wrapperINS9_3SumENS9_22TransformInputIteratorIbN2at6native12_GLOBAL__N_19NonZeroOpIaEEPKalEEiEEEE10hipError_tPvRmT1_T2_T3_mT4_P12ihipStream_tbEUlT_E0_NS1_11comp_targetILNS1_3genE10ELNS1_11target_archE1201ELNS1_3gpuE5ELNS1_3repE0EEENS1_30default_config_static_selectorELNS0_4arch9wavefront6targetE0EEEvSQ_,"axG",@progbits,_ZN7rocprim17ROCPRIM_400000_NS6detail17trampoline_kernelINS0_14default_configENS1_22reduce_config_selectorIiEEZNS1_11reduce_implILb1ES3_PiS7_iN6hipcub16HIPCUB_304000_NS6detail34convert_binary_result_type_wrapperINS9_3SumENS9_22TransformInputIteratorIbN2at6native12_GLOBAL__N_19NonZeroOpIaEEPKalEEiEEEE10hipError_tPvRmT1_T2_T3_mT4_P12ihipStream_tbEUlT_E0_NS1_11comp_targetILNS1_3genE10ELNS1_11target_archE1201ELNS1_3gpuE5ELNS1_3repE0EEENS1_30default_config_static_selectorELNS0_4arch9wavefront6targetE0EEEvSQ_,comdat
	.globl	_ZN7rocprim17ROCPRIM_400000_NS6detail17trampoline_kernelINS0_14default_configENS1_22reduce_config_selectorIiEEZNS1_11reduce_implILb1ES3_PiS7_iN6hipcub16HIPCUB_304000_NS6detail34convert_binary_result_type_wrapperINS9_3SumENS9_22TransformInputIteratorIbN2at6native12_GLOBAL__N_19NonZeroOpIaEEPKalEEiEEEE10hipError_tPvRmT1_T2_T3_mT4_P12ihipStream_tbEUlT_E0_NS1_11comp_targetILNS1_3genE10ELNS1_11target_archE1201ELNS1_3gpuE5ELNS1_3repE0EEENS1_30default_config_static_selectorELNS0_4arch9wavefront6targetE0EEEvSQ_ ; -- Begin function _ZN7rocprim17ROCPRIM_400000_NS6detail17trampoline_kernelINS0_14default_configENS1_22reduce_config_selectorIiEEZNS1_11reduce_implILb1ES3_PiS7_iN6hipcub16HIPCUB_304000_NS6detail34convert_binary_result_type_wrapperINS9_3SumENS9_22TransformInputIteratorIbN2at6native12_GLOBAL__N_19NonZeroOpIaEEPKalEEiEEEE10hipError_tPvRmT1_T2_T3_mT4_P12ihipStream_tbEUlT_E0_NS1_11comp_targetILNS1_3genE10ELNS1_11target_archE1201ELNS1_3gpuE5ELNS1_3repE0EEENS1_30default_config_static_selectorELNS0_4arch9wavefront6targetE0EEEvSQ_
	.p2align	8
	.type	_ZN7rocprim17ROCPRIM_400000_NS6detail17trampoline_kernelINS0_14default_configENS1_22reduce_config_selectorIiEEZNS1_11reduce_implILb1ES3_PiS7_iN6hipcub16HIPCUB_304000_NS6detail34convert_binary_result_type_wrapperINS9_3SumENS9_22TransformInputIteratorIbN2at6native12_GLOBAL__N_19NonZeroOpIaEEPKalEEiEEEE10hipError_tPvRmT1_T2_T3_mT4_P12ihipStream_tbEUlT_E0_NS1_11comp_targetILNS1_3genE10ELNS1_11target_archE1201ELNS1_3gpuE5ELNS1_3repE0EEENS1_30default_config_static_selectorELNS0_4arch9wavefront6targetE0EEEvSQ_,@function
_ZN7rocprim17ROCPRIM_400000_NS6detail17trampoline_kernelINS0_14default_configENS1_22reduce_config_selectorIiEEZNS1_11reduce_implILb1ES3_PiS7_iN6hipcub16HIPCUB_304000_NS6detail34convert_binary_result_type_wrapperINS9_3SumENS9_22TransformInputIteratorIbN2at6native12_GLOBAL__N_19NonZeroOpIaEEPKalEEiEEEE10hipError_tPvRmT1_T2_T3_mT4_P12ihipStream_tbEUlT_E0_NS1_11comp_targetILNS1_3genE10ELNS1_11target_archE1201ELNS1_3gpuE5ELNS1_3repE0EEENS1_30default_config_static_selectorELNS0_4arch9wavefront6targetE0EEEvSQ_: ; @_ZN7rocprim17ROCPRIM_400000_NS6detail17trampoline_kernelINS0_14default_configENS1_22reduce_config_selectorIiEEZNS1_11reduce_implILb1ES3_PiS7_iN6hipcub16HIPCUB_304000_NS6detail34convert_binary_result_type_wrapperINS9_3SumENS9_22TransformInputIteratorIbN2at6native12_GLOBAL__N_19NonZeroOpIaEEPKalEEiEEEE10hipError_tPvRmT1_T2_T3_mT4_P12ihipStream_tbEUlT_E0_NS1_11comp_targetILNS1_3genE10ELNS1_11target_archE1201ELNS1_3gpuE5ELNS1_3repE0EEENS1_30default_config_static_selectorELNS0_4arch9wavefront6targetE0EEEvSQ_
; %bb.0:
	.section	.rodata,"a",@progbits
	.p2align	6, 0x0
	.amdhsa_kernel _ZN7rocprim17ROCPRIM_400000_NS6detail17trampoline_kernelINS0_14default_configENS1_22reduce_config_selectorIiEEZNS1_11reduce_implILb1ES3_PiS7_iN6hipcub16HIPCUB_304000_NS6detail34convert_binary_result_type_wrapperINS9_3SumENS9_22TransformInputIteratorIbN2at6native12_GLOBAL__N_19NonZeroOpIaEEPKalEEiEEEE10hipError_tPvRmT1_T2_T3_mT4_P12ihipStream_tbEUlT_E0_NS1_11comp_targetILNS1_3genE10ELNS1_11target_archE1201ELNS1_3gpuE5ELNS1_3repE0EEENS1_30default_config_static_selectorELNS0_4arch9wavefront6targetE0EEEvSQ_
		.amdhsa_group_segment_fixed_size 0
		.amdhsa_private_segment_fixed_size 0
		.amdhsa_kernarg_size 56
		.amdhsa_user_sgpr_count 15
		.amdhsa_user_sgpr_dispatch_ptr 0
		.amdhsa_user_sgpr_queue_ptr 0
		.amdhsa_user_sgpr_kernarg_segment_ptr 1
		.amdhsa_user_sgpr_dispatch_id 0
		.amdhsa_user_sgpr_private_segment_size 0
		.amdhsa_wavefront_size32 1
		.amdhsa_uses_dynamic_stack 0
		.amdhsa_enable_private_segment 0
		.amdhsa_system_sgpr_workgroup_id_x 1
		.amdhsa_system_sgpr_workgroup_id_y 0
		.amdhsa_system_sgpr_workgroup_id_z 0
		.amdhsa_system_sgpr_workgroup_info 0
		.amdhsa_system_vgpr_workitem_id 0
		.amdhsa_next_free_vgpr 1
		.amdhsa_next_free_sgpr 1
		.amdhsa_reserve_vcc 0
		.amdhsa_float_round_mode_32 0
		.amdhsa_float_round_mode_16_64 0
		.amdhsa_float_denorm_mode_32 3
		.amdhsa_float_denorm_mode_16_64 3
		.amdhsa_dx10_clamp 1
		.amdhsa_ieee_mode 1
		.amdhsa_fp16_overflow 0
		.amdhsa_workgroup_processor_mode 1
		.amdhsa_memory_ordered 1
		.amdhsa_forward_progress 0
		.amdhsa_shared_vgpr_count 0
		.amdhsa_exception_fp_ieee_invalid_op 0
		.amdhsa_exception_fp_denorm_src 0
		.amdhsa_exception_fp_ieee_div_zero 0
		.amdhsa_exception_fp_ieee_overflow 0
		.amdhsa_exception_fp_ieee_underflow 0
		.amdhsa_exception_fp_ieee_inexact 0
		.amdhsa_exception_int_div_zero 0
	.end_amdhsa_kernel
	.section	.text._ZN7rocprim17ROCPRIM_400000_NS6detail17trampoline_kernelINS0_14default_configENS1_22reduce_config_selectorIiEEZNS1_11reduce_implILb1ES3_PiS7_iN6hipcub16HIPCUB_304000_NS6detail34convert_binary_result_type_wrapperINS9_3SumENS9_22TransformInputIteratorIbN2at6native12_GLOBAL__N_19NonZeroOpIaEEPKalEEiEEEE10hipError_tPvRmT1_T2_T3_mT4_P12ihipStream_tbEUlT_E0_NS1_11comp_targetILNS1_3genE10ELNS1_11target_archE1201ELNS1_3gpuE5ELNS1_3repE0EEENS1_30default_config_static_selectorELNS0_4arch9wavefront6targetE0EEEvSQ_,"axG",@progbits,_ZN7rocprim17ROCPRIM_400000_NS6detail17trampoline_kernelINS0_14default_configENS1_22reduce_config_selectorIiEEZNS1_11reduce_implILb1ES3_PiS7_iN6hipcub16HIPCUB_304000_NS6detail34convert_binary_result_type_wrapperINS9_3SumENS9_22TransformInputIteratorIbN2at6native12_GLOBAL__N_19NonZeroOpIaEEPKalEEiEEEE10hipError_tPvRmT1_T2_T3_mT4_P12ihipStream_tbEUlT_E0_NS1_11comp_targetILNS1_3genE10ELNS1_11target_archE1201ELNS1_3gpuE5ELNS1_3repE0EEENS1_30default_config_static_selectorELNS0_4arch9wavefront6targetE0EEEvSQ_,comdat
.Lfunc_end87:
	.size	_ZN7rocprim17ROCPRIM_400000_NS6detail17trampoline_kernelINS0_14default_configENS1_22reduce_config_selectorIiEEZNS1_11reduce_implILb1ES3_PiS7_iN6hipcub16HIPCUB_304000_NS6detail34convert_binary_result_type_wrapperINS9_3SumENS9_22TransformInputIteratorIbN2at6native12_GLOBAL__N_19NonZeroOpIaEEPKalEEiEEEE10hipError_tPvRmT1_T2_T3_mT4_P12ihipStream_tbEUlT_E0_NS1_11comp_targetILNS1_3genE10ELNS1_11target_archE1201ELNS1_3gpuE5ELNS1_3repE0EEENS1_30default_config_static_selectorELNS0_4arch9wavefront6targetE0EEEvSQ_, .Lfunc_end87-_ZN7rocprim17ROCPRIM_400000_NS6detail17trampoline_kernelINS0_14default_configENS1_22reduce_config_selectorIiEEZNS1_11reduce_implILb1ES3_PiS7_iN6hipcub16HIPCUB_304000_NS6detail34convert_binary_result_type_wrapperINS9_3SumENS9_22TransformInputIteratorIbN2at6native12_GLOBAL__N_19NonZeroOpIaEEPKalEEiEEEE10hipError_tPvRmT1_T2_T3_mT4_P12ihipStream_tbEUlT_E0_NS1_11comp_targetILNS1_3genE10ELNS1_11target_archE1201ELNS1_3gpuE5ELNS1_3repE0EEENS1_30default_config_static_selectorELNS0_4arch9wavefront6targetE0EEEvSQ_
                                        ; -- End function
	.section	.AMDGPU.csdata,"",@progbits
; Kernel info:
; codeLenInByte = 0
; NumSgprs: 0
; NumVgprs: 0
; ScratchSize: 0
; MemoryBound: 0
; FloatMode: 240
; IeeeMode: 1
; LDSByteSize: 0 bytes/workgroup (compile time only)
; SGPRBlocks: 0
; VGPRBlocks: 0
; NumSGPRsForWavesPerEU: 1
; NumVGPRsForWavesPerEU: 1
; Occupancy: 16
; WaveLimiterHint : 0
; COMPUTE_PGM_RSRC2:SCRATCH_EN: 0
; COMPUTE_PGM_RSRC2:USER_SGPR: 15
; COMPUTE_PGM_RSRC2:TRAP_HANDLER: 0
; COMPUTE_PGM_RSRC2:TGID_X_EN: 1
; COMPUTE_PGM_RSRC2:TGID_Y_EN: 0
; COMPUTE_PGM_RSRC2:TGID_Z_EN: 0
; COMPUTE_PGM_RSRC2:TIDIG_COMP_CNT: 0
	.section	.text._ZN7rocprim17ROCPRIM_400000_NS6detail17trampoline_kernelINS0_14default_configENS1_22reduce_config_selectorIiEEZNS1_11reduce_implILb1ES3_PiS7_iN6hipcub16HIPCUB_304000_NS6detail34convert_binary_result_type_wrapperINS9_3SumENS9_22TransformInputIteratorIbN2at6native12_GLOBAL__N_19NonZeroOpIaEEPKalEEiEEEE10hipError_tPvRmT1_T2_T3_mT4_P12ihipStream_tbEUlT_E0_NS1_11comp_targetILNS1_3genE10ELNS1_11target_archE1200ELNS1_3gpuE4ELNS1_3repE0EEENS1_30default_config_static_selectorELNS0_4arch9wavefront6targetE0EEEvSQ_,"axG",@progbits,_ZN7rocprim17ROCPRIM_400000_NS6detail17trampoline_kernelINS0_14default_configENS1_22reduce_config_selectorIiEEZNS1_11reduce_implILb1ES3_PiS7_iN6hipcub16HIPCUB_304000_NS6detail34convert_binary_result_type_wrapperINS9_3SumENS9_22TransformInputIteratorIbN2at6native12_GLOBAL__N_19NonZeroOpIaEEPKalEEiEEEE10hipError_tPvRmT1_T2_T3_mT4_P12ihipStream_tbEUlT_E0_NS1_11comp_targetILNS1_3genE10ELNS1_11target_archE1200ELNS1_3gpuE4ELNS1_3repE0EEENS1_30default_config_static_selectorELNS0_4arch9wavefront6targetE0EEEvSQ_,comdat
	.globl	_ZN7rocprim17ROCPRIM_400000_NS6detail17trampoline_kernelINS0_14default_configENS1_22reduce_config_selectorIiEEZNS1_11reduce_implILb1ES3_PiS7_iN6hipcub16HIPCUB_304000_NS6detail34convert_binary_result_type_wrapperINS9_3SumENS9_22TransformInputIteratorIbN2at6native12_GLOBAL__N_19NonZeroOpIaEEPKalEEiEEEE10hipError_tPvRmT1_T2_T3_mT4_P12ihipStream_tbEUlT_E0_NS1_11comp_targetILNS1_3genE10ELNS1_11target_archE1200ELNS1_3gpuE4ELNS1_3repE0EEENS1_30default_config_static_selectorELNS0_4arch9wavefront6targetE0EEEvSQ_ ; -- Begin function _ZN7rocprim17ROCPRIM_400000_NS6detail17trampoline_kernelINS0_14default_configENS1_22reduce_config_selectorIiEEZNS1_11reduce_implILb1ES3_PiS7_iN6hipcub16HIPCUB_304000_NS6detail34convert_binary_result_type_wrapperINS9_3SumENS9_22TransformInputIteratorIbN2at6native12_GLOBAL__N_19NonZeroOpIaEEPKalEEiEEEE10hipError_tPvRmT1_T2_T3_mT4_P12ihipStream_tbEUlT_E0_NS1_11comp_targetILNS1_3genE10ELNS1_11target_archE1200ELNS1_3gpuE4ELNS1_3repE0EEENS1_30default_config_static_selectorELNS0_4arch9wavefront6targetE0EEEvSQ_
	.p2align	8
	.type	_ZN7rocprim17ROCPRIM_400000_NS6detail17trampoline_kernelINS0_14default_configENS1_22reduce_config_selectorIiEEZNS1_11reduce_implILb1ES3_PiS7_iN6hipcub16HIPCUB_304000_NS6detail34convert_binary_result_type_wrapperINS9_3SumENS9_22TransformInputIteratorIbN2at6native12_GLOBAL__N_19NonZeroOpIaEEPKalEEiEEEE10hipError_tPvRmT1_T2_T3_mT4_P12ihipStream_tbEUlT_E0_NS1_11comp_targetILNS1_3genE10ELNS1_11target_archE1200ELNS1_3gpuE4ELNS1_3repE0EEENS1_30default_config_static_selectorELNS0_4arch9wavefront6targetE0EEEvSQ_,@function
_ZN7rocprim17ROCPRIM_400000_NS6detail17trampoline_kernelINS0_14default_configENS1_22reduce_config_selectorIiEEZNS1_11reduce_implILb1ES3_PiS7_iN6hipcub16HIPCUB_304000_NS6detail34convert_binary_result_type_wrapperINS9_3SumENS9_22TransformInputIteratorIbN2at6native12_GLOBAL__N_19NonZeroOpIaEEPKalEEiEEEE10hipError_tPvRmT1_T2_T3_mT4_P12ihipStream_tbEUlT_E0_NS1_11comp_targetILNS1_3genE10ELNS1_11target_archE1200ELNS1_3gpuE4ELNS1_3repE0EEENS1_30default_config_static_selectorELNS0_4arch9wavefront6targetE0EEEvSQ_: ; @_ZN7rocprim17ROCPRIM_400000_NS6detail17trampoline_kernelINS0_14default_configENS1_22reduce_config_selectorIiEEZNS1_11reduce_implILb1ES3_PiS7_iN6hipcub16HIPCUB_304000_NS6detail34convert_binary_result_type_wrapperINS9_3SumENS9_22TransformInputIteratorIbN2at6native12_GLOBAL__N_19NonZeroOpIaEEPKalEEiEEEE10hipError_tPvRmT1_T2_T3_mT4_P12ihipStream_tbEUlT_E0_NS1_11comp_targetILNS1_3genE10ELNS1_11target_archE1200ELNS1_3gpuE4ELNS1_3repE0EEENS1_30default_config_static_selectorELNS0_4arch9wavefront6targetE0EEEvSQ_
; %bb.0:
	.section	.rodata,"a",@progbits
	.p2align	6, 0x0
	.amdhsa_kernel _ZN7rocprim17ROCPRIM_400000_NS6detail17trampoline_kernelINS0_14default_configENS1_22reduce_config_selectorIiEEZNS1_11reduce_implILb1ES3_PiS7_iN6hipcub16HIPCUB_304000_NS6detail34convert_binary_result_type_wrapperINS9_3SumENS9_22TransformInputIteratorIbN2at6native12_GLOBAL__N_19NonZeroOpIaEEPKalEEiEEEE10hipError_tPvRmT1_T2_T3_mT4_P12ihipStream_tbEUlT_E0_NS1_11comp_targetILNS1_3genE10ELNS1_11target_archE1200ELNS1_3gpuE4ELNS1_3repE0EEENS1_30default_config_static_selectorELNS0_4arch9wavefront6targetE0EEEvSQ_
		.amdhsa_group_segment_fixed_size 0
		.amdhsa_private_segment_fixed_size 0
		.amdhsa_kernarg_size 56
		.amdhsa_user_sgpr_count 15
		.amdhsa_user_sgpr_dispatch_ptr 0
		.amdhsa_user_sgpr_queue_ptr 0
		.amdhsa_user_sgpr_kernarg_segment_ptr 1
		.amdhsa_user_sgpr_dispatch_id 0
		.amdhsa_user_sgpr_private_segment_size 0
		.amdhsa_wavefront_size32 1
		.amdhsa_uses_dynamic_stack 0
		.amdhsa_enable_private_segment 0
		.amdhsa_system_sgpr_workgroup_id_x 1
		.amdhsa_system_sgpr_workgroup_id_y 0
		.amdhsa_system_sgpr_workgroup_id_z 0
		.amdhsa_system_sgpr_workgroup_info 0
		.amdhsa_system_vgpr_workitem_id 0
		.amdhsa_next_free_vgpr 1
		.amdhsa_next_free_sgpr 1
		.amdhsa_reserve_vcc 0
		.amdhsa_float_round_mode_32 0
		.amdhsa_float_round_mode_16_64 0
		.amdhsa_float_denorm_mode_32 3
		.amdhsa_float_denorm_mode_16_64 3
		.amdhsa_dx10_clamp 1
		.amdhsa_ieee_mode 1
		.amdhsa_fp16_overflow 0
		.amdhsa_workgroup_processor_mode 1
		.amdhsa_memory_ordered 1
		.amdhsa_forward_progress 0
		.amdhsa_shared_vgpr_count 0
		.amdhsa_exception_fp_ieee_invalid_op 0
		.amdhsa_exception_fp_denorm_src 0
		.amdhsa_exception_fp_ieee_div_zero 0
		.amdhsa_exception_fp_ieee_overflow 0
		.amdhsa_exception_fp_ieee_underflow 0
		.amdhsa_exception_fp_ieee_inexact 0
		.amdhsa_exception_int_div_zero 0
	.end_amdhsa_kernel
	.section	.text._ZN7rocprim17ROCPRIM_400000_NS6detail17trampoline_kernelINS0_14default_configENS1_22reduce_config_selectorIiEEZNS1_11reduce_implILb1ES3_PiS7_iN6hipcub16HIPCUB_304000_NS6detail34convert_binary_result_type_wrapperINS9_3SumENS9_22TransformInputIteratorIbN2at6native12_GLOBAL__N_19NonZeroOpIaEEPKalEEiEEEE10hipError_tPvRmT1_T2_T3_mT4_P12ihipStream_tbEUlT_E0_NS1_11comp_targetILNS1_3genE10ELNS1_11target_archE1200ELNS1_3gpuE4ELNS1_3repE0EEENS1_30default_config_static_selectorELNS0_4arch9wavefront6targetE0EEEvSQ_,"axG",@progbits,_ZN7rocprim17ROCPRIM_400000_NS6detail17trampoline_kernelINS0_14default_configENS1_22reduce_config_selectorIiEEZNS1_11reduce_implILb1ES3_PiS7_iN6hipcub16HIPCUB_304000_NS6detail34convert_binary_result_type_wrapperINS9_3SumENS9_22TransformInputIteratorIbN2at6native12_GLOBAL__N_19NonZeroOpIaEEPKalEEiEEEE10hipError_tPvRmT1_T2_T3_mT4_P12ihipStream_tbEUlT_E0_NS1_11comp_targetILNS1_3genE10ELNS1_11target_archE1200ELNS1_3gpuE4ELNS1_3repE0EEENS1_30default_config_static_selectorELNS0_4arch9wavefront6targetE0EEEvSQ_,comdat
.Lfunc_end88:
	.size	_ZN7rocprim17ROCPRIM_400000_NS6detail17trampoline_kernelINS0_14default_configENS1_22reduce_config_selectorIiEEZNS1_11reduce_implILb1ES3_PiS7_iN6hipcub16HIPCUB_304000_NS6detail34convert_binary_result_type_wrapperINS9_3SumENS9_22TransformInputIteratorIbN2at6native12_GLOBAL__N_19NonZeroOpIaEEPKalEEiEEEE10hipError_tPvRmT1_T2_T3_mT4_P12ihipStream_tbEUlT_E0_NS1_11comp_targetILNS1_3genE10ELNS1_11target_archE1200ELNS1_3gpuE4ELNS1_3repE0EEENS1_30default_config_static_selectorELNS0_4arch9wavefront6targetE0EEEvSQ_, .Lfunc_end88-_ZN7rocprim17ROCPRIM_400000_NS6detail17trampoline_kernelINS0_14default_configENS1_22reduce_config_selectorIiEEZNS1_11reduce_implILb1ES3_PiS7_iN6hipcub16HIPCUB_304000_NS6detail34convert_binary_result_type_wrapperINS9_3SumENS9_22TransformInputIteratorIbN2at6native12_GLOBAL__N_19NonZeroOpIaEEPKalEEiEEEE10hipError_tPvRmT1_T2_T3_mT4_P12ihipStream_tbEUlT_E0_NS1_11comp_targetILNS1_3genE10ELNS1_11target_archE1200ELNS1_3gpuE4ELNS1_3repE0EEENS1_30default_config_static_selectorELNS0_4arch9wavefront6targetE0EEEvSQ_
                                        ; -- End function
	.section	.AMDGPU.csdata,"",@progbits
; Kernel info:
; codeLenInByte = 0
; NumSgprs: 0
; NumVgprs: 0
; ScratchSize: 0
; MemoryBound: 0
; FloatMode: 240
; IeeeMode: 1
; LDSByteSize: 0 bytes/workgroup (compile time only)
; SGPRBlocks: 0
; VGPRBlocks: 0
; NumSGPRsForWavesPerEU: 1
; NumVGPRsForWavesPerEU: 1
; Occupancy: 16
; WaveLimiterHint : 0
; COMPUTE_PGM_RSRC2:SCRATCH_EN: 0
; COMPUTE_PGM_RSRC2:USER_SGPR: 15
; COMPUTE_PGM_RSRC2:TRAP_HANDLER: 0
; COMPUTE_PGM_RSRC2:TGID_X_EN: 1
; COMPUTE_PGM_RSRC2:TGID_Y_EN: 0
; COMPUTE_PGM_RSRC2:TGID_Z_EN: 0
; COMPUTE_PGM_RSRC2:TIDIG_COMP_CNT: 0
	.section	.text._ZN7rocprim17ROCPRIM_400000_NS6detail17trampoline_kernelINS0_14default_configENS1_22reduce_config_selectorIiEEZNS1_11reduce_implILb1ES3_PiS7_iN6hipcub16HIPCUB_304000_NS6detail34convert_binary_result_type_wrapperINS9_3SumENS9_22TransformInputIteratorIbN2at6native12_GLOBAL__N_19NonZeroOpIaEEPKalEEiEEEE10hipError_tPvRmT1_T2_T3_mT4_P12ihipStream_tbEUlT_E0_NS1_11comp_targetILNS1_3genE9ELNS1_11target_archE1100ELNS1_3gpuE3ELNS1_3repE0EEENS1_30default_config_static_selectorELNS0_4arch9wavefront6targetE0EEEvSQ_,"axG",@progbits,_ZN7rocprim17ROCPRIM_400000_NS6detail17trampoline_kernelINS0_14default_configENS1_22reduce_config_selectorIiEEZNS1_11reduce_implILb1ES3_PiS7_iN6hipcub16HIPCUB_304000_NS6detail34convert_binary_result_type_wrapperINS9_3SumENS9_22TransformInputIteratorIbN2at6native12_GLOBAL__N_19NonZeroOpIaEEPKalEEiEEEE10hipError_tPvRmT1_T2_T3_mT4_P12ihipStream_tbEUlT_E0_NS1_11comp_targetILNS1_3genE9ELNS1_11target_archE1100ELNS1_3gpuE3ELNS1_3repE0EEENS1_30default_config_static_selectorELNS0_4arch9wavefront6targetE0EEEvSQ_,comdat
	.globl	_ZN7rocprim17ROCPRIM_400000_NS6detail17trampoline_kernelINS0_14default_configENS1_22reduce_config_selectorIiEEZNS1_11reduce_implILb1ES3_PiS7_iN6hipcub16HIPCUB_304000_NS6detail34convert_binary_result_type_wrapperINS9_3SumENS9_22TransformInputIteratorIbN2at6native12_GLOBAL__N_19NonZeroOpIaEEPKalEEiEEEE10hipError_tPvRmT1_T2_T3_mT4_P12ihipStream_tbEUlT_E0_NS1_11comp_targetILNS1_3genE9ELNS1_11target_archE1100ELNS1_3gpuE3ELNS1_3repE0EEENS1_30default_config_static_selectorELNS0_4arch9wavefront6targetE0EEEvSQ_ ; -- Begin function _ZN7rocprim17ROCPRIM_400000_NS6detail17trampoline_kernelINS0_14default_configENS1_22reduce_config_selectorIiEEZNS1_11reduce_implILb1ES3_PiS7_iN6hipcub16HIPCUB_304000_NS6detail34convert_binary_result_type_wrapperINS9_3SumENS9_22TransformInputIteratorIbN2at6native12_GLOBAL__N_19NonZeroOpIaEEPKalEEiEEEE10hipError_tPvRmT1_T2_T3_mT4_P12ihipStream_tbEUlT_E0_NS1_11comp_targetILNS1_3genE9ELNS1_11target_archE1100ELNS1_3gpuE3ELNS1_3repE0EEENS1_30default_config_static_selectorELNS0_4arch9wavefront6targetE0EEEvSQ_
	.p2align	8
	.type	_ZN7rocprim17ROCPRIM_400000_NS6detail17trampoline_kernelINS0_14default_configENS1_22reduce_config_selectorIiEEZNS1_11reduce_implILb1ES3_PiS7_iN6hipcub16HIPCUB_304000_NS6detail34convert_binary_result_type_wrapperINS9_3SumENS9_22TransformInputIteratorIbN2at6native12_GLOBAL__N_19NonZeroOpIaEEPKalEEiEEEE10hipError_tPvRmT1_T2_T3_mT4_P12ihipStream_tbEUlT_E0_NS1_11comp_targetILNS1_3genE9ELNS1_11target_archE1100ELNS1_3gpuE3ELNS1_3repE0EEENS1_30default_config_static_selectorELNS0_4arch9wavefront6targetE0EEEvSQ_,@function
_ZN7rocprim17ROCPRIM_400000_NS6detail17trampoline_kernelINS0_14default_configENS1_22reduce_config_selectorIiEEZNS1_11reduce_implILb1ES3_PiS7_iN6hipcub16HIPCUB_304000_NS6detail34convert_binary_result_type_wrapperINS9_3SumENS9_22TransformInputIteratorIbN2at6native12_GLOBAL__N_19NonZeroOpIaEEPKalEEiEEEE10hipError_tPvRmT1_T2_T3_mT4_P12ihipStream_tbEUlT_E0_NS1_11comp_targetILNS1_3genE9ELNS1_11target_archE1100ELNS1_3gpuE3ELNS1_3repE0EEENS1_30default_config_static_selectorELNS0_4arch9wavefront6targetE0EEEvSQ_: ; @_ZN7rocprim17ROCPRIM_400000_NS6detail17trampoline_kernelINS0_14default_configENS1_22reduce_config_selectorIiEEZNS1_11reduce_implILb1ES3_PiS7_iN6hipcub16HIPCUB_304000_NS6detail34convert_binary_result_type_wrapperINS9_3SumENS9_22TransformInputIteratorIbN2at6native12_GLOBAL__N_19NonZeroOpIaEEPKalEEiEEEE10hipError_tPvRmT1_T2_T3_mT4_P12ihipStream_tbEUlT_E0_NS1_11comp_targetILNS1_3genE9ELNS1_11target_archE1100ELNS1_3gpuE3ELNS1_3repE0EEENS1_30default_config_static_selectorELNS0_4arch9wavefront6targetE0EEEvSQ_
; %bb.0:
	s_mov_b32 s16, s15
	s_clause 0x1
	s_load_b256 s[4:11], s[0:1], 0x0
	s_load_b128 s[12:15], s[0:1], 0x20
	s_mov_b32 s3, 0
	v_lshlrev_b32_e32 v10, 2, v0
	v_mbcnt_lo_u32_b32 v9, -1, 0
	s_mov_b32 s17, s3
	s_waitcnt lgkmcnt(0)
	s_lshl_b64 s[6:7], s[6:7], 2
	s_delay_alu instid0(SALU_CYCLE_1) | instskip(SKIP_4) | instid1(SALU_CYCLE_1)
	s_add_u32 s18, s4, s6
	s_addc_u32 s19, s5, s7
	s_lshl_b32 s2, s16, 11
	s_lshr_b64 s[6:7], s[8:9], 11
	s_lshl_b64 s[4:5], s[2:3], 2
	s_add_u32 s18, s18, s4
	s_addc_u32 s19, s19, s5
	s_cmp_lg_u64 s[6:7], s[16:17]
	s_cbranch_scc0 .LBB89_6
; %bb.1:
	v_add_co_u32 v1, s3, s18, v10
	s_clause 0x1
	global_load_b32 v3, v10, s[18:19]
	global_load_b32 v4, v10, s[18:19] offset:1024
	v_add_co_ci_u32_e64 v2, null, s19, 0, s3
	v_add_co_u32 v1, vcc_lo, 0x1000, v1
	s_mov_b32 s3, exec_lo
	s_delay_alu instid0(VALU_DEP_2)
	v_add_co_ci_u32_e32 v2, vcc_lo, 0, v2, vcc_lo
	s_clause 0x5
	global_load_b32 v5, v10, s[18:19] offset:2048
	global_load_b32 v6, v10, s[18:19] offset:3072
	global_load_b32 v7, v[1:2], off
	global_load_b32 v8, v[1:2], off offset:1024
	global_load_b32 v11, v[1:2], off offset:2048
	;; [unrolled: 1-line block ×3, first 2 shown]
	s_waitcnt vmcnt(6)
	v_dual_mov_b32 v3, 0 :: v_dual_add_nc_u32 v2, v4, v3
	s_waitcnt vmcnt(4)
	s_delay_alu instid0(VALU_DEP_1) | instskip(SKIP_1) | instid1(VALU_DEP_1)
	v_add3_u32 v2, v2, v5, v6
	s_waitcnt vmcnt(2)
	v_add3_u32 v2, v2, v7, v8
	s_waitcnt vmcnt(0)
	s_delay_alu instid0(VALU_DEP_1) | instskip(NEXT) | instid1(VALU_DEP_1)
	v_add3_u32 v1, v2, v11, v1
	v_mov_b32_dpp v2, v1 quad_perm:[1,0,3,2] row_mask:0xf bank_mask:0xf
	s_delay_alu instid0(VALU_DEP_1) | instskip(NEXT) | instid1(VALU_DEP_1)
	v_add_nc_u32_e32 v1, v2, v1
	v_mov_b32_dpp v2, v1 quad_perm:[2,3,0,1] row_mask:0xf bank_mask:0xf
	s_delay_alu instid0(VALU_DEP_1) | instskip(NEXT) | instid1(VALU_DEP_1)
	v_add_nc_u32_e32 v1, v1, v2
	v_mov_b32_dpp v2, v1 row_ror:4 row_mask:0xf bank_mask:0xf
	s_delay_alu instid0(VALU_DEP_1) | instskip(NEXT) | instid1(VALU_DEP_1)
	v_add_nc_u32_e32 v1, v1, v2
	v_mov_b32_dpp v2, v1 row_ror:8 row_mask:0xf bank_mask:0xf
	s_delay_alu instid0(VALU_DEP_1)
	v_add_nc_u32_e32 v1, v1, v2
	ds_swizzle_b32 v2, v1 offset:swizzle(BROADCAST,32,15)
	s_waitcnt lgkmcnt(0)
	v_add_nc_u32_e32 v1, v1, v2
	ds_bpermute_b32 v1, v3, v1 offset:124
	v_cmpx_eq_u32_e32 0, v9
	s_cbranch_execz .LBB89_3
; %bb.2:
	v_lshrrev_b32_e32 v2, 3, v0
	s_delay_alu instid0(VALU_DEP_1)
	v_and_b32_e32 v2, 28, v2
	s_waitcnt lgkmcnt(0)
	ds_store_b32 v2, v1
.LBB89_3:
	s_or_b32 exec_lo, exec_lo, s3
	s_delay_alu instid0(SALU_CYCLE_1)
	s_mov_b32 s3, exec_lo
	s_waitcnt lgkmcnt(0)
	s_barrier
	buffer_gl0_inv
	v_cmpx_gt_u32_e32 32, v0
	s_cbranch_execz .LBB89_5
; %bb.4:
	v_and_b32_e32 v1, 7, v9
	s_delay_alu instid0(VALU_DEP_1) | instskip(SKIP_4) | instid1(VALU_DEP_2)
	v_lshlrev_b32_e32 v2, 2, v1
	v_cmp_ne_u32_e32 vcc_lo, 7, v1
	ds_load_b32 v2, v2
	v_add_co_ci_u32_e32 v3, vcc_lo, 0, v9, vcc_lo
	v_cmp_gt_u32_e32 vcc_lo, 6, v1
	v_lshlrev_b32_e32 v3, 2, v3
	v_cndmask_b32_e64 v4, 0, 1, vcc_lo
	v_cmp_gt_u32_e32 vcc_lo, 4, v1
	s_delay_alu instid0(VALU_DEP_2) | instskip(SKIP_1) | instid1(VALU_DEP_2)
	v_lshlrev_b32_e32 v4, 1, v4
	v_cndmask_b32_e64 v1, 0, 1, vcc_lo
	v_add_lshl_u32 v4, v4, v9, 2
	s_delay_alu instid0(VALU_DEP_2)
	v_lshlrev_b32_e32 v1, 2, v1
	s_waitcnt lgkmcnt(0)
	ds_bpermute_b32 v3, v3, v2
	v_add_lshl_u32 v1, v1, v9, 2
	s_waitcnt lgkmcnt(0)
	v_add_nc_u32_e32 v2, v3, v2
	ds_bpermute_b32 v3, v4, v2
	s_waitcnt lgkmcnt(0)
	v_add_nc_u32_e32 v2, v3, v2
	ds_bpermute_b32 v1, v1, v2
	s_waitcnt lgkmcnt(0)
	v_add_nc_u32_e32 v1, v1, v2
.LBB89_5:
	s_or_b32 exec_lo, exec_lo, s3
	s_branch .LBB89_28
.LBB89_6:
                                        ; implicit-def: $vgpr1
	s_cbranch_execz .LBB89_28
; %bb.7:
	s_sub_i32 s20, s8, s2
	s_mov_b32 s2, exec_lo
                                        ; implicit-def: $vgpr1_vgpr2_vgpr3_vgpr4_vgpr5_vgpr6_vgpr7_vgpr8
	v_cmpx_gt_u32_e64 s20, v0
	s_cbranch_execz .LBB89_9
; %bb.8:
	global_load_b32 v1, v10, s[18:19]
.LBB89_9:
	s_or_b32 exec_lo, exec_lo, s2
	v_or_b32_e32 v11, 0x100, v0
	s_delay_alu instid0(VALU_DEP_1)
	v_cmp_gt_u32_e32 vcc_lo, s20, v11
	s_and_saveexec_b32 s2, vcc_lo
	s_cbranch_execz .LBB89_11
; %bb.10:
	global_load_b32 v2, v10, s[18:19] offset:1024
.LBB89_11:
	s_or_b32 exec_lo, exec_lo, s2
	v_or_b32_e32 v11, 0x200, v0
	s_delay_alu instid0(VALU_DEP_1) | instskip(NEXT) | instid1(VALU_DEP_1)
	v_cmp_gt_u32_e64 s2, s20, v11
	s_and_saveexec_b32 s3, s2
	s_cbranch_execz .LBB89_13
; %bb.12:
	global_load_b32 v3, v10, s[18:19] offset:2048
.LBB89_13:
	s_or_b32 exec_lo, exec_lo, s3
	v_or_b32_e32 v11, 0x300, v0
	s_delay_alu instid0(VALU_DEP_1) | instskip(NEXT) | instid1(VALU_DEP_1)
	v_cmp_gt_u32_e64 s3, s20, v11
	s_and_saveexec_b32 s4, s3
	;; [unrolled: 9-line block ×3, first 2 shown]
	s_cbranch_execz .LBB89_17
; %bb.16:
	v_lshlrev_b32_e32 v5, 2, v10
	global_load_b32 v5, v5, s[18:19]
.LBB89_17:
	s_or_b32 exec_lo, exec_lo, s5
	v_or_b32_e32 v10, 0x500, v0
	s_delay_alu instid0(VALU_DEP_1) | instskip(NEXT) | instid1(VALU_DEP_1)
	v_cmp_gt_u32_e64 s5, s20, v10
	s_and_saveexec_b32 s6, s5
	s_cbranch_execz .LBB89_19
; %bb.18:
	v_lshlrev_b32_e32 v6, 2, v10
	global_load_b32 v6, v6, s[18:19]
.LBB89_19:
	s_or_b32 exec_lo, exec_lo, s6
	v_or_b32_e32 v10, 0x600, v0
	s_delay_alu instid0(VALU_DEP_1) | instskip(NEXT) | instid1(VALU_DEP_1)
	v_cmp_gt_u32_e64 s6, s20, v10
	s_and_saveexec_b32 s7, s6
	;; [unrolled: 10-line block ×3, first 2 shown]
	s_cbranch_execz .LBB89_23
; %bb.22:
	v_lshlrev_b32_e32 v8, 2, v10
	global_load_b32 v8, v8, s[18:19]
.LBB89_23:
	s_or_b32 exec_lo, exec_lo, s21
	s_waitcnt vmcnt(0)
	v_cndmask_b32_e32 v2, 0, v2, vcc_lo
	v_cndmask_b32_e64 v3, 0, v3, s2
	v_cndmask_b32_e64 v4, 0, v4, s3
	v_cmp_ne_u32_e32 vcc_lo, 31, v9
	s_min_u32 s2, s20, 0x100
	v_add_nc_u32_e32 v1, v2, v1
	v_cndmask_b32_e64 v2, 0, v5, s4
	v_cndmask_b32_e64 v5, 0, v6, s5
	;; [unrolled: 1-line block ×3, first 2 shown]
	s_mov_b32 s3, exec_lo
	v_add3_u32 v1, v1, v3, v4
	v_cndmask_b32_e64 v3, 0, v8, s7
	v_add_co_ci_u32_e32 v4, vcc_lo, 0, v9, vcc_lo
	v_cmp_gt_u32_e32 vcc_lo, 30, v9
	s_delay_alu instid0(VALU_DEP_4) | instskip(NEXT) | instid1(VALU_DEP_3)
	v_add3_u32 v1, v1, v2, v5
	v_lshlrev_b32_e32 v2, 2, v4
	v_add_nc_u32_e32 v4, 1, v9
	v_cndmask_b32_e64 v5, 0, 1, vcc_lo
	s_delay_alu instid0(VALU_DEP_4) | instskip(SKIP_1) | instid1(VALU_DEP_3)
	v_add3_u32 v1, v1, v6, v3
	v_and_b32_e32 v3, 0xe0, v0
	v_lshlrev_b32_e32 v5, 1, v5
	ds_bpermute_b32 v2, v2, v1
	v_sub_nc_u32_e64 v3, s2, v3 clamp
	s_delay_alu instid0(VALU_DEP_1) | instskip(SKIP_4) | instid1(VALU_DEP_2)
	v_cmp_lt_u32_e32 vcc_lo, v4, v3
	v_add_lshl_u32 v4, v5, v9, 2
	s_waitcnt lgkmcnt(0)
	v_dual_cndmask_b32 v2, 0, v2 :: v_dual_add_nc_u32 v5, 2, v9
	v_cmp_gt_u32_e32 vcc_lo, 28, v9
	v_add_nc_u32_e32 v1, v1, v2
	ds_bpermute_b32 v2, v4, v1
	v_cndmask_b32_e64 v4, 0, 1, vcc_lo
	v_cmp_lt_u32_e32 vcc_lo, v5, v3
	v_add_nc_u32_e32 v5, 4, v9
	s_delay_alu instid0(VALU_DEP_3) | instskip(NEXT) | instid1(VALU_DEP_1)
	v_lshlrev_b32_e32 v4, 2, v4
	v_add_lshl_u32 v4, v4, v9, 2
	s_waitcnt lgkmcnt(0)
	v_cndmask_b32_e32 v2, 0, v2, vcc_lo
	v_cmp_gt_u32_e32 vcc_lo, 24, v9
	s_delay_alu instid0(VALU_DEP_2) | instskip(SKIP_4) | instid1(VALU_DEP_3)
	v_add_nc_u32_e32 v1, v1, v2
	ds_bpermute_b32 v2, v4, v1
	v_cndmask_b32_e64 v4, 0, 1, vcc_lo
	v_cmp_lt_u32_e32 vcc_lo, v5, v3
	v_add_nc_u32_e32 v5, 8, v9
	v_lshlrev_b32_e32 v4, 3, v4
	s_delay_alu instid0(VALU_DEP_1) | instskip(SKIP_3) | instid1(VALU_DEP_2)
	v_add_lshl_u32 v4, v4, v9, 2
	s_waitcnt lgkmcnt(0)
	v_cndmask_b32_e32 v2, 0, v2, vcc_lo
	v_cmp_gt_u32_e32 vcc_lo, 16, v9
	v_add_nc_u32_e32 v1, v1, v2
	ds_bpermute_b32 v2, v4, v1
	v_cndmask_b32_e64 v4, 0, 1, vcc_lo
	v_cmp_lt_u32_e32 vcc_lo, v5, v3
	s_delay_alu instid0(VALU_DEP_2) | instskip(NEXT) | instid1(VALU_DEP_1)
	v_lshlrev_b32_e32 v4, 4, v4
	v_add_lshl_u32 v4, v4, v9, 2
	s_waitcnt lgkmcnt(0)
	v_cndmask_b32_e32 v2, 0, v2, vcc_lo
	s_delay_alu instid0(VALU_DEP_1) | instskip(SKIP_2) | instid1(VALU_DEP_1)
	v_add_nc_u32_e32 v1, v1, v2
	ds_bpermute_b32 v2, v4, v1
	v_add_nc_u32_e32 v4, 16, v9
	v_cmp_lt_u32_e32 vcc_lo, v4, v3
	s_waitcnt lgkmcnt(0)
	v_cndmask_b32_e32 v2, 0, v2, vcc_lo
	s_delay_alu instid0(VALU_DEP_1)
	v_add_nc_u32_e32 v1, v1, v2
	v_cmpx_eq_u32_e32 0, v9
	s_cbranch_execz .LBB89_25
; %bb.24:
	v_lshrrev_b32_e32 v2, 3, v0
	s_delay_alu instid0(VALU_DEP_1)
	v_and_b32_e32 v2, 28, v2
	ds_store_b32 v2, v1 offset:32
.LBB89_25:
	s_or_b32 exec_lo, exec_lo, s3
	s_delay_alu instid0(SALU_CYCLE_1)
	s_mov_b32 s3, exec_lo
	s_waitcnt lgkmcnt(0)
	s_barrier
	buffer_gl0_inv
	v_cmpx_gt_u32_e32 8, v0
	s_cbranch_execz .LBB89_27
; %bb.26:
	v_lshlrev_b32_e32 v1, 2, v9
	v_and_b32_e32 v2, 7, v9
	s_add_i32 s2, s2, 31
	s_delay_alu instid0(SALU_CYCLE_1)
	s_lshr_b32 s2, s2, 5
	ds_load_b32 v1, v1 offset:32
	v_cmp_ne_u32_e32 vcc_lo, 7, v2
	v_add_nc_u32_e32 v5, 1, v2
	v_add_co_ci_u32_e32 v3, vcc_lo, 0, v9, vcc_lo
	v_cmp_gt_u32_e32 vcc_lo, 6, v2
	s_delay_alu instid0(VALU_DEP_2) | instskip(SKIP_2) | instid1(VALU_DEP_2)
	v_lshlrev_b32_e32 v3, 2, v3
	v_cndmask_b32_e64 v4, 0, 1, vcc_lo
	v_cmp_gt_u32_e32 vcc_lo, s2, v5
	v_lshlrev_b32_e32 v4, 1, v4
	s_waitcnt lgkmcnt(0)
	ds_bpermute_b32 v3, v3, v1
	v_add_lshl_u32 v4, v4, v9, 2
	s_waitcnt lgkmcnt(0)
	v_cndmask_b32_e32 v3, 0, v3, vcc_lo
	v_cmp_gt_u32_e32 vcc_lo, 4, v2
	s_delay_alu instid0(VALU_DEP_2) | instskip(SKIP_4) | instid1(VALU_DEP_2)
	v_add_nc_u32_e32 v1, v3, v1
	v_cndmask_b32_e64 v5, 0, 1, vcc_lo
	ds_bpermute_b32 v3, v4, v1
	v_add_nc_u32_e32 v4, 2, v2
	v_add_nc_u32_e32 v2, 4, v2
	v_cmp_gt_u32_e32 vcc_lo, s2, v4
	s_waitcnt lgkmcnt(0)
	v_dual_cndmask_b32 v3, 0, v3 :: v_dual_lshlrev_b32 v4, 2, v5
	s_delay_alu instid0(VALU_DEP_3) | instskip(NEXT) | instid1(VALU_DEP_2)
	v_cmp_gt_u32_e32 vcc_lo, s2, v2
	v_add_nc_u32_e32 v1, v1, v3
	s_delay_alu instid0(VALU_DEP_3) | instskip(SKIP_3) | instid1(VALU_DEP_1)
	v_add_lshl_u32 v3, v4, v9, 2
	ds_bpermute_b32 v3, v3, v1
	s_waitcnt lgkmcnt(0)
	v_cndmask_b32_e32 v2, 0, v3, vcc_lo
	v_add_nc_u32_e32 v1, v1, v2
.LBB89_27:
	s_or_b32 exec_lo, exec_lo, s3
.LBB89_28:
	s_load_b32 s0, s[0:1], 0x30
	s_mov_b32 s1, exec_lo
	v_cmpx_eq_u32_e32 0, v0
	s_cbranch_execz .LBB89_30
; %bb.29:
	s_mul_i32 s1, s14, s13
	s_mul_hi_u32 s2, s14, s12
	s_mul_i32 s3, s15, s12
	s_add_i32 s1, s2, s1
	s_mul_i32 s2, s14, s12
	s_add_i32 s3, s1, s3
	s_delay_alu instid0(SALU_CYCLE_1) | instskip(NEXT) | instid1(SALU_CYCLE_1)
	s_lshl_b64 s[2:3], s[2:3], 2
	s_add_u32 s2, s10, s2
	s_addc_u32 s3, s11, s3
	s_cmp_eq_u64 s[8:9], 0
	s_cselect_b32 s1, -1, 0
	s_waitcnt lgkmcnt(0)
	v_cndmask_b32_e64 v0, v1, s0, s1
	s_lshl_b64 s[0:1], s[16:17], 2
	v_mov_b32_e32 v1, 0
	s_add_u32 s0, s2, s0
	s_addc_u32 s1, s3, s1
	global_store_b32 v1, v0, s[0:1]
.LBB89_30:
	s_nop 0
	s_sendmsg sendmsg(MSG_DEALLOC_VGPRS)
	s_endpgm
	.section	.rodata,"a",@progbits
	.p2align	6, 0x0
	.amdhsa_kernel _ZN7rocprim17ROCPRIM_400000_NS6detail17trampoline_kernelINS0_14default_configENS1_22reduce_config_selectorIiEEZNS1_11reduce_implILb1ES3_PiS7_iN6hipcub16HIPCUB_304000_NS6detail34convert_binary_result_type_wrapperINS9_3SumENS9_22TransformInputIteratorIbN2at6native12_GLOBAL__N_19NonZeroOpIaEEPKalEEiEEEE10hipError_tPvRmT1_T2_T3_mT4_P12ihipStream_tbEUlT_E0_NS1_11comp_targetILNS1_3genE9ELNS1_11target_archE1100ELNS1_3gpuE3ELNS1_3repE0EEENS1_30default_config_static_selectorELNS0_4arch9wavefront6targetE0EEEvSQ_
		.amdhsa_group_segment_fixed_size 64
		.amdhsa_private_segment_fixed_size 0
		.amdhsa_kernarg_size 56
		.amdhsa_user_sgpr_count 15
		.amdhsa_user_sgpr_dispatch_ptr 0
		.amdhsa_user_sgpr_queue_ptr 0
		.amdhsa_user_sgpr_kernarg_segment_ptr 1
		.amdhsa_user_sgpr_dispatch_id 0
		.amdhsa_user_sgpr_private_segment_size 0
		.amdhsa_wavefront_size32 1
		.amdhsa_uses_dynamic_stack 0
		.amdhsa_enable_private_segment 0
		.amdhsa_system_sgpr_workgroup_id_x 1
		.amdhsa_system_sgpr_workgroup_id_y 0
		.amdhsa_system_sgpr_workgroup_id_z 0
		.amdhsa_system_sgpr_workgroup_info 0
		.amdhsa_system_vgpr_workitem_id 0
		.amdhsa_next_free_vgpr 12
		.amdhsa_next_free_sgpr 22
		.amdhsa_reserve_vcc 1
		.amdhsa_float_round_mode_32 0
		.amdhsa_float_round_mode_16_64 0
		.amdhsa_float_denorm_mode_32 3
		.amdhsa_float_denorm_mode_16_64 3
		.amdhsa_dx10_clamp 1
		.amdhsa_ieee_mode 1
		.amdhsa_fp16_overflow 0
		.amdhsa_workgroup_processor_mode 1
		.amdhsa_memory_ordered 1
		.amdhsa_forward_progress 0
		.amdhsa_shared_vgpr_count 0
		.amdhsa_exception_fp_ieee_invalid_op 0
		.amdhsa_exception_fp_denorm_src 0
		.amdhsa_exception_fp_ieee_div_zero 0
		.amdhsa_exception_fp_ieee_overflow 0
		.amdhsa_exception_fp_ieee_underflow 0
		.amdhsa_exception_fp_ieee_inexact 0
		.amdhsa_exception_int_div_zero 0
	.end_amdhsa_kernel
	.section	.text._ZN7rocprim17ROCPRIM_400000_NS6detail17trampoline_kernelINS0_14default_configENS1_22reduce_config_selectorIiEEZNS1_11reduce_implILb1ES3_PiS7_iN6hipcub16HIPCUB_304000_NS6detail34convert_binary_result_type_wrapperINS9_3SumENS9_22TransformInputIteratorIbN2at6native12_GLOBAL__N_19NonZeroOpIaEEPKalEEiEEEE10hipError_tPvRmT1_T2_T3_mT4_P12ihipStream_tbEUlT_E0_NS1_11comp_targetILNS1_3genE9ELNS1_11target_archE1100ELNS1_3gpuE3ELNS1_3repE0EEENS1_30default_config_static_selectorELNS0_4arch9wavefront6targetE0EEEvSQ_,"axG",@progbits,_ZN7rocprim17ROCPRIM_400000_NS6detail17trampoline_kernelINS0_14default_configENS1_22reduce_config_selectorIiEEZNS1_11reduce_implILb1ES3_PiS7_iN6hipcub16HIPCUB_304000_NS6detail34convert_binary_result_type_wrapperINS9_3SumENS9_22TransformInputIteratorIbN2at6native12_GLOBAL__N_19NonZeroOpIaEEPKalEEiEEEE10hipError_tPvRmT1_T2_T3_mT4_P12ihipStream_tbEUlT_E0_NS1_11comp_targetILNS1_3genE9ELNS1_11target_archE1100ELNS1_3gpuE3ELNS1_3repE0EEENS1_30default_config_static_selectorELNS0_4arch9wavefront6targetE0EEEvSQ_,comdat
.Lfunc_end89:
	.size	_ZN7rocprim17ROCPRIM_400000_NS6detail17trampoline_kernelINS0_14default_configENS1_22reduce_config_selectorIiEEZNS1_11reduce_implILb1ES3_PiS7_iN6hipcub16HIPCUB_304000_NS6detail34convert_binary_result_type_wrapperINS9_3SumENS9_22TransformInputIteratorIbN2at6native12_GLOBAL__N_19NonZeroOpIaEEPKalEEiEEEE10hipError_tPvRmT1_T2_T3_mT4_P12ihipStream_tbEUlT_E0_NS1_11comp_targetILNS1_3genE9ELNS1_11target_archE1100ELNS1_3gpuE3ELNS1_3repE0EEENS1_30default_config_static_selectorELNS0_4arch9wavefront6targetE0EEEvSQ_, .Lfunc_end89-_ZN7rocprim17ROCPRIM_400000_NS6detail17trampoline_kernelINS0_14default_configENS1_22reduce_config_selectorIiEEZNS1_11reduce_implILb1ES3_PiS7_iN6hipcub16HIPCUB_304000_NS6detail34convert_binary_result_type_wrapperINS9_3SumENS9_22TransformInputIteratorIbN2at6native12_GLOBAL__N_19NonZeroOpIaEEPKalEEiEEEE10hipError_tPvRmT1_T2_T3_mT4_P12ihipStream_tbEUlT_E0_NS1_11comp_targetILNS1_3genE9ELNS1_11target_archE1100ELNS1_3gpuE3ELNS1_3repE0EEENS1_30default_config_static_selectorELNS0_4arch9wavefront6targetE0EEEvSQ_
                                        ; -- End function
	.section	.AMDGPU.csdata,"",@progbits
; Kernel info:
; codeLenInByte = 1664
; NumSgprs: 24
; NumVgprs: 12
; ScratchSize: 0
; MemoryBound: 0
; FloatMode: 240
; IeeeMode: 1
; LDSByteSize: 64 bytes/workgroup (compile time only)
; SGPRBlocks: 2
; VGPRBlocks: 1
; NumSGPRsForWavesPerEU: 24
; NumVGPRsForWavesPerEU: 12
; Occupancy: 16
; WaveLimiterHint : 1
; COMPUTE_PGM_RSRC2:SCRATCH_EN: 0
; COMPUTE_PGM_RSRC2:USER_SGPR: 15
; COMPUTE_PGM_RSRC2:TRAP_HANDLER: 0
; COMPUTE_PGM_RSRC2:TGID_X_EN: 1
; COMPUTE_PGM_RSRC2:TGID_Y_EN: 0
; COMPUTE_PGM_RSRC2:TGID_Z_EN: 0
; COMPUTE_PGM_RSRC2:TIDIG_COMP_CNT: 0
	.section	.text._ZN7rocprim17ROCPRIM_400000_NS6detail17trampoline_kernelINS0_14default_configENS1_22reduce_config_selectorIiEEZNS1_11reduce_implILb1ES3_PiS7_iN6hipcub16HIPCUB_304000_NS6detail34convert_binary_result_type_wrapperINS9_3SumENS9_22TransformInputIteratorIbN2at6native12_GLOBAL__N_19NonZeroOpIaEEPKalEEiEEEE10hipError_tPvRmT1_T2_T3_mT4_P12ihipStream_tbEUlT_E0_NS1_11comp_targetILNS1_3genE8ELNS1_11target_archE1030ELNS1_3gpuE2ELNS1_3repE0EEENS1_30default_config_static_selectorELNS0_4arch9wavefront6targetE0EEEvSQ_,"axG",@progbits,_ZN7rocprim17ROCPRIM_400000_NS6detail17trampoline_kernelINS0_14default_configENS1_22reduce_config_selectorIiEEZNS1_11reduce_implILb1ES3_PiS7_iN6hipcub16HIPCUB_304000_NS6detail34convert_binary_result_type_wrapperINS9_3SumENS9_22TransformInputIteratorIbN2at6native12_GLOBAL__N_19NonZeroOpIaEEPKalEEiEEEE10hipError_tPvRmT1_T2_T3_mT4_P12ihipStream_tbEUlT_E0_NS1_11comp_targetILNS1_3genE8ELNS1_11target_archE1030ELNS1_3gpuE2ELNS1_3repE0EEENS1_30default_config_static_selectorELNS0_4arch9wavefront6targetE0EEEvSQ_,comdat
	.globl	_ZN7rocprim17ROCPRIM_400000_NS6detail17trampoline_kernelINS0_14default_configENS1_22reduce_config_selectorIiEEZNS1_11reduce_implILb1ES3_PiS7_iN6hipcub16HIPCUB_304000_NS6detail34convert_binary_result_type_wrapperINS9_3SumENS9_22TransformInputIteratorIbN2at6native12_GLOBAL__N_19NonZeroOpIaEEPKalEEiEEEE10hipError_tPvRmT1_T2_T3_mT4_P12ihipStream_tbEUlT_E0_NS1_11comp_targetILNS1_3genE8ELNS1_11target_archE1030ELNS1_3gpuE2ELNS1_3repE0EEENS1_30default_config_static_selectorELNS0_4arch9wavefront6targetE0EEEvSQ_ ; -- Begin function _ZN7rocprim17ROCPRIM_400000_NS6detail17trampoline_kernelINS0_14default_configENS1_22reduce_config_selectorIiEEZNS1_11reduce_implILb1ES3_PiS7_iN6hipcub16HIPCUB_304000_NS6detail34convert_binary_result_type_wrapperINS9_3SumENS9_22TransformInputIteratorIbN2at6native12_GLOBAL__N_19NonZeroOpIaEEPKalEEiEEEE10hipError_tPvRmT1_T2_T3_mT4_P12ihipStream_tbEUlT_E0_NS1_11comp_targetILNS1_3genE8ELNS1_11target_archE1030ELNS1_3gpuE2ELNS1_3repE0EEENS1_30default_config_static_selectorELNS0_4arch9wavefront6targetE0EEEvSQ_
	.p2align	8
	.type	_ZN7rocprim17ROCPRIM_400000_NS6detail17trampoline_kernelINS0_14default_configENS1_22reduce_config_selectorIiEEZNS1_11reduce_implILb1ES3_PiS7_iN6hipcub16HIPCUB_304000_NS6detail34convert_binary_result_type_wrapperINS9_3SumENS9_22TransformInputIteratorIbN2at6native12_GLOBAL__N_19NonZeroOpIaEEPKalEEiEEEE10hipError_tPvRmT1_T2_T3_mT4_P12ihipStream_tbEUlT_E0_NS1_11comp_targetILNS1_3genE8ELNS1_11target_archE1030ELNS1_3gpuE2ELNS1_3repE0EEENS1_30default_config_static_selectorELNS0_4arch9wavefront6targetE0EEEvSQ_,@function
_ZN7rocprim17ROCPRIM_400000_NS6detail17trampoline_kernelINS0_14default_configENS1_22reduce_config_selectorIiEEZNS1_11reduce_implILb1ES3_PiS7_iN6hipcub16HIPCUB_304000_NS6detail34convert_binary_result_type_wrapperINS9_3SumENS9_22TransformInputIteratorIbN2at6native12_GLOBAL__N_19NonZeroOpIaEEPKalEEiEEEE10hipError_tPvRmT1_T2_T3_mT4_P12ihipStream_tbEUlT_E0_NS1_11comp_targetILNS1_3genE8ELNS1_11target_archE1030ELNS1_3gpuE2ELNS1_3repE0EEENS1_30default_config_static_selectorELNS0_4arch9wavefront6targetE0EEEvSQ_: ; @_ZN7rocprim17ROCPRIM_400000_NS6detail17trampoline_kernelINS0_14default_configENS1_22reduce_config_selectorIiEEZNS1_11reduce_implILb1ES3_PiS7_iN6hipcub16HIPCUB_304000_NS6detail34convert_binary_result_type_wrapperINS9_3SumENS9_22TransformInputIteratorIbN2at6native12_GLOBAL__N_19NonZeroOpIaEEPKalEEiEEEE10hipError_tPvRmT1_T2_T3_mT4_P12ihipStream_tbEUlT_E0_NS1_11comp_targetILNS1_3genE8ELNS1_11target_archE1030ELNS1_3gpuE2ELNS1_3repE0EEENS1_30default_config_static_selectorELNS0_4arch9wavefront6targetE0EEEvSQ_
; %bb.0:
	.section	.rodata,"a",@progbits
	.p2align	6, 0x0
	.amdhsa_kernel _ZN7rocprim17ROCPRIM_400000_NS6detail17trampoline_kernelINS0_14default_configENS1_22reduce_config_selectorIiEEZNS1_11reduce_implILb1ES3_PiS7_iN6hipcub16HIPCUB_304000_NS6detail34convert_binary_result_type_wrapperINS9_3SumENS9_22TransformInputIteratorIbN2at6native12_GLOBAL__N_19NonZeroOpIaEEPKalEEiEEEE10hipError_tPvRmT1_T2_T3_mT4_P12ihipStream_tbEUlT_E0_NS1_11comp_targetILNS1_3genE8ELNS1_11target_archE1030ELNS1_3gpuE2ELNS1_3repE0EEENS1_30default_config_static_selectorELNS0_4arch9wavefront6targetE0EEEvSQ_
		.amdhsa_group_segment_fixed_size 0
		.amdhsa_private_segment_fixed_size 0
		.amdhsa_kernarg_size 56
		.amdhsa_user_sgpr_count 15
		.amdhsa_user_sgpr_dispatch_ptr 0
		.amdhsa_user_sgpr_queue_ptr 0
		.amdhsa_user_sgpr_kernarg_segment_ptr 1
		.amdhsa_user_sgpr_dispatch_id 0
		.amdhsa_user_sgpr_private_segment_size 0
		.amdhsa_wavefront_size32 1
		.amdhsa_uses_dynamic_stack 0
		.amdhsa_enable_private_segment 0
		.amdhsa_system_sgpr_workgroup_id_x 1
		.amdhsa_system_sgpr_workgroup_id_y 0
		.amdhsa_system_sgpr_workgroup_id_z 0
		.amdhsa_system_sgpr_workgroup_info 0
		.amdhsa_system_vgpr_workitem_id 0
		.amdhsa_next_free_vgpr 1
		.amdhsa_next_free_sgpr 1
		.amdhsa_reserve_vcc 0
		.amdhsa_float_round_mode_32 0
		.amdhsa_float_round_mode_16_64 0
		.amdhsa_float_denorm_mode_32 3
		.amdhsa_float_denorm_mode_16_64 3
		.amdhsa_dx10_clamp 1
		.amdhsa_ieee_mode 1
		.amdhsa_fp16_overflow 0
		.amdhsa_workgroup_processor_mode 1
		.amdhsa_memory_ordered 1
		.amdhsa_forward_progress 0
		.amdhsa_shared_vgpr_count 0
		.amdhsa_exception_fp_ieee_invalid_op 0
		.amdhsa_exception_fp_denorm_src 0
		.amdhsa_exception_fp_ieee_div_zero 0
		.amdhsa_exception_fp_ieee_overflow 0
		.amdhsa_exception_fp_ieee_underflow 0
		.amdhsa_exception_fp_ieee_inexact 0
		.amdhsa_exception_int_div_zero 0
	.end_amdhsa_kernel
	.section	.text._ZN7rocprim17ROCPRIM_400000_NS6detail17trampoline_kernelINS0_14default_configENS1_22reduce_config_selectorIiEEZNS1_11reduce_implILb1ES3_PiS7_iN6hipcub16HIPCUB_304000_NS6detail34convert_binary_result_type_wrapperINS9_3SumENS9_22TransformInputIteratorIbN2at6native12_GLOBAL__N_19NonZeroOpIaEEPKalEEiEEEE10hipError_tPvRmT1_T2_T3_mT4_P12ihipStream_tbEUlT_E0_NS1_11comp_targetILNS1_3genE8ELNS1_11target_archE1030ELNS1_3gpuE2ELNS1_3repE0EEENS1_30default_config_static_selectorELNS0_4arch9wavefront6targetE0EEEvSQ_,"axG",@progbits,_ZN7rocprim17ROCPRIM_400000_NS6detail17trampoline_kernelINS0_14default_configENS1_22reduce_config_selectorIiEEZNS1_11reduce_implILb1ES3_PiS7_iN6hipcub16HIPCUB_304000_NS6detail34convert_binary_result_type_wrapperINS9_3SumENS9_22TransformInputIteratorIbN2at6native12_GLOBAL__N_19NonZeroOpIaEEPKalEEiEEEE10hipError_tPvRmT1_T2_T3_mT4_P12ihipStream_tbEUlT_E0_NS1_11comp_targetILNS1_3genE8ELNS1_11target_archE1030ELNS1_3gpuE2ELNS1_3repE0EEENS1_30default_config_static_selectorELNS0_4arch9wavefront6targetE0EEEvSQ_,comdat
.Lfunc_end90:
	.size	_ZN7rocprim17ROCPRIM_400000_NS6detail17trampoline_kernelINS0_14default_configENS1_22reduce_config_selectorIiEEZNS1_11reduce_implILb1ES3_PiS7_iN6hipcub16HIPCUB_304000_NS6detail34convert_binary_result_type_wrapperINS9_3SumENS9_22TransformInputIteratorIbN2at6native12_GLOBAL__N_19NonZeroOpIaEEPKalEEiEEEE10hipError_tPvRmT1_T2_T3_mT4_P12ihipStream_tbEUlT_E0_NS1_11comp_targetILNS1_3genE8ELNS1_11target_archE1030ELNS1_3gpuE2ELNS1_3repE0EEENS1_30default_config_static_selectorELNS0_4arch9wavefront6targetE0EEEvSQ_, .Lfunc_end90-_ZN7rocprim17ROCPRIM_400000_NS6detail17trampoline_kernelINS0_14default_configENS1_22reduce_config_selectorIiEEZNS1_11reduce_implILb1ES3_PiS7_iN6hipcub16HIPCUB_304000_NS6detail34convert_binary_result_type_wrapperINS9_3SumENS9_22TransformInputIteratorIbN2at6native12_GLOBAL__N_19NonZeroOpIaEEPKalEEiEEEE10hipError_tPvRmT1_T2_T3_mT4_P12ihipStream_tbEUlT_E0_NS1_11comp_targetILNS1_3genE8ELNS1_11target_archE1030ELNS1_3gpuE2ELNS1_3repE0EEENS1_30default_config_static_selectorELNS0_4arch9wavefront6targetE0EEEvSQ_
                                        ; -- End function
	.section	.AMDGPU.csdata,"",@progbits
; Kernel info:
; codeLenInByte = 0
; NumSgprs: 0
; NumVgprs: 0
; ScratchSize: 0
; MemoryBound: 0
; FloatMode: 240
; IeeeMode: 1
; LDSByteSize: 0 bytes/workgroup (compile time only)
; SGPRBlocks: 0
; VGPRBlocks: 0
; NumSGPRsForWavesPerEU: 1
; NumVGPRsForWavesPerEU: 1
; Occupancy: 16
; WaveLimiterHint : 0
; COMPUTE_PGM_RSRC2:SCRATCH_EN: 0
; COMPUTE_PGM_RSRC2:USER_SGPR: 15
; COMPUTE_PGM_RSRC2:TRAP_HANDLER: 0
; COMPUTE_PGM_RSRC2:TGID_X_EN: 1
; COMPUTE_PGM_RSRC2:TGID_Y_EN: 0
; COMPUTE_PGM_RSRC2:TGID_Z_EN: 0
; COMPUTE_PGM_RSRC2:TIDIG_COMP_CNT: 0
	.section	.text._ZN7rocprim17ROCPRIM_400000_NS6detail17trampoline_kernelINS0_14default_configENS1_22reduce_config_selectorIiEEZNS1_11reduce_implILb1ES3_PiS7_iN6hipcub16HIPCUB_304000_NS6detail34convert_binary_result_type_wrapperINS9_3SumENS9_22TransformInputIteratorIbN2at6native12_GLOBAL__N_19NonZeroOpIaEEPKalEEiEEEE10hipError_tPvRmT1_T2_T3_mT4_P12ihipStream_tbEUlT_E1_NS1_11comp_targetILNS1_3genE0ELNS1_11target_archE4294967295ELNS1_3gpuE0ELNS1_3repE0EEENS1_30default_config_static_selectorELNS0_4arch9wavefront6targetE0EEEvSQ_,"axG",@progbits,_ZN7rocprim17ROCPRIM_400000_NS6detail17trampoline_kernelINS0_14default_configENS1_22reduce_config_selectorIiEEZNS1_11reduce_implILb1ES3_PiS7_iN6hipcub16HIPCUB_304000_NS6detail34convert_binary_result_type_wrapperINS9_3SumENS9_22TransformInputIteratorIbN2at6native12_GLOBAL__N_19NonZeroOpIaEEPKalEEiEEEE10hipError_tPvRmT1_T2_T3_mT4_P12ihipStream_tbEUlT_E1_NS1_11comp_targetILNS1_3genE0ELNS1_11target_archE4294967295ELNS1_3gpuE0ELNS1_3repE0EEENS1_30default_config_static_selectorELNS0_4arch9wavefront6targetE0EEEvSQ_,comdat
	.globl	_ZN7rocprim17ROCPRIM_400000_NS6detail17trampoline_kernelINS0_14default_configENS1_22reduce_config_selectorIiEEZNS1_11reduce_implILb1ES3_PiS7_iN6hipcub16HIPCUB_304000_NS6detail34convert_binary_result_type_wrapperINS9_3SumENS9_22TransformInputIteratorIbN2at6native12_GLOBAL__N_19NonZeroOpIaEEPKalEEiEEEE10hipError_tPvRmT1_T2_T3_mT4_P12ihipStream_tbEUlT_E1_NS1_11comp_targetILNS1_3genE0ELNS1_11target_archE4294967295ELNS1_3gpuE0ELNS1_3repE0EEENS1_30default_config_static_selectorELNS0_4arch9wavefront6targetE0EEEvSQ_ ; -- Begin function _ZN7rocprim17ROCPRIM_400000_NS6detail17trampoline_kernelINS0_14default_configENS1_22reduce_config_selectorIiEEZNS1_11reduce_implILb1ES3_PiS7_iN6hipcub16HIPCUB_304000_NS6detail34convert_binary_result_type_wrapperINS9_3SumENS9_22TransformInputIteratorIbN2at6native12_GLOBAL__N_19NonZeroOpIaEEPKalEEiEEEE10hipError_tPvRmT1_T2_T3_mT4_P12ihipStream_tbEUlT_E1_NS1_11comp_targetILNS1_3genE0ELNS1_11target_archE4294967295ELNS1_3gpuE0ELNS1_3repE0EEENS1_30default_config_static_selectorELNS0_4arch9wavefront6targetE0EEEvSQ_
	.p2align	8
	.type	_ZN7rocprim17ROCPRIM_400000_NS6detail17trampoline_kernelINS0_14default_configENS1_22reduce_config_selectorIiEEZNS1_11reduce_implILb1ES3_PiS7_iN6hipcub16HIPCUB_304000_NS6detail34convert_binary_result_type_wrapperINS9_3SumENS9_22TransformInputIteratorIbN2at6native12_GLOBAL__N_19NonZeroOpIaEEPKalEEiEEEE10hipError_tPvRmT1_T2_T3_mT4_P12ihipStream_tbEUlT_E1_NS1_11comp_targetILNS1_3genE0ELNS1_11target_archE4294967295ELNS1_3gpuE0ELNS1_3repE0EEENS1_30default_config_static_selectorELNS0_4arch9wavefront6targetE0EEEvSQ_,@function
_ZN7rocprim17ROCPRIM_400000_NS6detail17trampoline_kernelINS0_14default_configENS1_22reduce_config_selectorIiEEZNS1_11reduce_implILb1ES3_PiS7_iN6hipcub16HIPCUB_304000_NS6detail34convert_binary_result_type_wrapperINS9_3SumENS9_22TransformInputIteratorIbN2at6native12_GLOBAL__N_19NonZeroOpIaEEPKalEEiEEEE10hipError_tPvRmT1_T2_T3_mT4_P12ihipStream_tbEUlT_E1_NS1_11comp_targetILNS1_3genE0ELNS1_11target_archE4294967295ELNS1_3gpuE0ELNS1_3repE0EEENS1_30default_config_static_selectorELNS0_4arch9wavefront6targetE0EEEvSQ_: ; @_ZN7rocprim17ROCPRIM_400000_NS6detail17trampoline_kernelINS0_14default_configENS1_22reduce_config_selectorIiEEZNS1_11reduce_implILb1ES3_PiS7_iN6hipcub16HIPCUB_304000_NS6detail34convert_binary_result_type_wrapperINS9_3SumENS9_22TransformInputIteratorIbN2at6native12_GLOBAL__N_19NonZeroOpIaEEPKalEEiEEEE10hipError_tPvRmT1_T2_T3_mT4_P12ihipStream_tbEUlT_E1_NS1_11comp_targetILNS1_3genE0ELNS1_11target_archE4294967295ELNS1_3gpuE0ELNS1_3repE0EEENS1_30default_config_static_selectorELNS0_4arch9wavefront6targetE0EEEvSQ_
; %bb.0:
	.section	.rodata,"a",@progbits
	.p2align	6, 0x0
	.amdhsa_kernel _ZN7rocprim17ROCPRIM_400000_NS6detail17trampoline_kernelINS0_14default_configENS1_22reduce_config_selectorIiEEZNS1_11reduce_implILb1ES3_PiS7_iN6hipcub16HIPCUB_304000_NS6detail34convert_binary_result_type_wrapperINS9_3SumENS9_22TransformInputIteratorIbN2at6native12_GLOBAL__N_19NonZeroOpIaEEPKalEEiEEEE10hipError_tPvRmT1_T2_T3_mT4_P12ihipStream_tbEUlT_E1_NS1_11comp_targetILNS1_3genE0ELNS1_11target_archE4294967295ELNS1_3gpuE0ELNS1_3repE0EEENS1_30default_config_static_selectorELNS0_4arch9wavefront6targetE0EEEvSQ_
		.amdhsa_group_segment_fixed_size 0
		.amdhsa_private_segment_fixed_size 0
		.amdhsa_kernarg_size 40
		.amdhsa_user_sgpr_count 15
		.amdhsa_user_sgpr_dispatch_ptr 0
		.amdhsa_user_sgpr_queue_ptr 0
		.amdhsa_user_sgpr_kernarg_segment_ptr 1
		.amdhsa_user_sgpr_dispatch_id 0
		.amdhsa_user_sgpr_private_segment_size 0
		.amdhsa_wavefront_size32 1
		.amdhsa_uses_dynamic_stack 0
		.amdhsa_enable_private_segment 0
		.amdhsa_system_sgpr_workgroup_id_x 1
		.amdhsa_system_sgpr_workgroup_id_y 0
		.amdhsa_system_sgpr_workgroup_id_z 0
		.amdhsa_system_sgpr_workgroup_info 0
		.amdhsa_system_vgpr_workitem_id 0
		.amdhsa_next_free_vgpr 1
		.amdhsa_next_free_sgpr 1
		.amdhsa_reserve_vcc 0
		.amdhsa_float_round_mode_32 0
		.amdhsa_float_round_mode_16_64 0
		.amdhsa_float_denorm_mode_32 3
		.amdhsa_float_denorm_mode_16_64 3
		.amdhsa_dx10_clamp 1
		.amdhsa_ieee_mode 1
		.amdhsa_fp16_overflow 0
		.amdhsa_workgroup_processor_mode 1
		.amdhsa_memory_ordered 1
		.amdhsa_forward_progress 0
		.amdhsa_shared_vgpr_count 0
		.amdhsa_exception_fp_ieee_invalid_op 0
		.amdhsa_exception_fp_denorm_src 0
		.amdhsa_exception_fp_ieee_div_zero 0
		.amdhsa_exception_fp_ieee_overflow 0
		.amdhsa_exception_fp_ieee_underflow 0
		.amdhsa_exception_fp_ieee_inexact 0
		.amdhsa_exception_int_div_zero 0
	.end_amdhsa_kernel
	.section	.text._ZN7rocprim17ROCPRIM_400000_NS6detail17trampoline_kernelINS0_14default_configENS1_22reduce_config_selectorIiEEZNS1_11reduce_implILb1ES3_PiS7_iN6hipcub16HIPCUB_304000_NS6detail34convert_binary_result_type_wrapperINS9_3SumENS9_22TransformInputIteratorIbN2at6native12_GLOBAL__N_19NonZeroOpIaEEPKalEEiEEEE10hipError_tPvRmT1_T2_T3_mT4_P12ihipStream_tbEUlT_E1_NS1_11comp_targetILNS1_3genE0ELNS1_11target_archE4294967295ELNS1_3gpuE0ELNS1_3repE0EEENS1_30default_config_static_selectorELNS0_4arch9wavefront6targetE0EEEvSQ_,"axG",@progbits,_ZN7rocprim17ROCPRIM_400000_NS6detail17trampoline_kernelINS0_14default_configENS1_22reduce_config_selectorIiEEZNS1_11reduce_implILb1ES3_PiS7_iN6hipcub16HIPCUB_304000_NS6detail34convert_binary_result_type_wrapperINS9_3SumENS9_22TransformInputIteratorIbN2at6native12_GLOBAL__N_19NonZeroOpIaEEPKalEEiEEEE10hipError_tPvRmT1_T2_T3_mT4_P12ihipStream_tbEUlT_E1_NS1_11comp_targetILNS1_3genE0ELNS1_11target_archE4294967295ELNS1_3gpuE0ELNS1_3repE0EEENS1_30default_config_static_selectorELNS0_4arch9wavefront6targetE0EEEvSQ_,comdat
.Lfunc_end91:
	.size	_ZN7rocprim17ROCPRIM_400000_NS6detail17trampoline_kernelINS0_14default_configENS1_22reduce_config_selectorIiEEZNS1_11reduce_implILb1ES3_PiS7_iN6hipcub16HIPCUB_304000_NS6detail34convert_binary_result_type_wrapperINS9_3SumENS9_22TransformInputIteratorIbN2at6native12_GLOBAL__N_19NonZeroOpIaEEPKalEEiEEEE10hipError_tPvRmT1_T2_T3_mT4_P12ihipStream_tbEUlT_E1_NS1_11comp_targetILNS1_3genE0ELNS1_11target_archE4294967295ELNS1_3gpuE0ELNS1_3repE0EEENS1_30default_config_static_selectorELNS0_4arch9wavefront6targetE0EEEvSQ_, .Lfunc_end91-_ZN7rocprim17ROCPRIM_400000_NS6detail17trampoline_kernelINS0_14default_configENS1_22reduce_config_selectorIiEEZNS1_11reduce_implILb1ES3_PiS7_iN6hipcub16HIPCUB_304000_NS6detail34convert_binary_result_type_wrapperINS9_3SumENS9_22TransformInputIteratorIbN2at6native12_GLOBAL__N_19NonZeroOpIaEEPKalEEiEEEE10hipError_tPvRmT1_T2_T3_mT4_P12ihipStream_tbEUlT_E1_NS1_11comp_targetILNS1_3genE0ELNS1_11target_archE4294967295ELNS1_3gpuE0ELNS1_3repE0EEENS1_30default_config_static_selectorELNS0_4arch9wavefront6targetE0EEEvSQ_
                                        ; -- End function
	.section	.AMDGPU.csdata,"",@progbits
; Kernel info:
; codeLenInByte = 0
; NumSgprs: 0
; NumVgprs: 0
; ScratchSize: 0
; MemoryBound: 0
; FloatMode: 240
; IeeeMode: 1
; LDSByteSize: 0 bytes/workgroup (compile time only)
; SGPRBlocks: 0
; VGPRBlocks: 0
; NumSGPRsForWavesPerEU: 1
; NumVGPRsForWavesPerEU: 1
; Occupancy: 16
; WaveLimiterHint : 0
; COMPUTE_PGM_RSRC2:SCRATCH_EN: 0
; COMPUTE_PGM_RSRC2:USER_SGPR: 15
; COMPUTE_PGM_RSRC2:TRAP_HANDLER: 0
; COMPUTE_PGM_RSRC2:TGID_X_EN: 1
; COMPUTE_PGM_RSRC2:TGID_Y_EN: 0
; COMPUTE_PGM_RSRC2:TGID_Z_EN: 0
; COMPUTE_PGM_RSRC2:TIDIG_COMP_CNT: 0
	.section	.text._ZN7rocprim17ROCPRIM_400000_NS6detail17trampoline_kernelINS0_14default_configENS1_22reduce_config_selectorIiEEZNS1_11reduce_implILb1ES3_PiS7_iN6hipcub16HIPCUB_304000_NS6detail34convert_binary_result_type_wrapperINS9_3SumENS9_22TransformInputIteratorIbN2at6native12_GLOBAL__N_19NonZeroOpIaEEPKalEEiEEEE10hipError_tPvRmT1_T2_T3_mT4_P12ihipStream_tbEUlT_E1_NS1_11comp_targetILNS1_3genE5ELNS1_11target_archE942ELNS1_3gpuE9ELNS1_3repE0EEENS1_30default_config_static_selectorELNS0_4arch9wavefront6targetE0EEEvSQ_,"axG",@progbits,_ZN7rocprim17ROCPRIM_400000_NS6detail17trampoline_kernelINS0_14default_configENS1_22reduce_config_selectorIiEEZNS1_11reduce_implILb1ES3_PiS7_iN6hipcub16HIPCUB_304000_NS6detail34convert_binary_result_type_wrapperINS9_3SumENS9_22TransformInputIteratorIbN2at6native12_GLOBAL__N_19NonZeroOpIaEEPKalEEiEEEE10hipError_tPvRmT1_T2_T3_mT4_P12ihipStream_tbEUlT_E1_NS1_11comp_targetILNS1_3genE5ELNS1_11target_archE942ELNS1_3gpuE9ELNS1_3repE0EEENS1_30default_config_static_selectorELNS0_4arch9wavefront6targetE0EEEvSQ_,comdat
	.globl	_ZN7rocprim17ROCPRIM_400000_NS6detail17trampoline_kernelINS0_14default_configENS1_22reduce_config_selectorIiEEZNS1_11reduce_implILb1ES3_PiS7_iN6hipcub16HIPCUB_304000_NS6detail34convert_binary_result_type_wrapperINS9_3SumENS9_22TransformInputIteratorIbN2at6native12_GLOBAL__N_19NonZeroOpIaEEPKalEEiEEEE10hipError_tPvRmT1_T2_T3_mT4_P12ihipStream_tbEUlT_E1_NS1_11comp_targetILNS1_3genE5ELNS1_11target_archE942ELNS1_3gpuE9ELNS1_3repE0EEENS1_30default_config_static_selectorELNS0_4arch9wavefront6targetE0EEEvSQ_ ; -- Begin function _ZN7rocprim17ROCPRIM_400000_NS6detail17trampoline_kernelINS0_14default_configENS1_22reduce_config_selectorIiEEZNS1_11reduce_implILb1ES3_PiS7_iN6hipcub16HIPCUB_304000_NS6detail34convert_binary_result_type_wrapperINS9_3SumENS9_22TransformInputIteratorIbN2at6native12_GLOBAL__N_19NonZeroOpIaEEPKalEEiEEEE10hipError_tPvRmT1_T2_T3_mT4_P12ihipStream_tbEUlT_E1_NS1_11comp_targetILNS1_3genE5ELNS1_11target_archE942ELNS1_3gpuE9ELNS1_3repE0EEENS1_30default_config_static_selectorELNS0_4arch9wavefront6targetE0EEEvSQ_
	.p2align	8
	.type	_ZN7rocprim17ROCPRIM_400000_NS6detail17trampoline_kernelINS0_14default_configENS1_22reduce_config_selectorIiEEZNS1_11reduce_implILb1ES3_PiS7_iN6hipcub16HIPCUB_304000_NS6detail34convert_binary_result_type_wrapperINS9_3SumENS9_22TransformInputIteratorIbN2at6native12_GLOBAL__N_19NonZeroOpIaEEPKalEEiEEEE10hipError_tPvRmT1_T2_T3_mT4_P12ihipStream_tbEUlT_E1_NS1_11comp_targetILNS1_3genE5ELNS1_11target_archE942ELNS1_3gpuE9ELNS1_3repE0EEENS1_30default_config_static_selectorELNS0_4arch9wavefront6targetE0EEEvSQ_,@function
_ZN7rocprim17ROCPRIM_400000_NS6detail17trampoline_kernelINS0_14default_configENS1_22reduce_config_selectorIiEEZNS1_11reduce_implILb1ES3_PiS7_iN6hipcub16HIPCUB_304000_NS6detail34convert_binary_result_type_wrapperINS9_3SumENS9_22TransformInputIteratorIbN2at6native12_GLOBAL__N_19NonZeroOpIaEEPKalEEiEEEE10hipError_tPvRmT1_T2_T3_mT4_P12ihipStream_tbEUlT_E1_NS1_11comp_targetILNS1_3genE5ELNS1_11target_archE942ELNS1_3gpuE9ELNS1_3repE0EEENS1_30default_config_static_selectorELNS0_4arch9wavefront6targetE0EEEvSQ_: ; @_ZN7rocprim17ROCPRIM_400000_NS6detail17trampoline_kernelINS0_14default_configENS1_22reduce_config_selectorIiEEZNS1_11reduce_implILb1ES3_PiS7_iN6hipcub16HIPCUB_304000_NS6detail34convert_binary_result_type_wrapperINS9_3SumENS9_22TransformInputIteratorIbN2at6native12_GLOBAL__N_19NonZeroOpIaEEPKalEEiEEEE10hipError_tPvRmT1_T2_T3_mT4_P12ihipStream_tbEUlT_E1_NS1_11comp_targetILNS1_3genE5ELNS1_11target_archE942ELNS1_3gpuE9ELNS1_3repE0EEENS1_30default_config_static_selectorELNS0_4arch9wavefront6targetE0EEEvSQ_
; %bb.0:
	.section	.rodata,"a",@progbits
	.p2align	6, 0x0
	.amdhsa_kernel _ZN7rocprim17ROCPRIM_400000_NS6detail17trampoline_kernelINS0_14default_configENS1_22reduce_config_selectorIiEEZNS1_11reduce_implILb1ES3_PiS7_iN6hipcub16HIPCUB_304000_NS6detail34convert_binary_result_type_wrapperINS9_3SumENS9_22TransformInputIteratorIbN2at6native12_GLOBAL__N_19NonZeroOpIaEEPKalEEiEEEE10hipError_tPvRmT1_T2_T3_mT4_P12ihipStream_tbEUlT_E1_NS1_11comp_targetILNS1_3genE5ELNS1_11target_archE942ELNS1_3gpuE9ELNS1_3repE0EEENS1_30default_config_static_selectorELNS0_4arch9wavefront6targetE0EEEvSQ_
		.amdhsa_group_segment_fixed_size 0
		.amdhsa_private_segment_fixed_size 0
		.amdhsa_kernarg_size 40
		.amdhsa_user_sgpr_count 15
		.amdhsa_user_sgpr_dispatch_ptr 0
		.amdhsa_user_sgpr_queue_ptr 0
		.amdhsa_user_sgpr_kernarg_segment_ptr 1
		.amdhsa_user_sgpr_dispatch_id 0
		.amdhsa_user_sgpr_private_segment_size 0
		.amdhsa_wavefront_size32 1
		.amdhsa_uses_dynamic_stack 0
		.amdhsa_enable_private_segment 0
		.amdhsa_system_sgpr_workgroup_id_x 1
		.amdhsa_system_sgpr_workgroup_id_y 0
		.amdhsa_system_sgpr_workgroup_id_z 0
		.amdhsa_system_sgpr_workgroup_info 0
		.amdhsa_system_vgpr_workitem_id 0
		.amdhsa_next_free_vgpr 1
		.amdhsa_next_free_sgpr 1
		.amdhsa_reserve_vcc 0
		.amdhsa_float_round_mode_32 0
		.amdhsa_float_round_mode_16_64 0
		.amdhsa_float_denorm_mode_32 3
		.amdhsa_float_denorm_mode_16_64 3
		.amdhsa_dx10_clamp 1
		.amdhsa_ieee_mode 1
		.amdhsa_fp16_overflow 0
		.amdhsa_workgroup_processor_mode 1
		.amdhsa_memory_ordered 1
		.amdhsa_forward_progress 0
		.amdhsa_shared_vgpr_count 0
		.amdhsa_exception_fp_ieee_invalid_op 0
		.amdhsa_exception_fp_denorm_src 0
		.amdhsa_exception_fp_ieee_div_zero 0
		.amdhsa_exception_fp_ieee_overflow 0
		.amdhsa_exception_fp_ieee_underflow 0
		.amdhsa_exception_fp_ieee_inexact 0
		.amdhsa_exception_int_div_zero 0
	.end_amdhsa_kernel
	.section	.text._ZN7rocprim17ROCPRIM_400000_NS6detail17trampoline_kernelINS0_14default_configENS1_22reduce_config_selectorIiEEZNS1_11reduce_implILb1ES3_PiS7_iN6hipcub16HIPCUB_304000_NS6detail34convert_binary_result_type_wrapperINS9_3SumENS9_22TransformInputIteratorIbN2at6native12_GLOBAL__N_19NonZeroOpIaEEPKalEEiEEEE10hipError_tPvRmT1_T2_T3_mT4_P12ihipStream_tbEUlT_E1_NS1_11comp_targetILNS1_3genE5ELNS1_11target_archE942ELNS1_3gpuE9ELNS1_3repE0EEENS1_30default_config_static_selectorELNS0_4arch9wavefront6targetE0EEEvSQ_,"axG",@progbits,_ZN7rocprim17ROCPRIM_400000_NS6detail17trampoline_kernelINS0_14default_configENS1_22reduce_config_selectorIiEEZNS1_11reduce_implILb1ES3_PiS7_iN6hipcub16HIPCUB_304000_NS6detail34convert_binary_result_type_wrapperINS9_3SumENS9_22TransformInputIteratorIbN2at6native12_GLOBAL__N_19NonZeroOpIaEEPKalEEiEEEE10hipError_tPvRmT1_T2_T3_mT4_P12ihipStream_tbEUlT_E1_NS1_11comp_targetILNS1_3genE5ELNS1_11target_archE942ELNS1_3gpuE9ELNS1_3repE0EEENS1_30default_config_static_selectorELNS0_4arch9wavefront6targetE0EEEvSQ_,comdat
.Lfunc_end92:
	.size	_ZN7rocprim17ROCPRIM_400000_NS6detail17trampoline_kernelINS0_14default_configENS1_22reduce_config_selectorIiEEZNS1_11reduce_implILb1ES3_PiS7_iN6hipcub16HIPCUB_304000_NS6detail34convert_binary_result_type_wrapperINS9_3SumENS9_22TransformInputIteratorIbN2at6native12_GLOBAL__N_19NonZeroOpIaEEPKalEEiEEEE10hipError_tPvRmT1_T2_T3_mT4_P12ihipStream_tbEUlT_E1_NS1_11comp_targetILNS1_3genE5ELNS1_11target_archE942ELNS1_3gpuE9ELNS1_3repE0EEENS1_30default_config_static_selectorELNS0_4arch9wavefront6targetE0EEEvSQ_, .Lfunc_end92-_ZN7rocprim17ROCPRIM_400000_NS6detail17trampoline_kernelINS0_14default_configENS1_22reduce_config_selectorIiEEZNS1_11reduce_implILb1ES3_PiS7_iN6hipcub16HIPCUB_304000_NS6detail34convert_binary_result_type_wrapperINS9_3SumENS9_22TransformInputIteratorIbN2at6native12_GLOBAL__N_19NonZeroOpIaEEPKalEEiEEEE10hipError_tPvRmT1_T2_T3_mT4_P12ihipStream_tbEUlT_E1_NS1_11comp_targetILNS1_3genE5ELNS1_11target_archE942ELNS1_3gpuE9ELNS1_3repE0EEENS1_30default_config_static_selectorELNS0_4arch9wavefront6targetE0EEEvSQ_
                                        ; -- End function
	.section	.AMDGPU.csdata,"",@progbits
; Kernel info:
; codeLenInByte = 0
; NumSgprs: 0
; NumVgprs: 0
; ScratchSize: 0
; MemoryBound: 0
; FloatMode: 240
; IeeeMode: 1
; LDSByteSize: 0 bytes/workgroup (compile time only)
; SGPRBlocks: 0
; VGPRBlocks: 0
; NumSGPRsForWavesPerEU: 1
; NumVGPRsForWavesPerEU: 1
; Occupancy: 16
; WaveLimiterHint : 0
; COMPUTE_PGM_RSRC2:SCRATCH_EN: 0
; COMPUTE_PGM_RSRC2:USER_SGPR: 15
; COMPUTE_PGM_RSRC2:TRAP_HANDLER: 0
; COMPUTE_PGM_RSRC2:TGID_X_EN: 1
; COMPUTE_PGM_RSRC2:TGID_Y_EN: 0
; COMPUTE_PGM_RSRC2:TGID_Z_EN: 0
; COMPUTE_PGM_RSRC2:TIDIG_COMP_CNT: 0
	.section	.text._ZN7rocprim17ROCPRIM_400000_NS6detail17trampoline_kernelINS0_14default_configENS1_22reduce_config_selectorIiEEZNS1_11reduce_implILb1ES3_PiS7_iN6hipcub16HIPCUB_304000_NS6detail34convert_binary_result_type_wrapperINS9_3SumENS9_22TransformInputIteratorIbN2at6native12_GLOBAL__N_19NonZeroOpIaEEPKalEEiEEEE10hipError_tPvRmT1_T2_T3_mT4_P12ihipStream_tbEUlT_E1_NS1_11comp_targetILNS1_3genE4ELNS1_11target_archE910ELNS1_3gpuE8ELNS1_3repE0EEENS1_30default_config_static_selectorELNS0_4arch9wavefront6targetE0EEEvSQ_,"axG",@progbits,_ZN7rocprim17ROCPRIM_400000_NS6detail17trampoline_kernelINS0_14default_configENS1_22reduce_config_selectorIiEEZNS1_11reduce_implILb1ES3_PiS7_iN6hipcub16HIPCUB_304000_NS6detail34convert_binary_result_type_wrapperINS9_3SumENS9_22TransformInputIteratorIbN2at6native12_GLOBAL__N_19NonZeroOpIaEEPKalEEiEEEE10hipError_tPvRmT1_T2_T3_mT4_P12ihipStream_tbEUlT_E1_NS1_11comp_targetILNS1_3genE4ELNS1_11target_archE910ELNS1_3gpuE8ELNS1_3repE0EEENS1_30default_config_static_selectorELNS0_4arch9wavefront6targetE0EEEvSQ_,comdat
	.globl	_ZN7rocprim17ROCPRIM_400000_NS6detail17trampoline_kernelINS0_14default_configENS1_22reduce_config_selectorIiEEZNS1_11reduce_implILb1ES3_PiS7_iN6hipcub16HIPCUB_304000_NS6detail34convert_binary_result_type_wrapperINS9_3SumENS9_22TransformInputIteratorIbN2at6native12_GLOBAL__N_19NonZeroOpIaEEPKalEEiEEEE10hipError_tPvRmT1_T2_T3_mT4_P12ihipStream_tbEUlT_E1_NS1_11comp_targetILNS1_3genE4ELNS1_11target_archE910ELNS1_3gpuE8ELNS1_3repE0EEENS1_30default_config_static_selectorELNS0_4arch9wavefront6targetE0EEEvSQ_ ; -- Begin function _ZN7rocprim17ROCPRIM_400000_NS6detail17trampoline_kernelINS0_14default_configENS1_22reduce_config_selectorIiEEZNS1_11reduce_implILb1ES3_PiS7_iN6hipcub16HIPCUB_304000_NS6detail34convert_binary_result_type_wrapperINS9_3SumENS9_22TransformInputIteratorIbN2at6native12_GLOBAL__N_19NonZeroOpIaEEPKalEEiEEEE10hipError_tPvRmT1_T2_T3_mT4_P12ihipStream_tbEUlT_E1_NS1_11comp_targetILNS1_3genE4ELNS1_11target_archE910ELNS1_3gpuE8ELNS1_3repE0EEENS1_30default_config_static_selectorELNS0_4arch9wavefront6targetE0EEEvSQ_
	.p2align	8
	.type	_ZN7rocprim17ROCPRIM_400000_NS6detail17trampoline_kernelINS0_14default_configENS1_22reduce_config_selectorIiEEZNS1_11reduce_implILb1ES3_PiS7_iN6hipcub16HIPCUB_304000_NS6detail34convert_binary_result_type_wrapperINS9_3SumENS9_22TransformInputIteratorIbN2at6native12_GLOBAL__N_19NonZeroOpIaEEPKalEEiEEEE10hipError_tPvRmT1_T2_T3_mT4_P12ihipStream_tbEUlT_E1_NS1_11comp_targetILNS1_3genE4ELNS1_11target_archE910ELNS1_3gpuE8ELNS1_3repE0EEENS1_30default_config_static_selectorELNS0_4arch9wavefront6targetE0EEEvSQ_,@function
_ZN7rocprim17ROCPRIM_400000_NS6detail17trampoline_kernelINS0_14default_configENS1_22reduce_config_selectorIiEEZNS1_11reduce_implILb1ES3_PiS7_iN6hipcub16HIPCUB_304000_NS6detail34convert_binary_result_type_wrapperINS9_3SumENS9_22TransformInputIteratorIbN2at6native12_GLOBAL__N_19NonZeroOpIaEEPKalEEiEEEE10hipError_tPvRmT1_T2_T3_mT4_P12ihipStream_tbEUlT_E1_NS1_11comp_targetILNS1_3genE4ELNS1_11target_archE910ELNS1_3gpuE8ELNS1_3repE0EEENS1_30default_config_static_selectorELNS0_4arch9wavefront6targetE0EEEvSQ_: ; @_ZN7rocprim17ROCPRIM_400000_NS6detail17trampoline_kernelINS0_14default_configENS1_22reduce_config_selectorIiEEZNS1_11reduce_implILb1ES3_PiS7_iN6hipcub16HIPCUB_304000_NS6detail34convert_binary_result_type_wrapperINS9_3SumENS9_22TransformInputIteratorIbN2at6native12_GLOBAL__N_19NonZeroOpIaEEPKalEEiEEEE10hipError_tPvRmT1_T2_T3_mT4_P12ihipStream_tbEUlT_E1_NS1_11comp_targetILNS1_3genE4ELNS1_11target_archE910ELNS1_3gpuE8ELNS1_3repE0EEENS1_30default_config_static_selectorELNS0_4arch9wavefront6targetE0EEEvSQ_
; %bb.0:
	.section	.rodata,"a",@progbits
	.p2align	6, 0x0
	.amdhsa_kernel _ZN7rocprim17ROCPRIM_400000_NS6detail17trampoline_kernelINS0_14default_configENS1_22reduce_config_selectorIiEEZNS1_11reduce_implILb1ES3_PiS7_iN6hipcub16HIPCUB_304000_NS6detail34convert_binary_result_type_wrapperINS9_3SumENS9_22TransformInputIteratorIbN2at6native12_GLOBAL__N_19NonZeroOpIaEEPKalEEiEEEE10hipError_tPvRmT1_T2_T3_mT4_P12ihipStream_tbEUlT_E1_NS1_11comp_targetILNS1_3genE4ELNS1_11target_archE910ELNS1_3gpuE8ELNS1_3repE0EEENS1_30default_config_static_selectorELNS0_4arch9wavefront6targetE0EEEvSQ_
		.amdhsa_group_segment_fixed_size 0
		.amdhsa_private_segment_fixed_size 0
		.amdhsa_kernarg_size 40
		.amdhsa_user_sgpr_count 15
		.amdhsa_user_sgpr_dispatch_ptr 0
		.amdhsa_user_sgpr_queue_ptr 0
		.amdhsa_user_sgpr_kernarg_segment_ptr 1
		.amdhsa_user_sgpr_dispatch_id 0
		.amdhsa_user_sgpr_private_segment_size 0
		.amdhsa_wavefront_size32 1
		.amdhsa_uses_dynamic_stack 0
		.amdhsa_enable_private_segment 0
		.amdhsa_system_sgpr_workgroup_id_x 1
		.amdhsa_system_sgpr_workgroup_id_y 0
		.amdhsa_system_sgpr_workgroup_id_z 0
		.amdhsa_system_sgpr_workgroup_info 0
		.amdhsa_system_vgpr_workitem_id 0
		.amdhsa_next_free_vgpr 1
		.amdhsa_next_free_sgpr 1
		.amdhsa_reserve_vcc 0
		.amdhsa_float_round_mode_32 0
		.amdhsa_float_round_mode_16_64 0
		.amdhsa_float_denorm_mode_32 3
		.amdhsa_float_denorm_mode_16_64 3
		.amdhsa_dx10_clamp 1
		.amdhsa_ieee_mode 1
		.amdhsa_fp16_overflow 0
		.amdhsa_workgroup_processor_mode 1
		.amdhsa_memory_ordered 1
		.amdhsa_forward_progress 0
		.amdhsa_shared_vgpr_count 0
		.amdhsa_exception_fp_ieee_invalid_op 0
		.amdhsa_exception_fp_denorm_src 0
		.amdhsa_exception_fp_ieee_div_zero 0
		.amdhsa_exception_fp_ieee_overflow 0
		.amdhsa_exception_fp_ieee_underflow 0
		.amdhsa_exception_fp_ieee_inexact 0
		.amdhsa_exception_int_div_zero 0
	.end_amdhsa_kernel
	.section	.text._ZN7rocprim17ROCPRIM_400000_NS6detail17trampoline_kernelINS0_14default_configENS1_22reduce_config_selectorIiEEZNS1_11reduce_implILb1ES3_PiS7_iN6hipcub16HIPCUB_304000_NS6detail34convert_binary_result_type_wrapperINS9_3SumENS9_22TransformInputIteratorIbN2at6native12_GLOBAL__N_19NonZeroOpIaEEPKalEEiEEEE10hipError_tPvRmT1_T2_T3_mT4_P12ihipStream_tbEUlT_E1_NS1_11comp_targetILNS1_3genE4ELNS1_11target_archE910ELNS1_3gpuE8ELNS1_3repE0EEENS1_30default_config_static_selectorELNS0_4arch9wavefront6targetE0EEEvSQ_,"axG",@progbits,_ZN7rocprim17ROCPRIM_400000_NS6detail17trampoline_kernelINS0_14default_configENS1_22reduce_config_selectorIiEEZNS1_11reduce_implILb1ES3_PiS7_iN6hipcub16HIPCUB_304000_NS6detail34convert_binary_result_type_wrapperINS9_3SumENS9_22TransformInputIteratorIbN2at6native12_GLOBAL__N_19NonZeroOpIaEEPKalEEiEEEE10hipError_tPvRmT1_T2_T3_mT4_P12ihipStream_tbEUlT_E1_NS1_11comp_targetILNS1_3genE4ELNS1_11target_archE910ELNS1_3gpuE8ELNS1_3repE0EEENS1_30default_config_static_selectorELNS0_4arch9wavefront6targetE0EEEvSQ_,comdat
.Lfunc_end93:
	.size	_ZN7rocprim17ROCPRIM_400000_NS6detail17trampoline_kernelINS0_14default_configENS1_22reduce_config_selectorIiEEZNS1_11reduce_implILb1ES3_PiS7_iN6hipcub16HIPCUB_304000_NS6detail34convert_binary_result_type_wrapperINS9_3SumENS9_22TransformInputIteratorIbN2at6native12_GLOBAL__N_19NonZeroOpIaEEPKalEEiEEEE10hipError_tPvRmT1_T2_T3_mT4_P12ihipStream_tbEUlT_E1_NS1_11comp_targetILNS1_3genE4ELNS1_11target_archE910ELNS1_3gpuE8ELNS1_3repE0EEENS1_30default_config_static_selectorELNS0_4arch9wavefront6targetE0EEEvSQ_, .Lfunc_end93-_ZN7rocprim17ROCPRIM_400000_NS6detail17trampoline_kernelINS0_14default_configENS1_22reduce_config_selectorIiEEZNS1_11reduce_implILb1ES3_PiS7_iN6hipcub16HIPCUB_304000_NS6detail34convert_binary_result_type_wrapperINS9_3SumENS9_22TransformInputIteratorIbN2at6native12_GLOBAL__N_19NonZeroOpIaEEPKalEEiEEEE10hipError_tPvRmT1_T2_T3_mT4_P12ihipStream_tbEUlT_E1_NS1_11comp_targetILNS1_3genE4ELNS1_11target_archE910ELNS1_3gpuE8ELNS1_3repE0EEENS1_30default_config_static_selectorELNS0_4arch9wavefront6targetE0EEEvSQ_
                                        ; -- End function
	.section	.AMDGPU.csdata,"",@progbits
; Kernel info:
; codeLenInByte = 0
; NumSgprs: 0
; NumVgprs: 0
; ScratchSize: 0
; MemoryBound: 0
; FloatMode: 240
; IeeeMode: 1
; LDSByteSize: 0 bytes/workgroup (compile time only)
; SGPRBlocks: 0
; VGPRBlocks: 0
; NumSGPRsForWavesPerEU: 1
; NumVGPRsForWavesPerEU: 1
; Occupancy: 16
; WaveLimiterHint : 0
; COMPUTE_PGM_RSRC2:SCRATCH_EN: 0
; COMPUTE_PGM_RSRC2:USER_SGPR: 15
; COMPUTE_PGM_RSRC2:TRAP_HANDLER: 0
; COMPUTE_PGM_RSRC2:TGID_X_EN: 1
; COMPUTE_PGM_RSRC2:TGID_Y_EN: 0
; COMPUTE_PGM_RSRC2:TGID_Z_EN: 0
; COMPUTE_PGM_RSRC2:TIDIG_COMP_CNT: 0
	.section	.text._ZN7rocprim17ROCPRIM_400000_NS6detail17trampoline_kernelINS0_14default_configENS1_22reduce_config_selectorIiEEZNS1_11reduce_implILb1ES3_PiS7_iN6hipcub16HIPCUB_304000_NS6detail34convert_binary_result_type_wrapperINS9_3SumENS9_22TransformInputIteratorIbN2at6native12_GLOBAL__N_19NonZeroOpIaEEPKalEEiEEEE10hipError_tPvRmT1_T2_T3_mT4_P12ihipStream_tbEUlT_E1_NS1_11comp_targetILNS1_3genE3ELNS1_11target_archE908ELNS1_3gpuE7ELNS1_3repE0EEENS1_30default_config_static_selectorELNS0_4arch9wavefront6targetE0EEEvSQ_,"axG",@progbits,_ZN7rocprim17ROCPRIM_400000_NS6detail17trampoline_kernelINS0_14default_configENS1_22reduce_config_selectorIiEEZNS1_11reduce_implILb1ES3_PiS7_iN6hipcub16HIPCUB_304000_NS6detail34convert_binary_result_type_wrapperINS9_3SumENS9_22TransformInputIteratorIbN2at6native12_GLOBAL__N_19NonZeroOpIaEEPKalEEiEEEE10hipError_tPvRmT1_T2_T3_mT4_P12ihipStream_tbEUlT_E1_NS1_11comp_targetILNS1_3genE3ELNS1_11target_archE908ELNS1_3gpuE7ELNS1_3repE0EEENS1_30default_config_static_selectorELNS0_4arch9wavefront6targetE0EEEvSQ_,comdat
	.globl	_ZN7rocprim17ROCPRIM_400000_NS6detail17trampoline_kernelINS0_14default_configENS1_22reduce_config_selectorIiEEZNS1_11reduce_implILb1ES3_PiS7_iN6hipcub16HIPCUB_304000_NS6detail34convert_binary_result_type_wrapperINS9_3SumENS9_22TransformInputIteratorIbN2at6native12_GLOBAL__N_19NonZeroOpIaEEPKalEEiEEEE10hipError_tPvRmT1_T2_T3_mT4_P12ihipStream_tbEUlT_E1_NS1_11comp_targetILNS1_3genE3ELNS1_11target_archE908ELNS1_3gpuE7ELNS1_3repE0EEENS1_30default_config_static_selectorELNS0_4arch9wavefront6targetE0EEEvSQ_ ; -- Begin function _ZN7rocprim17ROCPRIM_400000_NS6detail17trampoline_kernelINS0_14default_configENS1_22reduce_config_selectorIiEEZNS1_11reduce_implILb1ES3_PiS7_iN6hipcub16HIPCUB_304000_NS6detail34convert_binary_result_type_wrapperINS9_3SumENS9_22TransformInputIteratorIbN2at6native12_GLOBAL__N_19NonZeroOpIaEEPKalEEiEEEE10hipError_tPvRmT1_T2_T3_mT4_P12ihipStream_tbEUlT_E1_NS1_11comp_targetILNS1_3genE3ELNS1_11target_archE908ELNS1_3gpuE7ELNS1_3repE0EEENS1_30default_config_static_selectorELNS0_4arch9wavefront6targetE0EEEvSQ_
	.p2align	8
	.type	_ZN7rocprim17ROCPRIM_400000_NS6detail17trampoline_kernelINS0_14default_configENS1_22reduce_config_selectorIiEEZNS1_11reduce_implILb1ES3_PiS7_iN6hipcub16HIPCUB_304000_NS6detail34convert_binary_result_type_wrapperINS9_3SumENS9_22TransformInputIteratorIbN2at6native12_GLOBAL__N_19NonZeroOpIaEEPKalEEiEEEE10hipError_tPvRmT1_T2_T3_mT4_P12ihipStream_tbEUlT_E1_NS1_11comp_targetILNS1_3genE3ELNS1_11target_archE908ELNS1_3gpuE7ELNS1_3repE0EEENS1_30default_config_static_selectorELNS0_4arch9wavefront6targetE0EEEvSQ_,@function
_ZN7rocprim17ROCPRIM_400000_NS6detail17trampoline_kernelINS0_14default_configENS1_22reduce_config_selectorIiEEZNS1_11reduce_implILb1ES3_PiS7_iN6hipcub16HIPCUB_304000_NS6detail34convert_binary_result_type_wrapperINS9_3SumENS9_22TransformInputIteratorIbN2at6native12_GLOBAL__N_19NonZeroOpIaEEPKalEEiEEEE10hipError_tPvRmT1_T2_T3_mT4_P12ihipStream_tbEUlT_E1_NS1_11comp_targetILNS1_3genE3ELNS1_11target_archE908ELNS1_3gpuE7ELNS1_3repE0EEENS1_30default_config_static_selectorELNS0_4arch9wavefront6targetE0EEEvSQ_: ; @_ZN7rocprim17ROCPRIM_400000_NS6detail17trampoline_kernelINS0_14default_configENS1_22reduce_config_selectorIiEEZNS1_11reduce_implILb1ES3_PiS7_iN6hipcub16HIPCUB_304000_NS6detail34convert_binary_result_type_wrapperINS9_3SumENS9_22TransformInputIteratorIbN2at6native12_GLOBAL__N_19NonZeroOpIaEEPKalEEiEEEE10hipError_tPvRmT1_T2_T3_mT4_P12ihipStream_tbEUlT_E1_NS1_11comp_targetILNS1_3genE3ELNS1_11target_archE908ELNS1_3gpuE7ELNS1_3repE0EEENS1_30default_config_static_selectorELNS0_4arch9wavefront6targetE0EEEvSQ_
; %bb.0:
	.section	.rodata,"a",@progbits
	.p2align	6, 0x0
	.amdhsa_kernel _ZN7rocprim17ROCPRIM_400000_NS6detail17trampoline_kernelINS0_14default_configENS1_22reduce_config_selectorIiEEZNS1_11reduce_implILb1ES3_PiS7_iN6hipcub16HIPCUB_304000_NS6detail34convert_binary_result_type_wrapperINS9_3SumENS9_22TransformInputIteratorIbN2at6native12_GLOBAL__N_19NonZeroOpIaEEPKalEEiEEEE10hipError_tPvRmT1_T2_T3_mT4_P12ihipStream_tbEUlT_E1_NS1_11comp_targetILNS1_3genE3ELNS1_11target_archE908ELNS1_3gpuE7ELNS1_3repE0EEENS1_30default_config_static_selectorELNS0_4arch9wavefront6targetE0EEEvSQ_
		.amdhsa_group_segment_fixed_size 0
		.amdhsa_private_segment_fixed_size 0
		.amdhsa_kernarg_size 40
		.amdhsa_user_sgpr_count 15
		.amdhsa_user_sgpr_dispatch_ptr 0
		.amdhsa_user_sgpr_queue_ptr 0
		.amdhsa_user_sgpr_kernarg_segment_ptr 1
		.amdhsa_user_sgpr_dispatch_id 0
		.amdhsa_user_sgpr_private_segment_size 0
		.amdhsa_wavefront_size32 1
		.amdhsa_uses_dynamic_stack 0
		.amdhsa_enable_private_segment 0
		.amdhsa_system_sgpr_workgroup_id_x 1
		.amdhsa_system_sgpr_workgroup_id_y 0
		.amdhsa_system_sgpr_workgroup_id_z 0
		.amdhsa_system_sgpr_workgroup_info 0
		.amdhsa_system_vgpr_workitem_id 0
		.amdhsa_next_free_vgpr 1
		.amdhsa_next_free_sgpr 1
		.amdhsa_reserve_vcc 0
		.amdhsa_float_round_mode_32 0
		.amdhsa_float_round_mode_16_64 0
		.amdhsa_float_denorm_mode_32 3
		.amdhsa_float_denorm_mode_16_64 3
		.amdhsa_dx10_clamp 1
		.amdhsa_ieee_mode 1
		.amdhsa_fp16_overflow 0
		.amdhsa_workgroup_processor_mode 1
		.amdhsa_memory_ordered 1
		.amdhsa_forward_progress 0
		.amdhsa_shared_vgpr_count 0
		.amdhsa_exception_fp_ieee_invalid_op 0
		.amdhsa_exception_fp_denorm_src 0
		.amdhsa_exception_fp_ieee_div_zero 0
		.amdhsa_exception_fp_ieee_overflow 0
		.amdhsa_exception_fp_ieee_underflow 0
		.amdhsa_exception_fp_ieee_inexact 0
		.amdhsa_exception_int_div_zero 0
	.end_amdhsa_kernel
	.section	.text._ZN7rocprim17ROCPRIM_400000_NS6detail17trampoline_kernelINS0_14default_configENS1_22reduce_config_selectorIiEEZNS1_11reduce_implILb1ES3_PiS7_iN6hipcub16HIPCUB_304000_NS6detail34convert_binary_result_type_wrapperINS9_3SumENS9_22TransformInputIteratorIbN2at6native12_GLOBAL__N_19NonZeroOpIaEEPKalEEiEEEE10hipError_tPvRmT1_T2_T3_mT4_P12ihipStream_tbEUlT_E1_NS1_11comp_targetILNS1_3genE3ELNS1_11target_archE908ELNS1_3gpuE7ELNS1_3repE0EEENS1_30default_config_static_selectorELNS0_4arch9wavefront6targetE0EEEvSQ_,"axG",@progbits,_ZN7rocprim17ROCPRIM_400000_NS6detail17trampoline_kernelINS0_14default_configENS1_22reduce_config_selectorIiEEZNS1_11reduce_implILb1ES3_PiS7_iN6hipcub16HIPCUB_304000_NS6detail34convert_binary_result_type_wrapperINS9_3SumENS9_22TransformInputIteratorIbN2at6native12_GLOBAL__N_19NonZeroOpIaEEPKalEEiEEEE10hipError_tPvRmT1_T2_T3_mT4_P12ihipStream_tbEUlT_E1_NS1_11comp_targetILNS1_3genE3ELNS1_11target_archE908ELNS1_3gpuE7ELNS1_3repE0EEENS1_30default_config_static_selectorELNS0_4arch9wavefront6targetE0EEEvSQ_,comdat
.Lfunc_end94:
	.size	_ZN7rocprim17ROCPRIM_400000_NS6detail17trampoline_kernelINS0_14default_configENS1_22reduce_config_selectorIiEEZNS1_11reduce_implILb1ES3_PiS7_iN6hipcub16HIPCUB_304000_NS6detail34convert_binary_result_type_wrapperINS9_3SumENS9_22TransformInputIteratorIbN2at6native12_GLOBAL__N_19NonZeroOpIaEEPKalEEiEEEE10hipError_tPvRmT1_T2_T3_mT4_P12ihipStream_tbEUlT_E1_NS1_11comp_targetILNS1_3genE3ELNS1_11target_archE908ELNS1_3gpuE7ELNS1_3repE0EEENS1_30default_config_static_selectorELNS0_4arch9wavefront6targetE0EEEvSQ_, .Lfunc_end94-_ZN7rocprim17ROCPRIM_400000_NS6detail17trampoline_kernelINS0_14default_configENS1_22reduce_config_selectorIiEEZNS1_11reduce_implILb1ES3_PiS7_iN6hipcub16HIPCUB_304000_NS6detail34convert_binary_result_type_wrapperINS9_3SumENS9_22TransformInputIteratorIbN2at6native12_GLOBAL__N_19NonZeroOpIaEEPKalEEiEEEE10hipError_tPvRmT1_T2_T3_mT4_P12ihipStream_tbEUlT_E1_NS1_11comp_targetILNS1_3genE3ELNS1_11target_archE908ELNS1_3gpuE7ELNS1_3repE0EEENS1_30default_config_static_selectorELNS0_4arch9wavefront6targetE0EEEvSQ_
                                        ; -- End function
	.section	.AMDGPU.csdata,"",@progbits
; Kernel info:
; codeLenInByte = 0
; NumSgprs: 0
; NumVgprs: 0
; ScratchSize: 0
; MemoryBound: 0
; FloatMode: 240
; IeeeMode: 1
; LDSByteSize: 0 bytes/workgroup (compile time only)
; SGPRBlocks: 0
; VGPRBlocks: 0
; NumSGPRsForWavesPerEU: 1
; NumVGPRsForWavesPerEU: 1
; Occupancy: 16
; WaveLimiterHint : 0
; COMPUTE_PGM_RSRC2:SCRATCH_EN: 0
; COMPUTE_PGM_RSRC2:USER_SGPR: 15
; COMPUTE_PGM_RSRC2:TRAP_HANDLER: 0
; COMPUTE_PGM_RSRC2:TGID_X_EN: 1
; COMPUTE_PGM_RSRC2:TGID_Y_EN: 0
; COMPUTE_PGM_RSRC2:TGID_Z_EN: 0
; COMPUTE_PGM_RSRC2:TIDIG_COMP_CNT: 0
	.section	.text._ZN7rocprim17ROCPRIM_400000_NS6detail17trampoline_kernelINS0_14default_configENS1_22reduce_config_selectorIiEEZNS1_11reduce_implILb1ES3_PiS7_iN6hipcub16HIPCUB_304000_NS6detail34convert_binary_result_type_wrapperINS9_3SumENS9_22TransformInputIteratorIbN2at6native12_GLOBAL__N_19NonZeroOpIaEEPKalEEiEEEE10hipError_tPvRmT1_T2_T3_mT4_P12ihipStream_tbEUlT_E1_NS1_11comp_targetILNS1_3genE2ELNS1_11target_archE906ELNS1_3gpuE6ELNS1_3repE0EEENS1_30default_config_static_selectorELNS0_4arch9wavefront6targetE0EEEvSQ_,"axG",@progbits,_ZN7rocprim17ROCPRIM_400000_NS6detail17trampoline_kernelINS0_14default_configENS1_22reduce_config_selectorIiEEZNS1_11reduce_implILb1ES3_PiS7_iN6hipcub16HIPCUB_304000_NS6detail34convert_binary_result_type_wrapperINS9_3SumENS9_22TransformInputIteratorIbN2at6native12_GLOBAL__N_19NonZeroOpIaEEPKalEEiEEEE10hipError_tPvRmT1_T2_T3_mT4_P12ihipStream_tbEUlT_E1_NS1_11comp_targetILNS1_3genE2ELNS1_11target_archE906ELNS1_3gpuE6ELNS1_3repE0EEENS1_30default_config_static_selectorELNS0_4arch9wavefront6targetE0EEEvSQ_,comdat
	.globl	_ZN7rocprim17ROCPRIM_400000_NS6detail17trampoline_kernelINS0_14default_configENS1_22reduce_config_selectorIiEEZNS1_11reduce_implILb1ES3_PiS7_iN6hipcub16HIPCUB_304000_NS6detail34convert_binary_result_type_wrapperINS9_3SumENS9_22TransformInputIteratorIbN2at6native12_GLOBAL__N_19NonZeroOpIaEEPKalEEiEEEE10hipError_tPvRmT1_T2_T3_mT4_P12ihipStream_tbEUlT_E1_NS1_11comp_targetILNS1_3genE2ELNS1_11target_archE906ELNS1_3gpuE6ELNS1_3repE0EEENS1_30default_config_static_selectorELNS0_4arch9wavefront6targetE0EEEvSQ_ ; -- Begin function _ZN7rocprim17ROCPRIM_400000_NS6detail17trampoline_kernelINS0_14default_configENS1_22reduce_config_selectorIiEEZNS1_11reduce_implILb1ES3_PiS7_iN6hipcub16HIPCUB_304000_NS6detail34convert_binary_result_type_wrapperINS9_3SumENS9_22TransformInputIteratorIbN2at6native12_GLOBAL__N_19NonZeroOpIaEEPKalEEiEEEE10hipError_tPvRmT1_T2_T3_mT4_P12ihipStream_tbEUlT_E1_NS1_11comp_targetILNS1_3genE2ELNS1_11target_archE906ELNS1_3gpuE6ELNS1_3repE0EEENS1_30default_config_static_selectorELNS0_4arch9wavefront6targetE0EEEvSQ_
	.p2align	8
	.type	_ZN7rocprim17ROCPRIM_400000_NS6detail17trampoline_kernelINS0_14default_configENS1_22reduce_config_selectorIiEEZNS1_11reduce_implILb1ES3_PiS7_iN6hipcub16HIPCUB_304000_NS6detail34convert_binary_result_type_wrapperINS9_3SumENS9_22TransformInputIteratorIbN2at6native12_GLOBAL__N_19NonZeroOpIaEEPKalEEiEEEE10hipError_tPvRmT1_T2_T3_mT4_P12ihipStream_tbEUlT_E1_NS1_11comp_targetILNS1_3genE2ELNS1_11target_archE906ELNS1_3gpuE6ELNS1_3repE0EEENS1_30default_config_static_selectorELNS0_4arch9wavefront6targetE0EEEvSQ_,@function
_ZN7rocprim17ROCPRIM_400000_NS6detail17trampoline_kernelINS0_14default_configENS1_22reduce_config_selectorIiEEZNS1_11reduce_implILb1ES3_PiS7_iN6hipcub16HIPCUB_304000_NS6detail34convert_binary_result_type_wrapperINS9_3SumENS9_22TransformInputIteratorIbN2at6native12_GLOBAL__N_19NonZeroOpIaEEPKalEEiEEEE10hipError_tPvRmT1_T2_T3_mT4_P12ihipStream_tbEUlT_E1_NS1_11comp_targetILNS1_3genE2ELNS1_11target_archE906ELNS1_3gpuE6ELNS1_3repE0EEENS1_30default_config_static_selectorELNS0_4arch9wavefront6targetE0EEEvSQ_: ; @_ZN7rocprim17ROCPRIM_400000_NS6detail17trampoline_kernelINS0_14default_configENS1_22reduce_config_selectorIiEEZNS1_11reduce_implILb1ES3_PiS7_iN6hipcub16HIPCUB_304000_NS6detail34convert_binary_result_type_wrapperINS9_3SumENS9_22TransformInputIteratorIbN2at6native12_GLOBAL__N_19NonZeroOpIaEEPKalEEiEEEE10hipError_tPvRmT1_T2_T3_mT4_P12ihipStream_tbEUlT_E1_NS1_11comp_targetILNS1_3genE2ELNS1_11target_archE906ELNS1_3gpuE6ELNS1_3repE0EEENS1_30default_config_static_selectorELNS0_4arch9wavefront6targetE0EEEvSQ_
; %bb.0:
	.section	.rodata,"a",@progbits
	.p2align	6, 0x0
	.amdhsa_kernel _ZN7rocprim17ROCPRIM_400000_NS6detail17trampoline_kernelINS0_14default_configENS1_22reduce_config_selectorIiEEZNS1_11reduce_implILb1ES3_PiS7_iN6hipcub16HIPCUB_304000_NS6detail34convert_binary_result_type_wrapperINS9_3SumENS9_22TransformInputIteratorIbN2at6native12_GLOBAL__N_19NonZeroOpIaEEPKalEEiEEEE10hipError_tPvRmT1_T2_T3_mT4_P12ihipStream_tbEUlT_E1_NS1_11comp_targetILNS1_3genE2ELNS1_11target_archE906ELNS1_3gpuE6ELNS1_3repE0EEENS1_30default_config_static_selectorELNS0_4arch9wavefront6targetE0EEEvSQ_
		.amdhsa_group_segment_fixed_size 0
		.amdhsa_private_segment_fixed_size 0
		.amdhsa_kernarg_size 40
		.amdhsa_user_sgpr_count 15
		.amdhsa_user_sgpr_dispatch_ptr 0
		.amdhsa_user_sgpr_queue_ptr 0
		.amdhsa_user_sgpr_kernarg_segment_ptr 1
		.amdhsa_user_sgpr_dispatch_id 0
		.amdhsa_user_sgpr_private_segment_size 0
		.amdhsa_wavefront_size32 1
		.amdhsa_uses_dynamic_stack 0
		.amdhsa_enable_private_segment 0
		.amdhsa_system_sgpr_workgroup_id_x 1
		.amdhsa_system_sgpr_workgroup_id_y 0
		.amdhsa_system_sgpr_workgroup_id_z 0
		.amdhsa_system_sgpr_workgroup_info 0
		.amdhsa_system_vgpr_workitem_id 0
		.amdhsa_next_free_vgpr 1
		.amdhsa_next_free_sgpr 1
		.amdhsa_reserve_vcc 0
		.amdhsa_float_round_mode_32 0
		.amdhsa_float_round_mode_16_64 0
		.amdhsa_float_denorm_mode_32 3
		.amdhsa_float_denorm_mode_16_64 3
		.amdhsa_dx10_clamp 1
		.amdhsa_ieee_mode 1
		.amdhsa_fp16_overflow 0
		.amdhsa_workgroup_processor_mode 1
		.amdhsa_memory_ordered 1
		.amdhsa_forward_progress 0
		.amdhsa_shared_vgpr_count 0
		.amdhsa_exception_fp_ieee_invalid_op 0
		.amdhsa_exception_fp_denorm_src 0
		.amdhsa_exception_fp_ieee_div_zero 0
		.amdhsa_exception_fp_ieee_overflow 0
		.amdhsa_exception_fp_ieee_underflow 0
		.amdhsa_exception_fp_ieee_inexact 0
		.amdhsa_exception_int_div_zero 0
	.end_amdhsa_kernel
	.section	.text._ZN7rocprim17ROCPRIM_400000_NS6detail17trampoline_kernelINS0_14default_configENS1_22reduce_config_selectorIiEEZNS1_11reduce_implILb1ES3_PiS7_iN6hipcub16HIPCUB_304000_NS6detail34convert_binary_result_type_wrapperINS9_3SumENS9_22TransformInputIteratorIbN2at6native12_GLOBAL__N_19NonZeroOpIaEEPKalEEiEEEE10hipError_tPvRmT1_T2_T3_mT4_P12ihipStream_tbEUlT_E1_NS1_11comp_targetILNS1_3genE2ELNS1_11target_archE906ELNS1_3gpuE6ELNS1_3repE0EEENS1_30default_config_static_selectorELNS0_4arch9wavefront6targetE0EEEvSQ_,"axG",@progbits,_ZN7rocprim17ROCPRIM_400000_NS6detail17trampoline_kernelINS0_14default_configENS1_22reduce_config_selectorIiEEZNS1_11reduce_implILb1ES3_PiS7_iN6hipcub16HIPCUB_304000_NS6detail34convert_binary_result_type_wrapperINS9_3SumENS9_22TransformInputIteratorIbN2at6native12_GLOBAL__N_19NonZeroOpIaEEPKalEEiEEEE10hipError_tPvRmT1_T2_T3_mT4_P12ihipStream_tbEUlT_E1_NS1_11comp_targetILNS1_3genE2ELNS1_11target_archE906ELNS1_3gpuE6ELNS1_3repE0EEENS1_30default_config_static_selectorELNS0_4arch9wavefront6targetE0EEEvSQ_,comdat
.Lfunc_end95:
	.size	_ZN7rocprim17ROCPRIM_400000_NS6detail17trampoline_kernelINS0_14default_configENS1_22reduce_config_selectorIiEEZNS1_11reduce_implILb1ES3_PiS7_iN6hipcub16HIPCUB_304000_NS6detail34convert_binary_result_type_wrapperINS9_3SumENS9_22TransformInputIteratorIbN2at6native12_GLOBAL__N_19NonZeroOpIaEEPKalEEiEEEE10hipError_tPvRmT1_T2_T3_mT4_P12ihipStream_tbEUlT_E1_NS1_11comp_targetILNS1_3genE2ELNS1_11target_archE906ELNS1_3gpuE6ELNS1_3repE0EEENS1_30default_config_static_selectorELNS0_4arch9wavefront6targetE0EEEvSQ_, .Lfunc_end95-_ZN7rocprim17ROCPRIM_400000_NS6detail17trampoline_kernelINS0_14default_configENS1_22reduce_config_selectorIiEEZNS1_11reduce_implILb1ES3_PiS7_iN6hipcub16HIPCUB_304000_NS6detail34convert_binary_result_type_wrapperINS9_3SumENS9_22TransformInputIteratorIbN2at6native12_GLOBAL__N_19NonZeroOpIaEEPKalEEiEEEE10hipError_tPvRmT1_T2_T3_mT4_P12ihipStream_tbEUlT_E1_NS1_11comp_targetILNS1_3genE2ELNS1_11target_archE906ELNS1_3gpuE6ELNS1_3repE0EEENS1_30default_config_static_selectorELNS0_4arch9wavefront6targetE0EEEvSQ_
                                        ; -- End function
	.section	.AMDGPU.csdata,"",@progbits
; Kernel info:
; codeLenInByte = 0
; NumSgprs: 0
; NumVgprs: 0
; ScratchSize: 0
; MemoryBound: 0
; FloatMode: 240
; IeeeMode: 1
; LDSByteSize: 0 bytes/workgroup (compile time only)
; SGPRBlocks: 0
; VGPRBlocks: 0
; NumSGPRsForWavesPerEU: 1
; NumVGPRsForWavesPerEU: 1
; Occupancy: 16
; WaveLimiterHint : 0
; COMPUTE_PGM_RSRC2:SCRATCH_EN: 0
; COMPUTE_PGM_RSRC2:USER_SGPR: 15
; COMPUTE_PGM_RSRC2:TRAP_HANDLER: 0
; COMPUTE_PGM_RSRC2:TGID_X_EN: 1
; COMPUTE_PGM_RSRC2:TGID_Y_EN: 0
; COMPUTE_PGM_RSRC2:TGID_Z_EN: 0
; COMPUTE_PGM_RSRC2:TIDIG_COMP_CNT: 0
	.section	.text._ZN7rocprim17ROCPRIM_400000_NS6detail17trampoline_kernelINS0_14default_configENS1_22reduce_config_selectorIiEEZNS1_11reduce_implILb1ES3_PiS7_iN6hipcub16HIPCUB_304000_NS6detail34convert_binary_result_type_wrapperINS9_3SumENS9_22TransformInputIteratorIbN2at6native12_GLOBAL__N_19NonZeroOpIaEEPKalEEiEEEE10hipError_tPvRmT1_T2_T3_mT4_P12ihipStream_tbEUlT_E1_NS1_11comp_targetILNS1_3genE10ELNS1_11target_archE1201ELNS1_3gpuE5ELNS1_3repE0EEENS1_30default_config_static_selectorELNS0_4arch9wavefront6targetE0EEEvSQ_,"axG",@progbits,_ZN7rocprim17ROCPRIM_400000_NS6detail17trampoline_kernelINS0_14default_configENS1_22reduce_config_selectorIiEEZNS1_11reduce_implILb1ES3_PiS7_iN6hipcub16HIPCUB_304000_NS6detail34convert_binary_result_type_wrapperINS9_3SumENS9_22TransformInputIteratorIbN2at6native12_GLOBAL__N_19NonZeroOpIaEEPKalEEiEEEE10hipError_tPvRmT1_T2_T3_mT4_P12ihipStream_tbEUlT_E1_NS1_11comp_targetILNS1_3genE10ELNS1_11target_archE1201ELNS1_3gpuE5ELNS1_3repE0EEENS1_30default_config_static_selectorELNS0_4arch9wavefront6targetE0EEEvSQ_,comdat
	.globl	_ZN7rocprim17ROCPRIM_400000_NS6detail17trampoline_kernelINS0_14default_configENS1_22reduce_config_selectorIiEEZNS1_11reduce_implILb1ES3_PiS7_iN6hipcub16HIPCUB_304000_NS6detail34convert_binary_result_type_wrapperINS9_3SumENS9_22TransformInputIteratorIbN2at6native12_GLOBAL__N_19NonZeroOpIaEEPKalEEiEEEE10hipError_tPvRmT1_T2_T3_mT4_P12ihipStream_tbEUlT_E1_NS1_11comp_targetILNS1_3genE10ELNS1_11target_archE1201ELNS1_3gpuE5ELNS1_3repE0EEENS1_30default_config_static_selectorELNS0_4arch9wavefront6targetE0EEEvSQ_ ; -- Begin function _ZN7rocprim17ROCPRIM_400000_NS6detail17trampoline_kernelINS0_14default_configENS1_22reduce_config_selectorIiEEZNS1_11reduce_implILb1ES3_PiS7_iN6hipcub16HIPCUB_304000_NS6detail34convert_binary_result_type_wrapperINS9_3SumENS9_22TransformInputIteratorIbN2at6native12_GLOBAL__N_19NonZeroOpIaEEPKalEEiEEEE10hipError_tPvRmT1_T2_T3_mT4_P12ihipStream_tbEUlT_E1_NS1_11comp_targetILNS1_3genE10ELNS1_11target_archE1201ELNS1_3gpuE5ELNS1_3repE0EEENS1_30default_config_static_selectorELNS0_4arch9wavefront6targetE0EEEvSQ_
	.p2align	8
	.type	_ZN7rocprim17ROCPRIM_400000_NS6detail17trampoline_kernelINS0_14default_configENS1_22reduce_config_selectorIiEEZNS1_11reduce_implILb1ES3_PiS7_iN6hipcub16HIPCUB_304000_NS6detail34convert_binary_result_type_wrapperINS9_3SumENS9_22TransformInputIteratorIbN2at6native12_GLOBAL__N_19NonZeroOpIaEEPKalEEiEEEE10hipError_tPvRmT1_T2_T3_mT4_P12ihipStream_tbEUlT_E1_NS1_11comp_targetILNS1_3genE10ELNS1_11target_archE1201ELNS1_3gpuE5ELNS1_3repE0EEENS1_30default_config_static_selectorELNS0_4arch9wavefront6targetE0EEEvSQ_,@function
_ZN7rocprim17ROCPRIM_400000_NS6detail17trampoline_kernelINS0_14default_configENS1_22reduce_config_selectorIiEEZNS1_11reduce_implILb1ES3_PiS7_iN6hipcub16HIPCUB_304000_NS6detail34convert_binary_result_type_wrapperINS9_3SumENS9_22TransformInputIteratorIbN2at6native12_GLOBAL__N_19NonZeroOpIaEEPKalEEiEEEE10hipError_tPvRmT1_T2_T3_mT4_P12ihipStream_tbEUlT_E1_NS1_11comp_targetILNS1_3genE10ELNS1_11target_archE1201ELNS1_3gpuE5ELNS1_3repE0EEENS1_30default_config_static_selectorELNS0_4arch9wavefront6targetE0EEEvSQ_: ; @_ZN7rocprim17ROCPRIM_400000_NS6detail17trampoline_kernelINS0_14default_configENS1_22reduce_config_selectorIiEEZNS1_11reduce_implILb1ES3_PiS7_iN6hipcub16HIPCUB_304000_NS6detail34convert_binary_result_type_wrapperINS9_3SumENS9_22TransformInputIteratorIbN2at6native12_GLOBAL__N_19NonZeroOpIaEEPKalEEiEEEE10hipError_tPvRmT1_T2_T3_mT4_P12ihipStream_tbEUlT_E1_NS1_11comp_targetILNS1_3genE10ELNS1_11target_archE1201ELNS1_3gpuE5ELNS1_3repE0EEENS1_30default_config_static_selectorELNS0_4arch9wavefront6targetE0EEEvSQ_
; %bb.0:
	.section	.rodata,"a",@progbits
	.p2align	6, 0x0
	.amdhsa_kernel _ZN7rocprim17ROCPRIM_400000_NS6detail17trampoline_kernelINS0_14default_configENS1_22reduce_config_selectorIiEEZNS1_11reduce_implILb1ES3_PiS7_iN6hipcub16HIPCUB_304000_NS6detail34convert_binary_result_type_wrapperINS9_3SumENS9_22TransformInputIteratorIbN2at6native12_GLOBAL__N_19NonZeroOpIaEEPKalEEiEEEE10hipError_tPvRmT1_T2_T3_mT4_P12ihipStream_tbEUlT_E1_NS1_11comp_targetILNS1_3genE10ELNS1_11target_archE1201ELNS1_3gpuE5ELNS1_3repE0EEENS1_30default_config_static_selectorELNS0_4arch9wavefront6targetE0EEEvSQ_
		.amdhsa_group_segment_fixed_size 0
		.amdhsa_private_segment_fixed_size 0
		.amdhsa_kernarg_size 40
		.amdhsa_user_sgpr_count 15
		.amdhsa_user_sgpr_dispatch_ptr 0
		.amdhsa_user_sgpr_queue_ptr 0
		.amdhsa_user_sgpr_kernarg_segment_ptr 1
		.amdhsa_user_sgpr_dispatch_id 0
		.amdhsa_user_sgpr_private_segment_size 0
		.amdhsa_wavefront_size32 1
		.amdhsa_uses_dynamic_stack 0
		.amdhsa_enable_private_segment 0
		.amdhsa_system_sgpr_workgroup_id_x 1
		.amdhsa_system_sgpr_workgroup_id_y 0
		.amdhsa_system_sgpr_workgroup_id_z 0
		.amdhsa_system_sgpr_workgroup_info 0
		.amdhsa_system_vgpr_workitem_id 0
		.amdhsa_next_free_vgpr 1
		.amdhsa_next_free_sgpr 1
		.amdhsa_reserve_vcc 0
		.amdhsa_float_round_mode_32 0
		.amdhsa_float_round_mode_16_64 0
		.amdhsa_float_denorm_mode_32 3
		.amdhsa_float_denorm_mode_16_64 3
		.amdhsa_dx10_clamp 1
		.amdhsa_ieee_mode 1
		.amdhsa_fp16_overflow 0
		.amdhsa_workgroup_processor_mode 1
		.amdhsa_memory_ordered 1
		.amdhsa_forward_progress 0
		.amdhsa_shared_vgpr_count 0
		.amdhsa_exception_fp_ieee_invalid_op 0
		.amdhsa_exception_fp_denorm_src 0
		.amdhsa_exception_fp_ieee_div_zero 0
		.amdhsa_exception_fp_ieee_overflow 0
		.amdhsa_exception_fp_ieee_underflow 0
		.amdhsa_exception_fp_ieee_inexact 0
		.amdhsa_exception_int_div_zero 0
	.end_amdhsa_kernel
	.section	.text._ZN7rocprim17ROCPRIM_400000_NS6detail17trampoline_kernelINS0_14default_configENS1_22reduce_config_selectorIiEEZNS1_11reduce_implILb1ES3_PiS7_iN6hipcub16HIPCUB_304000_NS6detail34convert_binary_result_type_wrapperINS9_3SumENS9_22TransformInputIteratorIbN2at6native12_GLOBAL__N_19NonZeroOpIaEEPKalEEiEEEE10hipError_tPvRmT1_T2_T3_mT4_P12ihipStream_tbEUlT_E1_NS1_11comp_targetILNS1_3genE10ELNS1_11target_archE1201ELNS1_3gpuE5ELNS1_3repE0EEENS1_30default_config_static_selectorELNS0_4arch9wavefront6targetE0EEEvSQ_,"axG",@progbits,_ZN7rocprim17ROCPRIM_400000_NS6detail17trampoline_kernelINS0_14default_configENS1_22reduce_config_selectorIiEEZNS1_11reduce_implILb1ES3_PiS7_iN6hipcub16HIPCUB_304000_NS6detail34convert_binary_result_type_wrapperINS9_3SumENS9_22TransformInputIteratorIbN2at6native12_GLOBAL__N_19NonZeroOpIaEEPKalEEiEEEE10hipError_tPvRmT1_T2_T3_mT4_P12ihipStream_tbEUlT_E1_NS1_11comp_targetILNS1_3genE10ELNS1_11target_archE1201ELNS1_3gpuE5ELNS1_3repE0EEENS1_30default_config_static_selectorELNS0_4arch9wavefront6targetE0EEEvSQ_,comdat
.Lfunc_end96:
	.size	_ZN7rocprim17ROCPRIM_400000_NS6detail17trampoline_kernelINS0_14default_configENS1_22reduce_config_selectorIiEEZNS1_11reduce_implILb1ES3_PiS7_iN6hipcub16HIPCUB_304000_NS6detail34convert_binary_result_type_wrapperINS9_3SumENS9_22TransformInputIteratorIbN2at6native12_GLOBAL__N_19NonZeroOpIaEEPKalEEiEEEE10hipError_tPvRmT1_T2_T3_mT4_P12ihipStream_tbEUlT_E1_NS1_11comp_targetILNS1_3genE10ELNS1_11target_archE1201ELNS1_3gpuE5ELNS1_3repE0EEENS1_30default_config_static_selectorELNS0_4arch9wavefront6targetE0EEEvSQ_, .Lfunc_end96-_ZN7rocprim17ROCPRIM_400000_NS6detail17trampoline_kernelINS0_14default_configENS1_22reduce_config_selectorIiEEZNS1_11reduce_implILb1ES3_PiS7_iN6hipcub16HIPCUB_304000_NS6detail34convert_binary_result_type_wrapperINS9_3SumENS9_22TransformInputIteratorIbN2at6native12_GLOBAL__N_19NonZeroOpIaEEPKalEEiEEEE10hipError_tPvRmT1_T2_T3_mT4_P12ihipStream_tbEUlT_E1_NS1_11comp_targetILNS1_3genE10ELNS1_11target_archE1201ELNS1_3gpuE5ELNS1_3repE0EEENS1_30default_config_static_selectorELNS0_4arch9wavefront6targetE0EEEvSQ_
                                        ; -- End function
	.section	.AMDGPU.csdata,"",@progbits
; Kernel info:
; codeLenInByte = 0
; NumSgprs: 0
; NumVgprs: 0
; ScratchSize: 0
; MemoryBound: 0
; FloatMode: 240
; IeeeMode: 1
; LDSByteSize: 0 bytes/workgroup (compile time only)
; SGPRBlocks: 0
; VGPRBlocks: 0
; NumSGPRsForWavesPerEU: 1
; NumVGPRsForWavesPerEU: 1
; Occupancy: 16
; WaveLimiterHint : 0
; COMPUTE_PGM_RSRC2:SCRATCH_EN: 0
; COMPUTE_PGM_RSRC2:USER_SGPR: 15
; COMPUTE_PGM_RSRC2:TRAP_HANDLER: 0
; COMPUTE_PGM_RSRC2:TGID_X_EN: 1
; COMPUTE_PGM_RSRC2:TGID_Y_EN: 0
; COMPUTE_PGM_RSRC2:TGID_Z_EN: 0
; COMPUTE_PGM_RSRC2:TIDIG_COMP_CNT: 0
	.section	.text._ZN7rocprim17ROCPRIM_400000_NS6detail17trampoline_kernelINS0_14default_configENS1_22reduce_config_selectorIiEEZNS1_11reduce_implILb1ES3_PiS7_iN6hipcub16HIPCUB_304000_NS6detail34convert_binary_result_type_wrapperINS9_3SumENS9_22TransformInputIteratorIbN2at6native12_GLOBAL__N_19NonZeroOpIaEEPKalEEiEEEE10hipError_tPvRmT1_T2_T3_mT4_P12ihipStream_tbEUlT_E1_NS1_11comp_targetILNS1_3genE10ELNS1_11target_archE1200ELNS1_3gpuE4ELNS1_3repE0EEENS1_30default_config_static_selectorELNS0_4arch9wavefront6targetE0EEEvSQ_,"axG",@progbits,_ZN7rocprim17ROCPRIM_400000_NS6detail17trampoline_kernelINS0_14default_configENS1_22reduce_config_selectorIiEEZNS1_11reduce_implILb1ES3_PiS7_iN6hipcub16HIPCUB_304000_NS6detail34convert_binary_result_type_wrapperINS9_3SumENS9_22TransformInputIteratorIbN2at6native12_GLOBAL__N_19NonZeroOpIaEEPKalEEiEEEE10hipError_tPvRmT1_T2_T3_mT4_P12ihipStream_tbEUlT_E1_NS1_11comp_targetILNS1_3genE10ELNS1_11target_archE1200ELNS1_3gpuE4ELNS1_3repE0EEENS1_30default_config_static_selectorELNS0_4arch9wavefront6targetE0EEEvSQ_,comdat
	.globl	_ZN7rocprim17ROCPRIM_400000_NS6detail17trampoline_kernelINS0_14default_configENS1_22reduce_config_selectorIiEEZNS1_11reduce_implILb1ES3_PiS7_iN6hipcub16HIPCUB_304000_NS6detail34convert_binary_result_type_wrapperINS9_3SumENS9_22TransformInputIteratorIbN2at6native12_GLOBAL__N_19NonZeroOpIaEEPKalEEiEEEE10hipError_tPvRmT1_T2_T3_mT4_P12ihipStream_tbEUlT_E1_NS1_11comp_targetILNS1_3genE10ELNS1_11target_archE1200ELNS1_3gpuE4ELNS1_3repE0EEENS1_30default_config_static_selectorELNS0_4arch9wavefront6targetE0EEEvSQ_ ; -- Begin function _ZN7rocprim17ROCPRIM_400000_NS6detail17trampoline_kernelINS0_14default_configENS1_22reduce_config_selectorIiEEZNS1_11reduce_implILb1ES3_PiS7_iN6hipcub16HIPCUB_304000_NS6detail34convert_binary_result_type_wrapperINS9_3SumENS9_22TransformInputIteratorIbN2at6native12_GLOBAL__N_19NonZeroOpIaEEPKalEEiEEEE10hipError_tPvRmT1_T2_T3_mT4_P12ihipStream_tbEUlT_E1_NS1_11comp_targetILNS1_3genE10ELNS1_11target_archE1200ELNS1_3gpuE4ELNS1_3repE0EEENS1_30default_config_static_selectorELNS0_4arch9wavefront6targetE0EEEvSQ_
	.p2align	8
	.type	_ZN7rocprim17ROCPRIM_400000_NS6detail17trampoline_kernelINS0_14default_configENS1_22reduce_config_selectorIiEEZNS1_11reduce_implILb1ES3_PiS7_iN6hipcub16HIPCUB_304000_NS6detail34convert_binary_result_type_wrapperINS9_3SumENS9_22TransformInputIteratorIbN2at6native12_GLOBAL__N_19NonZeroOpIaEEPKalEEiEEEE10hipError_tPvRmT1_T2_T3_mT4_P12ihipStream_tbEUlT_E1_NS1_11comp_targetILNS1_3genE10ELNS1_11target_archE1200ELNS1_3gpuE4ELNS1_3repE0EEENS1_30default_config_static_selectorELNS0_4arch9wavefront6targetE0EEEvSQ_,@function
_ZN7rocprim17ROCPRIM_400000_NS6detail17trampoline_kernelINS0_14default_configENS1_22reduce_config_selectorIiEEZNS1_11reduce_implILb1ES3_PiS7_iN6hipcub16HIPCUB_304000_NS6detail34convert_binary_result_type_wrapperINS9_3SumENS9_22TransformInputIteratorIbN2at6native12_GLOBAL__N_19NonZeroOpIaEEPKalEEiEEEE10hipError_tPvRmT1_T2_T3_mT4_P12ihipStream_tbEUlT_E1_NS1_11comp_targetILNS1_3genE10ELNS1_11target_archE1200ELNS1_3gpuE4ELNS1_3repE0EEENS1_30default_config_static_selectorELNS0_4arch9wavefront6targetE0EEEvSQ_: ; @_ZN7rocprim17ROCPRIM_400000_NS6detail17trampoline_kernelINS0_14default_configENS1_22reduce_config_selectorIiEEZNS1_11reduce_implILb1ES3_PiS7_iN6hipcub16HIPCUB_304000_NS6detail34convert_binary_result_type_wrapperINS9_3SumENS9_22TransformInputIteratorIbN2at6native12_GLOBAL__N_19NonZeroOpIaEEPKalEEiEEEE10hipError_tPvRmT1_T2_T3_mT4_P12ihipStream_tbEUlT_E1_NS1_11comp_targetILNS1_3genE10ELNS1_11target_archE1200ELNS1_3gpuE4ELNS1_3repE0EEENS1_30default_config_static_selectorELNS0_4arch9wavefront6targetE0EEEvSQ_
; %bb.0:
	.section	.rodata,"a",@progbits
	.p2align	6, 0x0
	.amdhsa_kernel _ZN7rocprim17ROCPRIM_400000_NS6detail17trampoline_kernelINS0_14default_configENS1_22reduce_config_selectorIiEEZNS1_11reduce_implILb1ES3_PiS7_iN6hipcub16HIPCUB_304000_NS6detail34convert_binary_result_type_wrapperINS9_3SumENS9_22TransformInputIteratorIbN2at6native12_GLOBAL__N_19NonZeroOpIaEEPKalEEiEEEE10hipError_tPvRmT1_T2_T3_mT4_P12ihipStream_tbEUlT_E1_NS1_11comp_targetILNS1_3genE10ELNS1_11target_archE1200ELNS1_3gpuE4ELNS1_3repE0EEENS1_30default_config_static_selectorELNS0_4arch9wavefront6targetE0EEEvSQ_
		.amdhsa_group_segment_fixed_size 0
		.amdhsa_private_segment_fixed_size 0
		.amdhsa_kernarg_size 40
		.amdhsa_user_sgpr_count 15
		.amdhsa_user_sgpr_dispatch_ptr 0
		.amdhsa_user_sgpr_queue_ptr 0
		.amdhsa_user_sgpr_kernarg_segment_ptr 1
		.amdhsa_user_sgpr_dispatch_id 0
		.amdhsa_user_sgpr_private_segment_size 0
		.amdhsa_wavefront_size32 1
		.amdhsa_uses_dynamic_stack 0
		.amdhsa_enable_private_segment 0
		.amdhsa_system_sgpr_workgroup_id_x 1
		.amdhsa_system_sgpr_workgroup_id_y 0
		.amdhsa_system_sgpr_workgroup_id_z 0
		.amdhsa_system_sgpr_workgroup_info 0
		.amdhsa_system_vgpr_workitem_id 0
		.amdhsa_next_free_vgpr 1
		.amdhsa_next_free_sgpr 1
		.amdhsa_reserve_vcc 0
		.amdhsa_float_round_mode_32 0
		.amdhsa_float_round_mode_16_64 0
		.amdhsa_float_denorm_mode_32 3
		.amdhsa_float_denorm_mode_16_64 3
		.amdhsa_dx10_clamp 1
		.amdhsa_ieee_mode 1
		.amdhsa_fp16_overflow 0
		.amdhsa_workgroup_processor_mode 1
		.amdhsa_memory_ordered 1
		.amdhsa_forward_progress 0
		.amdhsa_shared_vgpr_count 0
		.amdhsa_exception_fp_ieee_invalid_op 0
		.amdhsa_exception_fp_denorm_src 0
		.amdhsa_exception_fp_ieee_div_zero 0
		.amdhsa_exception_fp_ieee_overflow 0
		.amdhsa_exception_fp_ieee_underflow 0
		.amdhsa_exception_fp_ieee_inexact 0
		.amdhsa_exception_int_div_zero 0
	.end_amdhsa_kernel
	.section	.text._ZN7rocprim17ROCPRIM_400000_NS6detail17trampoline_kernelINS0_14default_configENS1_22reduce_config_selectorIiEEZNS1_11reduce_implILb1ES3_PiS7_iN6hipcub16HIPCUB_304000_NS6detail34convert_binary_result_type_wrapperINS9_3SumENS9_22TransformInputIteratorIbN2at6native12_GLOBAL__N_19NonZeroOpIaEEPKalEEiEEEE10hipError_tPvRmT1_T2_T3_mT4_P12ihipStream_tbEUlT_E1_NS1_11comp_targetILNS1_3genE10ELNS1_11target_archE1200ELNS1_3gpuE4ELNS1_3repE0EEENS1_30default_config_static_selectorELNS0_4arch9wavefront6targetE0EEEvSQ_,"axG",@progbits,_ZN7rocprim17ROCPRIM_400000_NS6detail17trampoline_kernelINS0_14default_configENS1_22reduce_config_selectorIiEEZNS1_11reduce_implILb1ES3_PiS7_iN6hipcub16HIPCUB_304000_NS6detail34convert_binary_result_type_wrapperINS9_3SumENS9_22TransformInputIteratorIbN2at6native12_GLOBAL__N_19NonZeroOpIaEEPKalEEiEEEE10hipError_tPvRmT1_T2_T3_mT4_P12ihipStream_tbEUlT_E1_NS1_11comp_targetILNS1_3genE10ELNS1_11target_archE1200ELNS1_3gpuE4ELNS1_3repE0EEENS1_30default_config_static_selectorELNS0_4arch9wavefront6targetE0EEEvSQ_,comdat
.Lfunc_end97:
	.size	_ZN7rocprim17ROCPRIM_400000_NS6detail17trampoline_kernelINS0_14default_configENS1_22reduce_config_selectorIiEEZNS1_11reduce_implILb1ES3_PiS7_iN6hipcub16HIPCUB_304000_NS6detail34convert_binary_result_type_wrapperINS9_3SumENS9_22TransformInputIteratorIbN2at6native12_GLOBAL__N_19NonZeroOpIaEEPKalEEiEEEE10hipError_tPvRmT1_T2_T3_mT4_P12ihipStream_tbEUlT_E1_NS1_11comp_targetILNS1_3genE10ELNS1_11target_archE1200ELNS1_3gpuE4ELNS1_3repE0EEENS1_30default_config_static_selectorELNS0_4arch9wavefront6targetE0EEEvSQ_, .Lfunc_end97-_ZN7rocprim17ROCPRIM_400000_NS6detail17trampoline_kernelINS0_14default_configENS1_22reduce_config_selectorIiEEZNS1_11reduce_implILb1ES3_PiS7_iN6hipcub16HIPCUB_304000_NS6detail34convert_binary_result_type_wrapperINS9_3SumENS9_22TransformInputIteratorIbN2at6native12_GLOBAL__N_19NonZeroOpIaEEPKalEEiEEEE10hipError_tPvRmT1_T2_T3_mT4_P12ihipStream_tbEUlT_E1_NS1_11comp_targetILNS1_3genE10ELNS1_11target_archE1200ELNS1_3gpuE4ELNS1_3repE0EEENS1_30default_config_static_selectorELNS0_4arch9wavefront6targetE0EEEvSQ_
                                        ; -- End function
	.section	.AMDGPU.csdata,"",@progbits
; Kernel info:
; codeLenInByte = 0
; NumSgprs: 0
; NumVgprs: 0
; ScratchSize: 0
; MemoryBound: 0
; FloatMode: 240
; IeeeMode: 1
; LDSByteSize: 0 bytes/workgroup (compile time only)
; SGPRBlocks: 0
; VGPRBlocks: 0
; NumSGPRsForWavesPerEU: 1
; NumVGPRsForWavesPerEU: 1
; Occupancy: 16
; WaveLimiterHint : 0
; COMPUTE_PGM_RSRC2:SCRATCH_EN: 0
; COMPUTE_PGM_RSRC2:USER_SGPR: 15
; COMPUTE_PGM_RSRC2:TRAP_HANDLER: 0
; COMPUTE_PGM_RSRC2:TGID_X_EN: 1
; COMPUTE_PGM_RSRC2:TGID_Y_EN: 0
; COMPUTE_PGM_RSRC2:TGID_Z_EN: 0
; COMPUTE_PGM_RSRC2:TIDIG_COMP_CNT: 0
	.section	.text._ZN7rocprim17ROCPRIM_400000_NS6detail17trampoline_kernelINS0_14default_configENS1_22reduce_config_selectorIiEEZNS1_11reduce_implILb1ES3_PiS7_iN6hipcub16HIPCUB_304000_NS6detail34convert_binary_result_type_wrapperINS9_3SumENS9_22TransformInputIteratorIbN2at6native12_GLOBAL__N_19NonZeroOpIaEEPKalEEiEEEE10hipError_tPvRmT1_T2_T3_mT4_P12ihipStream_tbEUlT_E1_NS1_11comp_targetILNS1_3genE9ELNS1_11target_archE1100ELNS1_3gpuE3ELNS1_3repE0EEENS1_30default_config_static_selectorELNS0_4arch9wavefront6targetE0EEEvSQ_,"axG",@progbits,_ZN7rocprim17ROCPRIM_400000_NS6detail17trampoline_kernelINS0_14default_configENS1_22reduce_config_selectorIiEEZNS1_11reduce_implILb1ES3_PiS7_iN6hipcub16HIPCUB_304000_NS6detail34convert_binary_result_type_wrapperINS9_3SumENS9_22TransformInputIteratorIbN2at6native12_GLOBAL__N_19NonZeroOpIaEEPKalEEiEEEE10hipError_tPvRmT1_T2_T3_mT4_P12ihipStream_tbEUlT_E1_NS1_11comp_targetILNS1_3genE9ELNS1_11target_archE1100ELNS1_3gpuE3ELNS1_3repE0EEENS1_30default_config_static_selectorELNS0_4arch9wavefront6targetE0EEEvSQ_,comdat
	.globl	_ZN7rocprim17ROCPRIM_400000_NS6detail17trampoline_kernelINS0_14default_configENS1_22reduce_config_selectorIiEEZNS1_11reduce_implILb1ES3_PiS7_iN6hipcub16HIPCUB_304000_NS6detail34convert_binary_result_type_wrapperINS9_3SumENS9_22TransformInputIteratorIbN2at6native12_GLOBAL__N_19NonZeroOpIaEEPKalEEiEEEE10hipError_tPvRmT1_T2_T3_mT4_P12ihipStream_tbEUlT_E1_NS1_11comp_targetILNS1_3genE9ELNS1_11target_archE1100ELNS1_3gpuE3ELNS1_3repE0EEENS1_30default_config_static_selectorELNS0_4arch9wavefront6targetE0EEEvSQ_ ; -- Begin function _ZN7rocprim17ROCPRIM_400000_NS6detail17trampoline_kernelINS0_14default_configENS1_22reduce_config_selectorIiEEZNS1_11reduce_implILb1ES3_PiS7_iN6hipcub16HIPCUB_304000_NS6detail34convert_binary_result_type_wrapperINS9_3SumENS9_22TransformInputIteratorIbN2at6native12_GLOBAL__N_19NonZeroOpIaEEPKalEEiEEEE10hipError_tPvRmT1_T2_T3_mT4_P12ihipStream_tbEUlT_E1_NS1_11comp_targetILNS1_3genE9ELNS1_11target_archE1100ELNS1_3gpuE3ELNS1_3repE0EEENS1_30default_config_static_selectorELNS0_4arch9wavefront6targetE0EEEvSQ_
	.p2align	8
	.type	_ZN7rocprim17ROCPRIM_400000_NS6detail17trampoline_kernelINS0_14default_configENS1_22reduce_config_selectorIiEEZNS1_11reduce_implILb1ES3_PiS7_iN6hipcub16HIPCUB_304000_NS6detail34convert_binary_result_type_wrapperINS9_3SumENS9_22TransformInputIteratorIbN2at6native12_GLOBAL__N_19NonZeroOpIaEEPKalEEiEEEE10hipError_tPvRmT1_T2_T3_mT4_P12ihipStream_tbEUlT_E1_NS1_11comp_targetILNS1_3genE9ELNS1_11target_archE1100ELNS1_3gpuE3ELNS1_3repE0EEENS1_30default_config_static_selectorELNS0_4arch9wavefront6targetE0EEEvSQ_,@function
_ZN7rocprim17ROCPRIM_400000_NS6detail17trampoline_kernelINS0_14default_configENS1_22reduce_config_selectorIiEEZNS1_11reduce_implILb1ES3_PiS7_iN6hipcub16HIPCUB_304000_NS6detail34convert_binary_result_type_wrapperINS9_3SumENS9_22TransformInputIteratorIbN2at6native12_GLOBAL__N_19NonZeroOpIaEEPKalEEiEEEE10hipError_tPvRmT1_T2_T3_mT4_P12ihipStream_tbEUlT_E1_NS1_11comp_targetILNS1_3genE9ELNS1_11target_archE1100ELNS1_3gpuE3ELNS1_3repE0EEENS1_30default_config_static_selectorELNS0_4arch9wavefront6targetE0EEEvSQ_: ; @_ZN7rocprim17ROCPRIM_400000_NS6detail17trampoline_kernelINS0_14default_configENS1_22reduce_config_selectorIiEEZNS1_11reduce_implILb1ES3_PiS7_iN6hipcub16HIPCUB_304000_NS6detail34convert_binary_result_type_wrapperINS9_3SumENS9_22TransformInputIteratorIbN2at6native12_GLOBAL__N_19NonZeroOpIaEEPKalEEiEEEE10hipError_tPvRmT1_T2_T3_mT4_P12ihipStream_tbEUlT_E1_NS1_11comp_targetILNS1_3genE9ELNS1_11target_archE1100ELNS1_3gpuE3ELNS1_3repE0EEENS1_30default_config_static_selectorELNS0_4arch9wavefront6targetE0EEEvSQ_
; %bb.0:
	s_clause 0x1
	s_load_b32 s24, s[0:1], 0x4
	s_load_b128 s[16:19], s[0:1], 0x8
	s_mov_b32 s20, s15
	s_waitcnt lgkmcnt(0)
	s_cmp_lt_i32 s24, 8
	s_cbranch_scc1 .LBB98_11
; %bb.1:
	s_cmp_gt_i32 s24, 15
	s_cbranch_scc0 .LBB98_12
; %bb.2:
	s_cmp_gt_i32 s24, 31
	s_cbranch_scc0 .LBB98_13
; %bb.3:
	s_cmp_eq_u32 s24, 32
	s_mov_b32 s6, 0
	s_cbranch_scc0 .LBB98_14
; %bb.4:
	s_mov_b32 s21, 0
	s_lshl_b32 s4, s20, 13
	s_mov_b32 s5, s21
	s_lshr_b64 s[8:9], s[18:19], 13
	s_lshl_b64 s[2:3], s[4:5], 2
	s_delay_alu instid0(SALU_CYCLE_1)
	s_add_u32 s2, s16, s2
	s_addc_u32 s3, s17, s3
	s_cmp_lg_u64 s[8:9], s[20:21]
	s_cbranch_scc0 .LBB98_23
; %bb.5:
	v_lshlrev_b32_e32 v5, 2, v0
	s_clause 0x1
	global_load_b32 v9, v5, s[2:3]
	global_load_b32 v10, v5, s[2:3] offset:1024
	v_add_co_u32 v7, s5, s2, v5
	s_delay_alu instid0(VALU_DEP_1) | instskip(SKIP_1) | instid1(VALU_DEP_2)
	v_add_co_ci_u32_e64 v8, null, s3, 0, s5
	s_mov_b32 s5, exec_lo
	v_add_co_u32 v1, vcc_lo, 0x1000, v7
	s_delay_alu instid0(VALU_DEP_2)
	v_add_co_ci_u32_e32 v2, vcc_lo, 0, v8, vcc_lo
	s_clause 0x2
	global_load_b32 v11, v5, s[2:3] offset:2048
	global_load_b32 v12, v5, s[2:3] offset:3072
	global_load_b32 v13, v[1:2], off offset:1024
	v_add_co_u32 v3, vcc_lo, v7, 0x2000
	v_add_co_ci_u32_e32 v4, vcc_lo, 0, v8, vcc_lo
	v_add_co_u32 v5, vcc_lo, 0x2000, v7
	v_add_co_ci_u32_e32 v6, vcc_lo, 0, v8, vcc_lo
	s_clause 0x4
	global_load_b32 v14, v[3:4], off offset:-4096
	global_load_b32 v15, v[3:4], off
	global_load_b32 v16, v[1:2], off offset:2048
	global_load_b32 v17, v[1:2], off offset:3072
	;; [unrolled: 1-line block ×3, first 2 shown]
	v_add_co_u32 v1, vcc_lo, 0x3000, v7
	v_add_co_ci_u32_e32 v2, vcc_lo, 0, v8, vcc_lo
	s_clause 0x2
	global_load_b32 v19, v[5:6], off offset:2048
	global_load_b32 v20, v[5:6], off offset:3072
	;; [unrolled: 1-line block ×3, first 2 shown]
	v_add_co_u32 v3, vcc_lo, v7, 0x4000
	v_add_co_ci_u32_e32 v4, vcc_lo, 0, v8, vcc_lo
	v_add_co_u32 v5, vcc_lo, 0x4000, v7
	v_add_co_ci_u32_e32 v6, vcc_lo, 0, v8, vcc_lo
	s_clause 0x4
	global_load_b32 v22, v[3:4], off offset:-4096
	global_load_b32 v23, v[3:4], off
	global_load_b32 v24, v[1:2], off offset:2048
	global_load_b32 v25, v[1:2], off offset:3072
	;; [unrolled: 1-line block ×3, first 2 shown]
	v_add_co_u32 v1, vcc_lo, 0x5000, v7
	v_add_co_ci_u32_e32 v2, vcc_lo, 0, v8, vcc_lo
	v_add_co_u32 v3, vcc_lo, v7, 0x6000
	v_add_co_ci_u32_e32 v4, vcc_lo, 0, v8, vcc_lo
	s_clause 0x3
	global_load_b32 v27, v[5:6], off offset:2048
	global_load_b32 v28, v[5:6], off offset:3072
	global_load_b32 v29, v[3:4], off offset:-4096
	global_load_b32 v30, v[1:2], off offset:1024
	v_add_co_u32 v5, vcc_lo, 0x6000, v7
	v_add_co_ci_u32_e32 v6, vcc_lo, 0, v8, vcc_lo
	s_clause 0x3
	global_load_b32 v31, v[1:2], off offset:2048
	global_load_b32 v32, v[1:2], off offset:3072
	global_load_b32 v3, v[3:4], off
	global_load_b32 v4, v[5:6], off offset:1024
	v_add_co_u32 v1, vcc_lo, 0x7000, v7
	v_add_co_ci_u32_e32 v2, vcc_lo, 0, v8, vcc_lo
	s_clause 0x5
	global_load_b32 v7, v[5:6], off offset:2048
	global_load_b32 v5, v[5:6], off offset:3072
	global_load_b32 v6, v[1:2], off
	global_load_b32 v8, v[1:2], off offset:1024
	global_load_b32 v33, v[1:2], off offset:2048
	;; [unrolled: 1-line block ×3, first 2 shown]
	s_waitcnt vmcnt(30)
	v_add_nc_u32_e32 v2, v10, v9
	s_waitcnt vmcnt(28)
	s_delay_alu instid0(VALU_DEP_1) | instskip(SKIP_1) | instid1(VALU_DEP_1)
	v_add3_u32 v2, v2, v11, v12
	s_waitcnt vmcnt(26)
	v_add3_u32 v2, v2, v14, v13
	s_waitcnt vmcnt(23)
	s_delay_alu instid0(VALU_DEP_1) | instskip(SKIP_1) | instid1(VALU_DEP_1)
	v_add3_u32 v2, v2, v16, v17
	s_waitcnt vmcnt(22)
	v_add3_u32 v2, v2, v15, v18
	;; [unrolled: 5-line block ×6, first 2 shown]
	v_mov_b32_e32 v3, 0
	s_waitcnt vmcnt(4)
	s_delay_alu instid0(VALU_DEP_2) | instskip(SKIP_1) | instid1(VALU_DEP_1)
	v_add3_u32 v2, v2, v7, v5
	s_waitcnt vmcnt(2)
	v_add3_u32 v2, v2, v6, v8
	s_waitcnt vmcnt(0)
	s_delay_alu instid0(VALU_DEP_1) | instskip(NEXT) | instid1(VALU_DEP_1)
	v_add3_u32 v1, v2, v33, v1
	v_mov_b32_dpp v2, v1 quad_perm:[1,0,3,2] row_mask:0xf bank_mask:0xf
	s_delay_alu instid0(VALU_DEP_1) | instskip(NEXT) | instid1(VALU_DEP_1)
	v_add_nc_u32_e32 v1, v2, v1
	v_mov_b32_dpp v2, v1 quad_perm:[2,3,0,1] row_mask:0xf bank_mask:0xf
	s_delay_alu instid0(VALU_DEP_1) | instskip(NEXT) | instid1(VALU_DEP_1)
	v_add_nc_u32_e32 v1, v1, v2
	v_mov_b32_dpp v2, v1 row_ror:4 row_mask:0xf bank_mask:0xf
	s_delay_alu instid0(VALU_DEP_1) | instskip(NEXT) | instid1(VALU_DEP_1)
	v_add_nc_u32_e32 v1, v1, v2
	v_mov_b32_dpp v2, v1 row_ror:8 row_mask:0xf bank_mask:0xf
	s_delay_alu instid0(VALU_DEP_1)
	v_add_nc_u32_e32 v1, v1, v2
	ds_swizzle_b32 v2, v1 offset:swizzle(BROADCAST,32,15)
	s_waitcnt lgkmcnt(0)
	v_add_nc_u32_e32 v1, v1, v2
	v_mbcnt_lo_u32_b32 v2, -1, 0
	ds_bpermute_b32 v1, v3, v1 offset:124
	v_cmpx_eq_u32_e32 0, v2
	s_cbranch_execz .LBB98_7
; %bb.6:
	v_lshrrev_b32_e32 v3, 3, v0
	s_delay_alu instid0(VALU_DEP_1)
	v_and_b32_e32 v3, 28, v3
	s_waitcnt lgkmcnt(0)
	ds_store_b32 v3, v1 offset:96
.LBB98_7:
	s_or_b32 exec_lo, exec_lo, s5
	s_delay_alu instid0(SALU_CYCLE_1)
	s_mov_b32 s5, exec_lo
	s_waitcnt lgkmcnt(0)
	s_barrier
	buffer_gl0_inv
	v_cmpx_gt_u32_e32 32, v0
	s_cbranch_execz .LBB98_9
; %bb.8:
	v_lshl_or_b32 v1, v2, 2, 0x60
	v_and_b32_e32 v3, 7, v2
	ds_load_b32 v1, v1
	v_cmp_ne_u32_e32 vcc_lo, 7, v3
	v_add_co_ci_u32_e32 v4, vcc_lo, 0, v2, vcc_lo
	v_cmp_gt_u32_e32 vcc_lo, 6, v3
	s_delay_alu instid0(VALU_DEP_2) | instskip(SKIP_2) | instid1(VALU_DEP_2)
	v_lshlrev_b32_e32 v4, 2, v4
	v_cndmask_b32_e64 v5, 0, 1, vcc_lo
	v_cmp_gt_u32_e32 vcc_lo, 4, v3
	v_lshlrev_b32_e32 v5, 1, v5
	v_cndmask_b32_e64 v3, 0, 1, vcc_lo
	s_waitcnt lgkmcnt(0)
	ds_bpermute_b32 v4, v4, v1
	v_add_lshl_u32 v5, v5, v2, 2
	v_lshlrev_b32_e32 v3, 2, v3
	s_delay_alu instid0(VALU_DEP_1)
	v_add_lshl_u32 v2, v3, v2, 2
	s_waitcnt lgkmcnt(0)
	v_add_nc_u32_e32 v1, v4, v1
	ds_bpermute_b32 v4, v5, v1
	s_waitcnt lgkmcnt(0)
	v_add_nc_u32_e32 v1, v4, v1
	ds_bpermute_b32 v2, v2, v1
	s_waitcnt lgkmcnt(0)
	v_add_nc_u32_e32 v1, v2, v1
.LBB98_9:
	s_or_b32 exec_lo, exec_lo, s5
.LBB98_10:
	v_cmp_eq_u32_e64 s2, 0, v0
	s_and_b32 vcc_lo, exec_lo, s6
	s_cbranch_vccnz .LBB98_15
	s_branch .LBB98_93
.LBB98_11:
	s_mov_b32 s2, 0
                                        ; implicit-def: $vgpr1
	s_cbranch_execnz .LBB98_166
	s_branch .LBB98_224
.LBB98_12:
	s_mov_b32 s2, 0
                                        ; implicit-def: $vgpr1
	s_cbranch_execnz .LBB98_134
	s_branch .LBB98_142
.LBB98_13:
	s_mov_b32 s6, -1
.LBB98_14:
	s_mov_b32 s2, 0
                                        ; implicit-def: $vgpr1
	s_and_b32 vcc_lo, exec_lo, s6
	s_cbranch_vccz .LBB98_93
.LBB98_15:
	s_cmp_eq_u32 s24, 16
	s_cbranch_scc0 .LBB98_22
; %bb.16:
	s_mov_b32 s21, 0
	s_lshl_b32 s2, s20, 12
	s_mov_b32 s3, s21
	s_lshr_b64 s[6:7], s[18:19], 12
	s_lshl_b64 s[4:5], s[2:3], 2
	s_delay_alu instid0(SALU_CYCLE_1)
	s_add_u32 s22, s16, s4
	s_addc_u32 s23, s17, s5
	s_cmp_lg_u64 s[6:7], s[20:21]
	s_cbranch_scc0 .LBB98_94
; %bb.17:
	v_lshlrev_b32_e32 v5, 2, v0
	s_clause 0x1
	global_load_b32 v9, v5, s[22:23]
	global_load_b32 v10, v5, s[22:23] offset:1024
	v_add_co_u32 v7, s3, s22, v5
	s_delay_alu instid0(VALU_DEP_1) | instskip(SKIP_1) | instid1(VALU_DEP_2)
	v_add_co_ci_u32_e64 v8, null, s23, 0, s3
	s_mov_b32 s3, exec_lo
	v_add_co_u32 v1, vcc_lo, 0x1000, v7
	s_delay_alu instid0(VALU_DEP_2)
	v_add_co_ci_u32_e32 v2, vcc_lo, 0, v8, vcc_lo
	v_add_co_u32 v3, vcc_lo, v7, 0x2000
	v_add_co_ci_u32_e32 v4, vcc_lo, 0, v8, vcc_lo
	s_clause 0x3
	global_load_b32 v11, v5, s[22:23] offset:2048
	global_load_b32 v12, v5, s[22:23] offset:3072
	global_load_b32 v13, v[3:4], off offset:-4096
	global_load_b32 v14, v[1:2], off offset:1024
	v_add_co_u32 v5, vcc_lo, 0x2000, v7
	v_add_co_ci_u32_e32 v6, vcc_lo, 0, v8, vcc_lo
	s_clause 0x3
	global_load_b32 v15, v[1:2], off offset:2048
	global_load_b32 v16, v[1:2], off offset:3072
	global_load_b32 v3, v[3:4], off
	global_load_b32 v4, v[5:6], off offset:1024
	v_add_co_u32 v1, vcc_lo, 0x3000, v7
	v_add_co_ci_u32_e32 v2, vcc_lo, 0, v8, vcc_lo
	s_clause 0x5
	global_load_b32 v7, v[5:6], off offset:2048
	global_load_b32 v5, v[5:6], off offset:3072
	global_load_b32 v6, v[1:2], off
	global_load_b32 v8, v[1:2], off offset:1024
	global_load_b32 v17, v[1:2], off offset:2048
	;; [unrolled: 1-line block ×3, first 2 shown]
	s_waitcnt vmcnt(14)
	v_add_nc_u32_e32 v2, v10, v9
	s_waitcnt vmcnt(12)
	s_delay_alu instid0(VALU_DEP_1) | instskip(SKIP_1) | instid1(VALU_DEP_1)
	v_add3_u32 v2, v2, v11, v12
	s_waitcnt vmcnt(10)
	v_add3_u32 v2, v2, v13, v14
	s_waitcnt vmcnt(8)
	s_delay_alu instid0(VALU_DEP_1) | instskip(SKIP_1) | instid1(VALU_DEP_1)
	v_add3_u32 v2, v2, v15, v16
	s_waitcnt vmcnt(6)
	v_add3_u32 v2, v2, v3, v4
	v_mov_b32_e32 v3, 0
	s_waitcnt vmcnt(4)
	s_delay_alu instid0(VALU_DEP_2) | instskip(SKIP_1) | instid1(VALU_DEP_1)
	v_add3_u32 v2, v2, v7, v5
	s_waitcnt vmcnt(2)
	v_add3_u32 v2, v2, v6, v8
	s_waitcnt vmcnt(0)
	s_delay_alu instid0(VALU_DEP_1) | instskip(NEXT) | instid1(VALU_DEP_1)
	v_add3_u32 v1, v2, v17, v1
	v_mov_b32_dpp v2, v1 quad_perm:[1,0,3,2] row_mask:0xf bank_mask:0xf
	s_delay_alu instid0(VALU_DEP_1) | instskip(NEXT) | instid1(VALU_DEP_1)
	v_add_nc_u32_e32 v1, v2, v1
	v_mov_b32_dpp v2, v1 quad_perm:[2,3,0,1] row_mask:0xf bank_mask:0xf
	s_delay_alu instid0(VALU_DEP_1) | instskip(NEXT) | instid1(VALU_DEP_1)
	v_add_nc_u32_e32 v1, v1, v2
	v_mov_b32_dpp v2, v1 row_ror:4 row_mask:0xf bank_mask:0xf
	s_delay_alu instid0(VALU_DEP_1) | instskip(NEXT) | instid1(VALU_DEP_1)
	v_add_nc_u32_e32 v1, v1, v2
	v_mov_b32_dpp v2, v1 row_ror:8 row_mask:0xf bank_mask:0xf
	s_delay_alu instid0(VALU_DEP_1)
	v_add_nc_u32_e32 v1, v1, v2
	ds_swizzle_b32 v2, v1 offset:swizzle(BROADCAST,32,15)
	s_waitcnt lgkmcnt(0)
	v_add_nc_u32_e32 v1, v1, v2
	v_mbcnt_lo_u32_b32 v2, -1, 0
	ds_bpermute_b32 v1, v3, v1 offset:124
	v_cmpx_eq_u32_e32 0, v2
	s_cbranch_execz .LBB98_19
; %bb.18:
	v_lshrrev_b32_e32 v3, 3, v0
	s_delay_alu instid0(VALU_DEP_1)
	v_and_b32_e32 v3, 28, v3
	s_waitcnt lgkmcnt(0)
	ds_store_b32 v3, v1
.LBB98_19:
	s_or_b32 exec_lo, exec_lo, s3
	s_delay_alu instid0(SALU_CYCLE_1)
	s_mov_b32 s3, exec_lo
	s_waitcnt lgkmcnt(0)
	s_barrier
	buffer_gl0_inv
	v_cmpx_gt_u32_e32 32, v0
	s_cbranch_execz .LBB98_21
; %bb.20:
	v_and_b32_e32 v1, 7, v2
	s_delay_alu instid0(VALU_DEP_1) | instskip(SKIP_4) | instid1(VALU_DEP_2)
	v_lshlrev_b32_e32 v3, 2, v1
	v_cmp_ne_u32_e32 vcc_lo, 7, v1
	ds_load_b32 v3, v3
	v_add_co_ci_u32_e32 v4, vcc_lo, 0, v2, vcc_lo
	v_cmp_gt_u32_e32 vcc_lo, 6, v1
	v_lshlrev_b32_e32 v4, 2, v4
	v_cndmask_b32_e64 v5, 0, 1, vcc_lo
	v_cmp_gt_u32_e32 vcc_lo, 4, v1
	s_delay_alu instid0(VALU_DEP_2) | instskip(SKIP_1) | instid1(VALU_DEP_2)
	v_lshlrev_b32_e32 v5, 1, v5
	v_cndmask_b32_e64 v1, 0, 1, vcc_lo
	v_add_lshl_u32 v5, v5, v2, 2
	s_delay_alu instid0(VALU_DEP_2)
	v_lshlrev_b32_e32 v1, 2, v1
	s_waitcnt lgkmcnt(0)
	ds_bpermute_b32 v4, v4, v3
	v_add_lshl_u32 v1, v1, v2, 2
	s_waitcnt lgkmcnt(0)
	v_add_nc_u32_e32 v3, v4, v3
	ds_bpermute_b32 v4, v5, v3
	s_waitcnt lgkmcnt(0)
	v_add_nc_u32_e32 v3, v4, v3
	ds_bpermute_b32 v1, v1, v3
	s_waitcnt lgkmcnt(0)
	v_add_nc_u32_e32 v1, v1, v3
.LBB98_21:
	s_or_b32 exec_lo, exec_lo, s3
	s_mov_b32 s3, 0
	s_branch .LBB98_95
.LBB98_22:
                                        ; implicit-def: $vgpr1
	s_branch .LBB98_142
.LBB98_23:
                                        ; implicit-def: $vgpr1
	s_cbranch_execz .LBB98_10
; %bb.24:
	s_sub_i32 s4, s18, s4
	s_mov_b32 s5, exec_lo
                                        ; implicit-def: $vgpr1
	v_cmpx_gt_u32_e64 s4, v0
	s_cbranch_execz .LBB98_26
; %bb.25:
	v_lshlrev_b32_e32 v1, 2, v0
	global_load_b32 v1, v1, s[2:3]
.LBB98_26:
	s_or_b32 exec_lo, exec_lo, s5
	v_or_b32_e32 v3, 0x100, v0
	v_mov_b32_e32 v2, 0
	s_delay_alu instid0(VALU_DEP_2)
	v_cmp_gt_u32_e32 vcc_lo, s4, v3
	v_mov_b32_e32 v3, 0
	s_and_saveexec_b32 s5, vcc_lo
	s_cbranch_execz .LBB98_28
; %bb.27:
	v_lshlrev_b32_e32 v3, 2, v0
	global_load_b32 v3, v3, s[2:3] offset:1024
.LBB98_28:
	s_or_b32 exec_lo, exec_lo, s5
	v_or_b32_e32 v4, 0x200, v0
	s_mov_b32 s5, exec_lo
	s_delay_alu instid0(VALU_DEP_1)
	v_cmpx_gt_u32_e64 s4, v4
	s_cbranch_execz .LBB98_30
; %bb.29:
	v_lshlrev_b32_e32 v2, 2, v0
	global_load_b32 v2, v2, s[2:3] offset:2048
.LBB98_30:
	s_or_b32 exec_lo, exec_lo, s5
	v_or_b32_e32 v5, 0x300, v0
	v_mov_b32_e32 v4, 0
	s_delay_alu instid0(VALU_DEP_2)
	v_cmp_gt_u32_e32 vcc_lo, s4, v5
	v_mov_b32_e32 v5, 0
	s_and_saveexec_b32 s5, vcc_lo
	s_cbranch_execz .LBB98_32
; %bb.31:
	v_lshlrev_b32_e32 v5, 2, v0
	global_load_b32 v5, v5, s[2:3] offset:3072
.LBB98_32:
	s_or_b32 exec_lo, exec_lo, s5
	v_or_b32_e32 v6, 0x400, v0
	s_mov_b32 s5, exec_lo
	s_delay_alu instid0(VALU_DEP_1)
	v_cmpx_gt_u32_e64 s4, v6
	s_cbranch_execz .LBB98_34
; %bb.33:
	v_lshlrev_b32_e32 v4, 2, v6
	global_load_b32 v4, v4, s[2:3]
.LBB98_34:
	s_or_b32 exec_lo, exec_lo, s5
	v_or_b32_e32 v8, 0x500, v0
	v_dual_mov_b32 v6, 0 :: v_dual_mov_b32 v7, 0
	s_mov_b32 s5, exec_lo
	s_delay_alu instid0(VALU_DEP_2)
	v_cmpx_gt_u32_e64 s4, v8
	s_cbranch_execz .LBB98_36
; %bb.35:
	v_lshlrev_b32_e32 v7, 2, v8
	global_load_b32 v7, v7, s[2:3]
.LBB98_36:
	s_or_b32 exec_lo, exec_lo, s5
	v_or_b32_e32 v8, 0x600, v0
	s_mov_b32 s5, exec_lo
	s_delay_alu instid0(VALU_DEP_1)
	v_cmpx_gt_u32_e64 s4, v8
	s_cbranch_execz .LBB98_38
; %bb.37:
	v_lshlrev_b32_e32 v6, 2, v8
	global_load_b32 v6, v6, s[2:3]
.LBB98_38:
	s_or_b32 exec_lo, exec_lo, s5
	v_or_b32_e32 v10, 0x700, v0
	v_dual_mov_b32 v8, 0 :: v_dual_mov_b32 v9, 0
	s_mov_b32 s5, exec_lo
	s_delay_alu instid0(VALU_DEP_2)
	v_cmpx_gt_u32_e64 s4, v10
	s_cbranch_execz .LBB98_40
; %bb.39:
	v_lshlrev_b32_e32 v9, 2, v10
	global_load_b32 v9, v9, s[2:3]
.LBB98_40:
	;; [unrolled: 21-line block ×13, first 2 shown]
	s_or_b32 exec_lo, exec_lo, s5
	v_or_b32_e32 v32, 0x1e00, v0
	s_mov_b32 s5, exec_lo
	s_delay_alu instid0(VALU_DEP_1)
	v_cmpx_gt_u32_e64 s4, v32
	s_cbranch_execz .LBB98_86
; %bb.85:
	v_lshlrev_b32_e32 v30, 2, v32
	global_load_b32 v30, v30, s[2:3]
.LBB98_86:
	s_or_b32 exec_lo, exec_lo, s5
	v_or_b32_e32 v33, 0x1f00, v0
	v_mov_b32_e32 v32, 0
	s_mov_b32 s5, exec_lo
	s_delay_alu instid0(VALU_DEP_2)
	v_cmpx_gt_u32_e64 s4, v33
	s_cbranch_execz .LBB98_88
; %bb.87:
	v_lshlrev_b32_e32 v32, 2, v33
	global_load_b32 v32, v32, s[2:3]
.LBB98_88:
	s_or_b32 exec_lo, exec_lo, s5
	s_waitcnt vmcnt(0)
	v_add_nc_u32_e32 v1, v3, v1
	s_min_u32 s2, s4, 0x100
	s_mov_b32 s3, exec_lo
	s_delay_alu instid0(VALU_DEP_1) | instskip(SKIP_1) | instid1(VALU_DEP_2)
	v_add3_u32 v1, v1, v2, v5
	v_mbcnt_lo_u32_b32 v2, -1, 0
	v_add3_u32 v1, v1, v4, v7
	s_delay_alu instid0(VALU_DEP_2) | instskip(NEXT) | instid1(VALU_DEP_2)
	v_cmp_ne_u32_e32 vcc_lo, 31, v2
	v_add3_u32 v1, v1, v6, v9
	v_add_co_ci_u32_e32 v3, vcc_lo, 0, v2, vcc_lo
	v_cmp_gt_u32_e32 vcc_lo, 30, v2
	v_add_nc_u32_e32 v6, 1, v2
	s_delay_alu instid0(VALU_DEP_4) | instskip(NEXT) | instid1(VALU_DEP_4)
	v_add3_u32 v1, v1, v8, v11
	v_lshlrev_b32_e32 v3, 2, v3
	v_cndmask_b32_e64 v5, 0, 1, vcc_lo
	s_delay_alu instid0(VALU_DEP_3) | instskip(NEXT) | instid1(VALU_DEP_2)
	v_add3_u32 v1, v1, v10, v13
	v_lshlrev_b32_e32 v5, 1, v5
	s_delay_alu instid0(VALU_DEP_2) | instskip(NEXT) | instid1(VALU_DEP_2)
	v_add3_u32 v1, v1, v12, v15
	v_add_lshl_u32 v5, v5, v2, 2
	s_delay_alu instid0(VALU_DEP_2) | instskip(NEXT) | instid1(VALU_DEP_1)
	v_add3_u32 v1, v1, v14, v17
	v_add3_u32 v1, v1, v16, v19
	s_delay_alu instid0(VALU_DEP_1) | instskip(NEXT) | instid1(VALU_DEP_1)
	v_add3_u32 v1, v1, v18, v21
	v_add3_u32 v1, v1, v20, v23
	s_delay_alu instid0(VALU_DEP_1) | instskip(NEXT) | instid1(VALU_DEP_1)
	v_add3_u32 v1, v1, v22, v25
	v_add3_u32 v1, v1, v24, v27
	s_delay_alu instid0(VALU_DEP_1) | instskip(NEXT) | instid1(VALU_DEP_1)
	v_add3_u32 v1, v1, v26, v29
	v_add3_u32 v1, v1, v28, v31
	s_delay_alu instid0(VALU_DEP_1) | instskip(SKIP_2) | instid1(VALU_DEP_1)
	v_add3_u32 v1, v1, v30, v32
	ds_bpermute_b32 v3, v3, v1
	v_and_b32_e32 v4, 0xe0, v0
	v_sub_nc_u32_e64 v4, s2, v4 clamp
	s_delay_alu instid0(VALU_DEP_1) | instskip(SKIP_3) | instid1(VALU_DEP_2)
	v_cmp_lt_u32_e32 vcc_lo, v6, v4
	s_waitcnt lgkmcnt(0)
	v_dual_cndmask_b32 v3, 0, v3 :: v_dual_add_nc_u32 v6, 2, v2
	v_cmp_gt_u32_e32 vcc_lo, 28, v2
	v_add_nc_u32_e32 v1, v3, v1
	ds_bpermute_b32 v3, v5, v1
	v_cndmask_b32_e64 v5, 0, 1, vcc_lo
	v_cmp_lt_u32_e32 vcc_lo, v6, v4
	v_add_nc_u32_e32 v6, 4, v2
	s_delay_alu instid0(VALU_DEP_3) | instskip(NEXT) | instid1(VALU_DEP_1)
	v_lshlrev_b32_e32 v5, 2, v5
	v_add_lshl_u32 v5, v5, v2, 2
	s_waitcnt lgkmcnt(0)
	v_cndmask_b32_e32 v3, 0, v3, vcc_lo
	v_cmp_gt_u32_e32 vcc_lo, 24, v2
	s_delay_alu instid0(VALU_DEP_2) | instskip(SKIP_4) | instid1(VALU_DEP_3)
	v_add_nc_u32_e32 v1, v1, v3
	ds_bpermute_b32 v3, v5, v1
	v_cndmask_b32_e64 v5, 0, 1, vcc_lo
	v_cmp_lt_u32_e32 vcc_lo, v6, v4
	v_add_nc_u32_e32 v6, 8, v2
	v_lshlrev_b32_e32 v5, 3, v5
	s_delay_alu instid0(VALU_DEP_1) | instskip(SKIP_3) | instid1(VALU_DEP_2)
	v_add_lshl_u32 v5, v5, v2, 2
	s_waitcnt lgkmcnt(0)
	v_cndmask_b32_e32 v3, 0, v3, vcc_lo
	v_cmp_gt_u32_e32 vcc_lo, 16, v2
	v_add_nc_u32_e32 v1, v1, v3
	ds_bpermute_b32 v3, v5, v1
	v_cndmask_b32_e64 v5, 0, 1, vcc_lo
	v_cmp_lt_u32_e32 vcc_lo, v6, v4
	s_delay_alu instid0(VALU_DEP_2) | instskip(NEXT) | instid1(VALU_DEP_1)
	v_lshlrev_b32_e32 v5, 4, v5
	v_add_lshl_u32 v5, v5, v2, 2
	s_waitcnt lgkmcnt(0)
	v_cndmask_b32_e32 v3, 0, v3, vcc_lo
	s_delay_alu instid0(VALU_DEP_1) | instskip(SKIP_2) | instid1(VALU_DEP_1)
	v_add_nc_u32_e32 v1, v1, v3
	ds_bpermute_b32 v3, v5, v1
	v_add_nc_u32_e32 v5, 16, v2
	v_cmp_lt_u32_e32 vcc_lo, v5, v4
	s_waitcnt lgkmcnt(0)
	v_cndmask_b32_e32 v3, 0, v3, vcc_lo
	s_delay_alu instid0(VALU_DEP_1)
	v_add_nc_u32_e32 v1, v1, v3
	v_cmpx_eq_u32_e32 0, v2
	s_cbranch_execz .LBB98_90
; %bb.89:
	v_lshrrev_b32_e32 v3, 3, v0
	s_delay_alu instid0(VALU_DEP_1)
	v_and_b32_e32 v3, 28, v3
	ds_store_b32 v3, v1 offset:192
.LBB98_90:
	s_or_b32 exec_lo, exec_lo, s3
	s_delay_alu instid0(SALU_CYCLE_1)
	s_mov_b32 s3, exec_lo
	s_waitcnt lgkmcnt(0)
	s_barrier
	buffer_gl0_inv
	v_cmpx_gt_u32_e32 8, v0
	s_cbranch_execz .LBB98_92
; %bb.91:
	v_and_b32_e32 v3, 7, v2
	s_add_i32 s2, s2, 31
	s_delay_alu instid0(SALU_CYCLE_1) | instskip(NEXT) | instid1(VALU_DEP_1)
	s_lshr_b32 s2, s2, 5
	v_cmp_ne_u32_e32 vcc_lo, 7, v3
	v_add_nc_u32_e32 v6, 1, v3
	v_add_co_ci_u32_e32 v4, vcc_lo, 0, v2, vcc_lo
	v_cmp_gt_u32_e32 vcc_lo, 6, v3
	s_delay_alu instid0(VALU_DEP_2) | instskip(SKIP_3) | instid1(VALU_DEP_3)
	v_lshlrev_b32_e32 v4, 2, v4
	v_cndmask_b32_e64 v5, 0, 1, vcc_lo
	v_cmp_gt_u32_e32 vcc_lo, s2, v6
	v_lshlrev_b32_e32 v1, 2, v2
	v_lshlrev_b32_e32 v5, 1, v5
	ds_load_b32 v1, v1 offset:192
	v_add_lshl_u32 v5, v5, v2, 2
	s_waitcnt lgkmcnt(0)
	ds_bpermute_b32 v4, v4, v1
	s_waitcnt lgkmcnt(0)
	v_cndmask_b32_e32 v4, 0, v4, vcc_lo
	v_cmp_gt_u32_e32 vcc_lo, 4, v3
	s_delay_alu instid0(VALU_DEP_2) | instskip(SKIP_3) | instid1(VALU_DEP_1)
	v_add_nc_u32_e32 v1, v4, v1
	v_cndmask_b32_e64 v6, 0, 1, vcc_lo
	ds_bpermute_b32 v4, v5, v1
	v_add_nc_u32_e32 v5, 2, v3
	v_cmp_gt_u32_e32 vcc_lo, s2, v5
	v_lshlrev_b32_e32 v5, 2, v6
	s_delay_alu instid0(VALU_DEP_1) | instskip(SKIP_2) | instid1(VALU_DEP_1)
	v_add_lshl_u32 v2, v5, v2, 2
	s_waitcnt lgkmcnt(0)
	v_dual_cndmask_b32 v4, 0, v4 :: v_dual_add_nc_u32 v3, 4, v3
	v_add_nc_u32_e32 v1, v1, v4
	s_delay_alu instid0(VALU_DEP_2) | instskip(SKIP_3) | instid1(VALU_DEP_1)
	v_cmp_gt_u32_e32 vcc_lo, s2, v3
	ds_bpermute_b32 v2, v2, v1
	s_waitcnt lgkmcnt(0)
	v_cndmask_b32_e32 v2, 0, v2, vcc_lo
	v_add_nc_u32_e32 v1, v1, v2
.LBB98_92:
	s_or_b32 exec_lo, exec_lo, s3
	v_cmp_eq_u32_e64 s2, 0, v0
	s_and_b32 vcc_lo, exec_lo, s6
	s_cbranch_vccnz .LBB98_15
.LBB98_93:
	s_branch .LBB98_142
.LBB98_94:
	s_mov_b32 s3, -1
                                        ; implicit-def: $vgpr1
.LBB98_95:
	s_delay_alu instid0(SALU_CYCLE_1)
	s_and_b32 vcc_lo, exec_lo, s3
	s_cbranch_vccz .LBB98_133
; %bb.96:
	s_sub_i32 s25, s18, s2
	s_mov_b32 s2, exec_lo
                                        ; implicit-def: $vgpr1_vgpr2_vgpr3_vgpr4_vgpr5_vgpr6_vgpr7_vgpr8_vgpr9_vgpr10_vgpr11_vgpr12_vgpr13_vgpr14_vgpr15_vgpr16
	v_cmpx_gt_u32_e64 s25, v0
	s_cbranch_execz .LBB98_98
; %bb.97:
	v_lshlrev_b32_e32 v1, 2, v0
	global_load_b32 v1, v1, s[22:23]
.LBB98_98:
	s_or_b32 exec_lo, exec_lo, s2
	v_or_b32_e32 v17, 0x100, v0
	s_delay_alu instid0(VALU_DEP_1)
	v_cmp_gt_u32_e32 vcc_lo, s25, v17
	s_and_saveexec_b32 s2, vcc_lo
	s_cbranch_execz .LBB98_100
; %bb.99:
	v_lshlrev_b32_e32 v2, 2, v0
	global_load_b32 v2, v2, s[22:23] offset:1024
.LBB98_100:
	s_or_b32 exec_lo, exec_lo, s2
	v_or_b32_e32 v17, 0x200, v0
	s_delay_alu instid0(VALU_DEP_1) | instskip(NEXT) | instid1(VALU_DEP_1)
	v_cmp_gt_u32_e64 s2, s25, v17
	s_and_saveexec_b32 s3, s2
	s_cbranch_execz .LBB98_102
; %bb.101:
	v_lshlrev_b32_e32 v3, 2, v0
	global_load_b32 v3, v3, s[22:23] offset:2048
.LBB98_102:
	s_or_b32 exec_lo, exec_lo, s3
	v_or_b32_e32 v17, 0x300, v0
	s_delay_alu instid0(VALU_DEP_1) | instskip(NEXT) | instid1(VALU_DEP_1)
	v_cmp_gt_u32_e64 s3, s25, v17
	s_and_saveexec_b32 s4, s3
	;; [unrolled: 10-line block ×3, first 2 shown]
	s_cbranch_execz .LBB98_106
; %bb.105:
	v_lshlrev_b32_e32 v5, 2, v17
	global_load_b32 v5, v5, s[22:23]
.LBB98_106:
	s_or_b32 exec_lo, exec_lo, s5
	v_or_b32_e32 v17, 0x500, v0
	s_delay_alu instid0(VALU_DEP_1) | instskip(NEXT) | instid1(VALU_DEP_1)
	v_cmp_gt_u32_e64 s5, s25, v17
	s_and_saveexec_b32 s6, s5
	s_cbranch_execz .LBB98_108
; %bb.107:
	v_lshlrev_b32_e32 v6, 2, v17
	global_load_b32 v6, v6, s[22:23]
.LBB98_108:
	s_or_b32 exec_lo, exec_lo, s6
	v_or_b32_e32 v17, 0x600, v0
	s_delay_alu instid0(VALU_DEP_1) | instskip(NEXT) | instid1(VALU_DEP_1)
	v_cmp_gt_u32_e64 s6, s25, v17
	s_and_saveexec_b32 s7, s6
	;; [unrolled: 10-line block ×11, first 2 shown]
	s_cbranch_execz .LBB98_128
; %bb.127:
	v_lshlrev_b32_e32 v16, 2, v17
	global_load_b32 v16, v16, s[22:23]
.LBB98_128:
	s_or_b32 exec_lo, exec_lo, s26
	s_waitcnt vmcnt(0)
	v_cndmask_b32_e32 v2, 0, v2, vcc_lo
	v_cndmask_b32_e64 v3, 0, v3, s2
	v_cndmask_b32_e64 v4, 0, v4, s3
	s_min_u32 s2, s25, 0x100
	s_mov_b32 s3, exec_lo
	v_add_nc_u32_e32 v1, v2, v1
	v_cndmask_b32_e64 v2, 0, v5, s4
	v_cndmask_b32_e64 v5, 0, v6, s5
	;; [unrolled: 1-line block ×3, first 2 shown]
	s_delay_alu instid0(VALU_DEP_4) | instskip(SKIP_3) | instid1(VALU_DEP_4)
	v_add3_u32 v1, v1, v3, v4
	v_cndmask_b32_e64 v3, 0, v7, s6
	v_cndmask_b32_e64 v4, 0, v8, s7
	;; [unrolled: 1-line block ×3, first 2 shown]
	v_add3_u32 v1, v1, v2, v5
	v_cndmask_b32_e64 v2, 0, v9, s8
	v_cndmask_b32_e64 v5, 0, v10, s9
	s_delay_alu instid0(VALU_DEP_3) | instskip(SKIP_2) | instid1(VALU_DEP_3)
	v_add3_u32 v1, v1, v3, v4
	v_cndmask_b32_e64 v3, 0, v11, s10
	v_cndmask_b32_e64 v4, 0, v12, s11
	v_add3_u32 v1, v1, v2, v5
	v_mbcnt_lo_u32_b32 v2, -1, 0
	v_cndmask_b32_e64 v5, 0, v13, s12
	s_delay_alu instid0(VALU_DEP_3) | instskip(NEXT) | instid1(VALU_DEP_3)
	v_add3_u32 v1, v1, v3, v4
	v_cmp_ne_u32_e32 vcc_lo, 31, v2
	v_cndmask_b32_e64 v3, 0, v16, s15
	s_delay_alu instid0(VALU_DEP_3) | instskip(SKIP_3) | instid1(VALU_DEP_4)
	v_add3_u32 v1, v1, v5, v6
	v_add_co_ci_u32_e32 v4, vcc_lo, 0, v2, vcc_lo
	v_cmp_gt_u32_e32 vcc_lo, 30, v2
	v_add_nc_u32_e32 v6, 1, v2
	v_add3_u32 v1, v1, v7, v3
	s_delay_alu instid0(VALU_DEP_4) | instskip(SKIP_4) | instid1(VALU_DEP_2)
	v_lshlrev_b32_e32 v4, 2, v4
	v_cndmask_b32_e64 v5, 0, 1, vcc_lo
	ds_bpermute_b32 v3, v4, v1
	v_and_b32_e32 v4, 0xe0, v0
	v_lshlrev_b32_e32 v5, 1, v5
	v_sub_nc_u32_e64 v4, s2, v4 clamp
	s_delay_alu instid0(VALU_DEP_2) | instskip(NEXT) | instid1(VALU_DEP_2)
	v_add_lshl_u32 v5, v5, v2, 2
	v_cmp_lt_u32_e32 vcc_lo, v6, v4
	s_waitcnt lgkmcnt(0)
	v_dual_cndmask_b32 v3, 0, v3 :: v_dual_add_nc_u32 v6, 2, v2
	v_cmp_gt_u32_e32 vcc_lo, 28, v2
	s_delay_alu instid0(VALU_DEP_2) | instskip(SKIP_4) | instid1(VALU_DEP_3)
	v_add_nc_u32_e32 v1, v1, v3
	ds_bpermute_b32 v3, v5, v1
	v_cndmask_b32_e64 v5, 0, 1, vcc_lo
	v_cmp_lt_u32_e32 vcc_lo, v6, v4
	v_add_nc_u32_e32 v6, 4, v2
	v_lshlrev_b32_e32 v5, 2, v5
	s_delay_alu instid0(VALU_DEP_1) | instskip(SKIP_3) | instid1(VALU_DEP_2)
	v_add_lshl_u32 v5, v5, v2, 2
	s_waitcnt lgkmcnt(0)
	v_cndmask_b32_e32 v3, 0, v3, vcc_lo
	v_cmp_gt_u32_e32 vcc_lo, 24, v2
	v_add_nc_u32_e32 v1, v1, v3
	ds_bpermute_b32 v3, v5, v1
	v_cndmask_b32_e64 v5, 0, 1, vcc_lo
	v_cmp_lt_u32_e32 vcc_lo, v6, v4
	v_add_nc_u32_e32 v6, 8, v2
	s_delay_alu instid0(VALU_DEP_3) | instskip(NEXT) | instid1(VALU_DEP_1)
	v_lshlrev_b32_e32 v5, 3, v5
	v_add_lshl_u32 v5, v5, v2, 2
	s_waitcnt lgkmcnt(0)
	v_cndmask_b32_e32 v3, 0, v3, vcc_lo
	v_cmp_gt_u32_e32 vcc_lo, 16, v2
	s_delay_alu instid0(VALU_DEP_2) | instskip(SKIP_3) | instid1(VALU_DEP_2)
	v_add_nc_u32_e32 v1, v1, v3
	ds_bpermute_b32 v3, v5, v1
	v_cndmask_b32_e64 v5, 0, 1, vcc_lo
	v_cmp_lt_u32_e32 vcc_lo, v6, v4
	v_lshlrev_b32_e32 v5, 4, v5
	s_delay_alu instid0(VALU_DEP_1) | instskip(SKIP_2) | instid1(VALU_DEP_1)
	v_add_lshl_u32 v5, v5, v2, 2
	s_waitcnt lgkmcnt(0)
	v_cndmask_b32_e32 v3, 0, v3, vcc_lo
	v_add_nc_u32_e32 v1, v1, v3
	ds_bpermute_b32 v3, v5, v1
	v_add_nc_u32_e32 v5, 16, v2
	s_delay_alu instid0(VALU_DEP_1) | instskip(SKIP_2) | instid1(VALU_DEP_1)
	v_cmp_lt_u32_e32 vcc_lo, v5, v4
	s_waitcnt lgkmcnt(0)
	v_cndmask_b32_e32 v3, 0, v3, vcc_lo
	v_add_nc_u32_e32 v1, v1, v3
	v_cmpx_eq_u32_e32 0, v2
	s_cbranch_execz .LBB98_130
; %bb.129:
	v_lshrrev_b32_e32 v3, 3, v0
	s_delay_alu instid0(VALU_DEP_1)
	v_and_b32_e32 v3, 28, v3
	ds_store_b32 v3, v1 offset:192
.LBB98_130:
	s_or_b32 exec_lo, exec_lo, s3
	s_delay_alu instid0(SALU_CYCLE_1)
	s_mov_b32 s3, exec_lo
	s_waitcnt lgkmcnt(0)
	s_barrier
	buffer_gl0_inv
	v_cmpx_gt_u32_e32 8, v0
	s_cbranch_execz .LBB98_132
; %bb.131:
	v_and_b32_e32 v3, 7, v2
	s_add_i32 s2, s2, 31
	s_delay_alu instid0(SALU_CYCLE_1) | instskip(NEXT) | instid1(VALU_DEP_1)
	s_lshr_b32 s2, s2, 5
	v_cmp_ne_u32_e32 vcc_lo, 7, v3
	v_add_nc_u32_e32 v6, 1, v3
	v_add_co_ci_u32_e32 v4, vcc_lo, 0, v2, vcc_lo
	v_cmp_gt_u32_e32 vcc_lo, 6, v3
	s_delay_alu instid0(VALU_DEP_2) | instskip(SKIP_3) | instid1(VALU_DEP_3)
	v_lshlrev_b32_e32 v4, 2, v4
	v_cndmask_b32_e64 v5, 0, 1, vcc_lo
	v_cmp_gt_u32_e32 vcc_lo, s2, v6
	v_lshlrev_b32_e32 v1, 2, v2
	v_lshlrev_b32_e32 v5, 1, v5
	ds_load_b32 v1, v1 offset:192
	v_add_lshl_u32 v5, v5, v2, 2
	s_waitcnt lgkmcnt(0)
	ds_bpermute_b32 v4, v4, v1
	s_waitcnt lgkmcnt(0)
	v_cndmask_b32_e32 v4, 0, v4, vcc_lo
	v_cmp_gt_u32_e32 vcc_lo, 4, v3
	s_delay_alu instid0(VALU_DEP_2) | instskip(SKIP_3) | instid1(VALU_DEP_1)
	v_add_nc_u32_e32 v1, v4, v1
	v_cndmask_b32_e64 v6, 0, 1, vcc_lo
	ds_bpermute_b32 v4, v5, v1
	v_add_nc_u32_e32 v5, 2, v3
	v_cmp_gt_u32_e32 vcc_lo, s2, v5
	v_lshlrev_b32_e32 v5, 2, v6
	s_delay_alu instid0(VALU_DEP_1) | instskip(SKIP_2) | instid1(VALU_DEP_1)
	v_add_lshl_u32 v2, v5, v2, 2
	s_waitcnt lgkmcnt(0)
	v_dual_cndmask_b32 v4, 0, v4 :: v_dual_add_nc_u32 v3, 4, v3
	v_add_nc_u32_e32 v1, v1, v4
	s_delay_alu instid0(VALU_DEP_2) | instskip(SKIP_3) | instid1(VALU_DEP_1)
	v_cmp_gt_u32_e32 vcc_lo, s2, v3
	ds_bpermute_b32 v2, v2, v1
	s_waitcnt lgkmcnt(0)
	v_cndmask_b32_e32 v2, 0, v2, vcc_lo
	v_add_nc_u32_e32 v1, v1, v2
.LBB98_132:
	s_or_b32 exec_lo, exec_lo, s3
.LBB98_133:
	v_cmp_eq_u32_e64 s2, 0, v0
	s_branch .LBB98_142
.LBB98_134:
	s_cmp_eq_u32 s24, 8
	s_cbranch_scc0 .LBB98_141
; %bb.135:
	s_mov_b32 s21, 0
	s_lshl_b32 s2, s20, 11
	s_mov_b32 s3, s21
	s_lshr_b64 s[6:7], s[18:19], 11
	s_lshl_b64 s[4:5], s[2:3], 2
	s_delay_alu instid0(SALU_CYCLE_1)
	s_add_u32 s8, s16, s4
	s_addc_u32 s9, s17, s5
	s_cmp_lg_u64 s[6:7], s[20:21]
	s_cbranch_scc0 .LBB98_143
; %bb.136:
	v_lshlrev_b32_e32 v3, 2, v0
	s_clause 0x1
	global_load_b32 v4, v3, s[8:9]
	global_load_b32 v5, v3, s[8:9] offset:1024
	v_add_co_u32 v1, s3, s8, v3
	s_delay_alu instid0(VALU_DEP_1) | instskip(SKIP_1) | instid1(VALU_DEP_2)
	v_add_co_ci_u32_e64 v2, null, s9, 0, s3
	s_mov_b32 s3, exec_lo
	v_add_co_u32 v1, vcc_lo, 0x1000, v1
	s_delay_alu instid0(VALU_DEP_2)
	v_add_co_ci_u32_e32 v2, vcc_lo, 0, v2, vcc_lo
	s_clause 0x5
	global_load_b32 v6, v3, s[8:9] offset:2048
	global_load_b32 v3, v3, s[8:9] offset:3072
	global_load_b32 v7, v[1:2], off
	global_load_b32 v8, v[1:2], off offset:1024
	global_load_b32 v9, v[1:2], off offset:2048
	;; [unrolled: 1-line block ×3, first 2 shown]
	s_waitcnt vmcnt(6)
	v_add_nc_u32_e32 v2, v5, v4
	s_waitcnt vmcnt(4)
	s_delay_alu instid0(VALU_DEP_1) | instskip(SKIP_2) | instid1(VALU_DEP_2)
	v_add3_u32 v2, v2, v6, v3
	v_mov_b32_e32 v3, 0
	s_waitcnt vmcnt(2)
	v_add3_u32 v2, v2, v7, v8
	s_waitcnt vmcnt(0)
	s_delay_alu instid0(VALU_DEP_1) | instskip(NEXT) | instid1(VALU_DEP_1)
	v_add3_u32 v1, v2, v9, v1
	v_mov_b32_dpp v2, v1 quad_perm:[1,0,3,2] row_mask:0xf bank_mask:0xf
	s_delay_alu instid0(VALU_DEP_1) | instskip(NEXT) | instid1(VALU_DEP_1)
	v_add_nc_u32_e32 v1, v2, v1
	v_mov_b32_dpp v2, v1 quad_perm:[2,3,0,1] row_mask:0xf bank_mask:0xf
	s_delay_alu instid0(VALU_DEP_1) | instskip(NEXT) | instid1(VALU_DEP_1)
	v_add_nc_u32_e32 v1, v1, v2
	v_mov_b32_dpp v2, v1 row_ror:4 row_mask:0xf bank_mask:0xf
	s_delay_alu instid0(VALU_DEP_1) | instskip(NEXT) | instid1(VALU_DEP_1)
	v_add_nc_u32_e32 v1, v1, v2
	v_mov_b32_dpp v2, v1 row_ror:8 row_mask:0xf bank_mask:0xf
	s_delay_alu instid0(VALU_DEP_1)
	v_add_nc_u32_e32 v1, v1, v2
	ds_swizzle_b32 v2, v1 offset:swizzle(BROADCAST,32,15)
	s_waitcnt lgkmcnt(0)
	v_add_nc_u32_e32 v1, v1, v2
	v_mbcnt_lo_u32_b32 v2, -1, 0
	ds_bpermute_b32 v1, v3, v1 offset:124
	v_cmpx_eq_u32_e32 0, v2
	s_cbranch_execz .LBB98_138
; %bb.137:
	v_lshrrev_b32_e32 v3, 3, v0
	s_delay_alu instid0(VALU_DEP_1)
	v_and_b32_e32 v3, 28, v3
	s_waitcnt lgkmcnt(0)
	ds_store_b32 v3, v1 offset:160
.LBB98_138:
	s_or_b32 exec_lo, exec_lo, s3
	s_delay_alu instid0(SALU_CYCLE_1)
	s_mov_b32 s3, exec_lo
	s_waitcnt lgkmcnt(0)
	s_barrier
	buffer_gl0_inv
	v_cmpx_gt_u32_e32 32, v0
	s_cbranch_execz .LBB98_140
; %bb.139:
	v_and_b32_e32 v1, 7, v2
	s_delay_alu instid0(VALU_DEP_1) | instskip(SKIP_4) | instid1(VALU_DEP_2)
	v_lshlrev_b32_e32 v3, 2, v1
	v_cmp_ne_u32_e32 vcc_lo, 7, v1
	ds_load_b32 v3, v3 offset:160
	v_add_co_ci_u32_e32 v4, vcc_lo, 0, v2, vcc_lo
	v_cmp_gt_u32_e32 vcc_lo, 6, v1
	v_lshlrev_b32_e32 v4, 2, v4
	v_cndmask_b32_e64 v5, 0, 1, vcc_lo
	v_cmp_gt_u32_e32 vcc_lo, 4, v1
	s_delay_alu instid0(VALU_DEP_2) | instskip(SKIP_1) | instid1(VALU_DEP_2)
	v_lshlrev_b32_e32 v5, 1, v5
	v_cndmask_b32_e64 v1, 0, 1, vcc_lo
	v_add_lshl_u32 v5, v5, v2, 2
	s_delay_alu instid0(VALU_DEP_2)
	v_lshlrev_b32_e32 v1, 2, v1
	s_waitcnt lgkmcnt(0)
	ds_bpermute_b32 v4, v4, v3
	v_add_lshl_u32 v1, v1, v2, 2
	s_waitcnt lgkmcnt(0)
	v_add_nc_u32_e32 v3, v4, v3
	ds_bpermute_b32 v4, v5, v3
	s_waitcnt lgkmcnt(0)
	v_add_nc_u32_e32 v3, v4, v3
	ds_bpermute_b32 v1, v1, v3
	s_waitcnt lgkmcnt(0)
	v_add_nc_u32_e32 v1, v1, v3
.LBB98_140:
	s_or_b32 exec_lo, exec_lo, s3
	s_branch .LBB98_165
.LBB98_141:
                                        ; implicit-def: $vgpr1
.LBB98_142:
	s_branch .LBB98_224
.LBB98_143:
                                        ; implicit-def: $vgpr1
	s_cbranch_execz .LBB98_165
; %bb.144:
	s_sub_i32 s10, s18, s2
	s_mov_b32 s2, exec_lo
                                        ; implicit-def: $vgpr1_vgpr2_vgpr3_vgpr4_vgpr5_vgpr6_vgpr7_vgpr8
	v_cmpx_gt_u32_e64 s10, v0
	s_cbranch_execz .LBB98_146
; %bb.145:
	v_lshlrev_b32_e32 v1, 2, v0
	global_load_b32 v1, v1, s[8:9]
.LBB98_146:
	s_or_b32 exec_lo, exec_lo, s2
	v_or_b32_e32 v9, 0x100, v0
	s_delay_alu instid0(VALU_DEP_1)
	v_cmp_gt_u32_e32 vcc_lo, s10, v9
	s_and_saveexec_b32 s2, vcc_lo
	s_cbranch_execz .LBB98_148
; %bb.147:
	v_lshlrev_b32_e32 v2, 2, v0
	global_load_b32 v2, v2, s[8:9] offset:1024
.LBB98_148:
	s_or_b32 exec_lo, exec_lo, s2
	v_or_b32_e32 v9, 0x200, v0
	s_delay_alu instid0(VALU_DEP_1) | instskip(NEXT) | instid1(VALU_DEP_1)
	v_cmp_gt_u32_e64 s2, s10, v9
	s_and_saveexec_b32 s3, s2
	s_cbranch_execz .LBB98_150
; %bb.149:
	v_lshlrev_b32_e32 v3, 2, v0
	global_load_b32 v3, v3, s[8:9] offset:2048
.LBB98_150:
	s_or_b32 exec_lo, exec_lo, s3
	v_or_b32_e32 v9, 0x300, v0
	s_delay_alu instid0(VALU_DEP_1) | instskip(NEXT) | instid1(VALU_DEP_1)
	v_cmp_gt_u32_e64 s3, s10, v9
	s_and_saveexec_b32 s4, s3
	;; [unrolled: 10-line block ×3, first 2 shown]
	s_cbranch_execz .LBB98_154
; %bb.153:
	v_lshlrev_b32_e32 v5, 2, v9
	global_load_b32 v5, v5, s[8:9]
.LBB98_154:
	s_or_b32 exec_lo, exec_lo, s5
	v_or_b32_e32 v9, 0x500, v0
	s_delay_alu instid0(VALU_DEP_1) | instskip(NEXT) | instid1(VALU_DEP_1)
	v_cmp_gt_u32_e64 s5, s10, v9
	s_and_saveexec_b32 s6, s5
	s_cbranch_execz .LBB98_156
; %bb.155:
	v_lshlrev_b32_e32 v6, 2, v9
	global_load_b32 v6, v6, s[8:9]
.LBB98_156:
	s_or_b32 exec_lo, exec_lo, s6
	v_or_b32_e32 v9, 0x600, v0
	s_delay_alu instid0(VALU_DEP_1) | instskip(NEXT) | instid1(VALU_DEP_1)
	v_cmp_gt_u32_e64 s6, s10, v9
	s_and_saveexec_b32 s7, s6
	;; [unrolled: 10-line block ×3, first 2 shown]
	s_cbranch_execz .LBB98_160
; %bb.159:
	v_lshlrev_b32_e32 v8, 2, v9
	global_load_b32 v8, v8, s[8:9]
.LBB98_160:
	s_or_b32 exec_lo, exec_lo, s11
	s_waitcnt vmcnt(0)
	v_cndmask_b32_e32 v2, 0, v2, vcc_lo
	v_cndmask_b32_e64 v3, 0, v3, s2
	v_cndmask_b32_e64 v4, 0, v4, s3
	;; [unrolled: 1-line block ×4, first 2 shown]
	v_add_nc_u32_e32 v1, v2, v1
	v_mbcnt_lo_u32_b32 v2, -1, 0
	v_cndmask_b32_e64 v7, 0, v7, s6
	s_min_u32 s2, s10, 0x100
	s_mov_b32 s3, exec_lo
	v_add3_u32 v1, v1, v3, v4
	v_cmp_ne_u32_e32 vcc_lo, 31, v2
	v_cndmask_b32_e64 v3, 0, v8, s7
	s_delay_alu instid0(VALU_DEP_3) | instskip(SKIP_3) | instid1(VALU_DEP_4)
	v_add3_u32 v1, v1, v5, v6
	v_add_co_ci_u32_e32 v4, vcc_lo, 0, v2, vcc_lo
	v_cmp_gt_u32_e32 vcc_lo, 30, v2
	v_add_nc_u32_e32 v6, 1, v2
	v_add3_u32 v1, v1, v7, v3
	s_delay_alu instid0(VALU_DEP_4) | instskip(SKIP_4) | instid1(VALU_DEP_2)
	v_lshlrev_b32_e32 v4, 2, v4
	v_cndmask_b32_e64 v5, 0, 1, vcc_lo
	ds_bpermute_b32 v3, v4, v1
	v_and_b32_e32 v4, 0xe0, v0
	v_lshlrev_b32_e32 v5, 1, v5
	v_sub_nc_u32_e64 v4, s2, v4 clamp
	s_delay_alu instid0(VALU_DEP_2) | instskip(NEXT) | instid1(VALU_DEP_2)
	v_add_lshl_u32 v5, v5, v2, 2
	v_cmp_lt_u32_e32 vcc_lo, v6, v4
	s_waitcnt lgkmcnt(0)
	v_dual_cndmask_b32 v3, 0, v3 :: v_dual_add_nc_u32 v6, 2, v2
	v_cmp_gt_u32_e32 vcc_lo, 28, v2
	s_delay_alu instid0(VALU_DEP_2) | instskip(SKIP_4) | instid1(VALU_DEP_3)
	v_add_nc_u32_e32 v1, v1, v3
	ds_bpermute_b32 v3, v5, v1
	v_cndmask_b32_e64 v5, 0, 1, vcc_lo
	v_cmp_lt_u32_e32 vcc_lo, v6, v4
	v_add_nc_u32_e32 v6, 4, v2
	v_lshlrev_b32_e32 v5, 2, v5
	s_delay_alu instid0(VALU_DEP_1) | instskip(SKIP_3) | instid1(VALU_DEP_2)
	v_add_lshl_u32 v5, v5, v2, 2
	s_waitcnt lgkmcnt(0)
	v_cndmask_b32_e32 v3, 0, v3, vcc_lo
	v_cmp_gt_u32_e32 vcc_lo, 24, v2
	v_add_nc_u32_e32 v1, v1, v3
	ds_bpermute_b32 v3, v5, v1
	v_cndmask_b32_e64 v5, 0, 1, vcc_lo
	v_cmp_lt_u32_e32 vcc_lo, v6, v4
	v_add_nc_u32_e32 v6, 8, v2
	s_delay_alu instid0(VALU_DEP_3) | instskip(NEXT) | instid1(VALU_DEP_1)
	v_lshlrev_b32_e32 v5, 3, v5
	v_add_lshl_u32 v5, v5, v2, 2
	s_waitcnt lgkmcnt(0)
	v_cndmask_b32_e32 v3, 0, v3, vcc_lo
	v_cmp_gt_u32_e32 vcc_lo, 16, v2
	s_delay_alu instid0(VALU_DEP_2) | instskip(SKIP_3) | instid1(VALU_DEP_2)
	v_add_nc_u32_e32 v1, v1, v3
	ds_bpermute_b32 v3, v5, v1
	v_cndmask_b32_e64 v5, 0, 1, vcc_lo
	v_cmp_lt_u32_e32 vcc_lo, v6, v4
	v_lshlrev_b32_e32 v5, 4, v5
	s_delay_alu instid0(VALU_DEP_1) | instskip(SKIP_2) | instid1(VALU_DEP_1)
	v_add_lshl_u32 v5, v5, v2, 2
	s_waitcnt lgkmcnt(0)
	v_cndmask_b32_e32 v3, 0, v3, vcc_lo
	v_add_nc_u32_e32 v1, v1, v3
	ds_bpermute_b32 v3, v5, v1
	v_add_nc_u32_e32 v5, 16, v2
	s_delay_alu instid0(VALU_DEP_1) | instskip(SKIP_2) | instid1(VALU_DEP_1)
	v_cmp_lt_u32_e32 vcc_lo, v5, v4
	s_waitcnt lgkmcnt(0)
	v_cndmask_b32_e32 v3, 0, v3, vcc_lo
	v_add_nc_u32_e32 v1, v1, v3
	v_cmpx_eq_u32_e32 0, v2
	s_cbranch_execz .LBB98_162
; %bb.161:
	v_lshrrev_b32_e32 v3, 3, v0
	s_delay_alu instid0(VALU_DEP_1)
	v_and_b32_e32 v3, 28, v3
	ds_store_b32 v3, v1 offset:192
.LBB98_162:
	s_or_b32 exec_lo, exec_lo, s3
	s_delay_alu instid0(SALU_CYCLE_1)
	s_mov_b32 s3, exec_lo
	s_waitcnt lgkmcnt(0)
	s_barrier
	buffer_gl0_inv
	v_cmpx_gt_u32_e32 8, v0
	s_cbranch_execz .LBB98_164
; %bb.163:
	v_and_b32_e32 v3, 7, v2
	s_add_i32 s2, s2, 31
	s_delay_alu instid0(SALU_CYCLE_1) | instskip(NEXT) | instid1(VALU_DEP_1)
	s_lshr_b32 s2, s2, 5
	v_cmp_ne_u32_e32 vcc_lo, 7, v3
	v_add_nc_u32_e32 v6, 1, v3
	v_add_co_ci_u32_e32 v4, vcc_lo, 0, v2, vcc_lo
	v_cmp_gt_u32_e32 vcc_lo, 6, v3
	s_delay_alu instid0(VALU_DEP_2) | instskip(SKIP_3) | instid1(VALU_DEP_3)
	v_lshlrev_b32_e32 v4, 2, v4
	v_cndmask_b32_e64 v5, 0, 1, vcc_lo
	v_cmp_gt_u32_e32 vcc_lo, s2, v6
	v_lshlrev_b32_e32 v1, 2, v2
	v_lshlrev_b32_e32 v5, 1, v5
	ds_load_b32 v1, v1 offset:192
	v_add_lshl_u32 v5, v5, v2, 2
	s_waitcnt lgkmcnt(0)
	ds_bpermute_b32 v4, v4, v1
	s_waitcnt lgkmcnt(0)
	v_cndmask_b32_e32 v4, 0, v4, vcc_lo
	v_cmp_gt_u32_e32 vcc_lo, 4, v3
	s_delay_alu instid0(VALU_DEP_2) | instskip(SKIP_3) | instid1(VALU_DEP_1)
	v_add_nc_u32_e32 v1, v4, v1
	v_cndmask_b32_e64 v6, 0, 1, vcc_lo
	ds_bpermute_b32 v4, v5, v1
	v_add_nc_u32_e32 v5, 2, v3
	v_cmp_gt_u32_e32 vcc_lo, s2, v5
	v_lshlrev_b32_e32 v5, 2, v6
	s_delay_alu instid0(VALU_DEP_1) | instskip(SKIP_2) | instid1(VALU_DEP_1)
	v_add_lshl_u32 v2, v5, v2, 2
	s_waitcnt lgkmcnt(0)
	v_dual_cndmask_b32 v4, 0, v4 :: v_dual_add_nc_u32 v3, 4, v3
	v_add_nc_u32_e32 v1, v1, v4
	s_delay_alu instid0(VALU_DEP_2) | instskip(SKIP_3) | instid1(VALU_DEP_1)
	v_cmp_gt_u32_e32 vcc_lo, s2, v3
	ds_bpermute_b32 v2, v2, v1
	s_waitcnt lgkmcnt(0)
	v_cndmask_b32_e32 v2, 0, v2, vcc_lo
	v_add_nc_u32_e32 v1, v1, v2
.LBB98_164:
	s_or_b32 exec_lo, exec_lo, s3
.LBB98_165:
	v_cmp_eq_u32_e64 s2, 0, v0
	s_branch .LBB98_224
.LBB98_166:
	s_cmp_gt_i32 s24, 1
	s_cbranch_scc0 .LBB98_175
; %bb.167:
	s_cmp_gt_i32 s24, 3
	s_cbranch_scc0 .LBB98_176
; %bb.168:
	s_cmp_eq_u32 s24, 4
	s_cbranch_scc0 .LBB98_177
; %bb.169:
	s_mov_b32 s21, 0
	s_lshl_b32 s2, s20, 10
	s_mov_b32 s3, s21
	s_lshr_b64 s[6:7], s[18:19], 10
	s_lshl_b64 s[4:5], s[2:3], 2
	s_delay_alu instid0(SALU_CYCLE_1)
	s_add_u32 s4, s16, s4
	s_addc_u32 s5, s17, s5
	s_cmp_lg_u64 s[6:7], s[20:21]
	s_cbranch_scc0 .LBB98_179
; %bb.170:
	v_lshlrev_b32_e32 v1, 2, v0
	s_mov_b32 s3, exec_lo
	s_clause 0x3
	global_load_b32 v2, v1, s[4:5]
	global_load_b32 v3, v1, s[4:5] offset:1024
	global_load_b32 v4, v1, s[4:5] offset:2048
	;; [unrolled: 1-line block ×3, first 2 shown]
	s_waitcnt vmcnt(2)
	v_add_nc_u32_e32 v2, v3, v2
	s_waitcnt vmcnt(0)
	s_delay_alu instid0(VALU_DEP_1) | instskip(NEXT) | instid1(VALU_DEP_1)
	v_add3_u32 v1, v2, v4, v1
	v_mov_b32_dpp v2, v1 quad_perm:[1,0,3,2] row_mask:0xf bank_mask:0xf
	s_delay_alu instid0(VALU_DEP_1) | instskip(NEXT) | instid1(VALU_DEP_1)
	v_add_nc_u32_e32 v1, v2, v1
	v_mov_b32_dpp v2, v1 quad_perm:[2,3,0,1] row_mask:0xf bank_mask:0xf
	s_delay_alu instid0(VALU_DEP_1) | instskip(NEXT) | instid1(VALU_DEP_1)
	v_add_nc_u32_e32 v1, v1, v2
	v_mov_b32_dpp v2, v1 row_ror:4 row_mask:0xf bank_mask:0xf
	s_delay_alu instid0(VALU_DEP_1) | instskip(NEXT) | instid1(VALU_DEP_1)
	v_add_nc_u32_e32 v1, v1, v2
	v_mov_b32_dpp v2, v1 row_ror:8 row_mask:0xf bank_mask:0xf
	s_delay_alu instid0(VALU_DEP_1)
	v_add_nc_u32_e32 v1, v1, v2
	ds_swizzle_b32 v2, v1 offset:swizzle(BROADCAST,32,15)
	s_waitcnt lgkmcnt(0)
	v_dual_mov_b32 v2, 0 :: v_dual_add_nc_u32 v1, v1, v2
	ds_bpermute_b32 v1, v2, v1 offset:124
	v_mbcnt_lo_u32_b32 v2, -1, 0
	s_delay_alu instid0(VALU_DEP_1)
	v_cmpx_eq_u32_e32 0, v2
	s_cbranch_execz .LBB98_172
; %bb.171:
	v_lshrrev_b32_e32 v3, 3, v0
	s_delay_alu instid0(VALU_DEP_1)
	v_and_b32_e32 v3, 28, v3
	s_waitcnt lgkmcnt(0)
	ds_store_b32 v3, v1 offset:128
.LBB98_172:
	s_or_b32 exec_lo, exec_lo, s3
	s_delay_alu instid0(SALU_CYCLE_1)
	s_mov_b32 s3, exec_lo
	s_waitcnt lgkmcnt(0)
	s_barrier
	buffer_gl0_inv
	v_cmpx_gt_u32_e32 32, v0
	s_cbranch_execz .LBB98_174
; %bb.173:
	v_and_b32_e32 v1, 7, v2
	s_delay_alu instid0(VALU_DEP_1) | instskip(SKIP_4) | instid1(VALU_DEP_2)
	v_lshlrev_b32_e32 v3, 2, v1
	v_cmp_ne_u32_e32 vcc_lo, 7, v1
	ds_load_b32 v3, v3 offset:128
	v_add_co_ci_u32_e32 v4, vcc_lo, 0, v2, vcc_lo
	v_cmp_gt_u32_e32 vcc_lo, 6, v1
	v_lshlrev_b32_e32 v4, 2, v4
	v_cndmask_b32_e64 v5, 0, 1, vcc_lo
	v_cmp_gt_u32_e32 vcc_lo, 4, v1
	s_delay_alu instid0(VALU_DEP_2) | instskip(SKIP_1) | instid1(VALU_DEP_2)
	v_lshlrev_b32_e32 v5, 1, v5
	v_cndmask_b32_e64 v1, 0, 1, vcc_lo
	v_add_lshl_u32 v5, v5, v2, 2
	s_delay_alu instid0(VALU_DEP_2)
	v_lshlrev_b32_e32 v1, 2, v1
	s_waitcnt lgkmcnt(0)
	ds_bpermute_b32 v4, v4, v3
	v_add_lshl_u32 v1, v1, v2, 2
	s_waitcnt lgkmcnt(0)
	v_add_nc_u32_e32 v3, v4, v3
	ds_bpermute_b32 v4, v5, v3
	s_waitcnt lgkmcnt(0)
	v_add_nc_u32_e32 v3, v4, v3
	ds_bpermute_b32 v1, v1, v3
	s_waitcnt lgkmcnt(0)
	v_add_nc_u32_e32 v1, v1, v3
.LBB98_174:
	s_or_b32 exec_lo, exec_lo, s3
	s_mov_b32 s3, 0
	s_branch .LBB98_180
.LBB98_175:
                                        ; implicit-def: $vgpr1
	s_cbranch_execnz .LBB98_215
	s_branch .LBB98_224
.LBB98_176:
                                        ; implicit-def: $vgpr1
	s_cbranch_execz .LBB98_178
	s_branch .LBB98_195
.LBB98_177:
                                        ; implicit-def: $vgpr1
.LBB98_178:
	s_branch .LBB98_224
.LBB98_179:
	s_mov_b32 s3, -1
                                        ; implicit-def: $vgpr1
.LBB98_180:
	s_delay_alu instid0(SALU_CYCLE_1)
	s_and_b32 vcc_lo, exec_lo, s3
	s_cbranch_vccz .LBB98_194
; %bb.181:
	s_sub_i32 s6, s18, s2
	s_mov_b32 s2, exec_lo
                                        ; implicit-def: $vgpr1_vgpr2_vgpr3_vgpr4
	v_cmpx_gt_u32_e64 s6, v0
	s_cbranch_execz .LBB98_183
; %bb.182:
	v_lshlrev_b32_e32 v1, 2, v0
	global_load_b32 v1, v1, s[4:5]
.LBB98_183:
	s_or_b32 exec_lo, exec_lo, s2
	v_or_b32_e32 v5, 0x100, v0
	s_delay_alu instid0(VALU_DEP_1)
	v_cmp_gt_u32_e32 vcc_lo, s6, v5
	s_and_saveexec_b32 s2, vcc_lo
	s_cbranch_execz .LBB98_185
; %bb.184:
	v_lshlrev_b32_e32 v2, 2, v0
	global_load_b32 v2, v2, s[4:5] offset:1024
.LBB98_185:
	s_or_b32 exec_lo, exec_lo, s2
	v_or_b32_e32 v5, 0x200, v0
	s_delay_alu instid0(VALU_DEP_1) | instskip(NEXT) | instid1(VALU_DEP_1)
	v_cmp_gt_u32_e64 s2, s6, v5
	s_and_saveexec_b32 s3, s2
	s_cbranch_execz .LBB98_187
; %bb.186:
	v_lshlrev_b32_e32 v3, 2, v0
	global_load_b32 v3, v3, s[4:5] offset:2048
.LBB98_187:
	s_or_b32 exec_lo, exec_lo, s3
	v_or_b32_e32 v5, 0x300, v0
	s_delay_alu instid0(VALU_DEP_1) | instskip(NEXT) | instid1(VALU_DEP_1)
	v_cmp_gt_u32_e64 s3, s6, v5
	s_and_saveexec_b32 s7, s3
	s_cbranch_execz .LBB98_189
; %bb.188:
	v_lshlrev_b32_e32 v4, 2, v0
	global_load_b32 v4, v4, s[4:5] offset:3072
.LBB98_189:
	s_or_b32 exec_lo, exec_lo, s7
	s_waitcnt vmcnt(0)
	v_cndmask_b32_e32 v5, 0, v2, vcc_lo
	v_mbcnt_lo_u32_b32 v2, -1, 0
	v_cndmask_b32_e64 v3, 0, v3, s2
	v_cndmask_b32_e64 v4, 0, v4, s3
	s_min_u32 s2, s6, 0x100
	v_add_nc_u32_e32 v1, v5, v1
	v_cmp_ne_u32_e32 vcc_lo, 31, v2
	s_mov_b32 s3, exec_lo
	s_delay_alu instid0(VALU_DEP_2) | instskip(SKIP_3) | instid1(VALU_DEP_3)
	v_add3_u32 v1, v1, v3, v4
	v_and_b32_e32 v4, 0xe0, v0
	v_add_co_ci_u32_e32 v5, vcc_lo, 0, v2, vcc_lo
	v_cmp_gt_u32_e32 vcc_lo, 30, v2
	v_sub_nc_u32_e64 v4, s2, v4 clamp
	s_delay_alu instid0(VALU_DEP_3) | instskip(SKIP_4) | instid1(VALU_DEP_2)
	v_lshlrev_b32_e32 v3, 2, v5
	v_cndmask_b32_e64 v5, 0, 1, vcc_lo
	ds_bpermute_b32 v3, v3, v1
	v_add_nc_u32_e32 v6, 1, v2
	v_lshlrev_b32_e32 v5, 1, v5
	v_cmp_lt_u32_e32 vcc_lo, v6, v4
	s_delay_alu instid0(VALU_DEP_2) | instskip(SKIP_3) | instid1(VALU_DEP_2)
	v_add_lshl_u32 v5, v5, v2, 2
	s_waitcnt lgkmcnt(0)
	v_cndmask_b32_e32 v3, 0, v3, vcc_lo
	v_cmp_gt_u32_e32 vcc_lo, 28, v2
	v_add_nc_u32_e32 v1, v3, v1
	ds_bpermute_b32 v3, v5, v1
	v_add_nc_u32_e32 v6, 2, v2
	v_cndmask_b32_e64 v5, 0, 1, vcc_lo
	s_delay_alu instid0(VALU_DEP_2) | instskip(NEXT) | instid1(VALU_DEP_2)
	v_cmp_lt_u32_e32 vcc_lo, v6, v4
	v_lshlrev_b32_e32 v5, 2, v5
	s_delay_alu instid0(VALU_DEP_1) | instskip(SKIP_3) | instid1(VALU_DEP_2)
	v_add_lshl_u32 v5, v5, v2, 2
	s_waitcnt lgkmcnt(0)
	v_cndmask_b32_e32 v3, 0, v3, vcc_lo
	v_cmp_gt_u32_e32 vcc_lo, 24, v2
	v_add_nc_u32_e32 v1, v1, v3
	ds_bpermute_b32 v3, v5, v1
	v_add_nc_u32_e32 v6, 4, v2
	v_cndmask_b32_e64 v5, 0, 1, vcc_lo
	s_delay_alu instid0(VALU_DEP_2) | instskip(NEXT) | instid1(VALU_DEP_2)
	v_cmp_lt_u32_e32 vcc_lo, v6, v4
	v_lshlrev_b32_e32 v5, 3, v5
	s_delay_alu instid0(VALU_DEP_1) | instskip(SKIP_3) | instid1(VALU_DEP_2)
	v_add_lshl_u32 v5, v5, v2, 2
	s_waitcnt lgkmcnt(0)
	v_cndmask_b32_e32 v3, 0, v3, vcc_lo
	v_cmp_gt_u32_e32 vcc_lo, 16, v2
	v_add_nc_u32_e32 v1, v1, v3
	ds_bpermute_b32 v3, v5, v1
	v_add_nc_u32_e32 v6, 8, v2
	v_cndmask_b32_e64 v5, 0, 1, vcc_lo
	s_delay_alu instid0(VALU_DEP_2) | instskip(NEXT) | instid1(VALU_DEP_2)
	v_cmp_lt_u32_e32 vcc_lo, v6, v4
	v_lshlrev_b32_e32 v5, 4, v5
	s_delay_alu instid0(VALU_DEP_1) | instskip(SKIP_2) | instid1(VALU_DEP_1)
	v_add_lshl_u32 v5, v5, v2, 2
	s_waitcnt lgkmcnt(0)
	v_cndmask_b32_e32 v3, 0, v3, vcc_lo
	v_add_nc_u32_e32 v1, v1, v3
	ds_bpermute_b32 v3, v5, v1
	v_add_nc_u32_e32 v5, 16, v2
	s_delay_alu instid0(VALU_DEP_1) | instskip(SKIP_2) | instid1(VALU_DEP_1)
	v_cmp_lt_u32_e32 vcc_lo, v5, v4
	s_waitcnt lgkmcnt(0)
	v_cndmask_b32_e32 v3, 0, v3, vcc_lo
	v_add_nc_u32_e32 v1, v1, v3
	v_cmpx_eq_u32_e32 0, v2
	s_cbranch_execz .LBB98_191
; %bb.190:
	v_lshrrev_b32_e32 v3, 3, v0
	s_delay_alu instid0(VALU_DEP_1)
	v_and_b32_e32 v3, 28, v3
	ds_store_b32 v3, v1 offset:192
.LBB98_191:
	s_or_b32 exec_lo, exec_lo, s3
	s_delay_alu instid0(SALU_CYCLE_1)
	s_mov_b32 s3, exec_lo
	s_waitcnt lgkmcnt(0)
	s_barrier
	buffer_gl0_inv
	v_cmpx_gt_u32_e32 8, v0
	s_cbranch_execz .LBB98_193
; %bb.192:
	v_and_b32_e32 v3, 7, v2
	s_add_i32 s2, s2, 31
	s_delay_alu instid0(SALU_CYCLE_1) | instskip(NEXT) | instid1(VALU_DEP_1)
	s_lshr_b32 s2, s2, 5
	v_cmp_ne_u32_e32 vcc_lo, 7, v3
	v_add_nc_u32_e32 v6, 1, v3
	v_add_co_ci_u32_e32 v4, vcc_lo, 0, v2, vcc_lo
	v_cmp_gt_u32_e32 vcc_lo, 6, v3
	s_delay_alu instid0(VALU_DEP_2) | instskip(SKIP_3) | instid1(VALU_DEP_3)
	v_lshlrev_b32_e32 v4, 2, v4
	v_cndmask_b32_e64 v5, 0, 1, vcc_lo
	v_cmp_gt_u32_e32 vcc_lo, s2, v6
	v_lshlrev_b32_e32 v1, 2, v2
	v_lshlrev_b32_e32 v5, 1, v5
	ds_load_b32 v1, v1 offset:192
	v_add_lshl_u32 v5, v5, v2, 2
	s_waitcnt lgkmcnt(0)
	ds_bpermute_b32 v4, v4, v1
	s_waitcnt lgkmcnt(0)
	v_cndmask_b32_e32 v4, 0, v4, vcc_lo
	v_cmp_gt_u32_e32 vcc_lo, 4, v3
	s_delay_alu instid0(VALU_DEP_2) | instskip(SKIP_3) | instid1(VALU_DEP_1)
	v_add_nc_u32_e32 v1, v4, v1
	v_cndmask_b32_e64 v6, 0, 1, vcc_lo
	ds_bpermute_b32 v4, v5, v1
	v_add_nc_u32_e32 v5, 2, v3
	v_cmp_gt_u32_e32 vcc_lo, s2, v5
	v_lshlrev_b32_e32 v5, 2, v6
	s_delay_alu instid0(VALU_DEP_1) | instskip(SKIP_2) | instid1(VALU_DEP_1)
	v_add_lshl_u32 v2, v5, v2, 2
	s_waitcnt lgkmcnt(0)
	v_dual_cndmask_b32 v4, 0, v4 :: v_dual_add_nc_u32 v3, 4, v3
	v_add_nc_u32_e32 v1, v1, v4
	s_delay_alu instid0(VALU_DEP_2) | instskip(SKIP_3) | instid1(VALU_DEP_1)
	v_cmp_gt_u32_e32 vcc_lo, s2, v3
	ds_bpermute_b32 v2, v2, v1
	s_waitcnt lgkmcnt(0)
	v_cndmask_b32_e32 v2, 0, v2, vcc_lo
	v_add_nc_u32_e32 v1, v1, v2
.LBB98_193:
	s_or_b32 exec_lo, exec_lo, s3
.LBB98_194:
	v_cmp_eq_u32_e64 s2, 0, v0
	s_branch .LBB98_178
.LBB98_195:
	s_cmp_eq_u32 s24, 2
	s_cbranch_scc0 .LBB98_202
; %bb.196:
	s_mov_b32 s21, 0
	s_lshl_b32 s4, s20, 9
	s_mov_b32 s5, s21
	s_lshr_b64 s[6:7], s[18:19], 9
	s_lshl_b64 s[2:3], s[4:5], 2
	s_delay_alu instid0(SALU_CYCLE_1)
	s_add_u32 s2, s16, s2
	s_addc_u32 s3, s17, s3
	s_cmp_lg_u64 s[6:7], s[20:21]
	s_cbranch_scc0 .LBB98_203
; %bb.197:
	v_lshlrev_b32_e32 v1, 2, v0
	s_mov_b32 s5, exec_lo
	s_clause 0x1
	global_load_b32 v2, v1, s[2:3]
	global_load_b32 v1, v1, s[2:3] offset:1024
	s_waitcnt vmcnt(0)
	v_add_nc_u32_e32 v1, v1, v2
	s_delay_alu instid0(VALU_DEP_1) | instskip(NEXT) | instid1(VALU_DEP_1)
	v_mov_b32_dpp v2, v1 quad_perm:[1,0,3,2] row_mask:0xf bank_mask:0xf
	v_add_nc_u32_e32 v1, v2, v1
	s_delay_alu instid0(VALU_DEP_1) | instskip(NEXT) | instid1(VALU_DEP_1)
	v_mov_b32_dpp v2, v1 quad_perm:[2,3,0,1] row_mask:0xf bank_mask:0xf
	v_add_nc_u32_e32 v1, v1, v2
	s_delay_alu instid0(VALU_DEP_1) | instskip(NEXT) | instid1(VALU_DEP_1)
	v_mov_b32_dpp v2, v1 row_ror:4 row_mask:0xf bank_mask:0xf
	v_add_nc_u32_e32 v1, v1, v2
	s_delay_alu instid0(VALU_DEP_1) | instskip(NEXT) | instid1(VALU_DEP_1)
	v_mov_b32_dpp v2, v1 row_ror:8 row_mask:0xf bank_mask:0xf
	v_add_nc_u32_e32 v1, v1, v2
	ds_swizzle_b32 v2, v1 offset:swizzle(BROADCAST,32,15)
	s_waitcnt lgkmcnt(0)
	v_dual_mov_b32 v2, 0 :: v_dual_add_nc_u32 v1, v1, v2
	ds_bpermute_b32 v1, v2, v1 offset:124
	v_mbcnt_lo_u32_b32 v2, -1, 0
	s_delay_alu instid0(VALU_DEP_1)
	v_cmpx_eq_u32_e32 0, v2
	s_cbranch_execz .LBB98_199
; %bb.198:
	v_lshrrev_b32_e32 v3, 3, v0
	s_delay_alu instid0(VALU_DEP_1)
	v_and_b32_e32 v3, 28, v3
	s_waitcnt lgkmcnt(0)
	ds_store_b32 v3, v1 offset:64
.LBB98_199:
	s_or_b32 exec_lo, exec_lo, s5
	s_delay_alu instid0(SALU_CYCLE_1)
	s_mov_b32 s5, exec_lo
	s_waitcnt lgkmcnt(0)
	s_barrier
	buffer_gl0_inv
	v_cmpx_gt_u32_e32 32, v0
	s_cbranch_execz .LBB98_201
; %bb.200:
	v_and_b32_e32 v1, 7, v2
	s_delay_alu instid0(VALU_DEP_1) | instskip(SKIP_4) | instid1(VALU_DEP_2)
	v_lshlrev_b32_e32 v3, 2, v1
	v_cmp_ne_u32_e32 vcc_lo, 7, v1
	ds_load_b32 v3, v3 offset:64
	v_add_co_ci_u32_e32 v4, vcc_lo, 0, v2, vcc_lo
	v_cmp_gt_u32_e32 vcc_lo, 6, v1
	v_lshlrev_b32_e32 v4, 2, v4
	v_cndmask_b32_e64 v5, 0, 1, vcc_lo
	v_cmp_gt_u32_e32 vcc_lo, 4, v1
	s_delay_alu instid0(VALU_DEP_2) | instskip(SKIP_1) | instid1(VALU_DEP_2)
	v_lshlrev_b32_e32 v5, 1, v5
	v_cndmask_b32_e64 v1, 0, 1, vcc_lo
	v_add_lshl_u32 v5, v5, v2, 2
	s_delay_alu instid0(VALU_DEP_2)
	v_lshlrev_b32_e32 v1, 2, v1
	s_waitcnt lgkmcnt(0)
	ds_bpermute_b32 v4, v4, v3
	v_add_lshl_u32 v1, v1, v2, 2
	s_waitcnt lgkmcnt(0)
	v_add_nc_u32_e32 v3, v4, v3
	ds_bpermute_b32 v4, v5, v3
	s_waitcnt lgkmcnt(0)
	v_add_nc_u32_e32 v3, v4, v3
	ds_bpermute_b32 v1, v1, v3
	s_waitcnt lgkmcnt(0)
	v_add_nc_u32_e32 v1, v1, v3
.LBB98_201:
	s_or_b32 exec_lo, exec_lo, s5
	s_mov_b32 s5, 0
	s_branch .LBB98_204
.LBB98_202:
                                        ; implicit-def: $vgpr1
	s_branch .LBB98_224
.LBB98_203:
	s_mov_b32 s5, -1
                                        ; implicit-def: $vgpr1
.LBB98_204:
	s_delay_alu instid0(SALU_CYCLE_1)
	s_and_b32 vcc_lo, exec_lo, s5
	s_cbranch_vccz .LBB98_214
; %bb.205:
	s_sub_i32 s4, s18, s4
	s_mov_b32 s5, exec_lo
                                        ; implicit-def: $vgpr1_vgpr2
	v_cmpx_gt_u32_e64 s4, v0
	s_cbranch_execz .LBB98_207
; %bb.206:
	v_lshlrev_b32_e32 v1, 2, v0
	global_load_b32 v1, v1, s[2:3]
.LBB98_207:
	s_or_b32 exec_lo, exec_lo, s5
	v_or_b32_e32 v3, 0x100, v0
	s_delay_alu instid0(VALU_DEP_1)
	v_cmp_gt_u32_e32 vcc_lo, s4, v3
	s_and_saveexec_b32 s5, vcc_lo
	s_cbranch_execz .LBB98_209
; %bb.208:
	v_lshlrev_b32_e32 v2, 2, v0
	global_load_b32 v2, v2, s[2:3] offset:1024
.LBB98_209:
	s_or_b32 exec_lo, exec_lo, s5
	v_mbcnt_lo_u32_b32 v3, -1, 0
	s_waitcnt vmcnt(0)
	v_cndmask_b32_e32 v2, 0, v2, vcc_lo
	s_min_u32 s2, s4, 0x100
	s_mov_b32 s3, exec_lo
	v_cmp_ne_u32_e32 vcc_lo, 31, v3
	v_add_nc_u32_e32 v6, 1, v3
	v_add_co_ci_u32_e32 v4, vcc_lo, 0, v3, vcc_lo
	v_cmp_gt_u32_e32 vcc_lo, 30, v3
	v_cndmask_b32_e64 v5, 0, 1, vcc_lo
	s_delay_alu instid0(VALU_DEP_1) | instskip(SKIP_3) | instid1(VALU_DEP_4)
	v_lshlrev_b32_e32 v5, 1, v5
	v_add_nc_u32_e32 v1, v2, v1
	v_lshlrev_b32_e32 v2, 2, v4
	v_and_b32_e32 v4, 0xe0, v0
	v_add_lshl_u32 v5, v5, v3, 2
	ds_bpermute_b32 v2, v2, v1
	v_sub_nc_u32_e64 v4, s2, v4 clamp
	s_delay_alu instid0(VALU_DEP_1) | instskip(SKIP_4) | instid1(VALU_DEP_2)
	v_cmp_lt_u32_e32 vcc_lo, v6, v4
	v_add_nc_u32_e32 v6, 2, v3
	s_waitcnt lgkmcnt(0)
	v_cndmask_b32_e32 v2, 0, v2, vcc_lo
	v_cmp_gt_u32_e32 vcc_lo, 28, v3
	v_add_nc_u32_e32 v1, v2, v1
	ds_bpermute_b32 v2, v5, v1
	v_cndmask_b32_e64 v5, 0, 1, vcc_lo
	v_cmp_lt_u32_e32 vcc_lo, v6, v4
	v_add_nc_u32_e32 v6, 4, v3
	s_delay_alu instid0(VALU_DEP_3) | instskip(NEXT) | instid1(VALU_DEP_1)
	v_lshlrev_b32_e32 v5, 2, v5
	v_add_lshl_u32 v5, v5, v3, 2
	s_waitcnt lgkmcnt(0)
	v_cndmask_b32_e32 v2, 0, v2, vcc_lo
	v_cmp_gt_u32_e32 vcc_lo, 24, v3
	s_delay_alu instid0(VALU_DEP_2) | instskip(SKIP_4) | instid1(VALU_DEP_3)
	v_add_nc_u32_e32 v1, v1, v2
	ds_bpermute_b32 v2, v5, v1
	v_cndmask_b32_e64 v5, 0, 1, vcc_lo
	v_cmp_lt_u32_e32 vcc_lo, v6, v4
	v_add_nc_u32_e32 v6, 8, v3
	v_lshlrev_b32_e32 v5, 3, v5
	s_delay_alu instid0(VALU_DEP_1) | instskip(SKIP_3) | instid1(VALU_DEP_2)
	v_add_lshl_u32 v5, v5, v3, 2
	s_waitcnt lgkmcnt(0)
	v_cndmask_b32_e32 v2, 0, v2, vcc_lo
	v_cmp_gt_u32_e32 vcc_lo, 16, v3
	v_add_nc_u32_e32 v1, v1, v2
	ds_bpermute_b32 v2, v5, v1
	v_cndmask_b32_e64 v5, 0, 1, vcc_lo
	v_cmp_lt_u32_e32 vcc_lo, v6, v4
	s_delay_alu instid0(VALU_DEP_2) | instskip(NEXT) | instid1(VALU_DEP_1)
	v_lshlrev_b32_e32 v5, 4, v5
	v_add_lshl_u32 v5, v5, v3, 2
	s_waitcnt lgkmcnt(0)
	v_cndmask_b32_e32 v2, 0, v2, vcc_lo
	s_delay_alu instid0(VALU_DEP_1) | instskip(SKIP_2) | instid1(VALU_DEP_1)
	v_add_nc_u32_e32 v1, v1, v2
	ds_bpermute_b32 v2, v5, v1
	v_add_nc_u32_e32 v5, 16, v3
	v_cmp_lt_u32_e32 vcc_lo, v5, v4
	s_waitcnt lgkmcnt(0)
	v_cndmask_b32_e32 v2, 0, v2, vcc_lo
	s_delay_alu instid0(VALU_DEP_1)
	v_add_nc_u32_e32 v1, v1, v2
	v_cmpx_eq_u32_e32 0, v3
	s_cbranch_execz .LBB98_211
; %bb.210:
	v_lshrrev_b32_e32 v2, 3, v0
	s_delay_alu instid0(VALU_DEP_1)
	v_and_b32_e32 v2, 28, v2
	ds_store_b32 v2, v1 offset:192
.LBB98_211:
	s_or_b32 exec_lo, exec_lo, s3
	s_delay_alu instid0(SALU_CYCLE_1)
	s_mov_b32 s3, exec_lo
	s_waitcnt lgkmcnt(0)
	s_barrier
	buffer_gl0_inv
	v_cmpx_gt_u32_e32 8, v0
	s_cbranch_execz .LBB98_213
; %bb.212:
	v_and_b32_e32 v2, 7, v3
	s_add_i32 s2, s2, 31
	s_delay_alu instid0(SALU_CYCLE_1) | instskip(NEXT) | instid1(VALU_DEP_1)
	s_lshr_b32 s2, s2, 5
	v_cmp_ne_u32_e32 vcc_lo, 7, v2
	v_add_nc_u32_e32 v6, 1, v2
	v_add_co_ci_u32_e32 v4, vcc_lo, 0, v3, vcc_lo
	v_cmp_gt_u32_e32 vcc_lo, 6, v2
	s_delay_alu instid0(VALU_DEP_2) | instskip(SKIP_3) | instid1(VALU_DEP_3)
	v_lshlrev_b32_e32 v4, 2, v4
	v_cndmask_b32_e64 v5, 0, 1, vcc_lo
	v_cmp_gt_u32_e32 vcc_lo, s2, v6
	v_lshlrev_b32_e32 v1, 2, v3
	v_lshlrev_b32_e32 v5, 1, v5
	ds_load_b32 v1, v1 offset:192
	v_add_lshl_u32 v5, v5, v3, 2
	s_waitcnt lgkmcnt(0)
	ds_bpermute_b32 v4, v4, v1
	s_waitcnt lgkmcnt(0)
	v_cndmask_b32_e32 v4, 0, v4, vcc_lo
	v_cmp_gt_u32_e32 vcc_lo, 4, v2
	s_delay_alu instid0(VALU_DEP_2) | instskip(SKIP_4) | instid1(VALU_DEP_2)
	v_add_nc_u32_e32 v1, v4, v1
	v_cndmask_b32_e64 v6, 0, 1, vcc_lo
	ds_bpermute_b32 v4, v5, v1
	v_add_nc_u32_e32 v5, 2, v2
	v_add_nc_u32_e32 v2, 4, v2
	v_cmp_gt_u32_e32 vcc_lo, s2, v5
	v_lshlrev_b32_e32 v5, 2, v6
	s_delay_alu instid0(VALU_DEP_1) | instskip(SKIP_3) | instid1(VALU_DEP_2)
	v_add_lshl_u32 v3, v5, v3, 2
	s_waitcnt lgkmcnt(0)
	v_cndmask_b32_e32 v4, 0, v4, vcc_lo
	v_cmp_gt_u32_e32 vcc_lo, s2, v2
	v_add_nc_u32_e32 v1, v1, v4
	ds_bpermute_b32 v3, v3, v1
	s_waitcnt lgkmcnt(0)
	v_cndmask_b32_e32 v2, 0, v3, vcc_lo
	s_delay_alu instid0(VALU_DEP_1)
	v_add_nc_u32_e32 v1, v1, v2
.LBB98_213:
	s_or_b32 exec_lo, exec_lo, s3
.LBB98_214:
	v_cmp_eq_u32_e64 s2, 0, v0
	s_branch .LBB98_224
.LBB98_215:
	s_cmp_eq_u32 s24, 1
	s_cbranch_scc0 .LBB98_223
; %bb.216:
	s_mov_b32 s3, 0
	v_mbcnt_lo_u32_b32 v2, -1, 0
	s_lshr_b64 s[4:5], s[18:19], 8
	s_mov_b32 s21, s3
	s_lshl_b32 s2, s20, 8
	s_cmp_lg_u64 s[4:5], s[20:21]
	s_cbranch_scc0 .LBB98_227
; %bb.217:
	s_lshl_b64 s[4:5], s[2:3], 2
	v_lshlrev_b32_e32 v1, 2, v0
	s_add_u32 s4, s16, s4
	s_addc_u32 s5, s17, s5
	global_load_b32 v1, v1, s[4:5]
	s_mov_b32 s4, exec_lo
	s_waitcnt vmcnt(0)
	v_mov_b32_dpp v3, v1 quad_perm:[1,0,3,2] row_mask:0xf bank_mask:0xf
	s_delay_alu instid0(VALU_DEP_1) | instskip(NEXT) | instid1(VALU_DEP_1)
	v_add_nc_u32_e32 v1, v3, v1
	v_mov_b32_dpp v3, v1 quad_perm:[2,3,0,1] row_mask:0xf bank_mask:0xf
	s_delay_alu instid0(VALU_DEP_1) | instskip(NEXT) | instid1(VALU_DEP_1)
	v_add_nc_u32_e32 v1, v1, v3
	v_mov_b32_dpp v3, v1 row_ror:4 row_mask:0xf bank_mask:0xf
	s_delay_alu instid0(VALU_DEP_1) | instskip(NEXT) | instid1(VALU_DEP_1)
	v_add_nc_u32_e32 v1, v1, v3
	v_mov_b32_dpp v3, v1 row_ror:8 row_mask:0xf bank_mask:0xf
	s_delay_alu instid0(VALU_DEP_1)
	v_add_nc_u32_e32 v1, v1, v3
	ds_swizzle_b32 v3, v1 offset:swizzle(BROADCAST,32,15)
	s_waitcnt lgkmcnt(0)
	v_add_nc_u32_e32 v1, v1, v3
	v_mov_b32_e32 v3, 0
	ds_bpermute_b32 v1, v3, v1 offset:124
	v_cmpx_eq_u32_e32 0, v2
	s_cbranch_execz .LBB98_219
; %bb.218:
	v_lshrrev_b32_e32 v3, 3, v0
	s_delay_alu instid0(VALU_DEP_1)
	v_and_b32_e32 v3, 28, v3
	s_waitcnt lgkmcnt(0)
	ds_store_b32 v3, v1 offset:32
.LBB98_219:
	s_or_b32 exec_lo, exec_lo, s4
	s_delay_alu instid0(SALU_CYCLE_1)
	s_mov_b32 s4, exec_lo
	s_waitcnt lgkmcnt(0)
	s_barrier
	buffer_gl0_inv
	v_cmpx_gt_u32_e32 32, v0
	s_cbranch_execz .LBB98_221
; %bb.220:
	v_and_b32_e32 v1, 7, v2
	s_delay_alu instid0(VALU_DEP_1) | instskip(SKIP_4) | instid1(VALU_DEP_2)
	v_lshlrev_b32_e32 v3, 2, v1
	v_cmp_ne_u32_e32 vcc_lo, 7, v1
	ds_load_b32 v3, v3 offset:32
	v_add_co_ci_u32_e32 v4, vcc_lo, 0, v2, vcc_lo
	v_cmp_gt_u32_e32 vcc_lo, 6, v1
	v_lshlrev_b32_e32 v4, 2, v4
	v_cndmask_b32_e64 v5, 0, 1, vcc_lo
	v_cmp_gt_u32_e32 vcc_lo, 4, v1
	s_delay_alu instid0(VALU_DEP_2) | instskip(SKIP_1) | instid1(VALU_DEP_2)
	v_lshlrev_b32_e32 v5, 1, v5
	v_cndmask_b32_e64 v1, 0, 1, vcc_lo
	v_add_lshl_u32 v5, v5, v2, 2
	s_delay_alu instid0(VALU_DEP_2)
	v_lshlrev_b32_e32 v1, 2, v1
	s_waitcnt lgkmcnt(0)
	ds_bpermute_b32 v4, v4, v3
	v_add_lshl_u32 v1, v1, v2, 2
	s_waitcnt lgkmcnt(0)
	v_add_nc_u32_e32 v3, v4, v3
	ds_bpermute_b32 v4, v5, v3
	s_waitcnt lgkmcnt(0)
	v_add_nc_u32_e32 v3, v4, v3
	ds_bpermute_b32 v1, v1, v3
	s_waitcnt lgkmcnt(0)
	v_add_nc_u32_e32 v1, v1, v3
.LBB98_221:
	s_or_b32 exec_lo, exec_lo, s4
.LBB98_222:
	v_cmp_eq_u32_e64 s2, 0, v0
	s_delay_alu instid0(VALU_DEP_1)
	s_and_saveexec_b32 s3, s2
	s_cbranch_execnz .LBB98_225
	s_branch .LBB98_226
.LBB98_223:
                                        ; implicit-def: $vgpr1
                                        ; implicit-def: $sgpr20_sgpr21
.LBB98_224:
	s_delay_alu instid0(VALU_DEP_1)
	s_and_saveexec_b32 s3, s2
	s_cbranch_execz .LBB98_226
.LBB98_225:
	s_clause 0x1
	s_load_b64 s[2:3], s[0:1], 0x18
	s_load_b32 s4, s[0:1], 0x20
	s_lshl_b64 s[0:1], s[20:21], 2
	s_waitcnt lgkmcnt(0)
	s_add_u32 s0, s2, s0
	s_addc_u32 s1, s3, s1
	s_cmp_lg_u64 s[18:19], 0
	s_cselect_b32 vcc_lo, -1, 0
	v_dual_cndmask_b32 v0, 0, v1 :: v_dual_mov_b32 v1, 0
	s_delay_alu instid0(VALU_DEP_1)
	v_add_nc_u32_e32 v0, s4, v0
	global_store_b32 v1, v0, s[0:1]
.LBB98_226:
	s_nop 0
	s_sendmsg sendmsg(MSG_DEALLOC_VGPRS)
	s_endpgm
.LBB98_227:
                                        ; implicit-def: $vgpr1
	s_cbranch_execz .LBB98_222
; %bb.228:
	s_sub_i32 s4, s18, s2
	s_mov_b32 s5, exec_lo
                                        ; implicit-def: $vgpr1
	v_cmpx_gt_u32_e64 s4, v0
	s_cbranch_execz .LBB98_230
; %bb.229:
	s_lshl_b64 s[2:3], s[2:3], 2
	v_lshlrev_b32_e32 v1, 2, v0
	s_add_u32 s2, s16, s2
	s_addc_u32 s3, s17, s3
	global_load_b32 v1, v1, s[2:3]
.LBB98_230:
	s_or_b32 exec_lo, exec_lo, s5
	v_cmp_ne_u32_e32 vcc_lo, 31, v2
	s_min_u32 s2, s4, 0x100
	v_add_nc_u32_e32 v5, 1, v2
	s_mov_b32 s3, exec_lo
	v_add_co_ci_u32_e32 v3, vcc_lo, 0, v2, vcc_lo
	v_cmp_gt_u32_e32 vcc_lo, 30, v2
	s_delay_alu instid0(VALU_DEP_2)
	v_lshlrev_b32_e32 v3, 2, v3
	v_cndmask_b32_e64 v6, 0, 1, vcc_lo
	s_waitcnt vmcnt(0)
	ds_bpermute_b32 v3, v3, v1
	v_and_b32_e32 v4, 0xe0, v0
	v_lshlrev_b32_e32 v6, 1, v6
	s_delay_alu instid0(VALU_DEP_2) | instskip(NEXT) | instid1(VALU_DEP_1)
	v_sub_nc_u32_e64 v4, s2, v4 clamp
	v_cmp_lt_u32_e32 vcc_lo, v5, v4
	s_delay_alu instid0(VALU_DEP_3) | instskip(SKIP_3) | instid1(VALU_DEP_2)
	v_add_lshl_u32 v5, v6, v2, 2
	s_waitcnt lgkmcnt(0)
	v_dual_cndmask_b32 v3, 0, v3 :: v_dual_add_nc_u32 v6, 2, v2
	v_cmp_gt_u32_e32 vcc_lo, 28, v2
	v_add_nc_u32_e32 v1, v3, v1
	ds_bpermute_b32 v3, v5, v1
	v_cndmask_b32_e64 v5, 0, 1, vcc_lo
	v_cmp_lt_u32_e32 vcc_lo, v6, v4
	v_add_nc_u32_e32 v6, 4, v2
	s_delay_alu instid0(VALU_DEP_3) | instskip(NEXT) | instid1(VALU_DEP_1)
	v_lshlrev_b32_e32 v5, 2, v5
	v_add_lshl_u32 v5, v5, v2, 2
	s_waitcnt lgkmcnt(0)
	v_cndmask_b32_e32 v3, 0, v3, vcc_lo
	v_cmp_gt_u32_e32 vcc_lo, 24, v2
	s_delay_alu instid0(VALU_DEP_2) | instskip(SKIP_4) | instid1(VALU_DEP_3)
	v_add_nc_u32_e32 v1, v1, v3
	ds_bpermute_b32 v3, v5, v1
	v_cndmask_b32_e64 v5, 0, 1, vcc_lo
	v_cmp_lt_u32_e32 vcc_lo, v6, v4
	v_add_nc_u32_e32 v6, 8, v2
	v_lshlrev_b32_e32 v5, 3, v5
	s_delay_alu instid0(VALU_DEP_1) | instskip(SKIP_3) | instid1(VALU_DEP_2)
	v_add_lshl_u32 v5, v5, v2, 2
	s_waitcnt lgkmcnt(0)
	v_cndmask_b32_e32 v3, 0, v3, vcc_lo
	v_cmp_gt_u32_e32 vcc_lo, 16, v2
	v_add_nc_u32_e32 v1, v1, v3
	ds_bpermute_b32 v3, v5, v1
	v_cndmask_b32_e64 v5, 0, 1, vcc_lo
	v_cmp_lt_u32_e32 vcc_lo, v6, v4
	s_delay_alu instid0(VALU_DEP_2) | instskip(NEXT) | instid1(VALU_DEP_1)
	v_lshlrev_b32_e32 v5, 4, v5
	v_add_lshl_u32 v5, v5, v2, 2
	s_waitcnt lgkmcnt(0)
	v_cndmask_b32_e32 v3, 0, v3, vcc_lo
	s_delay_alu instid0(VALU_DEP_1) | instskip(SKIP_2) | instid1(VALU_DEP_1)
	v_add_nc_u32_e32 v1, v1, v3
	ds_bpermute_b32 v3, v5, v1
	v_add_nc_u32_e32 v5, 16, v2
	v_cmp_lt_u32_e32 vcc_lo, v5, v4
	s_waitcnt lgkmcnt(0)
	v_cndmask_b32_e32 v3, 0, v3, vcc_lo
	s_delay_alu instid0(VALU_DEP_1)
	v_add_nc_u32_e32 v1, v1, v3
	v_cmpx_eq_u32_e32 0, v2
	s_cbranch_execz .LBB98_232
; %bb.231:
	v_lshrrev_b32_e32 v3, 3, v0
	s_delay_alu instid0(VALU_DEP_1)
	v_and_b32_e32 v3, 28, v3
	ds_store_b32 v3, v1 offset:192
.LBB98_232:
	s_or_b32 exec_lo, exec_lo, s3
	s_delay_alu instid0(SALU_CYCLE_1)
	s_mov_b32 s3, exec_lo
	s_waitcnt lgkmcnt(0)
	s_barrier
	buffer_gl0_inv
	v_cmpx_gt_u32_e32 8, v0
	s_cbranch_execz .LBB98_234
; %bb.233:
	v_and_b32_e32 v3, 7, v2
	s_add_i32 s2, s2, 31
	s_delay_alu instid0(SALU_CYCLE_1) | instskip(NEXT) | instid1(VALU_DEP_1)
	s_lshr_b32 s2, s2, 5
	v_cmp_ne_u32_e32 vcc_lo, 7, v3
	v_add_nc_u32_e32 v6, 1, v3
	v_add_co_ci_u32_e32 v4, vcc_lo, 0, v2, vcc_lo
	v_cmp_gt_u32_e32 vcc_lo, 6, v3
	s_delay_alu instid0(VALU_DEP_2) | instskip(SKIP_3) | instid1(VALU_DEP_3)
	v_lshlrev_b32_e32 v4, 2, v4
	v_cndmask_b32_e64 v5, 0, 1, vcc_lo
	v_cmp_gt_u32_e32 vcc_lo, s2, v6
	v_lshlrev_b32_e32 v1, 2, v2
	v_lshlrev_b32_e32 v5, 1, v5
	ds_load_b32 v1, v1 offset:192
	v_add_lshl_u32 v5, v5, v2, 2
	s_waitcnt lgkmcnt(0)
	ds_bpermute_b32 v4, v4, v1
	s_waitcnt lgkmcnt(0)
	v_cndmask_b32_e32 v4, 0, v4, vcc_lo
	v_cmp_gt_u32_e32 vcc_lo, 4, v3
	s_delay_alu instid0(VALU_DEP_2) | instskip(SKIP_3) | instid1(VALU_DEP_1)
	v_add_nc_u32_e32 v1, v4, v1
	v_cndmask_b32_e64 v6, 0, 1, vcc_lo
	ds_bpermute_b32 v4, v5, v1
	v_add_nc_u32_e32 v5, 2, v3
	v_cmp_gt_u32_e32 vcc_lo, s2, v5
	v_lshlrev_b32_e32 v5, 2, v6
	s_delay_alu instid0(VALU_DEP_1) | instskip(SKIP_2) | instid1(VALU_DEP_1)
	v_add_lshl_u32 v2, v5, v2, 2
	s_waitcnt lgkmcnt(0)
	v_dual_cndmask_b32 v4, 0, v4 :: v_dual_add_nc_u32 v3, 4, v3
	v_add_nc_u32_e32 v1, v1, v4
	s_delay_alu instid0(VALU_DEP_2) | instskip(SKIP_3) | instid1(VALU_DEP_1)
	v_cmp_gt_u32_e32 vcc_lo, s2, v3
	ds_bpermute_b32 v2, v2, v1
	s_waitcnt lgkmcnt(0)
	v_cndmask_b32_e32 v2, 0, v2, vcc_lo
	v_add_nc_u32_e32 v1, v1, v2
.LBB98_234:
	s_or_b32 exec_lo, exec_lo, s3
	v_cmp_eq_u32_e64 s2, 0, v0
	s_delay_alu instid0(VALU_DEP_1)
	s_and_saveexec_b32 s3, s2
	s_cbranch_execnz .LBB98_225
	s_branch .LBB98_226
	.section	.rodata,"a",@progbits
	.p2align	6, 0x0
	.amdhsa_kernel _ZN7rocprim17ROCPRIM_400000_NS6detail17trampoline_kernelINS0_14default_configENS1_22reduce_config_selectorIiEEZNS1_11reduce_implILb1ES3_PiS7_iN6hipcub16HIPCUB_304000_NS6detail34convert_binary_result_type_wrapperINS9_3SumENS9_22TransformInputIteratorIbN2at6native12_GLOBAL__N_19NonZeroOpIaEEPKalEEiEEEE10hipError_tPvRmT1_T2_T3_mT4_P12ihipStream_tbEUlT_E1_NS1_11comp_targetILNS1_3genE9ELNS1_11target_archE1100ELNS1_3gpuE3ELNS1_3repE0EEENS1_30default_config_static_selectorELNS0_4arch9wavefront6targetE0EEEvSQ_
		.amdhsa_group_segment_fixed_size 224
		.amdhsa_private_segment_fixed_size 0
		.amdhsa_kernarg_size 40
		.amdhsa_user_sgpr_count 15
		.amdhsa_user_sgpr_dispatch_ptr 0
		.amdhsa_user_sgpr_queue_ptr 0
		.amdhsa_user_sgpr_kernarg_segment_ptr 1
		.amdhsa_user_sgpr_dispatch_id 0
		.amdhsa_user_sgpr_private_segment_size 0
		.amdhsa_wavefront_size32 1
		.amdhsa_uses_dynamic_stack 0
		.amdhsa_enable_private_segment 0
		.amdhsa_system_sgpr_workgroup_id_x 1
		.amdhsa_system_sgpr_workgroup_id_y 0
		.amdhsa_system_sgpr_workgroup_id_z 0
		.amdhsa_system_sgpr_workgroup_info 0
		.amdhsa_system_vgpr_workitem_id 0
		.amdhsa_next_free_vgpr 34
		.amdhsa_next_free_sgpr 27
		.amdhsa_reserve_vcc 1
		.amdhsa_float_round_mode_32 0
		.amdhsa_float_round_mode_16_64 0
		.amdhsa_float_denorm_mode_32 3
		.amdhsa_float_denorm_mode_16_64 3
		.amdhsa_dx10_clamp 1
		.amdhsa_ieee_mode 1
		.amdhsa_fp16_overflow 0
		.amdhsa_workgroup_processor_mode 1
		.amdhsa_memory_ordered 1
		.amdhsa_forward_progress 0
		.amdhsa_shared_vgpr_count 0
		.amdhsa_exception_fp_ieee_invalid_op 0
		.amdhsa_exception_fp_denorm_src 0
		.amdhsa_exception_fp_ieee_div_zero 0
		.amdhsa_exception_fp_ieee_overflow 0
		.amdhsa_exception_fp_ieee_underflow 0
		.amdhsa_exception_fp_ieee_inexact 0
		.amdhsa_exception_int_div_zero 0
	.end_amdhsa_kernel
	.section	.text._ZN7rocprim17ROCPRIM_400000_NS6detail17trampoline_kernelINS0_14default_configENS1_22reduce_config_selectorIiEEZNS1_11reduce_implILb1ES3_PiS7_iN6hipcub16HIPCUB_304000_NS6detail34convert_binary_result_type_wrapperINS9_3SumENS9_22TransformInputIteratorIbN2at6native12_GLOBAL__N_19NonZeroOpIaEEPKalEEiEEEE10hipError_tPvRmT1_T2_T3_mT4_P12ihipStream_tbEUlT_E1_NS1_11comp_targetILNS1_3genE9ELNS1_11target_archE1100ELNS1_3gpuE3ELNS1_3repE0EEENS1_30default_config_static_selectorELNS0_4arch9wavefront6targetE0EEEvSQ_,"axG",@progbits,_ZN7rocprim17ROCPRIM_400000_NS6detail17trampoline_kernelINS0_14default_configENS1_22reduce_config_selectorIiEEZNS1_11reduce_implILb1ES3_PiS7_iN6hipcub16HIPCUB_304000_NS6detail34convert_binary_result_type_wrapperINS9_3SumENS9_22TransformInputIteratorIbN2at6native12_GLOBAL__N_19NonZeroOpIaEEPKalEEiEEEE10hipError_tPvRmT1_T2_T3_mT4_P12ihipStream_tbEUlT_E1_NS1_11comp_targetILNS1_3genE9ELNS1_11target_archE1100ELNS1_3gpuE3ELNS1_3repE0EEENS1_30default_config_static_selectorELNS0_4arch9wavefront6targetE0EEEvSQ_,comdat
.Lfunc_end98:
	.size	_ZN7rocprim17ROCPRIM_400000_NS6detail17trampoline_kernelINS0_14default_configENS1_22reduce_config_selectorIiEEZNS1_11reduce_implILb1ES3_PiS7_iN6hipcub16HIPCUB_304000_NS6detail34convert_binary_result_type_wrapperINS9_3SumENS9_22TransformInputIteratorIbN2at6native12_GLOBAL__N_19NonZeroOpIaEEPKalEEiEEEE10hipError_tPvRmT1_T2_T3_mT4_P12ihipStream_tbEUlT_E1_NS1_11comp_targetILNS1_3genE9ELNS1_11target_archE1100ELNS1_3gpuE3ELNS1_3repE0EEENS1_30default_config_static_selectorELNS0_4arch9wavefront6targetE0EEEvSQ_, .Lfunc_end98-_ZN7rocprim17ROCPRIM_400000_NS6detail17trampoline_kernelINS0_14default_configENS1_22reduce_config_selectorIiEEZNS1_11reduce_implILb1ES3_PiS7_iN6hipcub16HIPCUB_304000_NS6detail34convert_binary_result_type_wrapperINS9_3SumENS9_22TransformInputIteratorIbN2at6native12_GLOBAL__N_19NonZeroOpIaEEPKalEEiEEEE10hipError_tPvRmT1_T2_T3_mT4_P12ihipStream_tbEUlT_E1_NS1_11comp_targetILNS1_3genE9ELNS1_11target_archE1100ELNS1_3gpuE3ELNS1_3repE0EEENS1_30default_config_static_selectorELNS0_4arch9wavefront6targetE0EEEvSQ_
                                        ; -- End function
	.section	.AMDGPU.csdata,"",@progbits
; Kernel info:
; codeLenInByte = 10768
; NumSgprs: 29
; NumVgprs: 34
; ScratchSize: 0
; MemoryBound: 0
; FloatMode: 240
; IeeeMode: 1
; LDSByteSize: 224 bytes/workgroup (compile time only)
; SGPRBlocks: 3
; VGPRBlocks: 4
; NumSGPRsForWavesPerEU: 29
; NumVGPRsForWavesPerEU: 34
; Occupancy: 16
; WaveLimiterHint : 1
; COMPUTE_PGM_RSRC2:SCRATCH_EN: 0
; COMPUTE_PGM_RSRC2:USER_SGPR: 15
; COMPUTE_PGM_RSRC2:TRAP_HANDLER: 0
; COMPUTE_PGM_RSRC2:TGID_X_EN: 1
; COMPUTE_PGM_RSRC2:TGID_Y_EN: 0
; COMPUTE_PGM_RSRC2:TGID_Z_EN: 0
; COMPUTE_PGM_RSRC2:TIDIG_COMP_CNT: 0
	.section	.text._ZN7rocprim17ROCPRIM_400000_NS6detail17trampoline_kernelINS0_14default_configENS1_22reduce_config_selectorIiEEZNS1_11reduce_implILb1ES3_PiS7_iN6hipcub16HIPCUB_304000_NS6detail34convert_binary_result_type_wrapperINS9_3SumENS9_22TransformInputIteratorIbN2at6native12_GLOBAL__N_19NonZeroOpIaEEPKalEEiEEEE10hipError_tPvRmT1_T2_T3_mT4_P12ihipStream_tbEUlT_E1_NS1_11comp_targetILNS1_3genE8ELNS1_11target_archE1030ELNS1_3gpuE2ELNS1_3repE0EEENS1_30default_config_static_selectorELNS0_4arch9wavefront6targetE0EEEvSQ_,"axG",@progbits,_ZN7rocprim17ROCPRIM_400000_NS6detail17trampoline_kernelINS0_14default_configENS1_22reduce_config_selectorIiEEZNS1_11reduce_implILb1ES3_PiS7_iN6hipcub16HIPCUB_304000_NS6detail34convert_binary_result_type_wrapperINS9_3SumENS9_22TransformInputIteratorIbN2at6native12_GLOBAL__N_19NonZeroOpIaEEPKalEEiEEEE10hipError_tPvRmT1_T2_T3_mT4_P12ihipStream_tbEUlT_E1_NS1_11comp_targetILNS1_3genE8ELNS1_11target_archE1030ELNS1_3gpuE2ELNS1_3repE0EEENS1_30default_config_static_selectorELNS0_4arch9wavefront6targetE0EEEvSQ_,comdat
	.globl	_ZN7rocprim17ROCPRIM_400000_NS6detail17trampoline_kernelINS0_14default_configENS1_22reduce_config_selectorIiEEZNS1_11reduce_implILb1ES3_PiS7_iN6hipcub16HIPCUB_304000_NS6detail34convert_binary_result_type_wrapperINS9_3SumENS9_22TransformInputIteratorIbN2at6native12_GLOBAL__N_19NonZeroOpIaEEPKalEEiEEEE10hipError_tPvRmT1_T2_T3_mT4_P12ihipStream_tbEUlT_E1_NS1_11comp_targetILNS1_3genE8ELNS1_11target_archE1030ELNS1_3gpuE2ELNS1_3repE0EEENS1_30default_config_static_selectorELNS0_4arch9wavefront6targetE0EEEvSQ_ ; -- Begin function _ZN7rocprim17ROCPRIM_400000_NS6detail17trampoline_kernelINS0_14default_configENS1_22reduce_config_selectorIiEEZNS1_11reduce_implILb1ES3_PiS7_iN6hipcub16HIPCUB_304000_NS6detail34convert_binary_result_type_wrapperINS9_3SumENS9_22TransformInputIteratorIbN2at6native12_GLOBAL__N_19NonZeroOpIaEEPKalEEiEEEE10hipError_tPvRmT1_T2_T3_mT4_P12ihipStream_tbEUlT_E1_NS1_11comp_targetILNS1_3genE8ELNS1_11target_archE1030ELNS1_3gpuE2ELNS1_3repE0EEENS1_30default_config_static_selectorELNS0_4arch9wavefront6targetE0EEEvSQ_
	.p2align	8
	.type	_ZN7rocprim17ROCPRIM_400000_NS6detail17trampoline_kernelINS0_14default_configENS1_22reduce_config_selectorIiEEZNS1_11reduce_implILb1ES3_PiS7_iN6hipcub16HIPCUB_304000_NS6detail34convert_binary_result_type_wrapperINS9_3SumENS9_22TransformInputIteratorIbN2at6native12_GLOBAL__N_19NonZeroOpIaEEPKalEEiEEEE10hipError_tPvRmT1_T2_T3_mT4_P12ihipStream_tbEUlT_E1_NS1_11comp_targetILNS1_3genE8ELNS1_11target_archE1030ELNS1_3gpuE2ELNS1_3repE0EEENS1_30default_config_static_selectorELNS0_4arch9wavefront6targetE0EEEvSQ_,@function
_ZN7rocprim17ROCPRIM_400000_NS6detail17trampoline_kernelINS0_14default_configENS1_22reduce_config_selectorIiEEZNS1_11reduce_implILb1ES3_PiS7_iN6hipcub16HIPCUB_304000_NS6detail34convert_binary_result_type_wrapperINS9_3SumENS9_22TransformInputIteratorIbN2at6native12_GLOBAL__N_19NonZeroOpIaEEPKalEEiEEEE10hipError_tPvRmT1_T2_T3_mT4_P12ihipStream_tbEUlT_E1_NS1_11comp_targetILNS1_3genE8ELNS1_11target_archE1030ELNS1_3gpuE2ELNS1_3repE0EEENS1_30default_config_static_selectorELNS0_4arch9wavefront6targetE0EEEvSQ_: ; @_ZN7rocprim17ROCPRIM_400000_NS6detail17trampoline_kernelINS0_14default_configENS1_22reduce_config_selectorIiEEZNS1_11reduce_implILb1ES3_PiS7_iN6hipcub16HIPCUB_304000_NS6detail34convert_binary_result_type_wrapperINS9_3SumENS9_22TransformInputIteratorIbN2at6native12_GLOBAL__N_19NonZeroOpIaEEPKalEEiEEEE10hipError_tPvRmT1_T2_T3_mT4_P12ihipStream_tbEUlT_E1_NS1_11comp_targetILNS1_3genE8ELNS1_11target_archE1030ELNS1_3gpuE2ELNS1_3repE0EEENS1_30default_config_static_selectorELNS0_4arch9wavefront6targetE0EEEvSQ_
; %bb.0:
	.section	.rodata,"a",@progbits
	.p2align	6, 0x0
	.amdhsa_kernel _ZN7rocprim17ROCPRIM_400000_NS6detail17trampoline_kernelINS0_14default_configENS1_22reduce_config_selectorIiEEZNS1_11reduce_implILb1ES3_PiS7_iN6hipcub16HIPCUB_304000_NS6detail34convert_binary_result_type_wrapperINS9_3SumENS9_22TransformInputIteratorIbN2at6native12_GLOBAL__N_19NonZeroOpIaEEPKalEEiEEEE10hipError_tPvRmT1_T2_T3_mT4_P12ihipStream_tbEUlT_E1_NS1_11comp_targetILNS1_3genE8ELNS1_11target_archE1030ELNS1_3gpuE2ELNS1_3repE0EEENS1_30default_config_static_selectorELNS0_4arch9wavefront6targetE0EEEvSQ_
		.amdhsa_group_segment_fixed_size 0
		.amdhsa_private_segment_fixed_size 0
		.amdhsa_kernarg_size 40
		.amdhsa_user_sgpr_count 15
		.amdhsa_user_sgpr_dispatch_ptr 0
		.amdhsa_user_sgpr_queue_ptr 0
		.amdhsa_user_sgpr_kernarg_segment_ptr 1
		.amdhsa_user_sgpr_dispatch_id 0
		.amdhsa_user_sgpr_private_segment_size 0
		.amdhsa_wavefront_size32 1
		.amdhsa_uses_dynamic_stack 0
		.amdhsa_enable_private_segment 0
		.amdhsa_system_sgpr_workgroup_id_x 1
		.amdhsa_system_sgpr_workgroup_id_y 0
		.amdhsa_system_sgpr_workgroup_id_z 0
		.amdhsa_system_sgpr_workgroup_info 0
		.amdhsa_system_vgpr_workitem_id 0
		.amdhsa_next_free_vgpr 1
		.amdhsa_next_free_sgpr 1
		.amdhsa_reserve_vcc 0
		.amdhsa_float_round_mode_32 0
		.amdhsa_float_round_mode_16_64 0
		.amdhsa_float_denorm_mode_32 3
		.amdhsa_float_denorm_mode_16_64 3
		.amdhsa_dx10_clamp 1
		.amdhsa_ieee_mode 1
		.amdhsa_fp16_overflow 0
		.amdhsa_workgroup_processor_mode 1
		.amdhsa_memory_ordered 1
		.amdhsa_forward_progress 0
		.amdhsa_shared_vgpr_count 0
		.amdhsa_exception_fp_ieee_invalid_op 0
		.amdhsa_exception_fp_denorm_src 0
		.amdhsa_exception_fp_ieee_div_zero 0
		.amdhsa_exception_fp_ieee_overflow 0
		.amdhsa_exception_fp_ieee_underflow 0
		.amdhsa_exception_fp_ieee_inexact 0
		.amdhsa_exception_int_div_zero 0
	.end_amdhsa_kernel
	.section	.text._ZN7rocprim17ROCPRIM_400000_NS6detail17trampoline_kernelINS0_14default_configENS1_22reduce_config_selectorIiEEZNS1_11reduce_implILb1ES3_PiS7_iN6hipcub16HIPCUB_304000_NS6detail34convert_binary_result_type_wrapperINS9_3SumENS9_22TransformInputIteratorIbN2at6native12_GLOBAL__N_19NonZeroOpIaEEPKalEEiEEEE10hipError_tPvRmT1_T2_T3_mT4_P12ihipStream_tbEUlT_E1_NS1_11comp_targetILNS1_3genE8ELNS1_11target_archE1030ELNS1_3gpuE2ELNS1_3repE0EEENS1_30default_config_static_selectorELNS0_4arch9wavefront6targetE0EEEvSQ_,"axG",@progbits,_ZN7rocprim17ROCPRIM_400000_NS6detail17trampoline_kernelINS0_14default_configENS1_22reduce_config_selectorIiEEZNS1_11reduce_implILb1ES3_PiS7_iN6hipcub16HIPCUB_304000_NS6detail34convert_binary_result_type_wrapperINS9_3SumENS9_22TransformInputIteratorIbN2at6native12_GLOBAL__N_19NonZeroOpIaEEPKalEEiEEEE10hipError_tPvRmT1_T2_T3_mT4_P12ihipStream_tbEUlT_E1_NS1_11comp_targetILNS1_3genE8ELNS1_11target_archE1030ELNS1_3gpuE2ELNS1_3repE0EEENS1_30default_config_static_selectorELNS0_4arch9wavefront6targetE0EEEvSQ_,comdat
.Lfunc_end99:
	.size	_ZN7rocprim17ROCPRIM_400000_NS6detail17trampoline_kernelINS0_14default_configENS1_22reduce_config_selectorIiEEZNS1_11reduce_implILb1ES3_PiS7_iN6hipcub16HIPCUB_304000_NS6detail34convert_binary_result_type_wrapperINS9_3SumENS9_22TransformInputIteratorIbN2at6native12_GLOBAL__N_19NonZeroOpIaEEPKalEEiEEEE10hipError_tPvRmT1_T2_T3_mT4_P12ihipStream_tbEUlT_E1_NS1_11comp_targetILNS1_3genE8ELNS1_11target_archE1030ELNS1_3gpuE2ELNS1_3repE0EEENS1_30default_config_static_selectorELNS0_4arch9wavefront6targetE0EEEvSQ_, .Lfunc_end99-_ZN7rocprim17ROCPRIM_400000_NS6detail17trampoline_kernelINS0_14default_configENS1_22reduce_config_selectorIiEEZNS1_11reduce_implILb1ES3_PiS7_iN6hipcub16HIPCUB_304000_NS6detail34convert_binary_result_type_wrapperINS9_3SumENS9_22TransformInputIteratorIbN2at6native12_GLOBAL__N_19NonZeroOpIaEEPKalEEiEEEE10hipError_tPvRmT1_T2_T3_mT4_P12ihipStream_tbEUlT_E1_NS1_11comp_targetILNS1_3genE8ELNS1_11target_archE1030ELNS1_3gpuE2ELNS1_3repE0EEENS1_30default_config_static_selectorELNS0_4arch9wavefront6targetE0EEEvSQ_
                                        ; -- End function
	.section	.AMDGPU.csdata,"",@progbits
; Kernel info:
; codeLenInByte = 0
; NumSgprs: 0
; NumVgprs: 0
; ScratchSize: 0
; MemoryBound: 0
; FloatMode: 240
; IeeeMode: 1
; LDSByteSize: 0 bytes/workgroup (compile time only)
; SGPRBlocks: 0
; VGPRBlocks: 0
; NumSGPRsForWavesPerEU: 1
; NumVGPRsForWavesPerEU: 1
; Occupancy: 16
; WaveLimiterHint : 0
; COMPUTE_PGM_RSRC2:SCRATCH_EN: 0
; COMPUTE_PGM_RSRC2:USER_SGPR: 15
; COMPUTE_PGM_RSRC2:TRAP_HANDLER: 0
; COMPUTE_PGM_RSRC2:TGID_X_EN: 1
; COMPUTE_PGM_RSRC2:TGID_Y_EN: 0
; COMPUTE_PGM_RSRC2:TGID_Z_EN: 0
; COMPUTE_PGM_RSRC2:TIDIG_COMP_CNT: 0
	.section	.text._ZN7rocprim17ROCPRIM_400000_NS6detail17trampoline_kernelINS0_14default_configENS1_22reduce_config_selectorIbEEZNS1_11reduce_implILb1ES3_N6hipcub16HIPCUB_304000_NS22TransformInputIteratorIbN2at6native12_GLOBAL__N_19NonZeroOpIaEEPKalEEPiiNS8_6detail34convert_binary_result_type_wrapperINS8_3SumESH_iEEEE10hipError_tPvRmT1_T2_T3_mT4_P12ihipStream_tbEUlT_E0_NS1_11comp_targetILNS1_3genE0ELNS1_11target_archE4294967295ELNS1_3gpuE0ELNS1_3repE0EEENS1_30default_config_static_selectorELNS0_4arch9wavefront6targetE0EEEvSQ_,"axG",@progbits,_ZN7rocprim17ROCPRIM_400000_NS6detail17trampoline_kernelINS0_14default_configENS1_22reduce_config_selectorIbEEZNS1_11reduce_implILb1ES3_N6hipcub16HIPCUB_304000_NS22TransformInputIteratorIbN2at6native12_GLOBAL__N_19NonZeroOpIaEEPKalEEPiiNS8_6detail34convert_binary_result_type_wrapperINS8_3SumESH_iEEEE10hipError_tPvRmT1_T2_T3_mT4_P12ihipStream_tbEUlT_E0_NS1_11comp_targetILNS1_3genE0ELNS1_11target_archE4294967295ELNS1_3gpuE0ELNS1_3repE0EEENS1_30default_config_static_selectorELNS0_4arch9wavefront6targetE0EEEvSQ_,comdat
	.globl	_ZN7rocprim17ROCPRIM_400000_NS6detail17trampoline_kernelINS0_14default_configENS1_22reduce_config_selectorIbEEZNS1_11reduce_implILb1ES3_N6hipcub16HIPCUB_304000_NS22TransformInputIteratorIbN2at6native12_GLOBAL__N_19NonZeroOpIaEEPKalEEPiiNS8_6detail34convert_binary_result_type_wrapperINS8_3SumESH_iEEEE10hipError_tPvRmT1_T2_T3_mT4_P12ihipStream_tbEUlT_E0_NS1_11comp_targetILNS1_3genE0ELNS1_11target_archE4294967295ELNS1_3gpuE0ELNS1_3repE0EEENS1_30default_config_static_selectorELNS0_4arch9wavefront6targetE0EEEvSQ_ ; -- Begin function _ZN7rocprim17ROCPRIM_400000_NS6detail17trampoline_kernelINS0_14default_configENS1_22reduce_config_selectorIbEEZNS1_11reduce_implILb1ES3_N6hipcub16HIPCUB_304000_NS22TransformInputIteratorIbN2at6native12_GLOBAL__N_19NonZeroOpIaEEPKalEEPiiNS8_6detail34convert_binary_result_type_wrapperINS8_3SumESH_iEEEE10hipError_tPvRmT1_T2_T3_mT4_P12ihipStream_tbEUlT_E0_NS1_11comp_targetILNS1_3genE0ELNS1_11target_archE4294967295ELNS1_3gpuE0ELNS1_3repE0EEENS1_30default_config_static_selectorELNS0_4arch9wavefront6targetE0EEEvSQ_
	.p2align	8
	.type	_ZN7rocprim17ROCPRIM_400000_NS6detail17trampoline_kernelINS0_14default_configENS1_22reduce_config_selectorIbEEZNS1_11reduce_implILb1ES3_N6hipcub16HIPCUB_304000_NS22TransformInputIteratorIbN2at6native12_GLOBAL__N_19NonZeroOpIaEEPKalEEPiiNS8_6detail34convert_binary_result_type_wrapperINS8_3SumESH_iEEEE10hipError_tPvRmT1_T2_T3_mT4_P12ihipStream_tbEUlT_E0_NS1_11comp_targetILNS1_3genE0ELNS1_11target_archE4294967295ELNS1_3gpuE0ELNS1_3repE0EEENS1_30default_config_static_selectorELNS0_4arch9wavefront6targetE0EEEvSQ_,@function
_ZN7rocprim17ROCPRIM_400000_NS6detail17trampoline_kernelINS0_14default_configENS1_22reduce_config_selectorIbEEZNS1_11reduce_implILb1ES3_N6hipcub16HIPCUB_304000_NS22TransformInputIteratorIbN2at6native12_GLOBAL__N_19NonZeroOpIaEEPKalEEPiiNS8_6detail34convert_binary_result_type_wrapperINS8_3SumESH_iEEEE10hipError_tPvRmT1_T2_T3_mT4_P12ihipStream_tbEUlT_E0_NS1_11comp_targetILNS1_3genE0ELNS1_11target_archE4294967295ELNS1_3gpuE0ELNS1_3repE0EEENS1_30default_config_static_selectorELNS0_4arch9wavefront6targetE0EEEvSQ_: ; @_ZN7rocprim17ROCPRIM_400000_NS6detail17trampoline_kernelINS0_14default_configENS1_22reduce_config_selectorIbEEZNS1_11reduce_implILb1ES3_N6hipcub16HIPCUB_304000_NS22TransformInputIteratorIbN2at6native12_GLOBAL__N_19NonZeroOpIaEEPKalEEPiiNS8_6detail34convert_binary_result_type_wrapperINS8_3SumESH_iEEEE10hipError_tPvRmT1_T2_T3_mT4_P12ihipStream_tbEUlT_E0_NS1_11comp_targetILNS1_3genE0ELNS1_11target_archE4294967295ELNS1_3gpuE0ELNS1_3repE0EEENS1_30default_config_static_selectorELNS0_4arch9wavefront6targetE0EEEvSQ_
; %bb.0:
	.section	.rodata,"a",@progbits
	.p2align	6, 0x0
	.amdhsa_kernel _ZN7rocprim17ROCPRIM_400000_NS6detail17trampoline_kernelINS0_14default_configENS1_22reduce_config_selectorIbEEZNS1_11reduce_implILb1ES3_N6hipcub16HIPCUB_304000_NS22TransformInputIteratorIbN2at6native12_GLOBAL__N_19NonZeroOpIaEEPKalEEPiiNS8_6detail34convert_binary_result_type_wrapperINS8_3SumESH_iEEEE10hipError_tPvRmT1_T2_T3_mT4_P12ihipStream_tbEUlT_E0_NS1_11comp_targetILNS1_3genE0ELNS1_11target_archE4294967295ELNS1_3gpuE0ELNS1_3repE0EEENS1_30default_config_static_selectorELNS0_4arch9wavefront6targetE0EEEvSQ_
		.amdhsa_group_segment_fixed_size 0
		.amdhsa_private_segment_fixed_size 0
		.amdhsa_kernarg_size 64
		.amdhsa_user_sgpr_count 15
		.amdhsa_user_sgpr_dispatch_ptr 0
		.amdhsa_user_sgpr_queue_ptr 0
		.amdhsa_user_sgpr_kernarg_segment_ptr 1
		.amdhsa_user_sgpr_dispatch_id 0
		.amdhsa_user_sgpr_private_segment_size 0
		.amdhsa_wavefront_size32 1
		.amdhsa_uses_dynamic_stack 0
		.amdhsa_enable_private_segment 0
		.amdhsa_system_sgpr_workgroup_id_x 1
		.amdhsa_system_sgpr_workgroup_id_y 0
		.amdhsa_system_sgpr_workgroup_id_z 0
		.amdhsa_system_sgpr_workgroup_info 0
		.amdhsa_system_vgpr_workitem_id 0
		.amdhsa_next_free_vgpr 1
		.amdhsa_next_free_sgpr 1
		.amdhsa_reserve_vcc 0
		.amdhsa_float_round_mode_32 0
		.amdhsa_float_round_mode_16_64 0
		.amdhsa_float_denorm_mode_32 3
		.amdhsa_float_denorm_mode_16_64 3
		.amdhsa_dx10_clamp 1
		.amdhsa_ieee_mode 1
		.amdhsa_fp16_overflow 0
		.amdhsa_workgroup_processor_mode 1
		.amdhsa_memory_ordered 1
		.amdhsa_forward_progress 0
		.amdhsa_shared_vgpr_count 0
		.amdhsa_exception_fp_ieee_invalid_op 0
		.amdhsa_exception_fp_denorm_src 0
		.amdhsa_exception_fp_ieee_div_zero 0
		.amdhsa_exception_fp_ieee_overflow 0
		.amdhsa_exception_fp_ieee_underflow 0
		.amdhsa_exception_fp_ieee_inexact 0
		.amdhsa_exception_int_div_zero 0
	.end_amdhsa_kernel
	.section	.text._ZN7rocprim17ROCPRIM_400000_NS6detail17trampoline_kernelINS0_14default_configENS1_22reduce_config_selectorIbEEZNS1_11reduce_implILb1ES3_N6hipcub16HIPCUB_304000_NS22TransformInputIteratorIbN2at6native12_GLOBAL__N_19NonZeroOpIaEEPKalEEPiiNS8_6detail34convert_binary_result_type_wrapperINS8_3SumESH_iEEEE10hipError_tPvRmT1_T2_T3_mT4_P12ihipStream_tbEUlT_E0_NS1_11comp_targetILNS1_3genE0ELNS1_11target_archE4294967295ELNS1_3gpuE0ELNS1_3repE0EEENS1_30default_config_static_selectorELNS0_4arch9wavefront6targetE0EEEvSQ_,"axG",@progbits,_ZN7rocprim17ROCPRIM_400000_NS6detail17trampoline_kernelINS0_14default_configENS1_22reduce_config_selectorIbEEZNS1_11reduce_implILb1ES3_N6hipcub16HIPCUB_304000_NS22TransformInputIteratorIbN2at6native12_GLOBAL__N_19NonZeroOpIaEEPKalEEPiiNS8_6detail34convert_binary_result_type_wrapperINS8_3SumESH_iEEEE10hipError_tPvRmT1_T2_T3_mT4_P12ihipStream_tbEUlT_E0_NS1_11comp_targetILNS1_3genE0ELNS1_11target_archE4294967295ELNS1_3gpuE0ELNS1_3repE0EEENS1_30default_config_static_selectorELNS0_4arch9wavefront6targetE0EEEvSQ_,comdat
.Lfunc_end100:
	.size	_ZN7rocprim17ROCPRIM_400000_NS6detail17trampoline_kernelINS0_14default_configENS1_22reduce_config_selectorIbEEZNS1_11reduce_implILb1ES3_N6hipcub16HIPCUB_304000_NS22TransformInputIteratorIbN2at6native12_GLOBAL__N_19NonZeroOpIaEEPKalEEPiiNS8_6detail34convert_binary_result_type_wrapperINS8_3SumESH_iEEEE10hipError_tPvRmT1_T2_T3_mT4_P12ihipStream_tbEUlT_E0_NS1_11comp_targetILNS1_3genE0ELNS1_11target_archE4294967295ELNS1_3gpuE0ELNS1_3repE0EEENS1_30default_config_static_selectorELNS0_4arch9wavefront6targetE0EEEvSQ_, .Lfunc_end100-_ZN7rocprim17ROCPRIM_400000_NS6detail17trampoline_kernelINS0_14default_configENS1_22reduce_config_selectorIbEEZNS1_11reduce_implILb1ES3_N6hipcub16HIPCUB_304000_NS22TransformInputIteratorIbN2at6native12_GLOBAL__N_19NonZeroOpIaEEPKalEEPiiNS8_6detail34convert_binary_result_type_wrapperINS8_3SumESH_iEEEE10hipError_tPvRmT1_T2_T3_mT4_P12ihipStream_tbEUlT_E0_NS1_11comp_targetILNS1_3genE0ELNS1_11target_archE4294967295ELNS1_3gpuE0ELNS1_3repE0EEENS1_30default_config_static_selectorELNS0_4arch9wavefront6targetE0EEEvSQ_
                                        ; -- End function
	.section	.AMDGPU.csdata,"",@progbits
; Kernel info:
; codeLenInByte = 0
; NumSgprs: 0
; NumVgprs: 0
; ScratchSize: 0
; MemoryBound: 0
; FloatMode: 240
; IeeeMode: 1
; LDSByteSize: 0 bytes/workgroup (compile time only)
; SGPRBlocks: 0
; VGPRBlocks: 0
; NumSGPRsForWavesPerEU: 1
; NumVGPRsForWavesPerEU: 1
; Occupancy: 16
; WaveLimiterHint : 0
; COMPUTE_PGM_RSRC2:SCRATCH_EN: 0
; COMPUTE_PGM_RSRC2:USER_SGPR: 15
; COMPUTE_PGM_RSRC2:TRAP_HANDLER: 0
; COMPUTE_PGM_RSRC2:TGID_X_EN: 1
; COMPUTE_PGM_RSRC2:TGID_Y_EN: 0
; COMPUTE_PGM_RSRC2:TGID_Z_EN: 0
; COMPUTE_PGM_RSRC2:TIDIG_COMP_CNT: 0
	.section	.text._ZN7rocprim17ROCPRIM_400000_NS6detail17trampoline_kernelINS0_14default_configENS1_22reduce_config_selectorIbEEZNS1_11reduce_implILb1ES3_N6hipcub16HIPCUB_304000_NS22TransformInputIteratorIbN2at6native12_GLOBAL__N_19NonZeroOpIaEEPKalEEPiiNS8_6detail34convert_binary_result_type_wrapperINS8_3SumESH_iEEEE10hipError_tPvRmT1_T2_T3_mT4_P12ihipStream_tbEUlT_E0_NS1_11comp_targetILNS1_3genE5ELNS1_11target_archE942ELNS1_3gpuE9ELNS1_3repE0EEENS1_30default_config_static_selectorELNS0_4arch9wavefront6targetE0EEEvSQ_,"axG",@progbits,_ZN7rocprim17ROCPRIM_400000_NS6detail17trampoline_kernelINS0_14default_configENS1_22reduce_config_selectorIbEEZNS1_11reduce_implILb1ES3_N6hipcub16HIPCUB_304000_NS22TransformInputIteratorIbN2at6native12_GLOBAL__N_19NonZeroOpIaEEPKalEEPiiNS8_6detail34convert_binary_result_type_wrapperINS8_3SumESH_iEEEE10hipError_tPvRmT1_T2_T3_mT4_P12ihipStream_tbEUlT_E0_NS1_11comp_targetILNS1_3genE5ELNS1_11target_archE942ELNS1_3gpuE9ELNS1_3repE0EEENS1_30default_config_static_selectorELNS0_4arch9wavefront6targetE0EEEvSQ_,comdat
	.globl	_ZN7rocprim17ROCPRIM_400000_NS6detail17trampoline_kernelINS0_14default_configENS1_22reduce_config_selectorIbEEZNS1_11reduce_implILb1ES3_N6hipcub16HIPCUB_304000_NS22TransformInputIteratorIbN2at6native12_GLOBAL__N_19NonZeroOpIaEEPKalEEPiiNS8_6detail34convert_binary_result_type_wrapperINS8_3SumESH_iEEEE10hipError_tPvRmT1_T2_T3_mT4_P12ihipStream_tbEUlT_E0_NS1_11comp_targetILNS1_3genE5ELNS1_11target_archE942ELNS1_3gpuE9ELNS1_3repE0EEENS1_30default_config_static_selectorELNS0_4arch9wavefront6targetE0EEEvSQ_ ; -- Begin function _ZN7rocprim17ROCPRIM_400000_NS6detail17trampoline_kernelINS0_14default_configENS1_22reduce_config_selectorIbEEZNS1_11reduce_implILb1ES3_N6hipcub16HIPCUB_304000_NS22TransformInputIteratorIbN2at6native12_GLOBAL__N_19NonZeroOpIaEEPKalEEPiiNS8_6detail34convert_binary_result_type_wrapperINS8_3SumESH_iEEEE10hipError_tPvRmT1_T2_T3_mT4_P12ihipStream_tbEUlT_E0_NS1_11comp_targetILNS1_3genE5ELNS1_11target_archE942ELNS1_3gpuE9ELNS1_3repE0EEENS1_30default_config_static_selectorELNS0_4arch9wavefront6targetE0EEEvSQ_
	.p2align	8
	.type	_ZN7rocprim17ROCPRIM_400000_NS6detail17trampoline_kernelINS0_14default_configENS1_22reduce_config_selectorIbEEZNS1_11reduce_implILb1ES3_N6hipcub16HIPCUB_304000_NS22TransformInputIteratorIbN2at6native12_GLOBAL__N_19NonZeroOpIaEEPKalEEPiiNS8_6detail34convert_binary_result_type_wrapperINS8_3SumESH_iEEEE10hipError_tPvRmT1_T2_T3_mT4_P12ihipStream_tbEUlT_E0_NS1_11comp_targetILNS1_3genE5ELNS1_11target_archE942ELNS1_3gpuE9ELNS1_3repE0EEENS1_30default_config_static_selectorELNS0_4arch9wavefront6targetE0EEEvSQ_,@function
_ZN7rocprim17ROCPRIM_400000_NS6detail17trampoline_kernelINS0_14default_configENS1_22reduce_config_selectorIbEEZNS1_11reduce_implILb1ES3_N6hipcub16HIPCUB_304000_NS22TransformInputIteratorIbN2at6native12_GLOBAL__N_19NonZeroOpIaEEPKalEEPiiNS8_6detail34convert_binary_result_type_wrapperINS8_3SumESH_iEEEE10hipError_tPvRmT1_T2_T3_mT4_P12ihipStream_tbEUlT_E0_NS1_11comp_targetILNS1_3genE5ELNS1_11target_archE942ELNS1_3gpuE9ELNS1_3repE0EEENS1_30default_config_static_selectorELNS0_4arch9wavefront6targetE0EEEvSQ_: ; @_ZN7rocprim17ROCPRIM_400000_NS6detail17trampoline_kernelINS0_14default_configENS1_22reduce_config_selectorIbEEZNS1_11reduce_implILb1ES3_N6hipcub16HIPCUB_304000_NS22TransformInputIteratorIbN2at6native12_GLOBAL__N_19NonZeroOpIaEEPKalEEPiiNS8_6detail34convert_binary_result_type_wrapperINS8_3SumESH_iEEEE10hipError_tPvRmT1_T2_T3_mT4_P12ihipStream_tbEUlT_E0_NS1_11comp_targetILNS1_3genE5ELNS1_11target_archE942ELNS1_3gpuE9ELNS1_3repE0EEENS1_30default_config_static_selectorELNS0_4arch9wavefront6targetE0EEEvSQ_
; %bb.0:
	.section	.rodata,"a",@progbits
	.p2align	6, 0x0
	.amdhsa_kernel _ZN7rocprim17ROCPRIM_400000_NS6detail17trampoline_kernelINS0_14default_configENS1_22reduce_config_selectorIbEEZNS1_11reduce_implILb1ES3_N6hipcub16HIPCUB_304000_NS22TransformInputIteratorIbN2at6native12_GLOBAL__N_19NonZeroOpIaEEPKalEEPiiNS8_6detail34convert_binary_result_type_wrapperINS8_3SumESH_iEEEE10hipError_tPvRmT1_T2_T3_mT4_P12ihipStream_tbEUlT_E0_NS1_11comp_targetILNS1_3genE5ELNS1_11target_archE942ELNS1_3gpuE9ELNS1_3repE0EEENS1_30default_config_static_selectorELNS0_4arch9wavefront6targetE0EEEvSQ_
		.amdhsa_group_segment_fixed_size 0
		.amdhsa_private_segment_fixed_size 0
		.amdhsa_kernarg_size 64
		.amdhsa_user_sgpr_count 15
		.amdhsa_user_sgpr_dispatch_ptr 0
		.amdhsa_user_sgpr_queue_ptr 0
		.amdhsa_user_sgpr_kernarg_segment_ptr 1
		.amdhsa_user_sgpr_dispatch_id 0
		.amdhsa_user_sgpr_private_segment_size 0
		.amdhsa_wavefront_size32 1
		.amdhsa_uses_dynamic_stack 0
		.amdhsa_enable_private_segment 0
		.amdhsa_system_sgpr_workgroup_id_x 1
		.amdhsa_system_sgpr_workgroup_id_y 0
		.amdhsa_system_sgpr_workgroup_id_z 0
		.amdhsa_system_sgpr_workgroup_info 0
		.amdhsa_system_vgpr_workitem_id 0
		.amdhsa_next_free_vgpr 1
		.amdhsa_next_free_sgpr 1
		.amdhsa_reserve_vcc 0
		.amdhsa_float_round_mode_32 0
		.amdhsa_float_round_mode_16_64 0
		.amdhsa_float_denorm_mode_32 3
		.amdhsa_float_denorm_mode_16_64 3
		.amdhsa_dx10_clamp 1
		.amdhsa_ieee_mode 1
		.amdhsa_fp16_overflow 0
		.amdhsa_workgroup_processor_mode 1
		.amdhsa_memory_ordered 1
		.amdhsa_forward_progress 0
		.amdhsa_shared_vgpr_count 0
		.amdhsa_exception_fp_ieee_invalid_op 0
		.amdhsa_exception_fp_denorm_src 0
		.amdhsa_exception_fp_ieee_div_zero 0
		.amdhsa_exception_fp_ieee_overflow 0
		.amdhsa_exception_fp_ieee_underflow 0
		.amdhsa_exception_fp_ieee_inexact 0
		.amdhsa_exception_int_div_zero 0
	.end_amdhsa_kernel
	.section	.text._ZN7rocprim17ROCPRIM_400000_NS6detail17trampoline_kernelINS0_14default_configENS1_22reduce_config_selectorIbEEZNS1_11reduce_implILb1ES3_N6hipcub16HIPCUB_304000_NS22TransformInputIteratorIbN2at6native12_GLOBAL__N_19NonZeroOpIaEEPKalEEPiiNS8_6detail34convert_binary_result_type_wrapperINS8_3SumESH_iEEEE10hipError_tPvRmT1_T2_T3_mT4_P12ihipStream_tbEUlT_E0_NS1_11comp_targetILNS1_3genE5ELNS1_11target_archE942ELNS1_3gpuE9ELNS1_3repE0EEENS1_30default_config_static_selectorELNS0_4arch9wavefront6targetE0EEEvSQ_,"axG",@progbits,_ZN7rocprim17ROCPRIM_400000_NS6detail17trampoline_kernelINS0_14default_configENS1_22reduce_config_selectorIbEEZNS1_11reduce_implILb1ES3_N6hipcub16HIPCUB_304000_NS22TransformInputIteratorIbN2at6native12_GLOBAL__N_19NonZeroOpIaEEPKalEEPiiNS8_6detail34convert_binary_result_type_wrapperINS8_3SumESH_iEEEE10hipError_tPvRmT1_T2_T3_mT4_P12ihipStream_tbEUlT_E0_NS1_11comp_targetILNS1_3genE5ELNS1_11target_archE942ELNS1_3gpuE9ELNS1_3repE0EEENS1_30default_config_static_selectorELNS0_4arch9wavefront6targetE0EEEvSQ_,comdat
.Lfunc_end101:
	.size	_ZN7rocprim17ROCPRIM_400000_NS6detail17trampoline_kernelINS0_14default_configENS1_22reduce_config_selectorIbEEZNS1_11reduce_implILb1ES3_N6hipcub16HIPCUB_304000_NS22TransformInputIteratorIbN2at6native12_GLOBAL__N_19NonZeroOpIaEEPKalEEPiiNS8_6detail34convert_binary_result_type_wrapperINS8_3SumESH_iEEEE10hipError_tPvRmT1_T2_T3_mT4_P12ihipStream_tbEUlT_E0_NS1_11comp_targetILNS1_3genE5ELNS1_11target_archE942ELNS1_3gpuE9ELNS1_3repE0EEENS1_30default_config_static_selectorELNS0_4arch9wavefront6targetE0EEEvSQ_, .Lfunc_end101-_ZN7rocprim17ROCPRIM_400000_NS6detail17trampoline_kernelINS0_14default_configENS1_22reduce_config_selectorIbEEZNS1_11reduce_implILb1ES3_N6hipcub16HIPCUB_304000_NS22TransformInputIteratorIbN2at6native12_GLOBAL__N_19NonZeroOpIaEEPKalEEPiiNS8_6detail34convert_binary_result_type_wrapperINS8_3SumESH_iEEEE10hipError_tPvRmT1_T2_T3_mT4_P12ihipStream_tbEUlT_E0_NS1_11comp_targetILNS1_3genE5ELNS1_11target_archE942ELNS1_3gpuE9ELNS1_3repE0EEENS1_30default_config_static_selectorELNS0_4arch9wavefront6targetE0EEEvSQ_
                                        ; -- End function
	.section	.AMDGPU.csdata,"",@progbits
; Kernel info:
; codeLenInByte = 0
; NumSgprs: 0
; NumVgprs: 0
; ScratchSize: 0
; MemoryBound: 0
; FloatMode: 240
; IeeeMode: 1
; LDSByteSize: 0 bytes/workgroup (compile time only)
; SGPRBlocks: 0
; VGPRBlocks: 0
; NumSGPRsForWavesPerEU: 1
; NumVGPRsForWavesPerEU: 1
; Occupancy: 16
; WaveLimiterHint : 0
; COMPUTE_PGM_RSRC2:SCRATCH_EN: 0
; COMPUTE_PGM_RSRC2:USER_SGPR: 15
; COMPUTE_PGM_RSRC2:TRAP_HANDLER: 0
; COMPUTE_PGM_RSRC2:TGID_X_EN: 1
; COMPUTE_PGM_RSRC2:TGID_Y_EN: 0
; COMPUTE_PGM_RSRC2:TGID_Z_EN: 0
; COMPUTE_PGM_RSRC2:TIDIG_COMP_CNT: 0
	.section	.text._ZN7rocprim17ROCPRIM_400000_NS6detail17trampoline_kernelINS0_14default_configENS1_22reduce_config_selectorIbEEZNS1_11reduce_implILb1ES3_N6hipcub16HIPCUB_304000_NS22TransformInputIteratorIbN2at6native12_GLOBAL__N_19NonZeroOpIaEEPKalEEPiiNS8_6detail34convert_binary_result_type_wrapperINS8_3SumESH_iEEEE10hipError_tPvRmT1_T2_T3_mT4_P12ihipStream_tbEUlT_E0_NS1_11comp_targetILNS1_3genE4ELNS1_11target_archE910ELNS1_3gpuE8ELNS1_3repE0EEENS1_30default_config_static_selectorELNS0_4arch9wavefront6targetE0EEEvSQ_,"axG",@progbits,_ZN7rocprim17ROCPRIM_400000_NS6detail17trampoline_kernelINS0_14default_configENS1_22reduce_config_selectorIbEEZNS1_11reduce_implILb1ES3_N6hipcub16HIPCUB_304000_NS22TransformInputIteratorIbN2at6native12_GLOBAL__N_19NonZeroOpIaEEPKalEEPiiNS8_6detail34convert_binary_result_type_wrapperINS8_3SumESH_iEEEE10hipError_tPvRmT1_T2_T3_mT4_P12ihipStream_tbEUlT_E0_NS1_11comp_targetILNS1_3genE4ELNS1_11target_archE910ELNS1_3gpuE8ELNS1_3repE0EEENS1_30default_config_static_selectorELNS0_4arch9wavefront6targetE0EEEvSQ_,comdat
	.globl	_ZN7rocprim17ROCPRIM_400000_NS6detail17trampoline_kernelINS0_14default_configENS1_22reduce_config_selectorIbEEZNS1_11reduce_implILb1ES3_N6hipcub16HIPCUB_304000_NS22TransformInputIteratorIbN2at6native12_GLOBAL__N_19NonZeroOpIaEEPKalEEPiiNS8_6detail34convert_binary_result_type_wrapperINS8_3SumESH_iEEEE10hipError_tPvRmT1_T2_T3_mT4_P12ihipStream_tbEUlT_E0_NS1_11comp_targetILNS1_3genE4ELNS1_11target_archE910ELNS1_3gpuE8ELNS1_3repE0EEENS1_30default_config_static_selectorELNS0_4arch9wavefront6targetE0EEEvSQ_ ; -- Begin function _ZN7rocprim17ROCPRIM_400000_NS6detail17trampoline_kernelINS0_14default_configENS1_22reduce_config_selectorIbEEZNS1_11reduce_implILb1ES3_N6hipcub16HIPCUB_304000_NS22TransformInputIteratorIbN2at6native12_GLOBAL__N_19NonZeroOpIaEEPKalEEPiiNS8_6detail34convert_binary_result_type_wrapperINS8_3SumESH_iEEEE10hipError_tPvRmT1_T2_T3_mT4_P12ihipStream_tbEUlT_E0_NS1_11comp_targetILNS1_3genE4ELNS1_11target_archE910ELNS1_3gpuE8ELNS1_3repE0EEENS1_30default_config_static_selectorELNS0_4arch9wavefront6targetE0EEEvSQ_
	.p2align	8
	.type	_ZN7rocprim17ROCPRIM_400000_NS6detail17trampoline_kernelINS0_14default_configENS1_22reduce_config_selectorIbEEZNS1_11reduce_implILb1ES3_N6hipcub16HIPCUB_304000_NS22TransformInputIteratorIbN2at6native12_GLOBAL__N_19NonZeroOpIaEEPKalEEPiiNS8_6detail34convert_binary_result_type_wrapperINS8_3SumESH_iEEEE10hipError_tPvRmT1_T2_T3_mT4_P12ihipStream_tbEUlT_E0_NS1_11comp_targetILNS1_3genE4ELNS1_11target_archE910ELNS1_3gpuE8ELNS1_3repE0EEENS1_30default_config_static_selectorELNS0_4arch9wavefront6targetE0EEEvSQ_,@function
_ZN7rocprim17ROCPRIM_400000_NS6detail17trampoline_kernelINS0_14default_configENS1_22reduce_config_selectorIbEEZNS1_11reduce_implILb1ES3_N6hipcub16HIPCUB_304000_NS22TransformInputIteratorIbN2at6native12_GLOBAL__N_19NonZeroOpIaEEPKalEEPiiNS8_6detail34convert_binary_result_type_wrapperINS8_3SumESH_iEEEE10hipError_tPvRmT1_T2_T3_mT4_P12ihipStream_tbEUlT_E0_NS1_11comp_targetILNS1_3genE4ELNS1_11target_archE910ELNS1_3gpuE8ELNS1_3repE0EEENS1_30default_config_static_selectorELNS0_4arch9wavefront6targetE0EEEvSQ_: ; @_ZN7rocprim17ROCPRIM_400000_NS6detail17trampoline_kernelINS0_14default_configENS1_22reduce_config_selectorIbEEZNS1_11reduce_implILb1ES3_N6hipcub16HIPCUB_304000_NS22TransformInputIteratorIbN2at6native12_GLOBAL__N_19NonZeroOpIaEEPKalEEPiiNS8_6detail34convert_binary_result_type_wrapperINS8_3SumESH_iEEEE10hipError_tPvRmT1_T2_T3_mT4_P12ihipStream_tbEUlT_E0_NS1_11comp_targetILNS1_3genE4ELNS1_11target_archE910ELNS1_3gpuE8ELNS1_3repE0EEENS1_30default_config_static_selectorELNS0_4arch9wavefront6targetE0EEEvSQ_
; %bb.0:
	.section	.rodata,"a",@progbits
	.p2align	6, 0x0
	.amdhsa_kernel _ZN7rocprim17ROCPRIM_400000_NS6detail17trampoline_kernelINS0_14default_configENS1_22reduce_config_selectorIbEEZNS1_11reduce_implILb1ES3_N6hipcub16HIPCUB_304000_NS22TransformInputIteratorIbN2at6native12_GLOBAL__N_19NonZeroOpIaEEPKalEEPiiNS8_6detail34convert_binary_result_type_wrapperINS8_3SumESH_iEEEE10hipError_tPvRmT1_T2_T3_mT4_P12ihipStream_tbEUlT_E0_NS1_11comp_targetILNS1_3genE4ELNS1_11target_archE910ELNS1_3gpuE8ELNS1_3repE0EEENS1_30default_config_static_selectorELNS0_4arch9wavefront6targetE0EEEvSQ_
		.amdhsa_group_segment_fixed_size 0
		.amdhsa_private_segment_fixed_size 0
		.amdhsa_kernarg_size 64
		.amdhsa_user_sgpr_count 15
		.amdhsa_user_sgpr_dispatch_ptr 0
		.amdhsa_user_sgpr_queue_ptr 0
		.amdhsa_user_sgpr_kernarg_segment_ptr 1
		.amdhsa_user_sgpr_dispatch_id 0
		.amdhsa_user_sgpr_private_segment_size 0
		.amdhsa_wavefront_size32 1
		.amdhsa_uses_dynamic_stack 0
		.amdhsa_enable_private_segment 0
		.amdhsa_system_sgpr_workgroup_id_x 1
		.amdhsa_system_sgpr_workgroup_id_y 0
		.amdhsa_system_sgpr_workgroup_id_z 0
		.amdhsa_system_sgpr_workgroup_info 0
		.amdhsa_system_vgpr_workitem_id 0
		.amdhsa_next_free_vgpr 1
		.amdhsa_next_free_sgpr 1
		.amdhsa_reserve_vcc 0
		.amdhsa_float_round_mode_32 0
		.amdhsa_float_round_mode_16_64 0
		.amdhsa_float_denorm_mode_32 3
		.amdhsa_float_denorm_mode_16_64 3
		.amdhsa_dx10_clamp 1
		.amdhsa_ieee_mode 1
		.amdhsa_fp16_overflow 0
		.amdhsa_workgroup_processor_mode 1
		.amdhsa_memory_ordered 1
		.amdhsa_forward_progress 0
		.amdhsa_shared_vgpr_count 0
		.amdhsa_exception_fp_ieee_invalid_op 0
		.amdhsa_exception_fp_denorm_src 0
		.amdhsa_exception_fp_ieee_div_zero 0
		.amdhsa_exception_fp_ieee_overflow 0
		.amdhsa_exception_fp_ieee_underflow 0
		.amdhsa_exception_fp_ieee_inexact 0
		.amdhsa_exception_int_div_zero 0
	.end_amdhsa_kernel
	.section	.text._ZN7rocprim17ROCPRIM_400000_NS6detail17trampoline_kernelINS0_14default_configENS1_22reduce_config_selectorIbEEZNS1_11reduce_implILb1ES3_N6hipcub16HIPCUB_304000_NS22TransformInputIteratorIbN2at6native12_GLOBAL__N_19NonZeroOpIaEEPKalEEPiiNS8_6detail34convert_binary_result_type_wrapperINS8_3SumESH_iEEEE10hipError_tPvRmT1_T2_T3_mT4_P12ihipStream_tbEUlT_E0_NS1_11comp_targetILNS1_3genE4ELNS1_11target_archE910ELNS1_3gpuE8ELNS1_3repE0EEENS1_30default_config_static_selectorELNS0_4arch9wavefront6targetE0EEEvSQ_,"axG",@progbits,_ZN7rocprim17ROCPRIM_400000_NS6detail17trampoline_kernelINS0_14default_configENS1_22reduce_config_selectorIbEEZNS1_11reduce_implILb1ES3_N6hipcub16HIPCUB_304000_NS22TransformInputIteratorIbN2at6native12_GLOBAL__N_19NonZeroOpIaEEPKalEEPiiNS8_6detail34convert_binary_result_type_wrapperINS8_3SumESH_iEEEE10hipError_tPvRmT1_T2_T3_mT4_P12ihipStream_tbEUlT_E0_NS1_11comp_targetILNS1_3genE4ELNS1_11target_archE910ELNS1_3gpuE8ELNS1_3repE0EEENS1_30default_config_static_selectorELNS0_4arch9wavefront6targetE0EEEvSQ_,comdat
.Lfunc_end102:
	.size	_ZN7rocprim17ROCPRIM_400000_NS6detail17trampoline_kernelINS0_14default_configENS1_22reduce_config_selectorIbEEZNS1_11reduce_implILb1ES3_N6hipcub16HIPCUB_304000_NS22TransformInputIteratorIbN2at6native12_GLOBAL__N_19NonZeroOpIaEEPKalEEPiiNS8_6detail34convert_binary_result_type_wrapperINS8_3SumESH_iEEEE10hipError_tPvRmT1_T2_T3_mT4_P12ihipStream_tbEUlT_E0_NS1_11comp_targetILNS1_3genE4ELNS1_11target_archE910ELNS1_3gpuE8ELNS1_3repE0EEENS1_30default_config_static_selectorELNS0_4arch9wavefront6targetE0EEEvSQ_, .Lfunc_end102-_ZN7rocprim17ROCPRIM_400000_NS6detail17trampoline_kernelINS0_14default_configENS1_22reduce_config_selectorIbEEZNS1_11reduce_implILb1ES3_N6hipcub16HIPCUB_304000_NS22TransformInputIteratorIbN2at6native12_GLOBAL__N_19NonZeroOpIaEEPKalEEPiiNS8_6detail34convert_binary_result_type_wrapperINS8_3SumESH_iEEEE10hipError_tPvRmT1_T2_T3_mT4_P12ihipStream_tbEUlT_E0_NS1_11comp_targetILNS1_3genE4ELNS1_11target_archE910ELNS1_3gpuE8ELNS1_3repE0EEENS1_30default_config_static_selectorELNS0_4arch9wavefront6targetE0EEEvSQ_
                                        ; -- End function
	.section	.AMDGPU.csdata,"",@progbits
; Kernel info:
; codeLenInByte = 0
; NumSgprs: 0
; NumVgprs: 0
; ScratchSize: 0
; MemoryBound: 0
; FloatMode: 240
; IeeeMode: 1
; LDSByteSize: 0 bytes/workgroup (compile time only)
; SGPRBlocks: 0
; VGPRBlocks: 0
; NumSGPRsForWavesPerEU: 1
; NumVGPRsForWavesPerEU: 1
; Occupancy: 16
; WaveLimiterHint : 0
; COMPUTE_PGM_RSRC2:SCRATCH_EN: 0
; COMPUTE_PGM_RSRC2:USER_SGPR: 15
; COMPUTE_PGM_RSRC2:TRAP_HANDLER: 0
; COMPUTE_PGM_RSRC2:TGID_X_EN: 1
; COMPUTE_PGM_RSRC2:TGID_Y_EN: 0
; COMPUTE_PGM_RSRC2:TGID_Z_EN: 0
; COMPUTE_PGM_RSRC2:TIDIG_COMP_CNT: 0
	.section	.text._ZN7rocprim17ROCPRIM_400000_NS6detail17trampoline_kernelINS0_14default_configENS1_22reduce_config_selectorIbEEZNS1_11reduce_implILb1ES3_N6hipcub16HIPCUB_304000_NS22TransformInputIteratorIbN2at6native12_GLOBAL__N_19NonZeroOpIaEEPKalEEPiiNS8_6detail34convert_binary_result_type_wrapperINS8_3SumESH_iEEEE10hipError_tPvRmT1_T2_T3_mT4_P12ihipStream_tbEUlT_E0_NS1_11comp_targetILNS1_3genE3ELNS1_11target_archE908ELNS1_3gpuE7ELNS1_3repE0EEENS1_30default_config_static_selectorELNS0_4arch9wavefront6targetE0EEEvSQ_,"axG",@progbits,_ZN7rocprim17ROCPRIM_400000_NS6detail17trampoline_kernelINS0_14default_configENS1_22reduce_config_selectorIbEEZNS1_11reduce_implILb1ES3_N6hipcub16HIPCUB_304000_NS22TransformInputIteratorIbN2at6native12_GLOBAL__N_19NonZeroOpIaEEPKalEEPiiNS8_6detail34convert_binary_result_type_wrapperINS8_3SumESH_iEEEE10hipError_tPvRmT1_T2_T3_mT4_P12ihipStream_tbEUlT_E0_NS1_11comp_targetILNS1_3genE3ELNS1_11target_archE908ELNS1_3gpuE7ELNS1_3repE0EEENS1_30default_config_static_selectorELNS0_4arch9wavefront6targetE0EEEvSQ_,comdat
	.globl	_ZN7rocprim17ROCPRIM_400000_NS6detail17trampoline_kernelINS0_14default_configENS1_22reduce_config_selectorIbEEZNS1_11reduce_implILb1ES3_N6hipcub16HIPCUB_304000_NS22TransformInputIteratorIbN2at6native12_GLOBAL__N_19NonZeroOpIaEEPKalEEPiiNS8_6detail34convert_binary_result_type_wrapperINS8_3SumESH_iEEEE10hipError_tPvRmT1_T2_T3_mT4_P12ihipStream_tbEUlT_E0_NS1_11comp_targetILNS1_3genE3ELNS1_11target_archE908ELNS1_3gpuE7ELNS1_3repE0EEENS1_30default_config_static_selectorELNS0_4arch9wavefront6targetE0EEEvSQ_ ; -- Begin function _ZN7rocprim17ROCPRIM_400000_NS6detail17trampoline_kernelINS0_14default_configENS1_22reduce_config_selectorIbEEZNS1_11reduce_implILb1ES3_N6hipcub16HIPCUB_304000_NS22TransformInputIteratorIbN2at6native12_GLOBAL__N_19NonZeroOpIaEEPKalEEPiiNS8_6detail34convert_binary_result_type_wrapperINS8_3SumESH_iEEEE10hipError_tPvRmT1_T2_T3_mT4_P12ihipStream_tbEUlT_E0_NS1_11comp_targetILNS1_3genE3ELNS1_11target_archE908ELNS1_3gpuE7ELNS1_3repE0EEENS1_30default_config_static_selectorELNS0_4arch9wavefront6targetE0EEEvSQ_
	.p2align	8
	.type	_ZN7rocprim17ROCPRIM_400000_NS6detail17trampoline_kernelINS0_14default_configENS1_22reduce_config_selectorIbEEZNS1_11reduce_implILb1ES3_N6hipcub16HIPCUB_304000_NS22TransformInputIteratorIbN2at6native12_GLOBAL__N_19NonZeroOpIaEEPKalEEPiiNS8_6detail34convert_binary_result_type_wrapperINS8_3SumESH_iEEEE10hipError_tPvRmT1_T2_T3_mT4_P12ihipStream_tbEUlT_E0_NS1_11comp_targetILNS1_3genE3ELNS1_11target_archE908ELNS1_3gpuE7ELNS1_3repE0EEENS1_30default_config_static_selectorELNS0_4arch9wavefront6targetE0EEEvSQ_,@function
_ZN7rocprim17ROCPRIM_400000_NS6detail17trampoline_kernelINS0_14default_configENS1_22reduce_config_selectorIbEEZNS1_11reduce_implILb1ES3_N6hipcub16HIPCUB_304000_NS22TransformInputIteratorIbN2at6native12_GLOBAL__N_19NonZeroOpIaEEPKalEEPiiNS8_6detail34convert_binary_result_type_wrapperINS8_3SumESH_iEEEE10hipError_tPvRmT1_T2_T3_mT4_P12ihipStream_tbEUlT_E0_NS1_11comp_targetILNS1_3genE3ELNS1_11target_archE908ELNS1_3gpuE7ELNS1_3repE0EEENS1_30default_config_static_selectorELNS0_4arch9wavefront6targetE0EEEvSQ_: ; @_ZN7rocprim17ROCPRIM_400000_NS6detail17trampoline_kernelINS0_14default_configENS1_22reduce_config_selectorIbEEZNS1_11reduce_implILb1ES3_N6hipcub16HIPCUB_304000_NS22TransformInputIteratorIbN2at6native12_GLOBAL__N_19NonZeroOpIaEEPKalEEPiiNS8_6detail34convert_binary_result_type_wrapperINS8_3SumESH_iEEEE10hipError_tPvRmT1_T2_T3_mT4_P12ihipStream_tbEUlT_E0_NS1_11comp_targetILNS1_3genE3ELNS1_11target_archE908ELNS1_3gpuE7ELNS1_3repE0EEENS1_30default_config_static_selectorELNS0_4arch9wavefront6targetE0EEEvSQ_
; %bb.0:
	.section	.rodata,"a",@progbits
	.p2align	6, 0x0
	.amdhsa_kernel _ZN7rocprim17ROCPRIM_400000_NS6detail17trampoline_kernelINS0_14default_configENS1_22reduce_config_selectorIbEEZNS1_11reduce_implILb1ES3_N6hipcub16HIPCUB_304000_NS22TransformInputIteratorIbN2at6native12_GLOBAL__N_19NonZeroOpIaEEPKalEEPiiNS8_6detail34convert_binary_result_type_wrapperINS8_3SumESH_iEEEE10hipError_tPvRmT1_T2_T3_mT4_P12ihipStream_tbEUlT_E0_NS1_11comp_targetILNS1_3genE3ELNS1_11target_archE908ELNS1_3gpuE7ELNS1_3repE0EEENS1_30default_config_static_selectorELNS0_4arch9wavefront6targetE0EEEvSQ_
		.amdhsa_group_segment_fixed_size 0
		.amdhsa_private_segment_fixed_size 0
		.amdhsa_kernarg_size 64
		.amdhsa_user_sgpr_count 15
		.amdhsa_user_sgpr_dispatch_ptr 0
		.amdhsa_user_sgpr_queue_ptr 0
		.amdhsa_user_sgpr_kernarg_segment_ptr 1
		.amdhsa_user_sgpr_dispatch_id 0
		.amdhsa_user_sgpr_private_segment_size 0
		.amdhsa_wavefront_size32 1
		.amdhsa_uses_dynamic_stack 0
		.amdhsa_enable_private_segment 0
		.amdhsa_system_sgpr_workgroup_id_x 1
		.amdhsa_system_sgpr_workgroup_id_y 0
		.amdhsa_system_sgpr_workgroup_id_z 0
		.amdhsa_system_sgpr_workgroup_info 0
		.amdhsa_system_vgpr_workitem_id 0
		.amdhsa_next_free_vgpr 1
		.amdhsa_next_free_sgpr 1
		.amdhsa_reserve_vcc 0
		.amdhsa_float_round_mode_32 0
		.amdhsa_float_round_mode_16_64 0
		.amdhsa_float_denorm_mode_32 3
		.amdhsa_float_denorm_mode_16_64 3
		.amdhsa_dx10_clamp 1
		.amdhsa_ieee_mode 1
		.amdhsa_fp16_overflow 0
		.amdhsa_workgroup_processor_mode 1
		.amdhsa_memory_ordered 1
		.amdhsa_forward_progress 0
		.amdhsa_shared_vgpr_count 0
		.amdhsa_exception_fp_ieee_invalid_op 0
		.amdhsa_exception_fp_denorm_src 0
		.amdhsa_exception_fp_ieee_div_zero 0
		.amdhsa_exception_fp_ieee_overflow 0
		.amdhsa_exception_fp_ieee_underflow 0
		.amdhsa_exception_fp_ieee_inexact 0
		.amdhsa_exception_int_div_zero 0
	.end_amdhsa_kernel
	.section	.text._ZN7rocprim17ROCPRIM_400000_NS6detail17trampoline_kernelINS0_14default_configENS1_22reduce_config_selectorIbEEZNS1_11reduce_implILb1ES3_N6hipcub16HIPCUB_304000_NS22TransformInputIteratorIbN2at6native12_GLOBAL__N_19NonZeroOpIaEEPKalEEPiiNS8_6detail34convert_binary_result_type_wrapperINS8_3SumESH_iEEEE10hipError_tPvRmT1_T2_T3_mT4_P12ihipStream_tbEUlT_E0_NS1_11comp_targetILNS1_3genE3ELNS1_11target_archE908ELNS1_3gpuE7ELNS1_3repE0EEENS1_30default_config_static_selectorELNS0_4arch9wavefront6targetE0EEEvSQ_,"axG",@progbits,_ZN7rocprim17ROCPRIM_400000_NS6detail17trampoline_kernelINS0_14default_configENS1_22reduce_config_selectorIbEEZNS1_11reduce_implILb1ES3_N6hipcub16HIPCUB_304000_NS22TransformInputIteratorIbN2at6native12_GLOBAL__N_19NonZeroOpIaEEPKalEEPiiNS8_6detail34convert_binary_result_type_wrapperINS8_3SumESH_iEEEE10hipError_tPvRmT1_T2_T3_mT4_P12ihipStream_tbEUlT_E0_NS1_11comp_targetILNS1_3genE3ELNS1_11target_archE908ELNS1_3gpuE7ELNS1_3repE0EEENS1_30default_config_static_selectorELNS0_4arch9wavefront6targetE0EEEvSQ_,comdat
.Lfunc_end103:
	.size	_ZN7rocprim17ROCPRIM_400000_NS6detail17trampoline_kernelINS0_14default_configENS1_22reduce_config_selectorIbEEZNS1_11reduce_implILb1ES3_N6hipcub16HIPCUB_304000_NS22TransformInputIteratorIbN2at6native12_GLOBAL__N_19NonZeroOpIaEEPKalEEPiiNS8_6detail34convert_binary_result_type_wrapperINS8_3SumESH_iEEEE10hipError_tPvRmT1_T2_T3_mT4_P12ihipStream_tbEUlT_E0_NS1_11comp_targetILNS1_3genE3ELNS1_11target_archE908ELNS1_3gpuE7ELNS1_3repE0EEENS1_30default_config_static_selectorELNS0_4arch9wavefront6targetE0EEEvSQ_, .Lfunc_end103-_ZN7rocprim17ROCPRIM_400000_NS6detail17trampoline_kernelINS0_14default_configENS1_22reduce_config_selectorIbEEZNS1_11reduce_implILb1ES3_N6hipcub16HIPCUB_304000_NS22TransformInputIteratorIbN2at6native12_GLOBAL__N_19NonZeroOpIaEEPKalEEPiiNS8_6detail34convert_binary_result_type_wrapperINS8_3SumESH_iEEEE10hipError_tPvRmT1_T2_T3_mT4_P12ihipStream_tbEUlT_E0_NS1_11comp_targetILNS1_3genE3ELNS1_11target_archE908ELNS1_3gpuE7ELNS1_3repE0EEENS1_30default_config_static_selectorELNS0_4arch9wavefront6targetE0EEEvSQ_
                                        ; -- End function
	.section	.AMDGPU.csdata,"",@progbits
; Kernel info:
; codeLenInByte = 0
; NumSgprs: 0
; NumVgprs: 0
; ScratchSize: 0
; MemoryBound: 0
; FloatMode: 240
; IeeeMode: 1
; LDSByteSize: 0 bytes/workgroup (compile time only)
; SGPRBlocks: 0
; VGPRBlocks: 0
; NumSGPRsForWavesPerEU: 1
; NumVGPRsForWavesPerEU: 1
; Occupancy: 16
; WaveLimiterHint : 0
; COMPUTE_PGM_RSRC2:SCRATCH_EN: 0
; COMPUTE_PGM_RSRC2:USER_SGPR: 15
; COMPUTE_PGM_RSRC2:TRAP_HANDLER: 0
; COMPUTE_PGM_RSRC2:TGID_X_EN: 1
; COMPUTE_PGM_RSRC2:TGID_Y_EN: 0
; COMPUTE_PGM_RSRC2:TGID_Z_EN: 0
; COMPUTE_PGM_RSRC2:TIDIG_COMP_CNT: 0
	.section	.text._ZN7rocprim17ROCPRIM_400000_NS6detail17trampoline_kernelINS0_14default_configENS1_22reduce_config_selectorIbEEZNS1_11reduce_implILb1ES3_N6hipcub16HIPCUB_304000_NS22TransformInputIteratorIbN2at6native12_GLOBAL__N_19NonZeroOpIaEEPKalEEPiiNS8_6detail34convert_binary_result_type_wrapperINS8_3SumESH_iEEEE10hipError_tPvRmT1_T2_T3_mT4_P12ihipStream_tbEUlT_E0_NS1_11comp_targetILNS1_3genE2ELNS1_11target_archE906ELNS1_3gpuE6ELNS1_3repE0EEENS1_30default_config_static_selectorELNS0_4arch9wavefront6targetE0EEEvSQ_,"axG",@progbits,_ZN7rocprim17ROCPRIM_400000_NS6detail17trampoline_kernelINS0_14default_configENS1_22reduce_config_selectorIbEEZNS1_11reduce_implILb1ES3_N6hipcub16HIPCUB_304000_NS22TransformInputIteratorIbN2at6native12_GLOBAL__N_19NonZeroOpIaEEPKalEEPiiNS8_6detail34convert_binary_result_type_wrapperINS8_3SumESH_iEEEE10hipError_tPvRmT1_T2_T3_mT4_P12ihipStream_tbEUlT_E0_NS1_11comp_targetILNS1_3genE2ELNS1_11target_archE906ELNS1_3gpuE6ELNS1_3repE0EEENS1_30default_config_static_selectorELNS0_4arch9wavefront6targetE0EEEvSQ_,comdat
	.globl	_ZN7rocprim17ROCPRIM_400000_NS6detail17trampoline_kernelINS0_14default_configENS1_22reduce_config_selectorIbEEZNS1_11reduce_implILb1ES3_N6hipcub16HIPCUB_304000_NS22TransformInputIteratorIbN2at6native12_GLOBAL__N_19NonZeroOpIaEEPKalEEPiiNS8_6detail34convert_binary_result_type_wrapperINS8_3SumESH_iEEEE10hipError_tPvRmT1_T2_T3_mT4_P12ihipStream_tbEUlT_E0_NS1_11comp_targetILNS1_3genE2ELNS1_11target_archE906ELNS1_3gpuE6ELNS1_3repE0EEENS1_30default_config_static_selectorELNS0_4arch9wavefront6targetE0EEEvSQ_ ; -- Begin function _ZN7rocprim17ROCPRIM_400000_NS6detail17trampoline_kernelINS0_14default_configENS1_22reduce_config_selectorIbEEZNS1_11reduce_implILb1ES3_N6hipcub16HIPCUB_304000_NS22TransformInputIteratorIbN2at6native12_GLOBAL__N_19NonZeroOpIaEEPKalEEPiiNS8_6detail34convert_binary_result_type_wrapperINS8_3SumESH_iEEEE10hipError_tPvRmT1_T2_T3_mT4_P12ihipStream_tbEUlT_E0_NS1_11comp_targetILNS1_3genE2ELNS1_11target_archE906ELNS1_3gpuE6ELNS1_3repE0EEENS1_30default_config_static_selectorELNS0_4arch9wavefront6targetE0EEEvSQ_
	.p2align	8
	.type	_ZN7rocprim17ROCPRIM_400000_NS6detail17trampoline_kernelINS0_14default_configENS1_22reduce_config_selectorIbEEZNS1_11reduce_implILb1ES3_N6hipcub16HIPCUB_304000_NS22TransformInputIteratorIbN2at6native12_GLOBAL__N_19NonZeroOpIaEEPKalEEPiiNS8_6detail34convert_binary_result_type_wrapperINS8_3SumESH_iEEEE10hipError_tPvRmT1_T2_T3_mT4_P12ihipStream_tbEUlT_E0_NS1_11comp_targetILNS1_3genE2ELNS1_11target_archE906ELNS1_3gpuE6ELNS1_3repE0EEENS1_30default_config_static_selectorELNS0_4arch9wavefront6targetE0EEEvSQ_,@function
_ZN7rocprim17ROCPRIM_400000_NS6detail17trampoline_kernelINS0_14default_configENS1_22reduce_config_selectorIbEEZNS1_11reduce_implILb1ES3_N6hipcub16HIPCUB_304000_NS22TransformInputIteratorIbN2at6native12_GLOBAL__N_19NonZeroOpIaEEPKalEEPiiNS8_6detail34convert_binary_result_type_wrapperINS8_3SumESH_iEEEE10hipError_tPvRmT1_T2_T3_mT4_P12ihipStream_tbEUlT_E0_NS1_11comp_targetILNS1_3genE2ELNS1_11target_archE906ELNS1_3gpuE6ELNS1_3repE0EEENS1_30default_config_static_selectorELNS0_4arch9wavefront6targetE0EEEvSQ_: ; @_ZN7rocprim17ROCPRIM_400000_NS6detail17trampoline_kernelINS0_14default_configENS1_22reduce_config_selectorIbEEZNS1_11reduce_implILb1ES3_N6hipcub16HIPCUB_304000_NS22TransformInputIteratorIbN2at6native12_GLOBAL__N_19NonZeroOpIaEEPKalEEPiiNS8_6detail34convert_binary_result_type_wrapperINS8_3SumESH_iEEEE10hipError_tPvRmT1_T2_T3_mT4_P12ihipStream_tbEUlT_E0_NS1_11comp_targetILNS1_3genE2ELNS1_11target_archE906ELNS1_3gpuE6ELNS1_3repE0EEENS1_30default_config_static_selectorELNS0_4arch9wavefront6targetE0EEEvSQ_
; %bb.0:
	.section	.rodata,"a",@progbits
	.p2align	6, 0x0
	.amdhsa_kernel _ZN7rocprim17ROCPRIM_400000_NS6detail17trampoline_kernelINS0_14default_configENS1_22reduce_config_selectorIbEEZNS1_11reduce_implILb1ES3_N6hipcub16HIPCUB_304000_NS22TransformInputIteratorIbN2at6native12_GLOBAL__N_19NonZeroOpIaEEPKalEEPiiNS8_6detail34convert_binary_result_type_wrapperINS8_3SumESH_iEEEE10hipError_tPvRmT1_T2_T3_mT4_P12ihipStream_tbEUlT_E0_NS1_11comp_targetILNS1_3genE2ELNS1_11target_archE906ELNS1_3gpuE6ELNS1_3repE0EEENS1_30default_config_static_selectorELNS0_4arch9wavefront6targetE0EEEvSQ_
		.amdhsa_group_segment_fixed_size 0
		.amdhsa_private_segment_fixed_size 0
		.amdhsa_kernarg_size 64
		.amdhsa_user_sgpr_count 15
		.amdhsa_user_sgpr_dispatch_ptr 0
		.amdhsa_user_sgpr_queue_ptr 0
		.amdhsa_user_sgpr_kernarg_segment_ptr 1
		.amdhsa_user_sgpr_dispatch_id 0
		.amdhsa_user_sgpr_private_segment_size 0
		.amdhsa_wavefront_size32 1
		.amdhsa_uses_dynamic_stack 0
		.amdhsa_enable_private_segment 0
		.amdhsa_system_sgpr_workgroup_id_x 1
		.amdhsa_system_sgpr_workgroup_id_y 0
		.amdhsa_system_sgpr_workgroup_id_z 0
		.amdhsa_system_sgpr_workgroup_info 0
		.amdhsa_system_vgpr_workitem_id 0
		.amdhsa_next_free_vgpr 1
		.amdhsa_next_free_sgpr 1
		.amdhsa_reserve_vcc 0
		.amdhsa_float_round_mode_32 0
		.amdhsa_float_round_mode_16_64 0
		.amdhsa_float_denorm_mode_32 3
		.amdhsa_float_denorm_mode_16_64 3
		.amdhsa_dx10_clamp 1
		.amdhsa_ieee_mode 1
		.amdhsa_fp16_overflow 0
		.amdhsa_workgroup_processor_mode 1
		.amdhsa_memory_ordered 1
		.amdhsa_forward_progress 0
		.amdhsa_shared_vgpr_count 0
		.amdhsa_exception_fp_ieee_invalid_op 0
		.amdhsa_exception_fp_denorm_src 0
		.amdhsa_exception_fp_ieee_div_zero 0
		.amdhsa_exception_fp_ieee_overflow 0
		.amdhsa_exception_fp_ieee_underflow 0
		.amdhsa_exception_fp_ieee_inexact 0
		.amdhsa_exception_int_div_zero 0
	.end_amdhsa_kernel
	.section	.text._ZN7rocprim17ROCPRIM_400000_NS6detail17trampoline_kernelINS0_14default_configENS1_22reduce_config_selectorIbEEZNS1_11reduce_implILb1ES3_N6hipcub16HIPCUB_304000_NS22TransformInputIteratorIbN2at6native12_GLOBAL__N_19NonZeroOpIaEEPKalEEPiiNS8_6detail34convert_binary_result_type_wrapperINS8_3SumESH_iEEEE10hipError_tPvRmT1_T2_T3_mT4_P12ihipStream_tbEUlT_E0_NS1_11comp_targetILNS1_3genE2ELNS1_11target_archE906ELNS1_3gpuE6ELNS1_3repE0EEENS1_30default_config_static_selectorELNS0_4arch9wavefront6targetE0EEEvSQ_,"axG",@progbits,_ZN7rocprim17ROCPRIM_400000_NS6detail17trampoline_kernelINS0_14default_configENS1_22reduce_config_selectorIbEEZNS1_11reduce_implILb1ES3_N6hipcub16HIPCUB_304000_NS22TransformInputIteratorIbN2at6native12_GLOBAL__N_19NonZeroOpIaEEPKalEEPiiNS8_6detail34convert_binary_result_type_wrapperINS8_3SumESH_iEEEE10hipError_tPvRmT1_T2_T3_mT4_P12ihipStream_tbEUlT_E0_NS1_11comp_targetILNS1_3genE2ELNS1_11target_archE906ELNS1_3gpuE6ELNS1_3repE0EEENS1_30default_config_static_selectorELNS0_4arch9wavefront6targetE0EEEvSQ_,comdat
.Lfunc_end104:
	.size	_ZN7rocprim17ROCPRIM_400000_NS6detail17trampoline_kernelINS0_14default_configENS1_22reduce_config_selectorIbEEZNS1_11reduce_implILb1ES3_N6hipcub16HIPCUB_304000_NS22TransformInputIteratorIbN2at6native12_GLOBAL__N_19NonZeroOpIaEEPKalEEPiiNS8_6detail34convert_binary_result_type_wrapperINS8_3SumESH_iEEEE10hipError_tPvRmT1_T2_T3_mT4_P12ihipStream_tbEUlT_E0_NS1_11comp_targetILNS1_3genE2ELNS1_11target_archE906ELNS1_3gpuE6ELNS1_3repE0EEENS1_30default_config_static_selectorELNS0_4arch9wavefront6targetE0EEEvSQ_, .Lfunc_end104-_ZN7rocprim17ROCPRIM_400000_NS6detail17trampoline_kernelINS0_14default_configENS1_22reduce_config_selectorIbEEZNS1_11reduce_implILb1ES3_N6hipcub16HIPCUB_304000_NS22TransformInputIteratorIbN2at6native12_GLOBAL__N_19NonZeroOpIaEEPKalEEPiiNS8_6detail34convert_binary_result_type_wrapperINS8_3SumESH_iEEEE10hipError_tPvRmT1_T2_T3_mT4_P12ihipStream_tbEUlT_E0_NS1_11comp_targetILNS1_3genE2ELNS1_11target_archE906ELNS1_3gpuE6ELNS1_3repE0EEENS1_30default_config_static_selectorELNS0_4arch9wavefront6targetE0EEEvSQ_
                                        ; -- End function
	.section	.AMDGPU.csdata,"",@progbits
; Kernel info:
; codeLenInByte = 0
; NumSgprs: 0
; NumVgprs: 0
; ScratchSize: 0
; MemoryBound: 0
; FloatMode: 240
; IeeeMode: 1
; LDSByteSize: 0 bytes/workgroup (compile time only)
; SGPRBlocks: 0
; VGPRBlocks: 0
; NumSGPRsForWavesPerEU: 1
; NumVGPRsForWavesPerEU: 1
; Occupancy: 16
; WaveLimiterHint : 0
; COMPUTE_PGM_RSRC2:SCRATCH_EN: 0
; COMPUTE_PGM_RSRC2:USER_SGPR: 15
; COMPUTE_PGM_RSRC2:TRAP_HANDLER: 0
; COMPUTE_PGM_RSRC2:TGID_X_EN: 1
; COMPUTE_PGM_RSRC2:TGID_Y_EN: 0
; COMPUTE_PGM_RSRC2:TGID_Z_EN: 0
; COMPUTE_PGM_RSRC2:TIDIG_COMP_CNT: 0
	.section	.text._ZN7rocprim17ROCPRIM_400000_NS6detail17trampoline_kernelINS0_14default_configENS1_22reduce_config_selectorIbEEZNS1_11reduce_implILb1ES3_N6hipcub16HIPCUB_304000_NS22TransformInputIteratorIbN2at6native12_GLOBAL__N_19NonZeroOpIaEEPKalEEPiiNS8_6detail34convert_binary_result_type_wrapperINS8_3SumESH_iEEEE10hipError_tPvRmT1_T2_T3_mT4_P12ihipStream_tbEUlT_E0_NS1_11comp_targetILNS1_3genE10ELNS1_11target_archE1201ELNS1_3gpuE5ELNS1_3repE0EEENS1_30default_config_static_selectorELNS0_4arch9wavefront6targetE0EEEvSQ_,"axG",@progbits,_ZN7rocprim17ROCPRIM_400000_NS6detail17trampoline_kernelINS0_14default_configENS1_22reduce_config_selectorIbEEZNS1_11reduce_implILb1ES3_N6hipcub16HIPCUB_304000_NS22TransformInputIteratorIbN2at6native12_GLOBAL__N_19NonZeroOpIaEEPKalEEPiiNS8_6detail34convert_binary_result_type_wrapperINS8_3SumESH_iEEEE10hipError_tPvRmT1_T2_T3_mT4_P12ihipStream_tbEUlT_E0_NS1_11comp_targetILNS1_3genE10ELNS1_11target_archE1201ELNS1_3gpuE5ELNS1_3repE0EEENS1_30default_config_static_selectorELNS0_4arch9wavefront6targetE0EEEvSQ_,comdat
	.globl	_ZN7rocprim17ROCPRIM_400000_NS6detail17trampoline_kernelINS0_14default_configENS1_22reduce_config_selectorIbEEZNS1_11reduce_implILb1ES3_N6hipcub16HIPCUB_304000_NS22TransformInputIteratorIbN2at6native12_GLOBAL__N_19NonZeroOpIaEEPKalEEPiiNS8_6detail34convert_binary_result_type_wrapperINS8_3SumESH_iEEEE10hipError_tPvRmT1_T2_T3_mT4_P12ihipStream_tbEUlT_E0_NS1_11comp_targetILNS1_3genE10ELNS1_11target_archE1201ELNS1_3gpuE5ELNS1_3repE0EEENS1_30default_config_static_selectorELNS0_4arch9wavefront6targetE0EEEvSQ_ ; -- Begin function _ZN7rocprim17ROCPRIM_400000_NS6detail17trampoline_kernelINS0_14default_configENS1_22reduce_config_selectorIbEEZNS1_11reduce_implILb1ES3_N6hipcub16HIPCUB_304000_NS22TransformInputIteratorIbN2at6native12_GLOBAL__N_19NonZeroOpIaEEPKalEEPiiNS8_6detail34convert_binary_result_type_wrapperINS8_3SumESH_iEEEE10hipError_tPvRmT1_T2_T3_mT4_P12ihipStream_tbEUlT_E0_NS1_11comp_targetILNS1_3genE10ELNS1_11target_archE1201ELNS1_3gpuE5ELNS1_3repE0EEENS1_30default_config_static_selectorELNS0_4arch9wavefront6targetE0EEEvSQ_
	.p2align	8
	.type	_ZN7rocprim17ROCPRIM_400000_NS6detail17trampoline_kernelINS0_14default_configENS1_22reduce_config_selectorIbEEZNS1_11reduce_implILb1ES3_N6hipcub16HIPCUB_304000_NS22TransformInputIteratorIbN2at6native12_GLOBAL__N_19NonZeroOpIaEEPKalEEPiiNS8_6detail34convert_binary_result_type_wrapperINS8_3SumESH_iEEEE10hipError_tPvRmT1_T2_T3_mT4_P12ihipStream_tbEUlT_E0_NS1_11comp_targetILNS1_3genE10ELNS1_11target_archE1201ELNS1_3gpuE5ELNS1_3repE0EEENS1_30default_config_static_selectorELNS0_4arch9wavefront6targetE0EEEvSQ_,@function
_ZN7rocprim17ROCPRIM_400000_NS6detail17trampoline_kernelINS0_14default_configENS1_22reduce_config_selectorIbEEZNS1_11reduce_implILb1ES3_N6hipcub16HIPCUB_304000_NS22TransformInputIteratorIbN2at6native12_GLOBAL__N_19NonZeroOpIaEEPKalEEPiiNS8_6detail34convert_binary_result_type_wrapperINS8_3SumESH_iEEEE10hipError_tPvRmT1_T2_T3_mT4_P12ihipStream_tbEUlT_E0_NS1_11comp_targetILNS1_3genE10ELNS1_11target_archE1201ELNS1_3gpuE5ELNS1_3repE0EEENS1_30default_config_static_selectorELNS0_4arch9wavefront6targetE0EEEvSQ_: ; @_ZN7rocprim17ROCPRIM_400000_NS6detail17trampoline_kernelINS0_14default_configENS1_22reduce_config_selectorIbEEZNS1_11reduce_implILb1ES3_N6hipcub16HIPCUB_304000_NS22TransformInputIteratorIbN2at6native12_GLOBAL__N_19NonZeroOpIaEEPKalEEPiiNS8_6detail34convert_binary_result_type_wrapperINS8_3SumESH_iEEEE10hipError_tPvRmT1_T2_T3_mT4_P12ihipStream_tbEUlT_E0_NS1_11comp_targetILNS1_3genE10ELNS1_11target_archE1201ELNS1_3gpuE5ELNS1_3repE0EEENS1_30default_config_static_selectorELNS0_4arch9wavefront6targetE0EEEvSQ_
; %bb.0:
	.section	.rodata,"a",@progbits
	.p2align	6, 0x0
	.amdhsa_kernel _ZN7rocprim17ROCPRIM_400000_NS6detail17trampoline_kernelINS0_14default_configENS1_22reduce_config_selectorIbEEZNS1_11reduce_implILb1ES3_N6hipcub16HIPCUB_304000_NS22TransformInputIteratorIbN2at6native12_GLOBAL__N_19NonZeroOpIaEEPKalEEPiiNS8_6detail34convert_binary_result_type_wrapperINS8_3SumESH_iEEEE10hipError_tPvRmT1_T2_T3_mT4_P12ihipStream_tbEUlT_E0_NS1_11comp_targetILNS1_3genE10ELNS1_11target_archE1201ELNS1_3gpuE5ELNS1_3repE0EEENS1_30default_config_static_selectorELNS0_4arch9wavefront6targetE0EEEvSQ_
		.amdhsa_group_segment_fixed_size 0
		.amdhsa_private_segment_fixed_size 0
		.amdhsa_kernarg_size 64
		.amdhsa_user_sgpr_count 15
		.amdhsa_user_sgpr_dispatch_ptr 0
		.amdhsa_user_sgpr_queue_ptr 0
		.amdhsa_user_sgpr_kernarg_segment_ptr 1
		.amdhsa_user_sgpr_dispatch_id 0
		.amdhsa_user_sgpr_private_segment_size 0
		.amdhsa_wavefront_size32 1
		.amdhsa_uses_dynamic_stack 0
		.amdhsa_enable_private_segment 0
		.amdhsa_system_sgpr_workgroup_id_x 1
		.amdhsa_system_sgpr_workgroup_id_y 0
		.amdhsa_system_sgpr_workgroup_id_z 0
		.amdhsa_system_sgpr_workgroup_info 0
		.amdhsa_system_vgpr_workitem_id 0
		.amdhsa_next_free_vgpr 1
		.amdhsa_next_free_sgpr 1
		.amdhsa_reserve_vcc 0
		.amdhsa_float_round_mode_32 0
		.amdhsa_float_round_mode_16_64 0
		.amdhsa_float_denorm_mode_32 3
		.amdhsa_float_denorm_mode_16_64 3
		.amdhsa_dx10_clamp 1
		.amdhsa_ieee_mode 1
		.amdhsa_fp16_overflow 0
		.amdhsa_workgroup_processor_mode 1
		.amdhsa_memory_ordered 1
		.amdhsa_forward_progress 0
		.amdhsa_shared_vgpr_count 0
		.amdhsa_exception_fp_ieee_invalid_op 0
		.amdhsa_exception_fp_denorm_src 0
		.amdhsa_exception_fp_ieee_div_zero 0
		.amdhsa_exception_fp_ieee_overflow 0
		.amdhsa_exception_fp_ieee_underflow 0
		.amdhsa_exception_fp_ieee_inexact 0
		.amdhsa_exception_int_div_zero 0
	.end_amdhsa_kernel
	.section	.text._ZN7rocprim17ROCPRIM_400000_NS6detail17trampoline_kernelINS0_14default_configENS1_22reduce_config_selectorIbEEZNS1_11reduce_implILb1ES3_N6hipcub16HIPCUB_304000_NS22TransformInputIteratorIbN2at6native12_GLOBAL__N_19NonZeroOpIaEEPKalEEPiiNS8_6detail34convert_binary_result_type_wrapperINS8_3SumESH_iEEEE10hipError_tPvRmT1_T2_T3_mT4_P12ihipStream_tbEUlT_E0_NS1_11comp_targetILNS1_3genE10ELNS1_11target_archE1201ELNS1_3gpuE5ELNS1_3repE0EEENS1_30default_config_static_selectorELNS0_4arch9wavefront6targetE0EEEvSQ_,"axG",@progbits,_ZN7rocprim17ROCPRIM_400000_NS6detail17trampoline_kernelINS0_14default_configENS1_22reduce_config_selectorIbEEZNS1_11reduce_implILb1ES3_N6hipcub16HIPCUB_304000_NS22TransformInputIteratorIbN2at6native12_GLOBAL__N_19NonZeroOpIaEEPKalEEPiiNS8_6detail34convert_binary_result_type_wrapperINS8_3SumESH_iEEEE10hipError_tPvRmT1_T2_T3_mT4_P12ihipStream_tbEUlT_E0_NS1_11comp_targetILNS1_3genE10ELNS1_11target_archE1201ELNS1_3gpuE5ELNS1_3repE0EEENS1_30default_config_static_selectorELNS0_4arch9wavefront6targetE0EEEvSQ_,comdat
.Lfunc_end105:
	.size	_ZN7rocprim17ROCPRIM_400000_NS6detail17trampoline_kernelINS0_14default_configENS1_22reduce_config_selectorIbEEZNS1_11reduce_implILb1ES3_N6hipcub16HIPCUB_304000_NS22TransformInputIteratorIbN2at6native12_GLOBAL__N_19NonZeroOpIaEEPKalEEPiiNS8_6detail34convert_binary_result_type_wrapperINS8_3SumESH_iEEEE10hipError_tPvRmT1_T2_T3_mT4_P12ihipStream_tbEUlT_E0_NS1_11comp_targetILNS1_3genE10ELNS1_11target_archE1201ELNS1_3gpuE5ELNS1_3repE0EEENS1_30default_config_static_selectorELNS0_4arch9wavefront6targetE0EEEvSQ_, .Lfunc_end105-_ZN7rocprim17ROCPRIM_400000_NS6detail17trampoline_kernelINS0_14default_configENS1_22reduce_config_selectorIbEEZNS1_11reduce_implILb1ES3_N6hipcub16HIPCUB_304000_NS22TransformInputIteratorIbN2at6native12_GLOBAL__N_19NonZeroOpIaEEPKalEEPiiNS8_6detail34convert_binary_result_type_wrapperINS8_3SumESH_iEEEE10hipError_tPvRmT1_T2_T3_mT4_P12ihipStream_tbEUlT_E0_NS1_11comp_targetILNS1_3genE10ELNS1_11target_archE1201ELNS1_3gpuE5ELNS1_3repE0EEENS1_30default_config_static_selectorELNS0_4arch9wavefront6targetE0EEEvSQ_
                                        ; -- End function
	.section	.AMDGPU.csdata,"",@progbits
; Kernel info:
; codeLenInByte = 0
; NumSgprs: 0
; NumVgprs: 0
; ScratchSize: 0
; MemoryBound: 0
; FloatMode: 240
; IeeeMode: 1
; LDSByteSize: 0 bytes/workgroup (compile time only)
; SGPRBlocks: 0
; VGPRBlocks: 0
; NumSGPRsForWavesPerEU: 1
; NumVGPRsForWavesPerEU: 1
; Occupancy: 16
; WaveLimiterHint : 0
; COMPUTE_PGM_RSRC2:SCRATCH_EN: 0
; COMPUTE_PGM_RSRC2:USER_SGPR: 15
; COMPUTE_PGM_RSRC2:TRAP_HANDLER: 0
; COMPUTE_PGM_RSRC2:TGID_X_EN: 1
; COMPUTE_PGM_RSRC2:TGID_Y_EN: 0
; COMPUTE_PGM_RSRC2:TGID_Z_EN: 0
; COMPUTE_PGM_RSRC2:TIDIG_COMP_CNT: 0
	.section	.text._ZN7rocprim17ROCPRIM_400000_NS6detail17trampoline_kernelINS0_14default_configENS1_22reduce_config_selectorIbEEZNS1_11reduce_implILb1ES3_N6hipcub16HIPCUB_304000_NS22TransformInputIteratorIbN2at6native12_GLOBAL__N_19NonZeroOpIaEEPKalEEPiiNS8_6detail34convert_binary_result_type_wrapperINS8_3SumESH_iEEEE10hipError_tPvRmT1_T2_T3_mT4_P12ihipStream_tbEUlT_E0_NS1_11comp_targetILNS1_3genE10ELNS1_11target_archE1200ELNS1_3gpuE4ELNS1_3repE0EEENS1_30default_config_static_selectorELNS0_4arch9wavefront6targetE0EEEvSQ_,"axG",@progbits,_ZN7rocprim17ROCPRIM_400000_NS6detail17trampoline_kernelINS0_14default_configENS1_22reduce_config_selectorIbEEZNS1_11reduce_implILb1ES3_N6hipcub16HIPCUB_304000_NS22TransformInputIteratorIbN2at6native12_GLOBAL__N_19NonZeroOpIaEEPKalEEPiiNS8_6detail34convert_binary_result_type_wrapperINS8_3SumESH_iEEEE10hipError_tPvRmT1_T2_T3_mT4_P12ihipStream_tbEUlT_E0_NS1_11comp_targetILNS1_3genE10ELNS1_11target_archE1200ELNS1_3gpuE4ELNS1_3repE0EEENS1_30default_config_static_selectorELNS0_4arch9wavefront6targetE0EEEvSQ_,comdat
	.globl	_ZN7rocprim17ROCPRIM_400000_NS6detail17trampoline_kernelINS0_14default_configENS1_22reduce_config_selectorIbEEZNS1_11reduce_implILb1ES3_N6hipcub16HIPCUB_304000_NS22TransformInputIteratorIbN2at6native12_GLOBAL__N_19NonZeroOpIaEEPKalEEPiiNS8_6detail34convert_binary_result_type_wrapperINS8_3SumESH_iEEEE10hipError_tPvRmT1_T2_T3_mT4_P12ihipStream_tbEUlT_E0_NS1_11comp_targetILNS1_3genE10ELNS1_11target_archE1200ELNS1_3gpuE4ELNS1_3repE0EEENS1_30default_config_static_selectorELNS0_4arch9wavefront6targetE0EEEvSQ_ ; -- Begin function _ZN7rocprim17ROCPRIM_400000_NS6detail17trampoline_kernelINS0_14default_configENS1_22reduce_config_selectorIbEEZNS1_11reduce_implILb1ES3_N6hipcub16HIPCUB_304000_NS22TransformInputIteratorIbN2at6native12_GLOBAL__N_19NonZeroOpIaEEPKalEEPiiNS8_6detail34convert_binary_result_type_wrapperINS8_3SumESH_iEEEE10hipError_tPvRmT1_T2_T3_mT4_P12ihipStream_tbEUlT_E0_NS1_11comp_targetILNS1_3genE10ELNS1_11target_archE1200ELNS1_3gpuE4ELNS1_3repE0EEENS1_30default_config_static_selectorELNS0_4arch9wavefront6targetE0EEEvSQ_
	.p2align	8
	.type	_ZN7rocprim17ROCPRIM_400000_NS6detail17trampoline_kernelINS0_14default_configENS1_22reduce_config_selectorIbEEZNS1_11reduce_implILb1ES3_N6hipcub16HIPCUB_304000_NS22TransformInputIteratorIbN2at6native12_GLOBAL__N_19NonZeroOpIaEEPKalEEPiiNS8_6detail34convert_binary_result_type_wrapperINS8_3SumESH_iEEEE10hipError_tPvRmT1_T2_T3_mT4_P12ihipStream_tbEUlT_E0_NS1_11comp_targetILNS1_3genE10ELNS1_11target_archE1200ELNS1_3gpuE4ELNS1_3repE0EEENS1_30default_config_static_selectorELNS0_4arch9wavefront6targetE0EEEvSQ_,@function
_ZN7rocprim17ROCPRIM_400000_NS6detail17trampoline_kernelINS0_14default_configENS1_22reduce_config_selectorIbEEZNS1_11reduce_implILb1ES3_N6hipcub16HIPCUB_304000_NS22TransformInputIteratorIbN2at6native12_GLOBAL__N_19NonZeroOpIaEEPKalEEPiiNS8_6detail34convert_binary_result_type_wrapperINS8_3SumESH_iEEEE10hipError_tPvRmT1_T2_T3_mT4_P12ihipStream_tbEUlT_E0_NS1_11comp_targetILNS1_3genE10ELNS1_11target_archE1200ELNS1_3gpuE4ELNS1_3repE0EEENS1_30default_config_static_selectorELNS0_4arch9wavefront6targetE0EEEvSQ_: ; @_ZN7rocprim17ROCPRIM_400000_NS6detail17trampoline_kernelINS0_14default_configENS1_22reduce_config_selectorIbEEZNS1_11reduce_implILb1ES3_N6hipcub16HIPCUB_304000_NS22TransformInputIteratorIbN2at6native12_GLOBAL__N_19NonZeroOpIaEEPKalEEPiiNS8_6detail34convert_binary_result_type_wrapperINS8_3SumESH_iEEEE10hipError_tPvRmT1_T2_T3_mT4_P12ihipStream_tbEUlT_E0_NS1_11comp_targetILNS1_3genE10ELNS1_11target_archE1200ELNS1_3gpuE4ELNS1_3repE0EEENS1_30default_config_static_selectorELNS0_4arch9wavefront6targetE0EEEvSQ_
; %bb.0:
	.section	.rodata,"a",@progbits
	.p2align	6, 0x0
	.amdhsa_kernel _ZN7rocprim17ROCPRIM_400000_NS6detail17trampoline_kernelINS0_14default_configENS1_22reduce_config_selectorIbEEZNS1_11reduce_implILb1ES3_N6hipcub16HIPCUB_304000_NS22TransformInputIteratorIbN2at6native12_GLOBAL__N_19NonZeroOpIaEEPKalEEPiiNS8_6detail34convert_binary_result_type_wrapperINS8_3SumESH_iEEEE10hipError_tPvRmT1_T2_T3_mT4_P12ihipStream_tbEUlT_E0_NS1_11comp_targetILNS1_3genE10ELNS1_11target_archE1200ELNS1_3gpuE4ELNS1_3repE0EEENS1_30default_config_static_selectorELNS0_4arch9wavefront6targetE0EEEvSQ_
		.amdhsa_group_segment_fixed_size 0
		.amdhsa_private_segment_fixed_size 0
		.amdhsa_kernarg_size 64
		.amdhsa_user_sgpr_count 15
		.amdhsa_user_sgpr_dispatch_ptr 0
		.amdhsa_user_sgpr_queue_ptr 0
		.amdhsa_user_sgpr_kernarg_segment_ptr 1
		.amdhsa_user_sgpr_dispatch_id 0
		.amdhsa_user_sgpr_private_segment_size 0
		.amdhsa_wavefront_size32 1
		.amdhsa_uses_dynamic_stack 0
		.amdhsa_enable_private_segment 0
		.amdhsa_system_sgpr_workgroup_id_x 1
		.amdhsa_system_sgpr_workgroup_id_y 0
		.amdhsa_system_sgpr_workgroup_id_z 0
		.amdhsa_system_sgpr_workgroup_info 0
		.amdhsa_system_vgpr_workitem_id 0
		.amdhsa_next_free_vgpr 1
		.amdhsa_next_free_sgpr 1
		.amdhsa_reserve_vcc 0
		.amdhsa_float_round_mode_32 0
		.amdhsa_float_round_mode_16_64 0
		.amdhsa_float_denorm_mode_32 3
		.amdhsa_float_denorm_mode_16_64 3
		.amdhsa_dx10_clamp 1
		.amdhsa_ieee_mode 1
		.amdhsa_fp16_overflow 0
		.amdhsa_workgroup_processor_mode 1
		.amdhsa_memory_ordered 1
		.amdhsa_forward_progress 0
		.amdhsa_shared_vgpr_count 0
		.amdhsa_exception_fp_ieee_invalid_op 0
		.amdhsa_exception_fp_denorm_src 0
		.amdhsa_exception_fp_ieee_div_zero 0
		.amdhsa_exception_fp_ieee_overflow 0
		.amdhsa_exception_fp_ieee_underflow 0
		.amdhsa_exception_fp_ieee_inexact 0
		.amdhsa_exception_int_div_zero 0
	.end_amdhsa_kernel
	.section	.text._ZN7rocprim17ROCPRIM_400000_NS6detail17trampoline_kernelINS0_14default_configENS1_22reduce_config_selectorIbEEZNS1_11reduce_implILb1ES3_N6hipcub16HIPCUB_304000_NS22TransformInputIteratorIbN2at6native12_GLOBAL__N_19NonZeroOpIaEEPKalEEPiiNS8_6detail34convert_binary_result_type_wrapperINS8_3SumESH_iEEEE10hipError_tPvRmT1_T2_T3_mT4_P12ihipStream_tbEUlT_E0_NS1_11comp_targetILNS1_3genE10ELNS1_11target_archE1200ELNS1_3gpuE4ELNS1_3repE0EEENS1_30default_config_static_selectorELNS0_4arch9wavefront6targetE0EEEvSQ_,"axG",@progbits,_ZN7rocprim17ROCPRIM_400000_NS6detail17trampoline_kernelINS0_14default_configENS1_22reduce_config_selectorIbEEZNS1_11reduce_implILb1ES3_N6hipcub16HIPCUB_304000_NS22TransformInputIteratorIbN2at6native12_GLOBAL__N_19NonZeroOpIaEEPKalEEPiiNS8_6detail34convert_binary_result_type_wrapperINS8_3SumESH_iEEEE10hipError_tPvRmT1_T2_T3_mT4_P12ihipStream_tbEUlT_E0_NS1_11comp_targetILNS1_3genE10ELNS1_11target_archE1200ELNS1_3gpuE4ELNS1_3repE0EEENS1_30default_config_static_selectorELNS0_4arch9wavefront6targetE0EEEvSQ_,comdat
.Lfunc_end106:
	.size	_ZN7rocprim17ROCPRIM_400000_NS6detail17trampoline_kernelINS0_14default_configENS1_22reduce_config_selectorIbEEZNS1_11reduce_implILb1ES3_N6hipcub16HIPCUB_304000_NS22TransformInputIteratorIbN2at6native12_GLOBAL__N_19NonZeroOpIaEEPKalEEPiiNS8_6detail34convert_binary_result_type_wrapperINS8_3SumESH_iEEEE10hipError_tPvRmT1_T2_T3_mT4_P12ihipStream_tbEUlT_E0_NS1_11comp_targetILNS1_3genE10ELNS1_11target_archE1200ELNS1_3gpuE4ELNS1_3repE0EEENS1_30default_config_static_selectorELNS0_4arch9wavefront6targetE0EEEvSQ_, .Lfunc_end106-_ZN7rocprim17ROCPRIM_400000_NS6detail17trampoline_kernelINS0_14default_configENS1_22reduce_config_selectorIbEEZNS1_11reduce_implILb1ES3_N6hipcub16HIPCUB_304000_NS22TransformInputIteratorIbN2at6native12_GLOBAL__N_19NonZeroOpIaEEPKalEEPiiNS8_6detail34convert_binary_result_type_wrapperINS8_3SumESH_iEEEE10hipError_tPvRmT1_T2_T3_mT4_P12ihipStream_tbEUlT_E0_NS1_11comp_targetILNS1_3genE10ELNS1_11target_archE1200ELNS1_3gpuE4ELNS1_3repE0EEENS1_30default_config_static_selectorELNS0_4arch9wavefront6targetE0EEEvSQ_
                                        ; -- End function
	.section	.AMDGPU.csdata,"",@progbits
; Kernel info:
; codeLenInByte = 0
; NumSgprs: 0
; NumVgprs: 0
; ScratchSize: 0
; MemoryBound: 0
; FloatMode: 240
; IeeeMode: 1
; LDSByteSize: 0 bytes/workgroup (compile time only)
; SGPRBlocks: 0
; VGPRBlocks: 0
; NumSGPRsForWavesPerEU: 1
; NumVGPRsForWavesPerEU: 1
; Occupancy: 16
; WaveLimiterHint : 0
; COMPUTE_PGM_RSRC2:SCRATCH_EN: 0
; COMPUTE_PGM_RSRC2:USER_SGPR: 15
; COMPUTE_PGM_RSRC2:TRAP_HANDLER: 0
; COMPUTE_PGM_RSRC2:TGID_X_EN: 1
; COMPUTE_PGM_RSRC2:TGID_Y_EN: 0
; COMPUTE_PGM_RSRC2:TGID_Z_EN: 0
; COMPUTE_PGM_RSRC2:TIDIG_COMP_CNT: 0
	.section	.text._ZN7rocprim17ROCPRIM_400000_NS6detail17trampoline_kernelINS0_14default_configENS1_22reduce_config_selectorIbEEZNS1_11reduce_implILb1ES3_N6hipcub16HIPCUB_304000_NS22TransformInputIteratorIbN2at6native12_GLOBAL__N_19NonZeroOpIaEEPKalEEPiiNS8_6detail34convert_binary_result_type_wrapperINS8_3SumESH_iEEEE10hipError_tPvRmT1_T2_T3_mT4_P12ihipStream_tbEUlT_E0_NS1_11comp_targetILNS1_3genE9ELNS1_11target_archE1100ELNS1_3gpuE3ELNS1_3repE0EEENS1_30default_config_static_selectorELNS0_4arch9wavefront6targetE0EEEvSQ_,"axG",@progbits,_ZN7rocprim17ROCPRIM_400000_NS6detail17trampoline_kernelINS0_14default_configENS1_22reduce_config_selectorIbEEZNS1_11reduce_implILb1ES3_N6hipcub16HIPCUB_304000_NS22TransformInputIteratorIbN2at6native12_GLOBAL__N_19NonZeroOpIaEEPKalEEPiiNS8_6detail34convert_binary_result_type_wrapperINS8_3SumESH_iEEEE10hipError_tPvRmT1_T2_T3_mT4_P12ihipStream_tbEUlT_E0_NS1_11comp_targetILNS1_3genE9ELNS1_11target_archE1100ELNS1_3gpuE3ELNS1_3repE0EEENS1_30default_config_static_selectorELNS0_4arch9wavefront6targetE0EEEvSQ_,comdat
	.globl	_ZN7rocprim17ROCPRIM_400000_NS6detail17trampoline_kernelINS0_14default_configENS1_22reduce_config_selectorIbEEZNS1_11reduce_implILb1ES3_N6hipcub16HIPCUB_304000_NS22TransformInputIteratorIbN2at6native12_GLOBAL__N_19NonZeroOpIaEEPKalEEPiiNS8_6detail34convert_binary_result_type_wrapperINS8_3SumESH_iEEEE10hipError_tPvRmT1_T2_T3_mT4_P12ihipStream_tbEUlT_E0_NS1_11comp_targetILNS1_3genE9ELNS1_11target_archE1100ELNS1_3gpuE3ELNS1_3repE0EEENS1_30default_config_static_selectorELNS0_4arch9wavefront6targetE0EEEvSQ_ ; -- Begin function _ZN7rocprim17ROCPRIM_400000_NS6detail17trampoline_kernelINS0_14default_configENS1_22reduce_config_selectorIbEEZNS1_11reduce_implILb1ES3_N6hipcub16HIPCUB_304000_NS22TransformInputIteratorIbN2at6native12_GLOBAL__N_19NonZeroOpIaEEPKalEEPiiNS8_6detail34convert_binary_result_type_wrapperINS8_3SumESH_iEEEE10hipError_tPvRmT1_T2_T3_mT4_P12ihipStream_tbEUlT_E0_NS1_11comp_targetILNS1_3genE9ELNS1_11target_archE1100ELNS1_3gpuE3ELNS1_3repE0EEENS1_30default_config_static_selectorELNS0_4arch9wavefront6targetE0EEEvSQ_
	.p2align	8
	.type	_ZN7rocprim17ROCPRIM_400000_NS6detail17trampoline_kernelINS0_14default_configENS1_22reduce_config_selectorIbEEZNS1_11reduce_implILb1ES3_N6hipcub16HIPCUB_304000_NS22TransformInputIteratorIbN2at6native12_GLOBAL__N_19NonZeroOpIaEEPKalEEPiiNS8_6detail34convert_binary_result_type_wrapperINS8_3SumESH_iEEEE10hipError_tPvRmT1_T2_T3_mT4_P12ihipStream_tbEUlT_E0_NS1_11comp_targetILNS1_3genE9ELNS1_11target_archE1100ELNS1_3gpuE3ELNS1_3repE0EEENS1_30default_config_static_selectorELNS0_4arch9wavefront6targetE0EEEvSQ_,@function
_ZN7rocprim17ROCPRIM_400000_NS6detail17trampoline_kernelINS0_14default_configENS1_22reduce_config_selectorIbEEZNS1_11reduce_implILb1ES3_N6hipcub16HIPCUB_304000_NS22TransformInputIteratorIbN2at6native12_GLOBAL__N_19NonZeroOpIaEEPKalEEPiiNS8_6detail34convert_binary_result_type_wrapperINS8_3SumESH_iEEEE10hipError_tPvRmT1_T2_T3_mT4_P12ihipStream_tbEUlT_E0_NS1_11comp_targetILNS1_3genE9ELNS1_11target_archE1100ELNS1_3gpuE3ELNS1_3repE0EEENS1_30default_config_static_selectorELNS0_4arch9wavefront6targetE0EEEvSQ_: ; @_ZN7rocprim17ROCPRIM_400000_NS6detail17trampoline_kernelINS0_14default_configENS1_22reduce_config_selectorIbEEZNS1_11reduce_implILb1ES3_N6hipcub16HIPCUB_304000_NS22TransformInputIteratorIbN2at6native12_GLOBAL__N_19NonZeroOpIaEEPKalEEPiiNS8_6detail34convert_binary_result_type_wrapperINS8_3SumESH_iEEEE10hipError_tPvRmT1_T2_T3_mT4_P12ihipStream_tbEUlT_E0_NS1_11comp_targetILNS1_3genE9ELNS1_11target_archE1100ELNS1_3gpuE3ELNS1_3repE0EEENS1_30default_config_static_selectorELNS0_4arch9wavefront6targetE0EEEvSQ_
; %bb.0:
	s_clause 0x2
	s_load_b64 s[2:3], s[0:1], 0x0
	s_load_b256 s[16:23], s[0:1], 0x10
	s_load_b64 s[26:27], s[0:1], 0x30
	v_mbcnt_lo_u32_b32 v17, -1, 0
	s_mov_b32 s24, s15
	s_mov_b32 s25, 0
	s_waitcnt lgkmcnt(0)
	s_add_u32 s6, s2, s16
	s_addc_u32 s3, s3, s17
	s_lshl_b32 s2, s15, 11
	s_lshr_b64 s[4:5], s[18:19], 11
	s_add_u32 s16, s6, s2
	s_addc_u32 s17, s3, 0
	s_cmp_lg_u64 s[4:5], s[24:25]
	s_cbranch_scc0 .LBB107_6
; %bb.1:
	s_clause 0xf
	global_load_u8 v1, v0, s[16:17]
	global_load_u8 v2, v0, s[16:17] offset:256
	global_load_u8 v3, v0, s[16:17] offset:128
	;; [unrolled: 1-line block ×15, first 2 shown]
	s_mov_b32 s3, exec_lo
	s_waitcnt vmcnt(15)
	v_cmp_ne_u16_e32 vcc_lo, 0, v1
	v_cndmask_b32_e64 v1, 0, 1, vcc_lo
	s_waitcnt vmcnt(14)
	v_cmp_ne_u16_e32 vcc_lo, 0, v2
	v_cndmask_b32_e64 v2, 0, 1, vcc_lo
	s_waitcnt vmcnt(13)
	v_cmp_ne_u16_e32 vcc_lo, 0, v3
	v_add_co_ci_u32_e32 v1, vcc_lo, 0, v1, vcc_lo
	s_waitcnt vmcnt(12)
	v_cmp_ne_u16_e32 vcc_lo, 0, v4
	v_cndmask_b32_e64 v3, 0, 1, vcc_lo
	s_waitcnt vmcnt(11)
	v_cmp_ne_u16_e32 vcc_lo, 0, v5
	v_add_co_ci_u32_e32 v1, vcc_lo, v1, v2, vcc_lo
	;; [unrolled: 6-line block ×7, first 2 shown]
	s_waitcnt vmcnt(0)
	v_cmp_ne_u16_e32 vcc_lo, 0, v16
	s_delay_alu instid0(VALU_DEP_2) | instskip(NEXT) | instid1(VALU_DEP_1)
	v_add_co_ci_u32_e32 v1, vcc_lo, v1, v2, vcc_lo
	v_mov_b32_dpp v2, v1 quad_perm:[1,0,3,2] row_mask:0xf bank_mask:0xf
	s_delay_alu instid0(VALU_DEP_1) | instskip(NEXT) | instid1(VALU_DEP_1)
	v_add_nc_u32_e32 v1, v1, v2
	v_mov_b32_dpp v2, v1 quad_perm:[2,3,0,1] row_mask:0xf bank_mask:0xf
	s_delay_alu instid0(VALU_DEP_1) | instskip(NEXT) | instid1(VALU_DEP_1)
	v_add_nc_u32_e32 v1, v1, v2
	v_mov_b32_dpp v2, v1 row_ror:4 row_mask:0xf bank_mask:0xf
	s_delay_alu instid0(VALU_DEP_1) | instskip(NEXT) | instid1(VALU_DEP_1)
	v_add_nc_u32_e32 v1, v1, v2
	v_mov_b32_dpp v2, v1 row_ror:8 row_mask:0xf bank_mask:0xf
	s_delay_alu instid0(VALU_DEP_1)
	v_add_nc_u32_e32 v1, v1, v2
	ds_swizzle_b32 v2, v1 offset:swizzle(BROADCAST,32,15)
	s_waitcnt lgkmcnt(0)
	v_dual_mov_b32 v2, 0 :: v_dual_add_nc_u32 v1, v1, v2
	ds_bpermute_b32 v1, v2, v1 offset:124
	v_cmpx_eq_u32_e32 0, v17
	s_cbranch_execz .LBB107_3
; %bb.2:
	v_lshrrev_b32_e32 v2, 3, v0
	s_delay_alu instid0(VALU_DEP_1)
	v_and_b32_e32 v2, 12, v2
	s_waitcnt lgkmcnt(0)
	ds_store_b32 v2, v1
.LBB107_3:
	s_or_b32 exec_lo, exec_lo, s3
	s_delay_alu instid0(SALU_CYCLE_1)
	s_mov_b32 s3, exec_lo
	s_waitcnt lgkmcnt(0)
	s_barrier
	buffer_gl0_inv
	v_cmpx_gt_u32_e32 32, v0
	s_cbranch_execz .LBB107_5
; %bb.4:
	v_and_b32_e32 v1, 3, v17
	s_delay_alu instid0(VALU_DEP_1) | instskip(SKIP_4) | instid1(VALU_DEP_2)
	v_lshlrev_b32_e32 v2, 2, v1
	v_cmp_ne_u32_e32 vcc_lo, 3, v1
	ds_load_b32 v2, v2
	v_add_co_ci_u32_e32 v3, vcc_lo, 0, v17, vcc_lo
	v_cmp_gt_u32_e32 vcc_lo, 2, v1
	v_lshlrev_b32_e32 v3, 2, v3
	v_cndmask_b32_e64 v1, 0, 1, vcc_lo
	s_delay_alu instid0(VALU_DEP_1) | instskip(NEXT) | instid1(VALU_DEP_1)
	v_lshlrev_b32_e32 v1, 1, v1
	v_add_lshl_u32 v1, v1, v17, 2
	s_waitcnt lgkmcnt(0)
	ds_bpermute_b32 v3, v3, v2
	s_waitcnt lgkmcnt(0)
	v_add_nc_u32_e32 v2, v3, v2
	ds_bpermute_b32 v1, v1, v2
	s_waitcnt lgkmcnt(0)
	v_add_nc_u32_e32 v1, v1, v2
.LBB107_5:
	s_or_b32 exec_lo, exec_lo, s3
	s_branch .LBB107_44
.LBB107_6:
                                        ; implicit-def: $vgpr1
	s_cbranch_execz .LBB107_44
; %bb.7:
	s_sub_i32 s28, s18, s2
	s_mov_b32 s2, exec_lo
                                        ; implicit-def: $vgpr1_vgpr2_vgpr3_vgpr4_vgpr5_vgpr6_vgpr7_vgpr8_vgpr9_vgpr10_vgpr11_vgpr12_vgpr13_vgpr14_vgpr15_vgpr16
	v_cmpx_gt_u32_e64 s28, v0
	s_cbranch_execz .LBB107_9
; %bb.8:
	global_load_u8 v1, v0, s[16:17]
	s_waitcnt vmcnt(0)
	v_cmp_ne_u16_e32 vcc_lo, 0, v1
	v_cndmask_b32_e64 v1, 0, 1, vcc_lo
.LBB107_9:
	s_or_b32 exec_lo, exec_lo, s2
	v_or_b32_e32 v18, 0x80, v0
	s_delay_alu instid0(VALU_DEP_1)
	v_cmp_gt_u32_e32 vcc_lo, s28, v18
	s_and_saveexec_b32 s3, vcc_lo
	s_cbranch_execz .LBB107_11
; %bb.10:
	global_load_u8 v2, v0, s[16:17] offset:128
	s_waitcnt vmcnt(0)
	v_cmp_ne_u16_e64 s2, 0, v2
	s_delay_alu instid0(VALU_DEP_1)
	v_cndmask_b32_e64 v2, 0, 1, s2
.LBB107_11:
	s_or_b32 exec_lo, exec_lo, s3
	v_or_b32_e32 v18, 0x100, v0
	s_delay_alu instid0(VALU_DEP_1) | instskip(NEXT) | instid1(VALU_DEP_1)
	v_cmp_gt_u32_e64 s2, s28, v18
	s_and_saveexec_b32 s4, s2
	s_cbranch_execz .LBB107_13
; %bb.12:
	global_load_u8 v3, v0, s[16:17] offset:256
	s_waitcnt vmcnt(0)
	v_cmp_ne_u16_e64 s3, 0, v3
	s_delay_alu instid0(VALU_DEP_1)
	v_cndmask_b32_e64 v3, 0, 1, s3
.LBB107_13:
	s_or_b32 exec_lo, exec_lo, s4
	v_or_b32_e32 v18, 0x180, v0
	s_delay_alu instid0(VALU_DEP_1) | instskip(NEXT) | instid1(VALU_DEP_1)
	v_cmp_gt_u32_e64 s3, s28, v18
	s_and_saveexec_b32 s5, s3
	;; [unrolled: 13-line block ×14, first 2 shown]
	s_cbranch_execz .LBB107_39
; %bb.38:
	global_load_u8 v16, v0, s[16:17] offset:1920
	s_waitcnt vmcnt(0)
	v_cmp_ne_u16_e64 s16, 0, v16
	s_delay_alu instid0(VALU_DEP_1)
	v_cndmask_b32_e64 v16, 0, 1, s16
.LBB107_39:
	s_or_b32 exec_lo, exec_lo, s29
	v_cndmask_b32_e32 v2, 0, v2, vcc_lo
	v_cndmask_b32_e64 v3, 0, v3, s2
	v_cndmask_b32_e64 v4, 0, v4, s3
	v_cmp_ne_u32_e32 vcc_lo, 31, v17
	s_min_u32 s2, s28, 0x80
	v_add_nc_u32_e32 v1, v2, v1
	v_cndmask_b32_e64 v2, 0, v5, s4
	v_cndmask_b32_e64 v5, 0, v6, s5
	;; [unrolled: 1-line block ×3, first 2 shown]
	s_mov_b32 s3, exec_lo
	v_add3_u32 v1, v1, v3, v4
	v_cndmask_b32_e64 v3, 0, v7, s6
	v_cndmask_b32_e64 v4, 0, v8, s7
	s_delay_alu instid0(VALU_DEP_3) | instskip(SKIP_2) | instid1(VALU_DEP_3)
	v_add3_u32 v1, v1, v2, v5
	v_cndmask_b32_e64 v2, 0, v9, s8
	v_cndmask_b32_e64 v5, 0, v10, s9
	v_add3_u32 v1, v1, v3, v4
	v_cndmask_b32_e64 v3, 0, v11, s10
	v_cndmask_b32_e64 v4, 0, v12, s11
	s_delay_alu instid0(VALU_DEP_3) | instskip(SKIP_2) | instid1(VALU_DEP_3)
	v_add3_u32 v1, v1, v2, v5
	v_cndmask_b32_e64 v2, 0, v13, s12
	v_cndmask_b32_e64 v5, 0, v14, s13
	v_add3_u32 v1, v1, v3, v4
	v_cndmask_b32_e64 v3, 0, v16, s15
	v_add_co_ci_u32_e32 v4, vcc_lo, 0, v17, vcc_lo
	v_cmp_gt_u32_e32 vcc_lo, 30, v17
	s_delay_alu instid0(VALU_DEP_4) | instskip(NEXT) | instid1(VALU_DEP_3)
	v_add3_u32 v1, v1, v2, v5
	v_lshlrev_b32_e32 v2, 2, v4
	v_add_nc_u32_e32 v4, 1, v17
	v_cndmask_b32_e64 v5, 0, 1, vcc_lo
	s_delay_alu instid0(VALU_DEP_4) | instskip(SKIP_1) | instid1(VALU_DEP_3)
	v_add3_u32 v1, v1, v6, v3
	v_and_b32_e32 v3, 0x60, v0
	v_lshlrev_b32_e32 v5, 1, v5
	ds_bpermute_b32 v2, v2, v1
	v_sub_nc_u32_e64 v3, s2, v3 clamp
	s_delay_alu instid0(VALU_DEP_1) | instskip(SKIP_4) | instid1(VALU_DEP_2)
	v_cmp_lt_u32_e32 vcc_lo, v4, v3
	v_add_lshl_u32 v4, v5, v17, 2
	s_waitcnt lgkmcnt(0)
	v_dual_cndmask_b32 v2, 0, v2 :: v_dual_add_nc_u32 v5, 2, v17
	v_cmp_gt_u32_e32 vcc_lo, 28, v17
	v_add_nc_u32_e32 v1, v1, v2
	ds_bpermute_b32 v2, v4, v1
	v_cndmask_b32_e64 v4, 0, 1, vcc_lo
	v_cmp_lt_u32_e32 vcc_lo, v5, v3
	v_add_nc_u32_e32 v5, 4, v17
	s_delay_alu instid0(VALU_DEP_3) | instskip(NEXT) | instid1(VALU_DEP_1)
	v_lshlrev_b32_e32 v4, 2, v4
	v_add_lshl_u32 v4, v4, v17, 2
	s_waitcnt lgkmcnt(0)
	v_cndmask_b32_e32 v2, 0, v2, vcc_lo
	v_cmp_gt_u32_e32 vcc_lo, 24, v17
	s_delay_alu instid0(VALU_DEP_2) | instskip(SKIP_4) | instid1(VALU_DEP_3)
	v_add_nc_u32_e32 v1, v1, v2
	ds_bpermute_b32 v2, v4, v1
	v_cndmask_b32_e64 v4, 0, 1, vcc_lo
	v_cmp_lt_u32_e32 vcc_lo, v5, v3
	v_add_nc_u32_e32 v5, 8, v17
	v_lshlrev_b32_e32 v4, 3, v4
	s_delay_alu instid0(VALU_DEP_1) | instskip(SKIP_3) | instid1(VALU_DEP_2)
	v_add_lshl_u32 v4, v4, v17, 2
	s_waitcnt lgkmcnt(0)
	v_cndmask_b32_e32 v2, 0, v2, vcc_lo
	v_cmp_gt_u32_e32 vcc_lo, 16, v17
	v_add_nc_u32_e32 v1, v1, v2
	ds_bpermute_b32 v2, v4, v1
	v_cndmask_b32_e64 v4, 0, 1, vcc_lo
	v_cmp_lt_u32_e32 vcc_lo, v5, v3
	s_delay_alu instid0(VALU_DEP_2) | instskip(NEXT) | instid1(VALU_DEP_1)
	v_lshlrev_b32_e32 v4, 4, v4
	v_add_lshl_u32 v4, v4, v17, 2
	s_waitcnt lgkmcnt(0)
	v_cndmask_b32_e32 v2, 0, v2, vcc_lo
	s_delay_alu instid0(VALU_DEP_1) | instskip(SKIP_2) | instid1(VALU_DEP_1)
	v_add_nc_u32_e32 v1, v1, v2
	ds_bpermute_b32 v2, v4, v1
	v_add_nc_u32_e32 v4, 16, v17
	v_cmp_lt_u32_e32 vcc_lo, v4, v3
	s_waitcnt lgkmcnt(0)
	v_cndmask_b32_e32 v2, 0, v2, vcc_lo
	s_delay_alu instid0(VALU_DEP_1)
	v_add_nc_u32_e32 v1, v1, v2
	v_cmpx_eq_u32_e32 0, v17
	s_cbranch_execz .LBB107_41
; %bb.40:
	v_lshrrev_b32_e32 v2, 3, v0
	s_delay_alu instid0(VALU_DEP_1)
	v_and_b32_e32 v2, 12, v2
	ds_store_b32 v2, v1 offset:16
.LBB107_41:
	s_or_b32 exec_lo, exec_lo, s3
	s_delay_alu instid0(SALU_CYCLE_1)
	s_mov_b32 s3, exec_lo
	s_waitcnt lgkmcnt(0)
	s_barrier
	buffer_gl0_inv
	v_cmpx_gt_u32_e32 4, v0
	s_cbranch_execz .LBB107_43
; %bb.42:
	v_lshlrev_b32_e32 v1, 2, v17
	v_and_b32_e32 v2, 3, v17
	s_add_i32 s2, s2, 31
	s_delay_alu instid0(SALU_CYCLE_1)
	s_lshr_b32 s2, s2, 5
	ds_load_b32 v1, v1 offset:16
	v_cmp_ne_u32_e32 vcc_lo, 3, v2
	v_add_nc_u32_e32 v4, 1, v2
	v_add_co_ci_u32_e32 v3, vcc_lo, 0, v17, vcc_lo
	v_cmp_gt_u32_e32 vcc_lo, 2, v2
	s_delay_alu instid0(VALU_DEP_2) | instskip(SKIP_2) | instid1(VALU_DEP_2)
	v_lshlrev_b32_e32 v3, 2, v3
	v_cndmask_b32_e64 v5, 0, 1, vcc_lo
	v_cmp_gt_u32_e32 vcc_lo, s2, v4
	v_lshlrev_b32_e32 v4, 1, v5
	s_waitcnt lgkmcnt(0)
	ds_bpermute_b32 v3, v3, v1
	s_waitcnt lgkmcnt(0)
	v_dual_cndmask_b32 v3, 0, v3 :: v_dual_add_nc_u32 v2, 2, v2
	s_delay_alu instid0(VALU_DEP_1) | instskip(SKIP_1) | instid1(VALU_DEP_3)
	v_add_nc_u32_e32 v1, v3, v1
	v_add_lshl_u32 v3, v4, v17, 2
	v_cmp_gt_u32_e32 vcc_lo, s2, v2
	ds_bpermute_b32 v3, v3, v1
	s_waitcnt lgkmcnt(0)
	v_cndmask_b32_e32 v2, 0, v3, vcc_lo
	s_delay_alu instid0(VALU_DEP_1)
	v_add_nc_u32_e32 v1, v1, v2
.LBB107_43:
	s_or_b32 exec_lo, exec_lo, s3
.LBB107_44:
	s_load_b32 s0, s[0:1], 0x38
	s_mov_b32 s1, exec_lo
	v_cmpx_eq_u32_e32 0, v0
	s_cbranch_execz .LBB107_46
; %bb.45:
	s_mul_i32 s1, s26, s23
	s_mul_hi_u32 s2, s26, s22
	s_mul_i32 s3, s27, s22
	s_add_i32 s1, s2, s1
	s_mul_i32 s2, s26, s22
	s_add_i32 s3, s1, s3
	s_delay_alu instid0(SALU_CYCLE_1) | instskip(NEXT) | instid1(SALU_CYCLE_1)
	s_lshl_b64 s[2:3], s[2:3], 2
	s_add_u32 s2, s20, s2
	s_addc_u32 s3, s21, s3
	s_cmp_eq_u64 s[18:19], 0
	s_cselect_b32 s1, -1, 0
	s_waitcnt lgkmcnt(0)
	v_cndmask_b32_e64 v0, v1, s0, s1
	s_lshl_b64 s[0:1], s[24:25], 2
	v_mov_b32_e32 v1, 0
	s_add_u32 s0, s2, s0
	s_addc_u32 s1, s3, s1
	global_store_b32 v1, v0, s[0:1]
.LBB107_46:
	s_nop 0
	s_sendmsg sendmsg(MSG_DEALLOC_VGPRS)
	s_endpgm
	.section	.rodata,"a",@progbits
	.p2align	6, 0x0
	.amdhsa_kernel _ZN7rocprim17ROCPRIM_400000_NS6detail17trampoline_kernelINS0_14default_configENS1_22reduce_config_selectorIbEEZNS1_11reduce_implILb1ES3_N6hipcub16HIPCUB_304000_NS22TransformInputIteratorIbN2at6native12_GLOBAL__N_19NonZeroOpIaEEPKalEEPiiNS8_6detail34convert_binary_result_type_wrapperINS8_3SumESH_iEEEE10hipError_tPvRmT1_T2_T3_mT4_P12ihipStream_tbEUlT_E0_NS1_11comp_targetILNS1_3genE9ELNS1_11target_archE1100ELNS1_3gpuE3ELNS1_3repE0EEENS1_30default_config_static_selectorELNS0_4arch9wavefront6targetE0EEEvSQ_
		.amdhsa_group_segment_fixed_size 32
		.amdhsa_private_segment_fixed_size 0
		.amdhsa_kernarg_size 64
		.amdhsa_user_sgpr_count 15
		.amdhsa_user_sgpr_dispatch_ptr 0
		.amdhsa_user_sgpr_queue_ptr 0
		.amdhsa_user_sgpr_kernarg_segment_ptr 1
		.amdhsa_user_sgpr_dispatch_id 0
		.amdhsa_user_sgpr_private_segment_size 0
		.amdhsa_wavefront_size32 1
		.amdhsa_uses_dynamic_stack 0
		.amdhsa_enable_private_segment 0
		.amdhsa_system_sgpr_workgroup_id_x 1
		.amdhsa_system_sgpr_workgroup_id_y 0
		.amdhsa_system_sgpr_workgroup_id_z 0
		.amdhsa_system_sgpr_workgroup_info 0
		.amdhsa_system_vgpr_workitem_id 0
		.amdhsa_next_free_vgpr 19
		.amdhsa_next_free_sgpr 30
		.amdhsa_reserve_vcc 1
		.amdhsa_float_round_mode_32 0
		.amdhsa_float_round_mode_16_64 0
		.amdhsa_float_denorm_mode_32 3
		.amdhsa_float_denorm_mode_16_64 3
		.amdhsa_dx10_clamp 1
		.amdhsa_ieee_mode 1
		.amdhsa_fp16_overflow 0
		.amdhsa_workgroup_processor_mode 1
		.amdhsa_memory_ordered 1
		.amdhsa_forward_progress 0
		.amdhsa_shared_vgpr_count 0
		.amdhsa_exception_fp_ieee_invalid_op 0
		.amdhsa_exception_fp_denorm_src 0
		.amdhsa_exception_fp_ieee_div_zero 0
		.amdhsa_exception_fp_ieee_overflow 0
		.amdhsa_exception_fp_ieee_underflow 0
		.amdhsa_exception_fp_ieee_inexact 0
		.amdhsa_exception_int_div_zero 0
	.end_amdhsa_kernel
	.section	.text._ZN7rocprim17ROCPRIM_400000_NS6detail17trampoline_kernelINS0_14default_configENS1_22reduce_config_selectorIbEEZNS1_11reduce_implILb1ES3_N6hipcub16HIPCUB_304000_NS22TransformInputIteratorIbN2at6native12_GLOBAL__N_19NonZeroOpIaEEPKalEEPiiNS8_6detail34convert_binary_result_type_wrapperINS8_3SumESH_iEEEE10hipError_tPvRmT1_T2_T3_mT4_P12ihipStream_tbEUlT_E0_NS1_11comp_targetILNS1_3genE9ELNS1_11target_archE1100ELNS1_3gpuE3ELNS1_3repE0EEENS1_30default_config_static_selectorELNS0_4arch9wavefront6targetE0EEEvSQ_,"axG",@progbits,_ZN7rocprim17ROCPRIM_400000_NS6detail17trampoline_kernelINS0_14default_configENS1_22reduce_config_selectorIbEEZNS1_11reduce_implILb1ES3_N6hipcub16HIPCUB_304000_NS22TransformInputIteratorIbN2at6native12_GLOBAL__N_19NonZeroOpIaEEPKalEEPiiNS8_6detail34convert_binary_result_type_wrapperINS8_3SumESH_iEEEE10hipError_tPvRmT1_T2_T3_mT4_P12ihipStream_tbEUlT_E0_NS1_11comp_targetILNS1_3genE9ELNS1_11target_archE1100ELNS1_3gpuE3ELNS1_3repE0EEENS1_30default_config_static_selectorELNS0_4arch9wavefront6targetE0EEEvSQ_,comdat
.Lfunc_end107:
	.size	_ZN7rocprim17ROCPRIM_400000_NS6detail17trampoline_kernelINS0_14default_configENS1_22reduce_config_selectorIbEEZNS1_11reduce_implILb1ES3_N6hipcub16HIPCUB_304000_NS22TransformInputIteratorIbN2at6native12_GLOBAL__N_19NonZeroOpIaEEPKalEEPiiNS8_6detail34convert_binary_result_type_wrapperINS8_3SumESH_iEEEE10hipError_tPvRmT1_T2_T3_mT4_P12ihipStream_tbEUlT_E0_NS1_11comp_targetILNS1_3genE9ELNS1_11target_archE1100ELNS1_3gpuE3ELNS1_3repE0EEENS1_30default_config_static_selectorELNS0_4arch9wavefront6targetE0EEEvSQ_, .Lfunc_end107-_ZN7rocprim17ROCPRIM_400000_NS6detail17trampoline_kernelINS0_14default_configENS1_22reduce_config_selectorIbEEZNS1_11reduce_implILb1ES3_N6hipcub16HIPCUB_304000_NS22TransformInputIteratorIbN2at6native12_GLOBAL__N_19NonZeroOpIaEEPKalEEPiiNS8_6detail34convert_binary_result_type_wrapperINS8_3SumESH_iEEEE10hipError_tPvRmT1_T2_T3_mT4_P12ihipStream_tbEUlT_E0_NS1_11comp_targetILNS1_3genE9ELNS1_11target_archE1100ELNS1_3gpuE3ELNS1_3repE0EEENS1_30default_config_static_selectorELNS0_4arch9wavefront6targetE0EEEvSQ_
                                        ; -- End function
	.section	.AMDGPU.csdata,"",@progbits
; Kernel info:
; codeLenInByte = 2532
; NumSgprs: 32
; NumVgprs: 19
; ScratchSize: 0
; MemoryBound: 0
; FloatMode: 240
; IeeeMode: 1
; LDSByteSize: 32 bytes/workgroup (compile time only)
; SGPRBlocks: 3
; VGPRBlocks: 2
; NumSGPRsForWavesPerEU: 32
; NumVGPRsForWavesPerEU: 19
; Occupancy: 16
; WaveLimiterHint : 1
; COMPUTE_PGM_RSRC2:SCRATCH_EN: 0
; COMPUTE_PGM_RSRC2:USER_SGPR: 15
; COMPUTE_PGM_RSRC2:TRAP_HANDLER: 0
; COMPUTE_PGM_RSRC2:TGID_X_EN: 1
; COMPUTE_PGM_RSRC2:TGID_Y_EN: 0
; COMPUTE_PGM_RSRC2:TGID_Z_EN: 0
; COMPUTE_PGM_RSRC2:TIDIG_COMP_CNT: 0
	.section	.text._ZN7rocprim17ROCPRIM_400000_NS6detail17trampoline_kernelINS0_14default_configENS1_22reduce_config_selectorIbEEZNS1_11reduce_implILb1ES3_N6hipcub16HIPCUB_304000_NS22TransformInputIteratorIbN2at6native12_GLOBAL__N_19NonZeroOpIaEEPKalEEPiiNS8_6detail34convert_binary_result_type_wrapperINS8_3SumESH_iEEEE10hipError_tPvRmT1_T2_T3_mT4_P12ihipStream_tbEUlT_E0_NS1_11comp_targetILNS1_3genE8ELNS1_11target_archE1030ELNS1_3gpuE2ELNS1_3repE0EEENS1_30default_config_static_selectorELNS0_4arch9wavefront6targetE0EEEvSQ_,"axG",@progbits,_ZN7rocprim17ROCPRIM_400000_NS6detail17trampoline_kernelINS0_14default_configENS1_22reduce_config_selectorIbEEZNS1_11reduce_implILb1ES3_N6hipcub16HIPCUB_304000_NS22TransformInputIteratorIbN2at6native12_GLOBAL__N_19NonZeroOpIaEEPKalEEPiiNS8_6detail34convert_binary_result_type_wrapperINS8_3SumESH_iEEEE10hipError_tPvRmT1_T2_T3_mT4_P12ihipStream_tbEUlT_E0_NS1_11comp_targetILNS1_3genE8ELNS1_11target_archE1030ELNS1_3gpuE2ELNS1_3repE0EEENS1_30default_config_static_selectorELNS0_4arch9wavefront6targetE0EEEvSQ_,comdat
	.globl	_ZN7rocprim17ROCPRIM_400000_NS6detail17trampoline_kernelINS0_14default_configENS1_22reduce_config_selectorIbEEZNS1_11reduce_implILb1ES3_N6hipcub16HIPCUB_304000_NS22TransformInputIteratorIbN2at6native12_GLOBAL__N_19NonZeroOpIaEEPKalEEPiiNS8_6detail34convert_binary_result_type_wrapperINS8_3SumESH_iEEEE10hipError_tPvRmT1_T2_T3_mT4_P12ihipStream_tbEUlT_E0_NS1_11comp_targetILNS1_3genE8ELNS1_11target_archE1030ELNS1_3gpuE2ELNS1_3repE0EEENS1_30default_config_static_selectorELNS0_4arch9wavefront6targetE0EEEvSQ_ ; -- Begin function _ZN7rocprim17ROCPRIM_400000_NS6detail17trampoline_kernelINS0_14default_configENS1_22reduce_config_selectorIbEEZNS1_11reduce_implILb1ES3_N6hipcub16HIPCUB_304000_NS22TransformInputIteratorIbN2at6native12_GLOBAL__N_19NonZeroOpIaEEPKalEEPiiNS8_6detail34convert_binary_result_type_wrapperINS8_3SumESH_iEEEE10hipError_tPvRmT1_T2_T3_mT4_P12ihipStream_tbEUlT_E0_NS1_11comp_targetILNS1_3genE8ELNS1_11target_archE1030ELNS1_3gpuE2ELNS1_3repE0EEENS1_30default_config_static_selectorELNS0_4arch9wavefront6targetE0EEEvSQ_
	.p2align	8
	.type	_ZN7rocprim17ROCPRIM_400000_NS6detail17trampoline_kernelINS0_14default_configENS1_22reduce_config_selectorIbEEZNS1_11reduce_implILb1ES3_N6hipcub16HIPCUB_304000_NS22TransformInputIteratorIbN2at6native12_GLOBAL__N_19NonZeroOpIaEEPKalEEPiiNS8_6detail34convert_binary_result_type_wrapperINS8_3SumESH_iEEEE10hipError_tPvRmT1_T2_T3_mT4_P12ihipStream_tbEUlT_E0_NS1_11comp_targetILNS1_3genE8ELNS1_11target_archE1030ELNS1_3gpuE2ELNS1_3repE0EEENS1_30default_config_static_selectorELNS0_4arch9wavefront6targetE0EEEvSQ_,@function
_ZN7rocprim17ROCPRIM_400000_NS6detail17trampoline_kernelINS0_14default_configENS1_22reduce_config_selectorIbEEZNS1_11reduce_implILb1ES3_N6hipcub16HIPCUB_304000_NS22TransformInputIteratorIbN2at6native12_GLOBAL__N_19NonZeroOpIaEEPKalEEPiiNS8_6detail34convert_binary_result_type_wrapperINS8_3SumESH_iEEEE10hipError_tPvRmT1_T2_T3_mT4_P12ihipStream_tbEUlT_E0_NS1_11comp_targetILNS1_3genE8ELNS1_11target_archE1030ELNS1_3gpuE2ELNS1_3repE0EEENS1_30default_config_static_selectorELNS0_4arch9wavefront6targetE0EEEvSQ_: ; @_ZN7rocprim17ROCPRIM_400000_NS6detail17trampoline_kernelINS0_14default_configENS1_22reduce_config_selectorIbEEZNS1_11reduce_implILb1ES3_N6hipcub16HIPCUB_304000_NS22TransformInputIteratorIbN2at6native12_GLOBAL__N_19NonZeroOpIaEEPKalEEPiiNS8_6detail34convert_binary_result_type_wrapperINS8_3SumESH_iEEEE10hipError_tPvRmT1_T2_T3_mT4_P12ihipStream_tbEUlT_E0_NS1_11comp_targetILNS1_3genE8ELNS1_11target_archE1030ELNS1_3gpuE2ELNS1_3repE0EEENS1_30default_config_static_selectorELNS0_4arch9wavefront6targetE0EEEvSQ_
; %bb.0:
	.section	.rodata,"a",@progbits
	.p2align	6, 0x0
	.amdhsa_kernel _ZN7rocprim17ROCPRIM_400000_NS6detail17trampoline_kernelINS0_14default_configENS1_22reduce_config_selectorIbEEZNS1_11reduce_implILb1ES3_N6hipcub16HIPCUB_304000_NS22TransformInputIteratorIbN2at6native12_GLOBAL__N_19NonZeroOpIaEEPKalEEPiiNS8_6detail34convert_binary_result_type_wrapperINS8_3SumESH_iEEEE10hipError_tPvRmT1_T2_T3_mT4_P12ihipStream_tbEUlT_E0_NS1_11comp_targetILNS1_3genE8ELNS1_11target_archE1030ELNS1_3gpuE2ELNS1_3repE0EEENS1_30default_config_static_selectorELNS0_4arch9wavefront6targetE0EEEvSQ_
		.amdhsa_group_segment_fixed_size 0
		.amdhsa_private_segment_fixed_size 0
		.amdhsa_kernarg_size 64
		.amdhsa_user_sgpr_count 15
		.amdhsa_user_sgpr_dispatch_ptr 0
		.amdhsa_user_sgpr_queue_ptr 0
		.amdhsa_user_sgpr_kernarg_segment_ptr 1
		.amdhsa_user_sgpr_dispatch_id 0
		.amdhsa_user_sgpr_private_segment_size 0
		.amdhsa_wavefront_size32 1
		.amdhsa_uses_dynamic_stack 0
		.amdhsa_enable_private_segment 0
		.amdhsa_system_sgpr_workgroup_id_x 1
		.amdhsa_system_sgpr_workgroup_id_y 0
		.amdhsa_system_sgpr_workgroup_id_z 0
		.amdhsa_system_sgpr_workgroup_info 0
		.amdhsa_system_vgpr_workitem_id 0
		.amdhsa_next_free_vgpr 1
		.amdhsa_next_free_sgpr 1
		.amdhsa_reserve_vcc 0
		.amdhsa_float_round_mode_32 0
		.amdhsa_float_round_mode_16_64 0
		.amdhsa_float_denorm_mode_32 3
		.amdhsa_float_denorm_mode_16_64 3
		.amdhsa_dx10_clamp 1
		.amdhsa_ieee_mode 1
		.amdhsa_fp16_overflow 0
		.amdhsa_workgroup_processor_mode 1
		.amdhsa_memory_ordered 1
		.amdhsa_forward_progress 0
		.amdhsa_shared_vgpr_count 0
		.amdhsa_exception_fp_ieee_invalid_op 0
		.amdhsa_exception_fp_denorm_src 0
		.amdhsa_exception_fp_ieee_div_zero 0
		.amdhsa_exception_fp_ieee_overflow 0
		.amdhsa_exception_fp_ieee_underflow 0
		.amdhsa_exception_fp_ieee_inexact 0
		.amdhsa_exception_int_div_zero 0
	.end_amdhsa_kernel
	.section	.text._ZN7rocprim17ROCPRIM_400000_NS6detail17trampoline_kernelINS0_14default_configENS1_22reduce_config_selectorIbEEZNS1_11reduce_implILb1ES3_N6hipcub16HIPCUB_304000_NS22TransformInputIteratorIbN2at6native12_GLOBAL__N_19NonZeroOpIaEEPKalEEPiiNS8_6detail34convert_binary_result_type_wrapperINS8_3SumESH_iEEEE10hipError_tPvRmT1_T2_T3_mT4_P12ihipStream_tbEUlT_E0_NS1_11comp_targetILNS1_3genE8ELNS1_11target_archE1030ELNS1_3gpuE2ELNS1_3repE0EEENS1_30default_config_static_selectorELNS0_4arch9wavefront6targetE0EEEvSQ_,"axG",@progbits,_ZN7rocprim17ROCPRIM_400000_NS6detail17trampoline_kernelINS0_14default_configENS1_22reduce_config_selectorIbEEZNS1_11reduce_implILb1ES3_N6hipcub16HIPCUB_304000_NS22TransformInputIteratorIbN2at6native12_GLOBAL__N_19NonZeroOpIaEEPKalEEPiiNS8_6detail34convert_binary_result_type_wrapperINS8_3SumESH_iEEEE10hipError_tPvRmT1_T2_T3_mT4_P12ihipStream_tbEUlT_E0_NS1_11comp_targetILNS1_3genE8ELNS1_11target_archE1030ELNS1_3gpuE2ELNS1_3repE0EEENS1_30default_config_static_selectorELNS0_4arch9wavefront6targetE0EEEvSQ_,comdat
.Lfunc_end108:
	.size	_ZN7rocprim17ROCPRIM_400000_NS6detail17trampoline_kernelINS0_14default_configENS1_22reduce_config_selectorIbEEZNS1_11reduce_implILb1ES3_N6hipcub16HIPCUB_304000_NS22TransformInputIteratorIbN2at6native12_GLOBAL__N_19NonZeroOpIaEEPKalEEPiiNS8_6detail34convert_binary_result_type_wrapperINS8_3SumESH_iEEEE10hipError_tPvRmT1_T2_T3_mT4_P12ihipStream_tbEUlT_E0_NS1_11comp_targetILNS1_3genE8ELNS1_11target_archE1030ELNS1_3gpuE2ELNS1_3repE0EEENS1_30default_config_static_selectorELNS0_4arch9wavefront6targetE0EEEvSQ_, .Lfunc_end108-_ZN7rocprim17ROCPRIM_400000_NS6detail17trampoline_kernelINS0_14default_configENS1_22reduce_config_selectorIbEEZNS1_11reduce_implILb1ES3_N6hipcub16HIPCUB_304000_NS22TransformInputIteratorIbN2at6native12_GLOBAL__N_19NonZeroOpIaEEPKalEEPiiNS8_6detail34convert_binary_result_type_wrapperINS8_3SumESH_iEEEE10hipError_tPvRmT1_T2_T3_mT4_P12ihipStream_tbEUlT_E0_NS1_11comp_targetILNS1_3genE8ELNS1_11target_archE1030ELNS1_3gpuE2ELNS1_3repE0EEENS1_30default_config_static_selectorELNS0_4arch9wavefront6targetE0EEEvSQ_
                                        ; -- End function
	.section	.AMDGPU.csdata,"",@progbits
; Kernel info:
; codeLenInByte = 0
; NumSgprs: 0
; NumVgprs: 0
; ScratchSize: 0
; MemoryBound: 0
; FloatMode: 240
; IeeeMode: 1
; LDSByteSize: 0 bytes/workgroup (compile time only)
; SGPRBlocks: 0
; VGPRBlocks: 0
; NumSGPRsForWavesPerEU: 1
; NumVGPRsForWavesPerEU: 1
; Occupancy: 16
; WaveLimiterHint : 0
; COMPUTE_PGM_RSRC2:SCRATCH_EN: 0
; COMPUTE_PGM_RSRC2:USER_SGPR: 15
; COMPUTE_PGM_RSRC2:TRAP_HANDLER: 0
; COMPUTE_PGM_RSRC2:TGID_X_EN: 1
; COMPUTE_PGM_RSRC2:TGID_Y_EN: 0
; COMPUTE_PGM_RSRC2:TGID_Z_EN: 0
; COMPUTE_PGM_RSRC2:TIDIG_COMP_CNT: 0
	.section	.text._ZN7rocprim17ROCPRIM_400000_NS6detail17trampoline_kernelINS0_14default_configENS1_22reduce_config_selectorIbEEZNS1_11reduce_implILb1ES3_N6hipcub16HIPCUB_304000_NS22TransformInputIteratorIbN2at6native12_GLOBAL__N_19NonZeroOpIaEEPKalEEPiiNS8_6detail34convert_binary_result_type_wrapperINS8_3SumESH_iEEEE10hipError_tPvRmT1_T2_T3_mT4_P12ihipStream_tbEUlT_E1_NS1_11comp_targetILNS1_3genE0ELNS1_11target_archE4294967295ELNS1_3gpuE0ELNS1_3repE0EEENS1_30default_config_static_selectorELNS0_4arch9wavefront6targetE0EEEvSQ_,"axG",@progbits,_ZN7rocprim17ROCPRIM_400000_NS6detail17trampoline_kernelINS0_14default_configENS1_22reduce_config_selectorIbEEZNS1_11reduce_implILb1ES3_N6hipcub16HIPCUB_304000_NS22TransformInputIteratorIbN2at6native12_GLOBAL__N_19NonZeroOpIaEEPKalEEPiiNS8_6detail34convert_binary_result_type_wrapperINS8_3SumESH_iEEEE10hipError_tPvRmT1_T2_T3_mT4_P12ihipStream_tbEUlT_E1_NS1_11comp_targetILNS1_3genE0ELNS1_11target_archE4294967295ELNS1_3gpuE0ELNS1_3repE0EEENS1_30default_config_static_selectorELNS0_4arch9wavefront6targetE0EEEvSQ_,comdat
	.globl	_ZN7rocprim17ROCPRIM_400000_NS6detail17trampoline_kernelINS0_14default_configENS1_22reduce_config_selectorIbEEZNS1_11reduce_implILb1ES3_N6hipcub16HIPCUB_304000_NS22TransformInputIteratorIbN2at6native12_GLOBAL__N_19NonZeroOpIaEEPKalEEPiiNS8_6detail34convert_binary_result_type_wrapperINS8_3SumESH_iEEEE10hipError_tPvRmT1_T2_T3_mT4_P12ihipStream_tbEUlT_E1_NS1_11comp_targetILNS1_3genE0ELNS1_11target_archE4294967295ELNS1_3gpuE0ELNS1_3repE0EEENS1_30default_config_static_selectorELNS0_4arch9wavefront6targetE0EEEvSQ_ ; -- Begin function _ZN7rocprim17ROCPRIM_400000_NS6detail17trampoline_kernelINS0_14default_configENS1_22reduce_config_selectorIbEEZNS1_11reduce_implILb1ES3_N6hipcub16HIPCUB_304000_NS22TransformInputIteratorIbN2at6native12_GLOBAL__N_19NonZeroOpIaEEPKalEEPiiNS8_6detail34convert_binary_result_type_wrapperINS8_3SumESH_iEEEE10hipError_tPvRmT1_T2_T3_mT4_P12ihipStream_tbEUlT_E1_NS1_11comp_targetILNS1_3genE0ELNS1_11target_archE4294967295ELNS1_3gpuE0ELNS1_3repE0EEENS1_30default_config_static_selectorELNS0_4arch9wavefront6targetE0EEEvSQ_
	.p2align	8
	.type	_ZN7rocprim17ROCPRIM_400000_NS6detail17trampoline_kernelINS0_14default_configENS1_22reduce_config_selectorIbEEZNS1_11reduce_implILb1ES3_N6hipcub16HIPCUB_304000_NS22TransformInputIteratorIbN2at6native12_GLOBAL__N_19NonZeroOpIaEEPKalEEPiiNS8_6detail34convert_binary_result_type_wrapperINS8_3SumESH_iEEEE10hipError_tPvRmT1_T2_T3_mT4_P12ihipStream_tbEUlT_E1_NS1_11comp_targetILNS1_3genE0ELNS1_11target_archE4294967295ELNS1_3gpuE0ELNS1_3repE0EEENS1_30default_config_static_selectorELNS0_4arch9wavefront6targetE0EEEvSQ_,@function
_ZN7rocprim17ROCPRIM_400000_NS6detail17trampoline_kernelINS0_14default_configENS1_22reduce_config_selectorIbEEZNS1_11reduce_implILb1ES3_N6hipcub16HIPCUB_304000_NS22TransformInputIteratorIbN2at6native12_GLOBAL__N_19NonZeroOpIaEEPKalEEPiiNS8_6detail34convert_binary_result_type_wrapperINS8_3SumESH_iEEEE10hipError_tPvRmT1_T2_T3_mT4_P12ihipStream_tbEUlT_E1_NS1_11comp_targetILNS1_3genE0ELNS1_11target_archE4294967295ELNS1_3gpuE0ELNS1_3repE0EEENS1_30default_config_static_selectorELNS0_4arch9wavefront6targetE0EEEvSQ_: ; @_ZN7rocprim17ROCPRIM_400000_NS6detail17trampoline_kernelINS0_14default_configENS1_22reduce_config_selectorIbEEZNS1_11reduce_implILb1ES3_N6hipcub16HIPCUB_304000_NS22TransformInputIteratorIbN2at6native12_GLOBAL__N_19NonZeroOpIaEEPKalEEPiiNS8_6detail34convert_binary_result_type_wrapperINS8_3SumESH_iEEEE10hipError_tPvRmT1_T2_T3_mT4_P12ihipStream_tbEUlT_E1_NS1_11comp_targetILNS1_3genE0ELNS1_11target_archE4294967295ELNS1_3gpuE0ELNS1_3repE0EEENS1_30default_config_static_selectorELNS0_4arch9wavefront6targetE0EEEvSQ_
; %bb.0:
	.section	.rodata,"a",@progbits
	.p2align	6, 0x0
	.amdhsa_kernel _ZN7rocprim17ROCPRIM_400000_NS6detail17trampoline_kernelINS0_14default_configENS1_22reduce_config_selectorIbEEZNS1_11reduce_implILb1ES3_N6hipcub16HIPCUB_304000_NS22TransformInputIteratorIbN2at6native12_GLOBAL__N_19NonZeroOpIaEEPKalEEPiiNS8_6detail34convert_binary_result_type_wrapperINS8_3SumESH_iEEEE10hipError_tPvRmT1_T2_T3_mT4_P12ihipStream_tbEUlT_E1_NS1_11comp_targetILNS1_3genE0ELNS1_11target_archE4294967295ELNS1_3gpuE0ELNS1_3repE0EEENS1_30default_config_static_selectorELNS0_4arch9wavefront6targetE0EEEvSQ_
		.amdhsa_group_segment_fixed_size 0
		.amdhsa_private_segment_fixed_size 0
		.amdhsa_kernarg_size 48
		.amdhsa_user_sgpr_count 15
		.amdhsa_user_sgpr_dispatch_ptr 0
		.amdhsa_user_sgpr_queue_ptr 0
		.amdhsa_user_sgpr_kernarg_segment_ptr 1
		.amdhsa_user_sgpr_dispatch_id 0
		.amdhsa_user_sgpr_private_segment_size 0
		.amdhsa_wavefront_size32 1
		.amdhsa_uses_dynamic_stack 0
		.amdhsa_enable_private_segment 0
		.amdhsa_system_sgpr_workgroup_id_x 1
		.amdhsa_system_sgpr_workgroup_id_y 0
		.amdhsa_system_sgpr_workgroup_id_z 0
		.amdhsa_system_sgpr_workgroup_info 0
		.amdhsa_system_vgpr_workitem_id 0
		.amdhsa_next_free_vgpr 1
		.amdhsa_next_free_sgpr 1
		.amdhsa_reserve_vcc 0
		.amdhsa_float_round_mode_32 0
		.amdhsa_float_round_mode_16_64 0
		.amdhsa_float_denorm_mode_32 3
		.amdhsa_float_denorm_mode_16_64 3
		.amdhsa_dx10_clamp 1
		.amdhsa_ieee_mode 1
		.amdhsa_fp16_overflow 0
		.amdhsa_workgroup_processor_mode 1
		.amdhsa_memory_ordered 1
		.amdhsa_forward_progress 0
		.amdhsa_shared_vgpr_count 0
		.amdhsa_exception_fp_ieee_invalid_op 0
		.amdhsa_exception_fp_denorm_src 0
		.amdhsa_exception_fp_ieee_div_zero 0
		.amdhsa_exception_fp_ieee_overflow 0
		.amdhsa_exception_fp_ieee_underflow 0
		.amdhsa_exception_fp_ieee_inexact 0
		.amdhsa_exception_int_div_zero 0
	.end_amdhsa_kernel
	.section	.text._ZN7rocprim17ROCPRIM_400000_NS6detail17trampoline_kernelINS0_14default_configENS1_22reduce_config_selectorIbEEZNS1_11reduce_implILb1ES3_N6hipcub16HIPCUB_304000_NS22TransformInputIteratorIbN2at6native12_GLOBAL__N_19NonZeroOpIaEEPKalEEPiiNS8_6detail34convert_binary_result_type_wrapperINS8_3SumESH_iEEEE10hipError_tPvRmT1_T2_T3_mT4_P12ihipStream_tbEUlT_E1_NS1_11comp_targetILNS1_3genE0ELNS1_11target_archE4294967295ELNS1_3gpuE0ELNS1_3repE0EEENS1_30default_config_static_selectorELNS0_4arch9wavefront6targetE0EEEvSQ_,"axG",@progbits,_ZN7rocprim17ROCPRIM_400000_NS6detail17trampoline_kernelINS0_14default_configENS1_22reduce_config_selectorIbEEZNS1_11reduce_implILb1ES3_N6hipcub16HIPCUB_304000_NS22TransformInputIteratorIbN2at6native12_GLOBAL__N_19NonZeroOpIaEEPKalEEPiiNS8_6detail34convert_binary_result_type_wrapperINS8_3SumESH_iEEEE10hipError_tPvRmT1_T2_T3_mT4_P12ihipStream_tbEUlT_E1_NS1_11comp_targetILNS1_3genE0ELNS1_11target_archE4294967295ELNS1_3gpuE0ELNS1_3repE0EEENS1_30default_config_static_selectorELNS0_4arch9wavefront6targetE0EEEvSQ_,comdat
.Lfunc_end109:
	.size	_ZN7rocprim17ROCPRIM_400000_NS6detail17trampoline_kernelINS0_14default_configENS1_22reduce_config_selectorIbEEZNS1_11reduce_implILb1ES3_N6hipcub16HIPCUB_304000_NS22TransformInputIteratorIbN2at6native12_GLOBAL__N_19NonZeroOpIaEEPKalEEPiiNS8_6detail34convert_binary_result_type_wrapperINS8_3SumESH_iEEEE10hipError_tPvRmT1_T2_T3_mT4_P12ihipStream_tbEUlT_E1_NS1_11comp_targetILNS1_3genE0ELNS1_11target_archE4294967295ELNS1_3gpuE0ELNS1_3repE0EEENS1_30default_config_static_selectorELNS0_4arch9wavefront6targetE0EEEvSQ_, .Lfunc_end109-_ZN7rocprim17ROCPRIM_400000_NS6detail17trampoline_kernelINS0_14default_configENS1_22reduce_config_selectorIbEEZNS1_11reduce_implILb1ES3_N6hipcub16HIPCUB_304000_NS22TransformInputIteratorIbN2at6native12_GLOBAL__N_19NonZeroOpIaEEPKalEEPiiNS8_6detail34convert_binary_result_type_wrapperINS8_3SumESH_iEEEE10hipError_tPvRmT1_T2_T3_mT4_P12ihipStream_tbEUlT_E1_NS1_11comp_targetILNS1_3genE0ELNS1_11target_archE4294967295ELNS1_3gpuE0ELNS1_3repE0EEENS1_30default_config_static_selectorELNS0_4arch9wavefront6targetE0EEEvSQ_
                                        ; -- End function
	.section	.AMDGPU.csdata,"",@progbits
; Kernel info:
; codeLenInByte = 0
; NumSgprs: 0
; NumVgprs: 0
; ScratchSize: 0
; MemoryBound: 0
; FloatMode: 240
; IeeeMode: 1
; LDSByteSize: 0 bytes/workgroup (compile time only)
; SGPRBlocks: 0
; VGPRBlocks: 0
; NumSGPRsForWavesPerEU: 1
; NumVGPRsForWavesPerEU: 1
; Occupancy: 16
; WaveLimiterHint : 0
; COMPUTE_PGM_RSRC2:SCRATCH_EN: 0
; COMPUTE_PGM_RSRC2:USER_SGPR: 15
; COMPUTE_PGM_RSRC2:TRAP_HANDLER: 0
; COMPUTE_PGM_RSRC2:TGID_X_EN: 1
; COMPUTE_PGM_RSRC2:TGID_Y_EN: 0
; COMPUTE_PGM_RSRC2:TGID_Z_EN: 0
; COMPUTE_PGM_RSRC2:TIDIG_COMP_CNT: 0
	.section	.text._ZN7rocprim17ROCPRIM_400000_NS6detail17trampoline_kernelINS0_14default_configENS1_22reduce_config_selectorIbEEZNS1_11reduce_implILb1ES3_N6hipcub16HIPCUB_304000_NS22TransformInputIteratorIbN2at6native12_GLOBAL__N_19NonZeroOpIaEEPKalEEPiiNS8_6detail34convert_binary_result_type_wrapperINS8_3SumESH_iEEEE10hipError_tPvRmT1_T2_T3_mT4_P12ihipStream_tbEUlT_E1_NS1_11comp_targetILNS1_3genE5ELNS1_11target_archE942ELNS1_3gpuE9ELNS1_3repE0EEENS1_30default_config_static_selectorELNS0_4arch9wavefront6targetE0EEEvSQ_,"axG",@progbits,_ZN7rocprim17ROCPRIM_400000_NS6detail17trampoline_kernelINS0_14default_configENS1_22reduce_config_selectorIbEEZNS1_11reduce_implILb1ES3_N6hipcub16HIPCUB_304000_NS22TransformInputIteratorIbN2at6native12_GLOBAL__N_19NonZeroOpIaEEPKalEEPiiNS8_6detail34convert_binary_result_type_wrapperINS8_3SumESH_iEEEE10hipError_tPvRmT1_T2_T3_mT4_P12ihipStream_tbEUlT_E1_NS1_11comp_targetILNS1_3genE5ELNS1_11target_archE942ELNS1_3gpuE9ELNS1_3repE0EEENS1_30default_config_static_selectorELNS0_4arch9wavefront6targetE0EEEvSQ_,comdat
	.globl	_ZN7rocprim17ROCPRIM_400000_NS6detail17trampoline_kernelINS0_14default_configENS1_22reduce_config_selectorIbEEZNS1_11reduce_implILb1ES3_N6hipcub16HIPCUB_304000_NS22TransformInputIteratorIbN2at6native12_GLOBAL__N_19NonZeroOpIaEEPKalEEPiiNS8_6detail34convert_binary_result_type_wrapperINS8_3SumESH_iEEEE10hipError_tPvRmT1_T2_T3_mT4_P12ihipStream_tbEUlT_E1_NS1_11comp_targetILNS1_3genE5ELNS1_11target_archE942ELNS1_3gpuE9ELNS1_3repE0EEENS1_30default_config_static_selectorELNS0_4arch9wavefront6targetE0EEEvSQ_ ; -- Begin function _ZN7rocprim17ROCPRIM_400000_NS6detail17trampoline_kernelINS0_14default_configENS1_22reduce_config_selectorIbEEZNS1_11reduce_implILb1ES3_N6hipcub16HIPCUB_304000_NS22TransformInputIteratorIbN2at6native12_GLOBAL__N_19NonZeroOpIaEEPKalEEPiiNS8_6detail34convert_binary_result_type_wrapperINS8_3SumESH_iEEEE10hipError_tPvRmT1_T2_T3_mT4_P12ihipStream_tbEUlT_E1_NS1_11comp_targetILNS1_3genE5ELNS1_11target_archE942ELNS1_3gpuE9ELNS1_3repE0EEENS1_30default_config_static_selectorELNS0_4arch9wavefront6targetE0EEEvSQ_
	.p2align	8
	.type	_ZN7rocprim17ROCPRIM_400000_NS6detail17trampoline_kernelINS0_14default_configENS1_22reduce_config_selectorIbEEZNS1_11reduce_implILb1ES3_N6hipcub16HIPCUB_304000_NS22TransformInputIteratorIbN2at6native12_GLOBAL__N_19NonZeroOpIaEEPKalEEPiiNS8_6detail34convert_binary_result_type_wrapperINS8_3SumESH_iEEEE10hipError_tPvRmT1_T2_T3_mT4_P12ihipStream_tbEUlT_E1_NS1_11comp_targetILNS1_3genE5ELNS1_11target_archE942ELNS1_3gpuE9ELNS1_3repE0EEENS1_30default_config_static_selectorELNS0_4arch9wavefront6targetE0EEEvSQ_,@function
_ZN7rocprim17ROCPRIM_400000_NS6detail17trampoline_kernelINS0_14default_configENS1_22reduce_config_selectorIbEEZNS1_11reduce_implILb1ES3_N6hipcub16HIPCUB_304000_NS22TransformInputIteratorIbN2at6native12_GLOBAL__N_19NonZeroOpIaEEPKalEEPiiNS8_6detail34convert_binary_result_type_wrapperINS8_3SumESH_iEEEE10hipError_tPvRmT1_T2_T3_mT4_P12ihipStream_tbEUlT_E1_NS1_11comp_targetILNS1_3genE5ELNS1_11target_archE942ELNS1_3gpuE9ELNS1_3repE0EEENS1_30default_config_static_selectorELNS0_4arch9wavefront6targetE0EEEvSQ_: ; @_ZN7rocprim17ROCPRIM_400000_NS6detail17trampoline_kernelINS0_14default_configENS1_22reduce_config_selectorIbEEZNS1_11reduce_implILb1ES3_N6hipcub16HIPCUB_304000_NS22TransformInputIteratorIbN2at6native12_GLOBAL__N_19NonZeroOpIaEEPKalEEPiiNS8_6detail34convert_binary_result_type_wrapperINS8_3SumESH_iEEEE10hipError_tPvRmT1_T2_T3_mT4_P12ihipStream_tbEUlT_E1_NS1_11comp_targetILNS1_3genE5ELNS1_11target_archE942ELNS1_3gpuE9ELNS1_3repE0EEENS1_30default_config_static_selectorELNS0_4arch9wavefront6targetE0EEEvSQ_
; %bb.0:
	.section	.rodata,"a",@progbits
	.p2align	6, 0x0
	.amdhsa_kernel _ZN7rocprim17ROCPRIM_400000_NS6detail17trampoline_kernelINS0_14default_configENS1_22reduce_config_selectorIbEEZNS1_11reduce_implILb1ES3_N6hipcub16HIPCUB_304000_NS22TransformInputIteratorIbN2at6native12_GLOBAL__N_19NonZeroOpIaEEPKalEEPiiNS8_6detail34convert_binary_result_type_wrapperINS8_3SumESH_iEEEE10hipError_tPvRmT1_T2_T3_mT4_P12ihipStream_tbEUlT_E1_NS1_11comp_targetILNS1_3genE5ELNS1_11target_archE942ELNS1_3gpuE9ELNS1_3repE0EEENS1_30default_config_static_selectorELNS0_4arch9wavefront6targetE0EEEvSQ_
		.amdhsa_group_segment_fixed_size 0
		.amdhsa_private_segment_fixed_size 0
		.amdhsa_kernarg_size 48
		.amdhsa_user_sgpr_count 15
		.amdhsa_user_sgpr_dispatch_ptr 0
		.amdhsa_user_sgpr_queue_ptr 0
		.amdhsa_user_sgpr_kernarg_segment_ptr 1
		.amdhsa_user_sgpr_dispatch_id 0
		.amdhsa_user_sgpr_private_segment_size 0
		.amdhsa_wavefront_size32 1
		.amdhsa_uses_dynamic_stack 0
		.amdhsa_enable_private_segment 0
		.amdhsa_system_sgpr_workgroup_id_x 1
		.amdhsa_system_sgpr_workgroup_id_y 0
		.amdhsa_system_sgpr_workgroup_id_z 0
		.amdhsa_system_sgpr_workgroup_info 0
		.amdhsa_system_vgpr_workitem_id 0
		.amdhsa_next_free_vgpr 1
		.amdhsa_next_free_sgpr 1
		.amdhsa_reserve_vcc 0
		.amdhsa_float_round_mode_32 0
		.amdhsa_float_round_mode_16_64 0
		.amdhsa_float_denorm_mode_32 3
		.amdhsa_float_denorm_mode_16_64 3
		.amdhsa_dx10_clamp 1
		.amdhsa_ieee_mode 1
		.amdhsa_fp16_overflow 0
		.amdhsa_workgroup_processor_mode 1
		.amdhsa_memory_ordered 1
		.amdhsa_forward_progress 0
		.amdhsa_shared_vgpr_count 0
		.amdhsa_exception_fp_ieee_invalid_op 0
		.amdhsa_exception_fp_denorm_src 0
		.amdhsa_exception_fp_ieee_div_zero 0
		.amdhsa_exception_fp_ieee_overflow 0
		.amdhsa_exception_fp_ieee_underflow 0
		.amdhsa_exception_fp_ieee_inexact 0
		.amdhsa_exception_int_div_zero 0
	.end_amdhsa_kernel
	.section	.text._ZN7rocprim17ROCPRIM_400000_NS6detail17trampoline_kernelINS0_14default_configENS1_22reduce_config_selectorIbEEZNS1_11reduce_implILb1ES3_N6hipcub16HIPCUB_304000_NS22TransformInputIteratorIbN2at6native12_GLOBAL__N_19NonZeroOpIaEEPKalEEPiiNS8_6detail34convert_binary_result_type_wrapperINS8_3SumESH_iEEEE10hipError_tPvRmT1_T2_T3_mT4_P12ihipStream_tbEUlT_E1_NS1_11comp_targetILNS1_3genE5ELNS1_11target_archE942ELNS1_3gpuE9ELNS1_3repE0EEENS1_30default_config_static_selectorELNS0_4arch9wavefront6targetE0EEEvSQ_,"axG",@progbits,_ZN7rocprim17ROCPRIM_400000_NS6detail17trampoline_kernelINS0_14default_configENS1_22reduce_config_selectorIbEEZNS1_11reduce_implILb1ES3_N6hipcub16HIPCUB_304000_NS22TransformInputIteratorIbN2at6native12_GLOBAL__N_19NonZeroOpIaEEPKalEEPiiNS8_6detail34convert_binary_result_type_wrapperINS8_3SumESH_iEEEE10hipError_tPvRmT1_T2_T3_mT4_P12ihipStream_tbEUlT_E1_NS1_11comp_targetILNS1_3genE5ELNS1_11target_archE942ELNS1_3gpuE9ELNS1_3repE0EEENS1_30default_config_static_selectorELNS0_4arch9wavefront6targetE0EEEvSQ_,comdat
.Lfunc_end110:
	.size	_ZN7rocprim17ROCPRIM_400000_NS6detail17trampoline_kernelINS0_14default_configENS1_22reduce_config_selectorIbEEZNS1_11reduce_implILb1ES3_N6hipcub16HIPCUB_304000_NS22TransformInputIteratorIbN2at6native12_GLOBAL__N_19NonZeroOpIaEEPKalEEPiiNS8_6detail34convert_binary_result_type_wrapperINS8_3SumESH_iEEEE10hipError_tPvRmT1_T2_T3_mT4_P12ihipStream_tbEUlT_E1_NS1_11comp_targetILNS1_3genE5ELNS1_11target_archE942ELNS1_3gpuE9ELNS1_3repE0EEENS1_30default_config_static_selectorELNS0_4arch9wavefront6targetE0EEEvSQ_, .Lfunc_end110-_ZN7rocprim17ROCPRIM_400000_NS6detail17trampoline_kernelINS0_14default_configENS1_22reduce_config_selectorIbEEZNS1_11reduce_implILb1ES3_N6hipcub16HIPCUB_304000_NS22TransformInputIteratorIbN2at6native12_GLOBAL__N_19NonZeroOpIaEEPKalEEPiiNS8_6detail34convert_binary_result_type_wrapperINS8_3SumESH_iEEEE10hipError_tPvRmT1_T2_T3_mT4_P12ihipStream_tbEUlT_E1_NS1_11comp_targetILNS1_3genE5ELNS1_11target_archE942ELNS1_3gpuE9ELNS1_3repE0EEENS1_30default_config_static_selectorELNS0_4arch9wavefront6targetE0EEEvSQ_
                                        ; -- End function
	.section	.AMDGPU.csdata,"",@progbits
; Kernel info:
; codeLenInByte = 0
; NumSgprs: 0
; NumVgprs: 0
; ScratchSize: 0
; MemoryBound: 0
; FloatMode: 240
; IeeeMode: 1
; LDSByteSize: 0 bytes/workgroup (compile time only)
; SGPRBlocks: 0
; VGPRBlocks: 0
; NumSGPRsForWavesPerEU: 1
; NumVGPRsForWavesPerEU: 1
; Occupancy: 16
; WaveLimiterHint : 0
; COMPUTE_PGM_RSRC2:SCRATCH_EN: 0
; COMPUTE_PGM_RSRC2:USER_SGPR: 15
; COMPUTE_PGM_RSRC2:TRAP_HANDLER: 0
; COMPUTE_PGM_RSRC2:TGID_X_EN: 1
; COMPUTE_PGM_RSRC2:TGID_Y_EN: 0
; COMPUTE_PGM_RSRC2:TGID_Z_EN: 0
; COMPUTE_PGM_RSRC2:TIDIG_COMP_CNT: 0
	.section	.text._ZN7rocprim17ROCPRIM_400000_NS6detail17trampoline_kernelINS0_14default_configENS1_22reduce_config_selectorIbEEZNS1_11reduce_implILb1ES3_N6hipcub16HIPCUB_304000_NS22TransformInputIteratorIbN2at6native12_GLOBAL__N_19NonZeroOpIaEEPKalEEPiiNS8_6detail34convert_binary_result_type_wrapperINS8_3SumESH_iEEEE10hipError_tPvRmT1_T2_T3_mT4_P12ihipStream_tbEUlT_E1_NS1_11comp_targetILNS1_3genE4ELNS1_11target_archE910ELNS1_3gpuE8ELNS1_3repE0EEENS1_30default_config_static_selectorELNS0_4arch9wavefront6targetE0EEEvSQ_,"axG",@progbits,_ZN7rocprim17ROCPRIM_400000_NS6detail17trampoline_kernelINS0_14default_configENS1_22reduce_config_selectorIbEEZNS1_11reduce_implILb1ES3_N6hipcub16HIPCUB_304000_NS22TransformInputIteratorIbN2at6native12_GLOBAL__N_19NonZeroOpIaEEPKalEEPiiNS8_6detail34convert_binary_result_type_wrapperINS8_3SumESH_iEEEE10hipError_tPvRmT1_T2_T3_mT4_P12ihipStream_tbEUlT_E1_NS1_11comp_targetILNS1_3genE4ELNS1_11target_archE910ELNS1_3gpuE8ELNS1_3repE0EEENS1_30default_config_static_selectorELNS0_4arch9wavefront6targetE0EEEvSQ_,comdat
	.globl	_ZN7rocprim17ROCPRIM_400000_NS6detail17trampoline_kernelINS0_14default_configENS1_22reduce_config_selectorIbEEZNS1_11reduce_implILb1ES3_N6hipcub16HIPCUB_304000_NS22TransformInputIteratorIbN2at6native12_GLOBAL__N_19NonZeroOpIaEEPKalEEPiiNS8_6detail34convert_binary_result_type_wrapperINS8_3SumESH_iEEEE10hipError_tPvRmT1_T2_T3_mT4_P12ihipStream_tbEUlT_E1_NS1_11comp_targetILNS1_3genE4ELNS1_11target_archE910ELNS1_3gpuE8ELNS1_3repE0EEENS1_30default_config_static_selectorELNS0_4arch9wavefront6targetE0EEEvSQ_ ; -- Begin function _ZN7rocprim17ROCPRIM_400000_NS6detail17trampoline_kernelINS0_14default_configENS1_22reduce_config_selectorIbEEZNS1_11reduce_implILb1ES3_N6hipcub16HIPCUB_304000_NS22TransformInputIteratorIbN2at6native12_GLOBAL__N_19NonZeroOpIaEEPKalEEPiiNS8_6detail34convert_binary_result_type_wrapperINS8_3SumESH_iEEEE10hipError_tPvRmT1_T2_T3_mT4_P12ihipStream_tbEUlT_E1_NS1_11comp_targetILNS1_3genE4ELNS1_11target_archE910ELNS1_3gpuE8ELNS1_3repE0EEENS1_30default_config_static_selectorELNS0_4arch9wavefront6targetE0EEEvSQ_
	.p2align	8
	.type	_ZN7rocprim17ROCPRIM_400000_NS6detail17trampoline_kernelINS0_14default_configENS1_22reduce_config_selectorIbEEZNS1_11reduce_implILb1ES3_N6hipcub16HIPCUB_304000_NS22TransformInputIteratorIbN2at6native12_GLOBAL__N_19NonZeroOpIaEEPKalEEPiiNS8_6detail34convert_binary_result_type_wrapperINS8_3SumESH_iEEEE10hipError_tPvRmT1_T2_T3_mT4_P12ihipStream_tbEUlT_E1_NS1_11comp_targetILNS1_3genE4ELNS1_11target_archE910ELNS1_3gpuE8ELNS1_3repE0EEENS1_30default_config_static_selectorELNS0_4arch9wavefront6targetE0EEEvSQ_,@function
_ZN7rocprim17ROCPRIM_400000_NS6detail17trampoline_kernelINS0_14default_configENS1_22reduce_config_selectorIbEEZNS1_11reduce_implILb1ES3_N6hipcub16HIPCUB_304000_NS22TransformInputIteratorIbN2at6native12_GLOBAL__N_19NonZeroOpIaEEPKalEEPiiNS8_6detail34convert_binary_result_type_wrapperINS8_3SumESH_iEEEE10hipError_tPvRmT1_T2_T3_mT4_P12ihipStream_tbEUlT_E1_NS1_11comp_targetILNS1_3genE4ELNS1_11target_archE910ELNS1_3gpuE8ELNS1_3repE0EEENS1_30default_config_static_selectorELNS0_4arch9wavefront6targetE0EEEvSQ_: ; @_ZN7rocprim17ROCPRIM_400000_NS6detail17trampoline_kernelINS0_14default_configENS1_22reduce_config_selectorIbEEZNS1_11reduce_implILb1ES3_N6hipcub16HIPCUB_304000_NS22TransformInputIteratorIbN2at6native12_GLOBAL__N_19NonZeroOpIaEEPKalEEPiiNS8_6detail34convert_binary_result_type_wrapperINS8_3SumESH_iEEEE10hipError_tPvRmT1_T2_T3_mT4_P12ihipStream_tbEUlT_E1_NS1_11comp_targetILNS1_3genE4ELNS1_11target_archE910ELNS1_3gpuE8ELNS1_3repE0EEENS1_30default_config_static_selectorELNS0_4arch9wavefront6targetE0EEEvSQ_
; %bb.0:
	.section	.rodata,"a",@progbits
	.p2align	6, 0x0
	.amdhsa_kernel _ZN7rocprim17ROCPRIM_400000_NS6detail17trampoline_kernelINS0_14default_configENS1_22reduce_config_selectorIbEEZNS1_11reduce_implILb1ES3_N6hipcub16HIPCUB_304000_NS22TransformInputIteratorIbN2at6native12_GLOBAL__N_19NonZeroOpIaEEPKalEEPiiNS8_6detail34convert_binary_result_type_wrapperINS8_3SumESH_iEEEE10hipError_tPvRmT1_T2_T3_mT4_P12ihipStream_tbEUlT_E1_NS1_11comp_targetILNS1_3genE4ELNS1_11target_archE910ELNS1_3gpuE8ELNS1_3repE0EEENS1_30default_config_static_selectorELNS0_4arch9wavefront6targetE0EEEvSQ_
		.amdhsa_group_segment_fixed_size 0
		.amdhsa_private_segment_fixed_size 0
		.amdhsa_kernarg_size 48
		.amdhsa_user_sgpr_count 15
		.amdhsa_user_sgpr_dispatch_ptr 0
		.amdhsa_user_sgpr_queue_ptr 0
		.amdhsa_user_sgpr_kernarg_segment_ptr 1
		.amdhsa_user_sgpr_dispatch_id 0
		.amdhsa_user_sgpr_private_segment_size 0
		.amdhsa_wavefront_size32 1
		.amdhsa_uses_dynamic_stack 0
		.amdhsa_enable_private_segment 0
		.amdhsa_system_sgpr_workgroup_id_x 1
		.amdhsa_system_sgpr_workgroup_id_y 0
		.amdhsa_system_sgpr_workgroup_id_z 0
		.amdhsa_system_sgpr_workgroup_info 0
		.amdhsa_system_vgpr_workitem_id 0
		.amdhsa_next_free_vgpr 1
		.amdhsa_next_free_sgpr 1
		.amdhsa_reserve_vcc 0
		.amdhsa_float_round_mode_32 0
		.amdhsa_float_round_mode_16_64 0
		.amdhsa_float_denorm_mode_32 3
		.amdhsa_float_denorm_mode_16_64 3
		.amdhsa_dx10_clamp 1
		.amdhsa_ieee_mode 1
		.amdhsa_fp16_overflow 0
		.amdhsa_workgroup_processor_mode 1
		.amdhsa_memory_ordered 1
		.amdhsa_forward_progress 0
		.amdhsa_shared_vgpr_count 0
		.amdhsa_exception_fp_ieee_invalid_op 0
		.amdhsa_exception_fp_denorm_src 0
		.amdhsa_exception_fp_ieee_div_zero 0
		.amdhsa_exception_fp_ieee_overflow 0
		.amdhsa_exception_fp_ieee_underflow 0
		.amdhsa_exception_fp_ieee_inexact 0
		.amdhsa_exception_int_div_zero 0
	.end_amdhsa_kernel
	.section	.text._ZN7rocprim17ROCPRIM_400000_NS6detail17trampoline_kernelINS0_14default_configENS1_22reduce_config_selectorIbEEZNS1_11reduce_implILb1ES3_N6hipcub16HIPCUB_304000_NS22TransformInputIteratorIbN2at6native12_GLOBAL__N_19NonZeroOpIaEEPKalEEPiiNS8_6detail34convert_binary_result_type_wrapperINS8_3SumESH_iEEEE10hipError_tPvRmT1_T2_T3_mT4_P12ihipStream_tbEUlT_E1_NS1_11comp_targetILNS1_3genE4ELNS1_11target_archE910ELNS1_3gpuE8ELNS1_3repE0EEENS1_30default_config_static_selectorELNS0_4arch9wavefront6targetE0EEEvSQ_,"axG",@progbits,_ZN7rocprim17ROCPRIM_400000_NS6detail17trampoline_kernelINS0_14default_configENS1_22reduce_config_selectorIbEEZNS1_11reduce_implILb1ES3_N6hipcub16HIPCUB_304000_NS22TransformInputIteratorIbN2at6native12_GLOBAL__N_19NonZeroOpIaEEPKalEEPiiNS8_6detail34convert_binary_result_type_wrapperINS8_3SumESH_iEEEE10hipError_tPvRmT1_T2_T3_mT4_P12ihipStream_tbEUlT_E1_NS1_11comp_targetILNS1_3genE4ELNS1_11target_archE910ELNS1_3gpuE8ELNS1_3repE0EEENS1_30default_config_static_selectorELNS0_4arch9wavefront6targetE0EEEvSQ_,comdat
.Lfunc_end111:
	.size	_ZN7rocprim17ROCPRIM_400000_NS6detail17trampoline_kernelINS0_14default_configENS1_22reduce_config_selectorIbEEZNS1_11reduce_implILb1ES3_N6hipcub16HIPCUB_304000_NS22TransformInputIteratorIbN2at6native12_GLOBAL__N_19NonZeroOpIaEEPKalEEPiiNS8_6detail34convert_binary_result_type_wrapperINS8_3SumESH_iEEEE10hipError_tPvRmT1_T2_T3_mT4_P12ihipStream_tbEUlT_E1_NS1_11comp_targetILNS1_3genE4ELNS1_11target_archE910ELNS1_3gpuE8ELNS1_3repE0EEENS1_30default_config_static_selectorELNS0_4arch9wavefront6targetE0EEEvSQ_, .Lfunc_end111-_ZN7rocprim17ROCPRIM_400000_NS6detail17trampoline_kernelINS0_14default_configENS1_22reduce_config_selectorIbEEZNS1_11reduce_implILb1ES3_N6hipcub16HIPCUB_304000_NS22TransformInputIteratorIbN2at6native12_GLOBAL__N_19NonZeroOpIaEEPKalEEPiiNS8_6detail34convert_binary_result_type_wrapperINS8_3SumESH_iEEEE10hipError_tPvRmT1_T2_T3_mT4_P12ihipStream_tbEUlT_E1_NS1_11comp_targetILNS1_3genE4ELNS1_11target_archE910ELNS1_3gpuE8ELNS1_3repE0EEENS1_30default_config_static_selectorELNS0_4arch9wavefront6targetE0EEEvSQ_
                                        ; -- End function
	.section	.AMDGPU.csdata,"",@progbits
; Kernel info:
; codeLenInByte = 0
; NumSgprs: 0
; NumVgprs: 0
; ScratchSize: 0
; MemoryBound: 0
; FloatMode: 240
; IeeeMode: 1
; LDSByteSize: 0 bytes/workgroup (compile time only)
; SGPRBlocks: 0
; VGPRBlocks: 0
; NumSGPRsForWavesPerEU: 1
; NumVGPRsForWavesPerEU: 1
; Occupancy: 16
; WaveLimiterHint : 0
; COMPUTE_PGM_RSRC2:SCRATCH_EN: 0
; COMPUTE_PGM_RSRC2:USER_SGPR: 15
; COMPUTE_PGM_RSRC2:TRAP_HANDLER: 0
; COMPUTE_PGM_RSRC2:TGID_X_EN: 1
; COMPUTE_PGM_RSRC2:TGID_Y_EN: 0
; COMPUTE_PGM_RSRC2:TGID_Z_EN: 0
; COMPUTE_PGM_RSRC2:TIDIG_COMP_CNT: 0
	.section	.text._ZN7rocprim17ROCPRIM_400000_NS6detail17trampoline_kernelINS0_14default_configENS1_22reduce_config_selectorIbEEZNS1_11reduce_implILb1ES3_N6hipcub16HIPCUB_304000_NS22TransformInputIteratorIbN2at6native12_GLOBAL__N_19NonZeroOpIaEEPKalEEPiiNS8_6detail34convert_binary_result_type_wrapperINS8_3SumESH_iEEEE10hipError_tPvRmT1_T2_T3_mT4_P12ihipStream_tbEUlT_E1_NS1_11comp_targetILNS1_3genE3ELNS1_11target_archE908ELNS1_3gpuE7ELNS1_3repE0EEENS1_30default_config_static_selectorELNS0_4arch9wavefront6targetE0EEEvSQ_,"axG",@progbits,_ZN7rocprim17ROCPRIM_400000_NS6detail17trampoline_kernelINS0_14default_configENS1_22reduce_config_selectorIbEEZNS1_11reduce_implILb1ES3_N6hipcub16HIPCUB_304000_NS22TransformInputIteratorIbN2at6native12_GLOBAL__N_19NonZeroOpIaEEPKalEEPiiNS8_6detail34convert_binary_result_type_wrapperINS8_3SumESH_iEEEE10hipError_tPvRmT1_T2_T3_mT4_P12ihipStream_tbEUlT_E1_NS1_11comp_targetILNS1_3genE3ELNS1_11target_archE908ELNS1_3gpuE7ELNS1_3repE0EEENS1_30default_config_static_selectorELNS0_4arch9wavefront6targetE0EEEvSQ_,comdat
	.globl	_ZN7rocprim17ROCPRIM_400000_NS6detail17trampoline_kernelINS0_14default_configENS1_22reduce_config_selectorIbEEZNS1_11reduce_implILb1ES3_N6hipcub16HIPCUB_304000_NS22TransformInputIteratorIbN2at6native12_GLOBAL__N_19NonZeroOpIaEEPKalEEPiiNS8_6detail34convert_binary_result_type_wrapperINS8_3SumESH_iEEEE10hipError_tPvRmT1_T2_T3_mT4_P12ihipStream_tbEUlT_E1_NS1_11comp_targetILNS1_3genE3ELNS1_11target_archE908ELNS1_3gpuE7ELNS1_3repE0EEENS1_30default_config_static_selectorELNS0_4arch9wavefront6targetE0EEEvSQ_ ; -- Begin function _ZN7rocprim17ROCPRIM_400000_NS6detail17trampoline_kernelINS0_14default_configENS1_22reduce_config_selectorIbEEZNS1_11reduce_implILb1ES3_N6hipcub16HIPCUB_304000_NS22TransformInputIteratorIbN2at6native12_GLOBAL__N_19NonZeroOpIaEEPKalEEPiiNS8_6detail34convert_binary_result_type_wrapperINS8_3SumESH_iEEEE10hipError_tPvRmT1_T2_T3_mT4_P12ihipStream_tbEUlT_E1_NS1_11comp_targetILNS1_3genE3ELNS1_11target_archE908ELNS1_3gpuE7ELNS1_3repE0EEENS1_30default_config_static_selectorELNS0_4arch9wavefront6targetE0EEEvSQ_
	.p2align	8
	.type	_ZN7rocprim17ROCPRIM_400000_NS6detail17trampoline_kernelINS0_14default_configENS1_22reduce_config_selectorIbEEZNS1_11reduce_implILb1ES3_N6hipcub16HIPCUB_304000_NS22TransformInputIteratorIbN2at6native12_GLOBAL__N_19NonZeroOpIaEEPKalEEPiiNS8_6detail34convert_binary_result_type_wrapperINS8_3SumESH_iEEEE10hipError_tPvRmT1_T2_T3_mT4_P12ihipStream_tbEUlT_E1_NS1_11comp_targetILNS1_3genE3ELNS1_11target_archE908ELNS1_3gpuE7ELNS1_3repE0EEENS1_30default_config_static_selectorELNS0_4arch9wavefront6targetE0EEEvSQ_,@function
_ZN7rocprim17ROCPRIM_400000_NS6detail17trampoline_kernelINS0_14default_configENS1_22reduce_config_selectorIbEEZNS1_11reduce_implILb1ES3_N6hipcub16HIPCUB_304000_NS22TransformInputIteratorIbN2at6native12_GLOBAL__N_19NonZeroOpIaEEPKalEEPiiNS8_6detail34convert_binary_result_type_wrapperINS8_3SumESH_iEEEE10hipError_tPvRmT1_T2_T3_mT4_P12ihipStream_tbEUlT_E1_NS1_11comp_targetILNS1_3genE3ELNS1_11target_archE908ELNS1_3gpuE7ELNS1_3repE0EEENS1_30default_config_static_selectorELNS0_4arch9wavefront6targetE0EEEvSQ_: ; @_ZN7rocprim17ROCPRIM_400000_NS6detail17trampoline_kernelINS0_14default_configENS1_22reduce_config_selectorIbEEZNS1_11reduce_implILb1ES3_N6hipcub16HIPCUB_304000_NS22TransformInputIteratorIbN2at6native12_GLOBAL__N_19NonZeroOpIaEEPKalEEPiiNS8_6detail34convert_binary_result_type_wrapperINS8_3SumESH_iEEEE10hipError_tPvRmT1_T2_T3_mT4_P12ihipStream_tbEUlT_E1_NS1_11comp_targetILNS1_3genE3ELNS1_11target_archE908ELNS1_3gpuE7ELNS1_3repE0EEENS1_30default_config_static_selectorELNS0_4arch9wavefront6targetE0EEEvSQ_
; %bb.0:
	.section	.rodata,"a",@progbits
	.p2align	6, 0x0
	.amdhsa_kernel _ZN7rocprim17ROCPRIM_400000_NS6detail17trampoline_kernelINS0_14default_configENS1_22reduce_config_selectorIbEEZNS1_11reduce_implILb1ES3_N6hipcub16HIPCUB_304000_NS22TransformInputIteratorIbN2at6native12_GLOBAL__N_19NonZeroOpIaEEPKalEEPiiNS8_6detail34convert_binary_result_type_wrapperINS8_3SumESH_iEEEE10hipError_tPvRmT1_T2_T3_mT4_P12ihipStream_tbEUlT_E1_NS1_11comp_targetILNS1_3genE3ELNS1_11target_archE908ELNS1_3gpuE7ELNS1_3repE0EEENS1_30default_config_static_selectorELNS0_4arch9wavefront6targetE0EEEvSQ_
		.amdhsa_group_segment_fixed_size 0
		.amdhsa_private_segment_fixed_size 0
		.amdhsa_kernarg_size 48
		.amdhsa_user_sgpr_count 15
		.amdhsa_user_sgpr_dispatch_ptr 0
		.amdhsa_user_sgpr_queue_ptr 0
		.amdhsa_user_sgpr_kernarg_segment_ptr 1
		.amdhsa_user_sgpr_dispatch_id 0
		.amdhsa_user_sgpr_private_segment_size 0
		.amdhsa_wavefront_size32 1
		.amdhsa_uses_dynamic_stack 0
		.amdhsa_enable_private_segment 0
		.amdhsa_system_sgpr_workgroup_id_x 1
		.amdhsa_system_sgpr_workgroup_id_y 0
		.amdhsa_system_sgpr_workgroup_id_z 0
		.amdhsa_system_sgpr_workgroup_info 0
		.amdhsa_system_vgpr_workitem_id 0
		.amdhsa_next_free_vgpr 1
		.amdhsa_next_free_sgpr 1
		.amdhsa_reserve_vcc 0
		.amdhsa_float_round_mode_32 0
		.amdhsa_float_round_mode_16_64 0
		.amdhsa_float_denorm_mode_32 3
		.amdhsa_float_denorm_mode_16_64 3
		.amdhsa_dx10_clamp 1
		.amdhsa_ieee_mode 1
		.amdhsa_fp16_overflow 0
		.amdhsa_workgroup_processor_mode 1
		.amdhsa_memory_ordered 1
		.amdhsa_forward_progress 0
		.amdhsa_shared_vgpr_count 0
		.amdhsa_exception_fp_ieee_invalid_op 0
		.amdhsa_exception_fp_denorm_src 0
		.amdhsa_exception_fp_ieee_div_zero 0
		.amdhsa_exception_fp_ieee_overflow 0
		.amdhsa_exception_fp_ieee_underflow 0
		.amdhsa_exception_fp_ieee_inexact 0
		.amdhsa_exception_int_div_zero 0
	.end_amdhsa_kernel
	.section	.text._ZN7rocprim17ROCPRIM_400000_NS6detail17trampoline_kernelINS0_14default_configENS1_22reduce_config_selectorIbEEZNS1_11reduce_implILb1ES3_N6hipcub16HIPCUB_304000_NS22TransformInputIteratorIbN2at6native12_GLOBAL__N_19NonZeroOpIaEEPKalEEPiiNS8_6detail34convert_binary_result_type_wrapperINS8_3SumESH_iEEEE10hipError_tPvRmT1_T2_T3_mT4_P12ihipStream_tbEUlT_E1_NS1_11comp_targetILNS1_3genE3ELNS1_11target_archE908ELNS1_3gpuE7ELNS1_3repE0EEENS1_30default_config_static_selectorELNS0_4arch9wavefront6targetE0EEEvSQ_,"axG",@progbits,_ZN7rocprim17ROCPRIM_400000_NS6detail17trampoline_kernelINS0_14default_configENS1_22reduce_config_selectorIbEEZNS1_11reduce_implILb1ES3_N6hipcub16HIPCUB_304000_NS22TransformInputIteratorIbN2at6native12_GLOBAL__N_19NonZeroOpIaEEPKalEEPiiNS8_6detail34convert_binary_result_type_wrapperINS8_3SumESH_iEEEE10hipError_tPvRmT1_T2_T3_mT4_P12ihipStream_tbEUlT_E1_NS1_11comp_targetILNS1_3genE3ELNS1_11target_archE908ELNS1_3gpuE7ELNS1_3repE0EEENS1_30default_config_static_selectorELNS0_4arch9wavefront6targetE0EEEvSQ_,comdat
.Lfunc_end112:
	.size	_ZN7rocprim17ROCPRIM_400000_NS6detail17trampoline_kernelINS0_14default_configENS1_22reduce_config_selectorIbEEZNS1_11reduce_implILb1ES3_N6hipcub16HIPCUB_304000_NS22TransformInputIteratorIbN2at6native12_GLOBAL__N_19NonZeroOpIaEEPKalEEPiiNS8_6detail34convert_binary_result_type_wrapperINS8_3SumESH_iEEEE10hipError_tPvRmT1_T2_T3_mT4_P12ihipStream_tbEUlT_E1_NS1_11comp_targetILNS1_3genE3ELNS1_11target_archE908ELNS1_3gpuE7ELNS1_3repE0EEENS1_30default_config_static_selectorELNS0_4arch9wavefront6targetE0EEEvSQ_, .Lfunc_end112-_ZN7rocprim17ROCPRIM_400000_NS6detail17trampoline_kernelINS0_14default_configENS1_22reduce_config_selectorIbEEZNS1_11reduce_implILb1ES3_N6hipcub16HIPCUB_304000_NS22TransformInputIteratorIbN2at6native12_GLOBAL__N_19NonZeroOpIaEEPKalEEPiiNS8_6detail34convert_binary_result_type_wrapperINS8_3SumESH_iEEEE10hipError_tPvRmT1_T2_T3_mT4_P12ihipStream_tbEUlT_E1_NS1_11comp_targetILNS1_3genE3ELNS1_11target_archE908ELNS1_3gpuE7ELNS1_3repE0EEENS1_30default_config_static_selectorELNS0_4arch9wavefront6targetE0EEEvSQ_
                                        ; -- End function
	.section	.AMDGPU.csdata,"",@progbits
; Kernel info:
; codeLenInByte = 0
; NumSgprs: 0
; NumVgprs: 0
; ScratchSize: 0
; MemoryBound: 0
; FloatMode: 240
; IeeeMode: 1
; LDSByteSize: 0 bytes/workgroup (compile time only)
; SGPRBlocks: 0
; VGPRBlocks: 0
; NumSGPRsForWavesPerEU: 1
; NumVGPRsForWavesPerEU: 1
; Occupancy: 16
; WaveLimiterHint : 0
; COMPUTE_PGM_RSRC2:SCRATCH_EN: 0
; COMPUTE_PGM_RSRC2:USER_SGPR: 15
; COMPUTE_PGM_RSRC2:TRAP_HANDLER: 0
; COMPUTE_PGM_RSRC2:TGID_X_EN: 1
; COMPUTE_PGM_RSRC2:TGID_Y_EN: 0
; COMPUTE_PGM_RSRC2:TGID_Z_EN: 0
; COMPUTE_PGM_RSRC2:TIDIG_COMP_CNT: 0
	.section	.text._ZN7rocprim17ROCPRIM_400000_NS6detail17trampoline_kernelINS0_14default_configENS1_22reduce_config_selectorIbEEZNS1_11reduce_implILb1ES3_N6hipcub16HIPCUB_304000_NS22TransformInputIteratorIbN2at6native12_GLOBAL__N_19NonZeroOpIaEEPKalEEPiiNS8_6detail34convert_binary_result_type_wrapperINS8_3SumESH_iEEEE10hipError_tPvRmT1_T2_T3_mT4_P12ihipStream_tbEUlT_E1_NS1_11comp_targetILNS1_3genE2ELNS1_11target_archE906ELNS1_3gpuE6ELNS1_3repE0EEENS1_30default_config_static_selectorELNS0_4arch9wavefront6targetE0EEEvSQ_,"axG",@progbits,_ZN7rocprim17ROCPRIM_400000_NS6detail17trampoline_kernelINS0_14default_configENS1_22reduce_config_selectorIbEEZNS1_11reduce_implILb1ES3_N6hipcub16HIPCUB_304000_NS22TransformInputIteratorIbN2at6native12_GLOBAL__N_19NonZeroOpIaEEPKalEEPiiNS8_6detail34convert_binary_result_type_wrapperINS8_3SumESH_iEEEE10hipError_tPvRmT1_T2_T3_mT4_P12ihipStream_tbEUlT_E1_NS1_11comp_targetILNS1_3genE2ELNS1_11target_archE906ELNS1_3gpuE6ELNS1_3repE0EEENS1_30default_config_static_selectorELNS0_4arch9wavefront6targetE0EEEvSQ_,comdat
	.globl	_ZN7rocprim17ROCPRIM_400000_NS6detail17trampoline_kernelINS0_14default_configENS1_22reduce_config_selectorIbEEZNS1_11reduce_implILb1ES3_N6hipcub16HIPCUB_304000_NS22TransformInputIteratorIbN2at6native12_GLOBAL__N_19NonZeroOpIaEEPKalEEPiiNS8_6detail34convert_binary_result_type_wrapperINS8_3SumESH_iEEEE10hipError_tPvRmT1_T2_T3_mT4_P12ihipStream_tbEUlT_E1_NS1_11comp_targetILNS1_3genE2ELNS1_11target_archE906ELNS1_3gpuE6ELNS1_3repE0EEENS1_30default_config_static_selectorELNS0_4arch9wavefront6targetE0EEEvSQ_ ; -- Begin function _ZN7rocprim17ROCPRIM_400000_NS6detail17trampoline_kernelINS0_14default_configENS1_22reduce_config_selectorIbEEZNS1_11reduce_implILb1ES3_N6hipcub16HIPCUB_304000_NS22TransformInputIteratorIbN2at6native12_GLOBAL__N_19NonZeroOpIaEEPKalEEPiiNS8_6detail34convert_binary_result_type_wrapperINS8_3SumESH_iEEEE10hipError_tPvRmT1_T2_T3_mT4_P12ihipStream_tbEUlT_E1_NS1_11comp_targetILNS1_3genE2ELNS1_11target_archE906ELNS1_3gpuE6ELNS1_3repE0EEENS1_30default_config_static_selectorELNS0_4arch9wavefront6targetE0EEEvSQ_
	.p2align	8
	.type	_ZN7rocprim17ROCPRIM_400000_NS6detail17trampoline_kernelINS0_14default_configENS1_22reduce_config_selectorIbEEZNS1_11reduce_implILb1ES3_N6hipcub16HIPCUB_304000_NS22TransformInputIteratorIbN2at6native12_GLOBAL__N_19NonZeroOpIaEEPKalEEPiiNS8_6detail34convert_binary_result_type_wrapperINS8_3SumESH_iEEEE10hipError_tPvRmT1_T2_T3_mT4_P12ihipStream_tbEUlT_E1_NS1_11comp_targetILNS1_3genE2ELNS1_11target_archE906ELNS1_3gpuE6ELNS1_3repE0EEENS1_30default_config_static_selectorELNS0_4arch9wavefront6targetE0EEEvSQ_,@function
_ZN7rocprim17ROCPRIM_400000_NS6detail17trampoline_kernelINS0_14default_configENS1_22reduce_config_selectorIbEEZNS1_11reduce_implILb1ES3_N6hipcub16HIPCUB_304000_NS22TransformInputIteratorIbN2at6native12_GLOBAL__N_19NonZeroOpIaEEPKalEEPiiNS8_6detail34convert_binary_result_type_wrapperINS8_3SumESH_iEEEE10hipError_tPvRmT1_T2_T3_mT4_P12ihipStream_tbEUlT_E1_NS1_11comp_targetILNS1_3genE2ELNS1_11target_archE906ELNS1_3gpuE6ELNS1_3repE0EEENS1_30default_config_static_selectorELNS0_4arch9wavefront6targetE0EEEvSQ_: ; @_ZN7rocprim17ROCPRIM_400000_NS6detail17trampoline_kernelINS0_14default_configENS1_22reduce_config_selectorIbEEZNS1_11reduce_implILb1ES3_N6hipcub16HIPCUB_304000_NS22TransformInputIteratorIbN2at6native12_GLOBAL__N_19NonZeroOpIaEEPKalEEPiiNS8_6detail34convert_binary_result_type_wrapperINS8_3SumESH_iEEEE10hipError_tPvRmT1_T2_T3_mT4_P12ihipStream_tbEUlT_E1_NS1_11comp_targetILNS1_3genE2ELNS1_11target_archE906ELNS1_3gpuE6ELNS1_3repE0EEENS1_30default_config_static_selectorELNS0_4arch9wavefront6targetE0EEEvSQ_
; %bb.0:
	.section	.rodata,"a",@progbits
	.p2align	6, 0x0
	.amdhsa_kernel _ZN7rocprim17ROCPRIM_400000_NS6detail17trampoline_kernelINS0_14default_configENS1_22reduce_config_selectorIbEEZNS1_11reduce_implILb1ES3_N6hipcub16HIPCUB_304000_NS22TransformInputIteratorIbN2at6native12_GLOBAL__N_19NonZeroOpIaEEPKalEEPiiNS8_6detail34convert_binary_result_type_wrapperINS8_3SumESH_iEEEE10hipError_tPvRmT1_T2_T3_mT4_P12ihipStream_tbEUlT_E1_NS1_11comp_targetILNS1_3genE2ELNS1_11target_archE906ELNS1_3gpuE6ELNS1_3repE0EEENS1_30default_config_static_selectorELNS0_4arch9wavefront6targetE0EEEvSQ_
		.amdhsa_group_segment_fixed_size 0
		.amdhsa_private_segment_fixed_size 0
		.amdhsa_kernarg_size 48
		.amdhsa_user_sgpr_count 15
		.amdhsa_user_sgpr_dispatch_ptr 0
		.amdhsa_user_sgpr_queue_ptr 0
		.amdhsa_user_sgpr_kernarg_segment_ptr 1
		.amdhsa_user_sgpr_dispatch_id 0
		.amdhsa_user_sgpr_private_segment_size 0
		.amdhsa_wavefront_size32 1
		.amdhsa_uses_dynamic_stack 0
		.amdhsa_enable_private_segment 0
		.amdhsa_system_sgpr_workgroup_id_x 1
		.amdhsa_system_sgpr_workgroup_id_y 0
		.amdhsa_system_sgpr_workgroup_id_z 0
		.amdhsa_system_sgpr_workgroup_info 0
		.amdhsa_system_vgpr_workitem_id 0
		.amdhsa_next_free_vgpr 1
		.amdhsa_next_free_sgpr 1
		.amdhsa_reserve_vcc 0
		.amdhsa_float_round_mode_32 0
		.amdhsa_float_round_mode_16_64 0
		.amdhsa_float_denorm_mode_32 3
		.amdhsa_float_denorm_mode_16_64 3
		.amdhsa_dx10_clamp 1
		.amdhsa_ieee_mode 1
		.amdhsa_fp16_overflow 0
		.amdhsa_workgroup_processor_mode 1
		.amdhsa_memory_ordered 1
		.amdhsa_forward_progress 0
		.amdhsa_shared_vgpr_count 0
		.amdhsa_exception_fp_ieee_invalid_op 0
		.amdhsa_exception_fp_denorm_src 0
		.amdhsa_exception_fp_ieee_div_zero 0
		.amdhsa_exception_fp_ieee_overflow 0
		.amdhsa_exception_fp_ieee_underflow 0
		.amdhsa_exception_fp_ieee_inexact 0
		.amdhsa_exception_int_div_zero 0
	.end_amdhsa_kernel
	.section	.text._ZN7rocprim17ROCPRIM_400000_NS6detail17trampoline_kernelINS0_14default_configENS1_22reduce_config_selectorIbEEZNS1_11reduce_implILb1ES3_N6hipcub16HIPCUB_304000_NS22TransformInputIteratorIbN2at6native12_GLOBAL__N_19NonZeroOpIaEEPKalEEPiiNS8_6detail34convert_binary_result_type_wrapperINS8_3SumESH_iEEEE10hipError_tPvRmT1_T2_T3_mT4_P12ihipStream_tbEUlT_E1_NS1_11comp_targetILNS1_3genE2ELNS1_11target_archE906ELNS1_3gpuE6ELNS1_3repE0EEENS1_30default_config_static_selectorELNS0_4arch9wavefront6targetE0EEEvSQ_,"axG",@progbits,_ZN7rocprim17ROCPRIM_400000_NS6detail17trampoline_kernelINS0_14default_configENS1_22reduce_config_selectorIbEEZNS1_11reduce_implILb1ES3_N6hipcub16HIPCUB_304000_NS22TransformInputIteratorIbN2at6native12_GLOBAL__N_19NonZeroOpIaEEPKalEEPiiNS8_6detail34convert_binary_result_type_wrapperINS8_3SumESH_iEEEE10hipError_tPvRmT1_T2_T3_mT4_P12ihipStream_tbEUlT_E1_NS1_11comp_targetILNS1_3genE2ELNS1_11target_archE906ELNS1_3gpuE6ELNS1_3repE0EEENS1_30default_config_static_selectorELNS0_4arch9wavefront6targetE0EEEvSQ_,comdat
.Lfunc_end113:
	.size	_ZN7rocprim17ROCPRIM_400000_NS6detail17trampoline_kernelINS0_14default_configENS1_22reduce_config_selectorIbEEZNS1_11reduce_implILb1ES3_N6hipcub16HIPCUB_304000_NS22TransformInputIteratorIbN2at6native12_GLOBAL__N_19NonZeroOpIaEEPKalEEPiiNS8_6detail34convert_binary_result_type_wrapperINS8_3SumESH_iEEEE10hipError_tPvRmT1_T2_T3_mT4_P12ihipStream_tbEUlT_E1_NS1_11comp_targetILNS1_3genE2ELNS1_11target_archE906ELNS1_3gpuE6ELNS1_3repE0EEENS1_30default_config_static_selectorELNS0_4arch9wavefront6targetE0EEEvSQ_, .Lfunc_end113-_ZN7rocprim17ROCPRIM_400000_NS6detail17trampoline_kernelINS0_14default_configENS1_22reduce_config_selectorIbEEZNS1_11reduce_implILb1ES3_N6hipcub16HIPCUB_304000_NS22TransformInputIteratorIbN2at6native12_GLOBAL__N_19NonZeroOpIaEEPKalEEPiiNS8_6detail34convert_binary_result_type_wrapperINS8_3SumESH_iEEEE10hipError_tPvRmT1_T2_T3_mT4_P12ihipStream_tbEUlT_E1_NS1_11comp_targetILNS1_3genE2ELNS1_11target_archE906ELNS1_3gpuE6ELNS1_3repE0EEENS1_30default_config_static_selectorELNS0_4arch9wavefront6targetE0EEEvSQ_
                                        ; -- End function
	.section	.AMDGPU.csdata,"",@progbits
; Kernel info:
; codeLenInByte = 0
; NumSgprs: 0
; NumVgprs: 0
; ScratchSize: 0
; MemoryBound: 0
; FloatMode: 240
; IeeeMode: 1
; LDSByteSize: 0 bytes/workgroup (compile time only)
; SGPRBlocks: 0
; VGPRBlocks: 0
; NumSGPRsForWavesPerEU: 1
; NumVGPRsForWavesPerEU: 1
; Occupancy: 16
; WaveLimiterHint : 0
; COMPUTE_PGM_RSRC2:SCRATCH_EN: 0
; COMPUTE_PGM_RSRC2:USER_SGPR: 15
; COMPUTE_PGM_RSRC2:TRAP_HANDLER: 0
; COMPUTE_PGM_RSRC2:TGID_X_EN: 1
; COMPUTE_PGM_RSRC2:TGID_Y_EN: 0
; COMPUTE_PGM_RSRC2:TGID_Z_EN: 0
; COMPUTE_PGM_RSRC2:TIDIG_COMP_CNT: 0
	.section	.text._ZN7rocprim17ROCPRIM_400000_NS6detail17trampoline_kernelINS0_14default_configENS1_22reduce_config_selectorIbEEZNS1_11reduce_implILb1ES3_N6hipcub16HIPCUB_304000_NS22TransformInputIteratorIbN2at6native12_GLOBAL__N_19NonZeroOpIaEEPKalEEPiiNS8_6detail34convert_binary_result_type_wrapperINS8_3SumESH_iEEEE10hipError_tPvRmT1_T2_T3_mT4_P12ihipStream_tbEUlT_E1_NS1_11comp_targetILNS1_3genE10ELNS1_11target_archE1201ELNS1_3gpuE5ELNS1_3repE0EEENS1_30default_config_static_selectorELNS0_4arch9wavefront6targetE0EEEvSQ_,"axG",@progbits,_ZN7rocprim17ROCPRIM_400000_NS6detail17trampoline_kernelINS0_14default_configENS1_22reduce_config_selectorIbEEZNS1_11reduce_implILb1ES3_N6hipcub16HIPCUB_304000_NS22TransformInputIteratorIbN2at6native12_GLOBAL__N_19NonZeroOpIaEEPKalEEPiiNS8_6detail34convert_binary_result_type_wrapperINS8_3SumESH_iEEEE10hipError_tPvRmT1_T2_T3_mT4_P12ihipStream_tbEUlT_E1_NS1_11comp_targetILNS1_3genE10ELNS1_11target_archE1201ELNS1_3gpuE5ELNS1_3repE0EEENS1_30default_config_static_selectorELNS0_4arch9wavefront6targetE0EEEvSQ_,comdat
	.globl	_ZN7rocprim17ROCPRIM_400000_NS6detail17trampoline_kernelINS0_14default_configENS1_22reduce_config_selectorIbEEZNS1_11reduce_implILb1ES3_N6hipcub16HIPCUB_304000_NS22TransformInputIteratorIbN2at6native12_GLOBAL__N_19NonZeroOpIaEEPKalEEPiiNS8_6detail34convert_binary_result_type_wrapperINS8_3SumESH_iEEEE10hipError_tPvRmT1_T2_T3_mT4_P12ihipStream_tbEUlT_E1_NS1_11comp_targetILNS1_3genE10ELNS1_11target_archE1201ELNS1_3gpuE5ELNS1_3repE0EEENS1_30default_config_static_selectorELNS0_4arch9wavefront6targetE0EEEvSQ_ ; -- Begin function _ZN7rocprim17ROCPRIM_400000_NS6detail17trampoline_kernelINS0_14default_configENS1_22reduce_config_selectorIbEEZNS1_11reduce_implILb1ES3_N6hipcub16HIPCUB_304000_NS22TransformInputIteratorIbN2at6native12_GLOBAL__N_19NonZeroOpIaEEPKalEEPiiNS8_6detail34convert_binary_result_type_wrapperINS8_3SumESH_iEEEE10hipError_tPvRmT1_T2_T3_mT4_P12ihipStream_tbEUlT_E1_NS1_11comp_targetILNS1_3genE10ELNS1_11target_archE1201ELNS1_3gpuE5ELNS1_3repE0EEENS1_30default_config_static_selectorELNS0_4arch9wavefront6targetE0EEEvSQ_
	.p2align	8
	.type	_ZN7rocprim17ROCPRIM_400000_NS6detail17trampoline_kernelINS0_14default_configENS1_22reduce_config_selectorIbEEZNS1_11reduce_implILb1ES3_N6hipcub16HIPCUB_304000_NS22TransformInputIteratorIbN2at6native12_GLOBAL__N_19NonZeroOpIaEEPKalEEPiiNS8_6detail34convert_binary_result_type_wrapperINS8_3SumESH_iEEEE10hipError_tPvRmT1_T2_T3_mT4_P12ihipStream_tbEUlT_E1_NS1_11comp_targetILNS1_3genE10ELNS1_11target_archE1201ELNS1_3gpuE5ELNS1_3repE0EEENS1_30default_config_static_selectorELNS0_4arch9wavefront6targetE0EEEvSQ_,@function
_ZN7rocprim17ROCPRIM_400000_NS6detail17trampoline_kernelINS0_14default_configENS1_22reduce_config_selectorIbEEZNS1_11reduce_implILb1ES3_N6hipcub16HIPCUB_304000_NS22TransformInputIteratorIbN2at6native12_GLOBAL__N_19NonZeroOpIaEEPKalEEPiiNS8_6detail34convert_binary_result_type_wrapperINS8_3SumESH_iEEEE10hipError_tPvRmT1_T2_T3_mT4_P12ihipStream_tbEUlT_E1_NS1_11comp_targetILNS1_3genE10ELNS1_11target_archE1201ELNS1_3gpuE5ELNS1_3repE0EEENS1_30default_config_static_selectorELNS0_4arch9wavefront6targetE0EEEvSQ_: ; @_ZN7rocprim17ROCPRIM_400000_NS6detail17trampoline_kernelINS0_14default_configENS1_22reduce_config_selectorIbEEZNS1_11reduce_implILb1ES3_N6hipcub16HIPCUB_304000_NS22TransformInputIteratorIbN2at6native12_GLOBAL__N_19NonZeroOpIaEEPKalEEPiiNS8_6detail34convert_binary_result_type_wrapperINS8_3SumESH_iEEEE10hipError_tPvRmT1_T2_T3_mT4_P12ihipStream_tbEUlT_E1_NS1_11comp_targetILNS1_3genE10ELNS1_11target_archE1201ELNS1_3gpuE5ELNS1_3repE0EEENS1_30default_config_static_selectorELNS0_4arch9wavefront6targetE0EEEvSQ_
; %bb.0:
	.section	.rodata,"a",@progbits
	.p2align	6, 0x0
	.amdhsa_kernel _ZN7rocprim17ROCPRIM_400000_NS6detail17trampoline_kernelINS0_14default_configENS1_22reduce_config_selectorIbEEZNS1_11reduce_implILb1ES3_N6hipcub16HIPCUB_304000_NS22TransformInputIteratorIbN2at6native12_GLOBAL__N_19NonZeroOpIaEEPKalEEPiiNS8_6detail34convert_binary_result_type_wrapperINS8_3SumESH_iEEEE10hipError_tPvRmT1_T2_T3_mT4_P12ihipStream_tbEUlT_E1_NS1_11comp_targetILNS1_3genE10ELNS1_11target_archE1201ELNS1_3gpuE5ELNS1_3repE0EEENS1_30default_config_static_selectorELNS0_4arch9wavefront6targetE0EEEvSQ_
		.amdhsa_group_segment_fixed_size 0
		.amdhsa_private_segment_fixed_size 0
		.amdhsa_kernarg_size 48
		.amdhsa_user_sgpr_count 15
		.amdhsa_user_sgpr_dispatch_ptr 0
		.amdhsa_user_sgpr_queue_ptr 0
		.amdhsa_user_sgpr_kernarg_segment_ptr 1
		.amdhsa_user_sgpr_dispatch_id 0
		.amdhsa_user_sgpr_private_segment_size 0
		.amdhsa_wavefront_size32 1
		.amdhsa_uses_dynamic_stack 0
		.amdhsa_enable_private_segment 0
		.amdhsa_system_sgpr_workgroup_id_x 1
		.amdhsa_system_sgpr_workgroup_id_y 0
		.amdhsa_system_sgpr_workgroup_id_z 0
		.amdhsa_system_sgpr_workgroup_info 0
		.amdhsa_system_vgpr_workitem_id 0
		.amdhsa_next_free_vgpr 1
		.amdhsa_next_free_sgpr 1
		.amdhsa_reserve_vcc 0
		.amdhsa_float_round_mode_32 0
		.amdhsa_float_round_mode_16_64 0
		.amdhsa_float_denorm_mode_32 3
		.amdhsa_float_denorm_mode_16_64 3
		.amdhsa_dx10_clamp 1
		.amdhsa_ieee_mode 1
		.amdhsa_fp16_overflow 0
		.amdhsa_workgroup_processor_mode 1
		.amdhsa_memory_ordered 1
		.amdhsa_forward_progress 0
		.amdhsa_shared_vgpr_count 0
		.amdhsa_exception_fp_ieee_invalid_op 0
		.amdhsa_exception_fp_denorm_src 0
		.amdhsa_exception_fp_ieee_div_zero 0
		.amdhsa_exception_fp_ieee_overflow 0
		.amdhsa_exception_fp_ieee_underflow 0
		.amdhsa_exception_fp_ieee_inexact 0
		.amdhsa_exception_int_div_zero 0
	.end_amdhsa_kernel
	.section	.text._ZN7rocprim17ROCPRIM_400000_NS6detail17trampoline_kernelINS0_14default_configENS1_22reduce_config_selectorIbEEZNS1_11reduce_implILb1ES3_N6hipcub16HIPCUB_304000_NS22TransformInputIteratorIbN2at6native12_GLOBAL__N_19NonZeroOpIaEEPKalEEPiiNS8_6detail34convert_binary_result_type_wrapperINS8_3SumESH_iEEEE10hipError_tPvRmT1_T2_T3_mT4_P12ihipStream_tbEUlT_E1_NS1_11comp_targetILNS1_3genE10ELNS1_11target_archE1201ELNS1_3gpuE5ELNS1_3repE0EEENS1_30default_config_static_selectorELNS0_4arch9wavefront6targetE0EEEvSQ_,"axG",@progbits,_ZN7rocprim17ROCPRIM_400000_NS6detail17trampoline_kernelINS0_14default_configENS1_22reduce_config_selectorIbEEZNS1_11reduce_implILb1ES3_N6hipcub16HIPCUB_304000_NS22TransformInputIteratorIbN2at6native12_GLOBAL__N_19NonZeroOpIaEEPKalEEPiiNS8_6detail34convert_binary_result_type_wrapperINS8_3SumESH_iEEEE10hipError_tPvRmT1_T2_T3_mT4_P12ihipStream_tbEUlT_E1_NS1_11comp_targetILNS1_3genE10ELNS1_11target_archE1201ELNS1_3gpuE5ELNS1_3repE0EEENS1_30default_config_static_selectorELNS0_4arch9wavefront6targetE0EEEvSQ_,comdat
.Lfunc_end114:
	.size	_ZN7rocprim17ROCPRIM_400000_NS6detail17trampoline_kernelINS0_14default_configENS1_22reduce_config_selectorIbEEZNS1_11reduce_implILb1ES3_N6hipcub16HIPCUB_304000_NS22TransformInputIteratorIbN2at6native12_GLOBAL__N_19NonZeroOpIaEEPKalEEPiiNS8_6detail34convert_binary_result_type_wrapperINS8_3SumESH_iEEEE10hipError_tPvRmT1_T2_T3_mT4_P12ihipStream_tbEUlT_E1_NS1_11comp_targetILNS1_3genE10ELNS1_11target_archE1201ELNS1_3gpuE5ELNS1_3repE0EEENS1_30default_config_static_selectorELNS0_4arch9wavefront6targetE0EEEvSQ_, .Lfunc_end114-_ZN7rocprim17ROCPRIM_400000_NS6detail17trampoline_kernelINS0_14default_configENS1_22reduce_config_selectorIbEEZNS1_11reduce_implILb1ES3_N6hipcub16HIPCUB_304000_NS22TransformInputIteratorIbN2at6native12_GLOBAL__N_19NonZeroOpIaEEPKalEEPiiNS8_6detail34convert_binary_result_type_wrapperINS8_3SumESH_iEEEE10hipError_tPvRmT1_T2_T3_mT4_P12ihipStream_tbEUlT_E1_NS1_11comp_targetILNS1_3genE10ELNS1_11target_archE1201ELNS1_3gpuE5ELNS1_3repE0EEENS1_30default_config_static_selectorELNS0_4arch9wavefront6targetE0EEEvSQ_
                                        ; -- End function
	.section	.AMDGPU.csdata,"",@progbits
; Kernel info:
; codeLenInByte = 0
; NumSgprs: 0
; NumVgprs: 0
; ScratchSize: 0
; MemoryBound: 0
; FloatMode: 240
; IeeeMode: 1
; LDSByteSize: 0 bytes/workgroup (compile time only)
; SGPRBlocks: 0
; VGPRBlocks: 0
; NumSGPRsForWavesPerEU: 1
; NumVGPRsForWavesPerEU: 1
; Occupancy: 16
; WaveLimiterHint : 0
; COMPUTE_PGM_RSRC2:SCRATCH_EN: 0
; COMPUTE_PGM_RSRC2:USER_SGPR: 15
; COMPUTE_PGM_RSRC2:TRAP_HANDLER: 0
; COMPUTE_PGM_RSRC2:TGID_X_EN: 1
; COMPUTE_PGM_RSRC2:TGID_Y_EN: 0
; COMPUTE_PGM_RSRC2:TGID_Z_EN: 0
; COMPUTE_PGM_RSRC2:TIDIG_COMP_CNT: 0
	.section	.text._ZN7rocprim17ROCPRIM_400000_NS6detail17trampoline_kernelINS0_14default_configENS1_22reduce_config_selectorIbEEZNS1_11reduce_implILb1ES3_N6hipcub16HIPCUB_304000_NS22TransformInputIteratorIbN2at6native12_GLOBAL__N_19NonZeroOpIaEEPKalEEPiiNS8_6detail34convert_binary_result_type_wrapperINS8_3SumESH_iEEEE10hipError_tPvRmT1_T2_T3_mT4_P12ihipStream_tbEUlT_E1_NS1_11comp_targetILNS1_3genE10ELNS1_11target_archE1200ELNS1_3gpuE4ELNS1_3repE0EEENS1_30default_config_static_selectorELNS0_4arch9wavefront6targetE0EEEvSQ_,"axG",@progbits,_ZN7rocprim17ROCPRIM_400000_NS6detail17trampoline_kernelINS0_14default_configENS1_22reduce_config_selectorIbEEZNS1_11reduce_implILb1ES3_N6hipcub16HIPCUB_304000_NS22TransformInputIteratorIbN2at6native12_GLOBAL__N_19NonZeroOpIaEEPKalEEPiiNS8_6detail34convert_binary_result_type_wrapperINS8_3SumESH_iEEEE10hipError_tPvRmT1_T2_T3_mT4_P12ihipStream_tbEUlT_E1_NS1_11comp_targetILNS1_3genE10ELNS1_11target_archE1200ELNS1_3gpuE4ELNS1_3repE0EEENS1_30default_config_static_selectorELNS0_4arch9wavefront6targetE0EEEvSQ_,comdat
	.globl	_ZN7rocprim17ROCPRIM_400000_NS6detail17trampoline_kernelINS0_14default_configENS1_22reduce_config_selectorIbEEZNS1_11reduce_implILb1ES3_N6hipcub16HIPCUB_304000_NS22TransformInputIteratorIbN2at6native12_GLOBAL__N_19NonZeroOpIaEEPKalEEPiiNS8_6detail34convert_binary_result_type_wrapperINS8_3SumESH_iEEEE10hipError_tPvRmT1_T2_T3_mT4_P12ihipStream_tbEUlT_E1_NS1_11comp_targetILNS1_3genE10ELNS1_11target_archE1200ELNS1_3gpuE4ELNS1_3repE0EEENS1_30default_config_static_selectorELNS0_4arch9wavefront6targetE0EEEvSQ_ ; -- Begin function _ZN7rocprim17ROCPRIM_400000_NS6detail17trampoline_kernelINS0_14default_configENS1_22reduce_config_selectorIbEEZNS1_11reduce_implILb1ES3_N6hipcub16HIPCUB_304000_NS22TransformInputIteratorIbN2at6native12_GLOBAL__N_19NonZeroOpIaEEPKalEEPiiNS8_6detail34convert_binary_result_type_wrapperINS8_3SumESH_iEEEE10hipError_tPvRmT1_T2_T3_mT4_P12ihipStream_tbEUlT_E1_NS1_11comp_targetILNS1_3genE10ELNS1_11target_archE1200ELNS1_3gpuE4ELNS1_3repE0EEENS1_30default_config_static_selectorELNS0_4arch9wavefront6targetE0EEEvSQ_
	.p2align	8
	.type	_ZN7rocprim17ROCPRIM_400000_NS6detail17trampoline_kernelINS0_14default_configENS1_22reduce_config_selectorIbEEZNS1_11reduce_implILb1ES3_N6hipcub16HIPCUB_304000_NS22TransformInputIteratorIbN2at6native12_GLOBAL__N_19NonZeroOpIaEEPKalEEPiiNS8_6detail34convert_binary_result_type_wrapperINS8_3SumESH_iEEEE10hipError_tPvRmT1_T2_T3_mT4_P12ihipStream_tbEUlT_E1_NS1_11comp_targetILNS1_3genE10ELNS1_11target_archE1200ELNS1_3gpuE4ELNS1_3repE0EEENS1_30default_config_static_selectorELNS0_4arch9wavefront6targetE0EEEvSQ_,@function
_ZN7rocprim17ROCPRIM_400000_NS6detail17trampoline_kernelINS0_14default_configENS1_22reduce_config_selectorIbEEZNS1_11reduce_implILb1ES3_N6hipcub16HIPCUB_304000_NS22TransformInputIteratorIbN2at6native12_GLOBAL__N_19NonZeroOpIaEEPKalEEPiiNS8_6detail34convert_binary_result_type_wrapperINS8_3SumESH_iEEEE10hipError_tPvRmT1_T2_T3_mT4_P12ihipStream_tbEUlT_E1_NS1_11comp_targetILNS1_3genE10ELNS1_11target_archE1200ELNS1_3gpuE4ELNS1_3repE0EEENS1_30default_config_static_selectorELNS0_4arch9wavefront6targetE0EEEvSQ_: ; @_ZN7rocprim17ROCPRIM_400000_NS6detail17trampoline_kernelINS0_14default_configENS1_22reduce_config_selectorIbEEZNS1_11reduce_implILb1ES3_N6hipcub16HIPCUB_304000_NS22TransformInputIteratorIbN2at6native12_GLOBAL__N_19NonZeroOpIaEEPKalEEPiiNS8_6detail34convert_binary_result_type_wrapperINS8_3SumESH_iEEEE10hipError_tPvRmT1_T2_T3_mT4_P12ihipStream_tbEUlT_E1_NS1_11comp_targetILNS1_3genE10ELNS1_11target_archE1200ELNS1_3gpuE4ELNS1_3repE0EEENS1_30default_config_static_selectorELNS0_4arch9wavefront6targetE0EEEvSQ_
; %bb.0:
	.section	.rodata,"a",@progbits
	.p2align	6, 0x0
	.amdhsa_kernel _ZN7rocprim17ROCPRIM_400000_NS6detail17trampoline_kernelINS0_14default_configENS1_22reduce_config_selectorIbEEZNS1_11reduce_implILb1ES3_N6hipcub16HIPCUB_304000_NS22TransformInputIteratorIbN2at6native12_GLOBAL__N_19NonZeroOpIaEEPKalEEPiiNS8_6detail34convert_binary_result_type_wrapperINS8_3SumESH_iEEEE10hipError_tPvRmT1_T2_T3_mT4_P12ihipStream_tbEUlT_E1_NS1_11comp_targetILNS1_3genE10ELNS1_11target_archE1200ELNS1_3gpuE4ELNS1_3repE0EEENS1_30default_config_static_selectorELNS0_4arch9wavefront6targetE0EEEvSQ_
		.amdhsa_group_segment_fixed_size 0
		.amdhsa_private_segment_fixed_size 0
		.amdhsa_kernarg_size 48
		.amdhsa_user_sgpr_count 15
		.amdhsa_user_sgpr_dispatch_ptr 0
		.amdhsa_user_sgpr_queue_ptr 0
		.amdhsa_user_sgpr_kernarg_segment_ptr 1
		.amdhsa_user_sgpr_dispatch_id 0
		.amdhsa_user_sgpr_private_segment_size 0
		.amdhsa_wavefront_size32 1
		.amdhsa_uses_dynamic_stack 0
		.amdhsa_enable_private_segment 0
		.amdhsa_system_sgpr_workgroup_id_x 1
		.amdhsa_system_sgpr_workgroup_id_y 0
		.amdhsa_system_sgpr_workgroup_id_z 0
		.amdhsa_system_sgpr_workgroup_info 0
		.amdhsa_system_vgpr_workitem_id 0
		.amdhsa_next_free_vgpr 1
		.amdhsa_next_free_sgpr 1
		.amdhsa_reserve_vcc 0
		.amdhsa_float_round_mode_32 0
		.amdhsa_float_round_mode_16_64 0
		.amdhsa_float_denorm_mode_32 3
		.amdhsa_float_denorm_mode_16_64 3
		.amdhsa_dx10_clamp 1
		.amdhsa_ieee_mode 1
		.amdhsa_fp16_overflow 0
		.amdhsa_workgroup_processor_mode 1
		.amdhsa_memory_ordered 1
		.amdhsa_forward_progress 0
		.amdhsa_shared_vgpr_count 0
		.amdhsa_exception_fp_ieee_invalid_op 0
		.amdhsa_exception_fp_denorm_src 0
		.amdhsa_exception_fp_ieee_div_zero 0
		.amdhsa_exception_fp_ieee_overflow 0
		.amdhsa_exception_fp_ieee_underflow 0
		.amdhsa_exception_fp_ieee_inexact 0
		.amdhsa_exception_int_div_zero 0
	.end_amdhsa_kernel
	.section	.text._ZN7rocprim17ROCPRIM_400000_NS6detail17trampoline_kernelINS0_14default_configENS1_22reduce_config_selectorIbEEZNS1_11reduce_implILb1ES3_N6hipcub16HIPCUB_304000_NS22TransformInputIteratorIbN2at6native12_GLOBAL__N_19NonZeroOpIaEEPKalEEPiiNS8_6detail34convert_binary_result_type_wrapperINS8_3SumESH_iEEEE10hipError_tPvRmT1_T2_T3_mT4_P12ihipStream_tbEUlT_E1_NS1_11comp_targetILNS1_3genE10ELNS1_11target_archE1200ELNS1_3gpuE4ELNS1_3repE0EEENS1_30default_config_static_selectorELNS0_4arch9wavefront6targetE0EEEvSQ_,"axG",@progbits,_ZN7rocprim17ROCPRIM_400000_NS6detail17trampoline_kernelINS0_14default_configENS1_22reduce_config_selectorIbEEZNS1_11reduce_implILb1ES3_N6hipcub16HIPCUB_304000_NS22TransformInputIteratorIbN2at6native12_GLOBAL__N_19NonZeroOpIaEEPKalEEPiiNS8_6detail34convert_binary_result_type_wrapperINS8_3SumESH_iEEEE10hipError_tPvRmT1_T2_T3_mT4_P12ihipStream_tbEUlT_E1_NS1_11comp_targetILNS1_3genE10ELNS1_11target_archE1200ELNS1_3gpuE4ELNS1_3repE0EEENS1_30default_config_static_selectorELNS0_4arch9wavefront6targetE0EEEvSQ_,comdat
.Lfunc_end115:
	.size	_ZN7rocprim17ROCPRIM_400000_NS6detail17trampoline_kernelINS0_14default_configENS1_22reduce_config_selectorIbEEZNS1_11reduce_implILb1ES3_N6hipcub16HIPCUB_304000_NS22TransformInputIteratorIbN2at6native12_GLOBAL__N_19NonZeroOpIaEEPKalEEPiiNS8_6detail34convert_binary_result_type_wrapperINS8_3SumESH_iEEEE10hipError_tPvRmT1_T2_T3_mT4_P12ihipStream_tbEUlT_E1_NS1_11comp_targetILNS1_3genE10ELNS1_11target_archE1200ELNS1_3gpuE4ELNS1_3repE0EEENS1_30default_config_static_selectorELNS0_4arch9wavefront6targetE0EEEvSQ_, .Lfunc_end115-_ZN7rocprim17ROCPRIM_400000_NS6detail17trampoline_kernelINS0_14default_configENS1_22reduce_config_selectorIbEEZNS1_11reduce_implILb1ES3_N6hipcub16HIPCUB_304000_NS22TransformInputIteratorIbN2at6native12_GLOBAL__N_19NonZeroOpIaEEPKalEEPiiNS8_6detail34convert_binary_result_type_wrapperINS8_3SumESH_iEEEE10hipError_tPvRmT1_T2_T3_mT4_P12ihipStream_tbEUlT_E1_NS1_11comp_targetILNS1_3genE10ELNS1_11target_archE1200ELNS1_3gpuE4ELNS1_3repE0EEENS1_30default_config_static_selectorELNS0_4arch9wavefront6targetE0EEEvSQ_
                                        ; -- End function
	.section	.AMDGPU.csdata,"",@progbits
; Kernel info:
; codeLenInByte = 0
; NumSgprs: 0
; NumVgprs: 0
; ScratchSize: 0
; MemoryBound: 0
; FloatMode: 240
; IeeeMode: 1
; LDSByteSize: 0 bytes/workgroup (compile time only)
; SGPRBlocks: 0
; VGPRBlocks: 0
; NumSGPRsForWavesPerEU: 1
; NumVGPRsForWavesPerEU: 1
; Occupancy: 16
; WaveLimiterHint : 0
; COMPUTE_PGM_RSRC2:SCRATCH_EN: 0
; COMPUTE_PGM_RSRC2:USER_SGPR: 15
; COMPUTE_PGM_RSRC2:TRAP_HANDLER: 0
; COMPUTE_PGM_RSRC2:TGID_X_EN: 1
; COMPUTE_PGM_RSRC2:TGID_Y_EN: 0
; COMPUTE_PGM_RSRC2:TGID_Z_EN: 0
; COMPUTE_PGM_RSRC2:TIDIG_COMP_CNT: 0
	.section	.text._ZN7rocprim17ROCPRIM_400000_NS6detail17trampoline_kernelINS0_14default_configENS1_22reduce_config_selectorIbEEZNS1_11reduce_implILb1ES3_N6hipcub16HIPCUB_304000_NS22TransformInputIteratorIbN2at6native12_GLOBAL__N_19NonZeroOpIaEEPKalEEPiiNS8_6detail34convert_binary_result_type_wrapperINS8_3SumESH_iEEEE10hipError_tPvRmT1_T2_T3_mT4_P12ihipStream_tbEUlT_E1_NS1_11comp_targetILNS1_3genE9ELNS1_11target_archE1100ELNS1_3gpuE3ELNS1_3repE0EEENS1_30default_config_static_selectorELNS0_4arch9wavefront6targetE0EEEvSQ_,"axG",@progbits,_ZN7rocprim17ROCPRIM_400000_NS6detail17trampoline_kernelINS0_14default_configENS1_22reduce_config_selectorIbEEZNS1_11reduce_implILb1ES3_N6hipcub16HIPCUB_304000_NS22TransformInputIteratorIbN2at6native12_GLOBAL__N_19NonZeroOpIaEEPKalEEPiiNS8_6detail34convert_binary_result_type_wrapperINS8_3SumESH_iEEEE10hipError_tPvRmT1_T2_T3_mT4_P12ihipStream_tbEUlT_E1_NS1_11comp_targetILNS1_3genE9ELNS1_11target_archE1100ELNS1_3gpuE3ELNS1_3repE0EEENS1_30default_config_static_selectorELNS0_4arch9wavefront6targetE0EEEvSQ_,comdat
	.globl	_ZN7rocprim17ROCPRIM_400000_NS6detail17trampoline_kernelINS0_14default_configENS1_22reduce_config_selectorIbEEZNS1_11reduce_implILb1ES3_N6hipcub16HIPCUB_304000_NS22TransformInputIteratorIbN2at6native12_GLOBAL__N_19NonZeroOpIaEEPKalEEPiiNS8_6detail34convert_binary_result_type_wrapperINS8_3SumESH_iEEEE10hipError_tPvRmT1_T2_T3_mT4_P12ihipStream_tbEUlT_E1_NS1_11comp_targetILNS1_3genE9ELNS1_11target_archE1100ELNS1_3gpuE3ELNS1_3repE0EEENS1_30default_config_static_selectorELNS0_4arch9wavefront6targetE0EEEvSQ_ ; -- Begin function _ZN7rocprim17ROCPRIM_400000_NS6detail17trampoline_kernelINS0_14default_configENS1_22reduce_config_selectorIbEEZNS1_11reduce_implILb1ES3_N6hipcub16HIPCUB_304000_NS22TransformInputIteratorIbN2at6native12_GLOBAL__N_19NonZeroOpIaEEPKalEEPiiNS8_6detail34convert_binary_result_type_wrapperINS8_3SumESH_iEEEE10hipError_tPvRmT1_T2_T3_mT4_P12ihipStream_tbEUlT_E1_NS1_11comp_targetILNS1_3genE9ELNS1_11target_archE1100ELNS1_3gpuE3ELNS1_3repE0EEENS1_30default_config_static_selectorELNS0_4arch9wavefront6targetE0EEEvSQ_
	.p2align	8
	.type	_ZN7rocprim17ROCPRIM_400000_NS6detail17trampoline_kernelINS0_14default_configENS1_22reduce_config_selectorIbEEZNS1_11reduce_implILb1ES3_N6hipcub16HIPCUB_304000_NS22TransformInputIteratorIbN2at6native12_GLOBAL__N_19NonZeroOpIaEEPKalEEPiiNS8_6detail34convert_binary_result_type_wrapperINS8_3SumESH_iEEEE10hipError_tPvRmT1_T2_T3_mT4_P12ihipStream_tbEUlT_E1_NS1_11comp_targetILNS1_3genE9ELNS1_11target_archE1100ELNS1_3gpuE3ELNS1_3repE0EEENS1_30default_config_static_selectorELNS0_4arch9wavefront6targetE0EEEvSQ_,@function
_ZN7rocprim17ROCPRIM_400000_NS6detail17trampoline_kernelINS0_14default_configENS1_22reduce_config_selectorIbEEZNS1_11reduce_implILb1ES3_N6hipcub16HIPCUB_304000_NS22TransformInputIteratorIbN2at6native12_GLOBAL__N_19NonZeroOpIaEEPKalEEPiiNS8_6detail34convert_binary_result_type_wrapperINS8_3SumESH_iEEEE10hipError_tPvRmT1_T2_T3_mT4_P12ihipStream_tbEUlT_E1_NS1_11comp_targetILNS1_3genE9ELNS1_11target_archE1100ELNS1_3gpuE3ELNS1_3repE0EEENS1_30default_config_static_selectorELNS0_4arch9wavefront6targetE0EEEvSQ_: ; @_ZN7rocprim17ROCPRIM_400000_NS6detail17trampoline_kernelINS0_14default_configENS1_22reduce_config_selectorIbEEZNS1_11reduce_implILb1ES3_N6hipcub16HIPCUB_304000_NS22TransformInputIteratorIbN2at6native12_GLOBAL__N_19NonZeroOpIaEEPKalEEPiiNS8_6detail34convert_binary_result_type_wrapperINS8_3SumESH_iEEEE10hipError_tPvRmT1_T2_T3_mT4_P12ihipStream_tbEUlT_E1_NS1_11comp_targetILNS1_3genE9ELNS1_11target_archE1100ELNS1_3gpuE3ELNS1_3repE0EEENS1_30default_config_static_selectorELNS0_4arch9wavefront6targetE0EEEvSQ_
; %bb.0:
	s_clause 0x2
	s_load_b32 s26, s[0:1], 0x4
	s_load_b64 s[24:25], s[0:1], 0x8
	s_load_b128 s[20:23], s[0:1], 0x18
	s_mov_b32 s18, s15
	s_waitcnt lgkmcnt(0)
	s_cmp_lt_i32 s26, 16
	s_cbranch_scc1 .LBB116_12
; %bb.1:
	s_cmp_gt_i32 s26, 63
	s_cbranch_scc0 .LBB116_13
; %bb.2:
	s_cmpk_gt_i32 s26, 0x7f
	s_cbranch_scc0 .LBB116_22
; %bb.3:
	s_cmpk_eq_i32 s26, 0x80
	s_mov_b32 s4, 0
	s_cbranch_scc0 .LBB116_23
; %bb.4:
	s_lshl_b32 s5, s18, 14
	s_lshr_b64 s[6:7], s[20:21], 14
	s_mov_b32 s19, 0
	s_add_u32 s2, s24, s5
	s_addc_u32 s3, s25, 0
	s_cmp_lg_u64 s[6:7], s[18:19]
	s_cbranch_scc0 .LBB116_34
; %bb.5:
	s_clause 0x1e
	global_load_u8 v7, v0, s[2:3]
	global_load_u8 v8, v0, s[2:3] offset:256
	global_load_u8 v9, v0, s[2:3] offset:128
	;; [unrolled: 1-line block ×30, first 2 shown]
	v_add_co_u32 v34, s6, s2, v0
	s_delay_alu instid0(VALU_DEP_1) | instskip(SKIP_1) | instid1(VALU_DEP_2)
	v_add_co_ci_u32_e64 v35, null, s3, 0, s6
	s_mov_b32 s6, exec_lo
	v_add_co_u32 v1, vcc_lo, v34, 0x2000
	s_delay_alu instid0(VALU_DEP_2)
	v_add_co_ci_u32_e32 v2, vcc_lo, 0, v35, vcc_lo
	v_add_co_u32 v3, vcc_lo, 0x1000, v34
	v_add_co_ci_u32_e32 v4, vcc_lo, 0, v35, vcc_lo
	s_clause 0x1f
	global_load_u8 v40, v[1:2], off offset:-4096
	global_load_u8 v41, v0, s[2:3] offset:3968
	global_load_u8 v42, v[3:4], off offset:256
	global_load_u8 v43, v[3:4], off offset:128
	;; [unrolled: 1-line block ×30, first 2 shown]
	v_add_co_u32 v5, vcc_lo, 0x2000, v34
	v_add_co_ci_u32_e32 v6, vcc_lo, 0, v35, vcc_lo
	s_clause 0x1d
	global_load_u8 v72, v[1:2], off
	global_load_u8 v3, v[3:4], off offset:3968
	global_load_u8 v4, v[5:6], off offset:256
	;; [unrolled: 1-line block ×29, first 2 shown]
	v_add_co_u32 v1, vcc_lo, 0x3000, v34
	v_add_co_ci_u32_e32 v2, vcc_lo, 0, v35, vcc_lo
	s_clause 0x1f
	global_load_u8 v34, v[5:6], off offset:3840
	global_load_u8 v35, v[5:6], off offset:3712
	global_load_u8 v100, v[1:2], off
	global_load_u8 v5, v[5:6], off offset:3968
	global_load_u8 v6, v[1:2], off offset:256
	global_load_u8 v101, v[1:2], off offset:128
	global_load_u8 v102, v[1:2], off offset:512
	global_load_u8 v103, v[1:2], off offset:384
	global_load_u8 v104, v[1:2], off offset:768
	global_load_u8 v105, v[1:2], off offset:640
	global_load_u8 v106, v[1:2], off offset:1024
	global_load_u8 v107, v[1:2], off offset:896
	global_load_u8 v108, v[1:2], off offset:1280
	global_load_u8 v109, v[1:2], off offset:1152
	global_load_u8 v110, v[1:2], off offset:1536
	global_load_u8 v111, v[1:2], off offset:1408
	global_load_u8 v112, v[1:2], off offset:1792
	global_load_u8 v113, v[1:2], off offset:1664
	global_load_u8 v114, v[1:2], off offset:2048
	global_load_u8 v115, v[1:2], off offset:1920
	global_load_u8 v116, v[1:2], off offset:2304
	global_load_u8 v117, v[1:2], off offset:2176
	global_load_u8 v118, v[1:2], off offset:2560
	global_load_u8 v119, v[1:2], off offset:2432
	global_load_u8 v120, v[1:2], off offset:2816
	global_load_u8 v121, v[1:2], off offset:2688
	global_load_u8 v122, v[1:2], off offset:3072
	global_load_u8 v123, v[1:2], off offset:2944
	global_load_u8 v124, v[1:2], off offset:3328
	global_load_u8 v125, v[1:2], off offset:3200
	global_load_u8 v126, v[1:2], off offset:3584
	global_load_u8 v127, v[1:2], off offset:3456
	s_clause 0x2
	global_load_u8 v128, v[1:2], off offset:3840
	global_load_u8 v129, v[1:2], off offset:3712
	;; [unrolled: 1-line block ×3, first 2 shown]
	s_waitcnt vmcnt(62)
	v_cmp_ne_u16_e32 vcc_lo, 0, v7
	v_cndmask_b32_e64 v2, 0, 1, vcc_lo
	v_cmp_ne_u16_e32 vcc_lo, 0, v8
	v_cndmask_b32_e64 v7, 0, 1, vcc_lo
	v_cmp_ne_u16_e32 vcc_lo, 0, v9
	s_delay_alu instid0(VALU_DEP_4) | instskip(SKIP_3) | instid1(VALU_DEP_4)
	v_add_co_ci_u32_e32 v2, vcc_lo, 0, v2, vcc_lo
	v_cmp_ne_u16_e32 vcc_lo, 0, v10
	v_cndmask_b32_e64 v8, 0, 1, vcc_lo
	v_cmp_ne_u16_e32 vcc_lo, 0, v11
	v_add_co_ci_u32_e32 v2, vcc_lo, v2, v7, vcc_lo
	v_cmp_ne_u16_e32 vcc_lo, 0, v12
	v_cndmask_b32_e64 v7, 0, 1, vcc_lo
	v_cmp_ne_u16_e32 vcc_lo, 0, v13
	s_delay_alu instid0(VALU_DEP_4) | instskip(SKIP_3) | instid1(VALU_DEP_4)
	v_add_co_ci_u32_e32 v2, vcc_lo, v2, v8, vcc_lo
	v_cmp_ne_u16_e32 vcc_lo, 0, v14
	v_cndmask_b32_e64 v8, 0, 1, vcc_lo
	v_cmp_ne_u16_e32 vcc_lo, 0, v15
	v_add_co_ci_u32_e32 v2, vcc_lo, v2, v7, vcc_lo
	;; [unrolled: 9-line block ×16, first 2 shown]
	v_cmp_ne_u16_e32 vcc_lo, 0, v4
	v_cndmask_b32_e64 v3, 0, 1, vcc_lo
	s_waitcnt vmcnt(61)
	v_cmp_ne_u16_e32 vcc_lo, 0, v73
	v_add_co_ci_u32_e32 v2, vcc_lo, v2, v8, vcc_lo
	s_waitcnt vmcnt(60)
	v_cmp_ne_u16_e32 vcc_lo, 0, v74
	v_cndmask_b32_e64 v4, 0, 1, vcc_lo
	s_waitcnt vmcnt(59)
	v_cmp_ne_u16_e32 vcc_lo, 0, v75
	v_add_co_ci_u32_e32 v2, vcc_lo, v2, v3, vcc_lo
	s_waitcnt vmcnt(58)
	;; [unrolled: 6-line block ×13, first 2 shown]
	v_cmp_ne_u16_e32 vcc_lo, 0, v99
	v_cndmask_b32_e64 v4, 0, 1, vcc_lo
	v_cmp_ne_u16_e32 vcc_lo, 0, v98
	v_add_co_ci_u32_e32 v2, vcc_lo, v2, v3, vcc_lo
	s_waitcnt vmcnt(34)
	v_cmp_ne_u16_e32 vcc_lo, 0, v34
	v_cndmask_b32_e64 v3, 0, 1, vcc_lo
	s_waitcnt vmcnt(33)
	v_cmp_ne_u16_e32 vcc_lo, 0, v35
	v_add_co_ci_u32_e32 v2, vcc_lo, v2, v4, vcc_lo
	s_waitcnt vmcnt(32)
	v_cmp_ne_u16_e32 vcc_lo, 0, v100
	v_cndmask_b32_e64 v4, 0, 1, vcc_lo
	s_waitcnt vmcnt(31)
	;; [unrolled: 6-line block ×16, first 2 shown]
	v_cmp_ne_u16_e32 vcc_lo, 0, v127
	v_add_co_ci_u32_e32 v2, vcc_lo, v2, v3, vcc_lo
	s_waitcnt vmcnt(2)
	v_cmp_ne_u16_e64 vcc_lo, 0, v128
	s_delay_alu instid0(VALU_DEP_1)
	v_cndmask_b32_e64 v3, 0, 1, vcc_lo
	s_waitcnt vmcnt(1)
	v_cmp_ne_u16_e64 vcc_lo, 0, v129
	v_add_co_ci_u32_e32 v2, vcc_lo, v2, v4, vcc_lo
	s_waitcnt vmcnt(0)
	v_cmp_ne_u16_e32 vcc_lo, 0, v1
	s_delay_alu instid0(VALU_DEP_2) | instskip(SKIP_1) | instid1(VALU_DEP_2)
	v_add_co_ci_u32_e32 v1, vcc_lo, v2, v3, vcc_lo
	v_mov_b32_e32 v3, 0
	v_mov_b32_dpp v2, v1 quad_perm:[1,0,3,2] row_mask:0xf bank_mask:0xf
	s_delay_alu instid0(VALU_DEP_1) | instskip(NEXT) | instid1(VALU_DEP_1)
	v_add_nc_u32_e32 v1, v1, v2
	v_mov_b32_dpp v2, v1 quad_perm:[2,3,0,1] row_mask:0xf bank_mask:0xf
	s_delay_alu instid0(VALU_DEP_1) | instskip(NEXT) | instid1(VALU_DEP_1)
	v_add_nc_u32_e32 v1, v1, v2
	v_mov_b32_dpp v2, v1 row_ror:4 row_mask:0xf bank_mask:0xf
	s_delay_alu instid0(VALU_DEP_1) | instskip(NEXT) | instid1(VALU_DEP_1)
	v_add_nc_u32_e32 v1, v1, v2
	v_mov_b32_dpp v2, v1 row_ror:8 row_mask:0xf bank_mask:0xf
	s_delay_alu instid0(VALU_DEP_1)
	v_add_nc_u32_e32 v1, v1, v2
	ds_swizzle_b32 v2, v1 offset:swizzle(BROADCAST,32,15)
	s_waitcnt lgkmcnt(0)
	v_add_nc_u32_e32 v1, v1, v2
	v_mbcnt_lo_u32_b32 v2, -1, 0
	ds_bpermute_b32 v1, v3, v1 offset:124
	v_cmpx_eq_u32_e32 0, v2
	s_cbranch_execz .LBB116_7
; %bb.6:
	v_lshrrev_b32_e32 v3, 3, v0
	s_delay_alu instid0(VALU_DEP_1)
	v_and_b32_e32 v3, 12, v3
	s_waitcnt lgkmcnt(0)
	ds_store_b32 v3, v1
.LBB116_7:
	s_or_b32 exec_lo, exec_lo, s6
	s_delay_alu instid0(SALU_CYCLE_1)
	s_mov_b32 s6, exec_lo
	s_waitcnt lgkmcnt(0)
	s_barrier
	buffer_gl0_inv
	v_cmpx_gt_u32_e32 32, v0
	s_cbranch_execz .LBB116_9
; %bb.8:
	v_and_b32_e32 v1, 3, v2
	s_delay_alu instid0(VALU_DEP_1) | instskip(SKIP_4) | instid1(VALU_DEP_2)
	v_lshlrev_b32_e32 v3, 2, v1
	v_cmp_ne_u32_e32 vcc_lo, 3, v1
	ds_load_b32 v3, v3
	v_add_co_ci_u32_e32 v4, vcc_lo, 0, v2, vcc_lo
	v_cmp_gt_u32_e32 vcc_lo, 2, v1
	v_lshlrev_b32_e32 v4, 2, v4
	v_cndmask_b32_e64 v1, 0, 1, vcc_lo
	s_delay_alu instid0(VALU_DEP_1) | instskip(NEXT) | instid1(VALU_DEP_1)
	v_lshlrev_b32_e32 v1, 1, v1
	v_add_lshl_u32 v1, v1, v2, 2
	s_waitcnt lgkmcnt(0)
	ds_bpermute_b32 v4, v4, v3
	s_waitcnt lgkmcnt(0)
	v_add_nc_u32_e32 v3, v4, v3
	ds_bpermute_b32 v1, v1, v3
	s_waitcnt lgkmcnt(0)
	v_add_nc_u32_e32 v1, v1, v3
.LBB116_9:
	s_or_b32 exec_lo, exec_lo, s6
.LBB116_10:
	v_cmp_eq_u32_e64 s2, 0, v0
	s_and_b32 vcc_lo, exec_lo, s4
	s_cbranch_vccnz .LBB116_24
.LBB116_11:
	s_branch .LBB116_512
.LBB116_12:
	s_mov_b32 s2, 0
                                        ; implicit-def: $vgpr1
	s_cbranch_execz .LBB116_623
	s_branch .LBB116_513
.LBB116_13:
	s_mov_b32 s2, 0
                                        ; implicit-def: $vgpr1
	s_cbranch_execz .LBB116_512
; %bb.14:
	s_cmp_gt_i32 s26, 31
	s_cbranch_scc0 .LBB116_31
; %bb.15:
	s_cmp_eq_u32 s26, 32
	s_cbranch_scc0 .LBB116_32
; %bb.16:
	s_lshl_b32 s4, s18, 12
	s_lshr_b64 s[6:7], s[20:21], 12
	s_mov_b32 s19, 0
	s_add_u32 s2, s24, s4
	s_addc_u32 s3, s25, 0
	s_cmp_lg_u64 s[6:7], s[18:19]
	s_cbranch_scc0 .LBB116_296
; %bb.17:
	s_clause 0x1f
	global_load_u8 v1, v0, s[2:3]
	global_load_u8 v2, v0, s[2:3] offset:256
	global_load_u8 v3, v0, s[2:3] offset:128
	;; [unrolled: 1-line block ×31, first 2 shown]
	s_mov_b32 s5, exec_lo
	s_waitcnt vmcnt(31)
	v_cmp_ne_u16_e32 vcc_lo, 0, v1
	v_cndmask_b32_e64 v1, 0, 1, vcc_lo
	s_waitcnt vmcnt(30)
	v_cmp_ne_u16_e32 vcc_lo, 0, v2
	v_cndmask_b32_e64 v2, 0, 1, vcc_lo
	s_waitcnt vmcnt(29)
	v_cmp_ne_u16_e32 vcc_lo, 0, v3
	v_add_co_ci_u32_e32 v1, vcc_lo, 0, v1, vcc_lo
	s_waitcnt vmcnt(28)
	v_cmp_ne_u16_e32 vcc_lo, 0, v4
	v_cndmask_b32_e64 v3, 0, 1, vcc_lo
	s_waitcnt vmcnt(27)
	v_cmp_ne_u16_e32 vcc_lo, 0, v5
	v_add_co_ci_u32_e32 v1, vcc_lo, v1, v2, vcc_lo
	s_waitcnt vmcnt(26)
	v_cmp_ne_u16_e32 vcc_lo, 0, v6
	v_cndmask_b32_e64 v2, 0, 1, vcc_lo
	s_waitcnt vmcnt(25)
	v_cmp_ne_u16_e32 vcc_lo, 0, v7
	v_add_co_ci_u32_e32 v1, vcc_lo, v1, v3, vcc_lo
	s_waitcnt vmcnt(24)
	v_cmp_ne_u16_e32 vcc_lo, 0, v8
	v_cndmask_b32_e64 v3, 0, 1, vcc_lo
	s_waitcnt vmcnt(23)
	v_cmp_ne_u16_e32 vcc_lo, 0, v9
	v_add_co_ci_u32_e32 v1, vcc_lo, v1, v2, vcc_lo
	s_waitcnt vmcnt(22)
	v_cmp_ne_u16_e32 vcc_lo, 0, v10
	v_cndmask_b32_e64 v2, 0, 1, vcc_lo
	s_waitcnt vmcnt(21)
	v_cmp_ne_u16_e32 vcc_lo, 0, v11
	v_add_co_ci_u32_e32 v1, vcc_lo, v1, v3, vcc_lo
	s_waitcnt vmcnt(20)
	v_cmp_ne_u16_e32 vcc_lo, 0, v12
	v_cndmask_b32_e64 v3, 0, 1, vcc_lo
	s_waitcnt vmcnt(19)
	v_cmp_ne_u16_e32 vcc_lo, 0, v13
	v_add_co_ci_u32_e32 v1, vcc_lo, v1, v2, vcc_lo
	s_waitcnt vmcnt(18)
	v_cmp_ne_u16_e32 vcc_lo, 0, v14
	v_cndmask_b32_e64 v2, 0, 1, vcc_lo
	s_waitcnt vmcnt(17)
	v_cmp_ne_u16_e32 vcc_lo, 0, v15
	v_add_co_ci_u32_e32 v1, vcc_lo, v1, v3, vcc_lo
	s_waitcnt vmcnt(16)
	v_cmp_ne_u16_e32 vcc_lo, 0, v16
	v_cndmask_b32_e64 v3, 0, 1, vcc_lo
	s_waitcnt vmcnt(15)
	v_cmp_ne_u16_e32 vcc_lo, 0, v17
	v_add_co_ci_u32_e32 v1, vcc_lo, v1, v2, vcc_lo
	s_waitcnt vmcnt(14)
	v_cmp_ne_u16_e32 vcc_lo, 0, v18
	v_cndmask_b32_e64 v2, 0, 1, vcc_lo
	s_waitcnt vmcnt(13)
	v_cmp_ne_u16_e32 vcc_lo, 0, v19
	v_add_co_ci_u32_e32 v1, vcc_lo, v1, v3, vcc_lo
	s_waitcnt vmcnt(12)
	v_cmp_ne_u16_e32 vcc_lo, 0, v20
	v_cndmask_b32_e64 v3, 0, 1, vcc_lo
	s_waitcnt vmcnt(11)
	v_cmp_ne_u16_e32 vcc_lo, 0, v21
	v_add_co_ci_u32_e32 v1, vcc_lo, v1, v2, vcc_lo
	s_waitcnt vmcnt(10)
	v_cmp_ne_u16_e32 vcc_lo, 0, v22
	v_cndmask_b32_e64 v2, 0, 1, vcc_lo
	s_waitcnt vmcnt(9)
	v_cmp_ne_u16_e32 vcc_lo, 0, v23
	v_add_co_ci_u32_e32 v1, vcc_lo, v1, v3, vcc_lo
	s_waitcnt vmcnt(8)
	v_cmp_ne_u16_e32 vcc_lo, 0, v24
	v_cndmask_b32_e64 v3, 0, 1, vcc_lo
	s_waitcnt vmcnt(7)
	v_cmp_ne_u16_e32 vcc_lo, 0, v25
	v_add_co_ci_u32_e32 v1, vcc_lo, v1, v2, vcc_lo
	s_waitcnt vmcnt(6)
	v_cmp_ne_u16_e32 vcc_lo, 0, v26
	v_cndmask_b32_e64 v2, 0, 1, vcc_lo
	s_waitcnt vmcnt(5)
	v_cmp_ne_u16_e32 vcc_lo, 0, v27
	v_add_co_ci_u32_e32 v1, vcc_lo, v1, v3, vcc_lo
	s_waitcnt vmcnt(4)
	v_cmp_ne_u16_e32 vcc_lo, 0, v28
	v_cndmask_b32_e64 v3, 0, 1, vcc_lo
	s_waitcnt vmcnt(3)
	v_cmp_ne_u16_e32 vcc_lo, 0, v29
	v_add_co_ci_u32_e32 v1, vcc_lo, v1, v2, vcc_lo
	s_waitcnt vmcnt(2)
	v_cmp_ne_u16_e32 vcc_lo, 0, v30
	v_cndmask_b32_e64 v2, 0, 1, vcc_lo
	s_waitcnt vmcnt(1)
	v_cmp_ne_u16_e32 vcc_lo, 0, v31
	v_add_co_ci_u32_e32 v1, vcc_lo, v1, v3, vcc_lo
	s_waitcnt vmcnt(0)
	v_cmp_ne_u16_e32 vcc_lo, 0, v32
	s_delay_alu instid0(VALU_DEP_2) | instskip(NEXT) | instid1(VALU_DEP_1)
	v_add_co_ci_u32_e32 v1, vcc_lo, v1, v2, vcc_lo
	v_mov_b32_dpp v2, v1 quad_perm:[1,0,3,2] row_mask:0xf bank_mask:0xf
	s_delay_alu instid0(VALU_DEP_1) | instskip(NEXT) | instid1(VALU_DEP_1)
	v_add_nc_u32_e32 v1, v1, v2
	v_mov_b32_dpp v2, v1 quad_perm:[2,3,0,1] row_mask:0xf bank_mask:0xf
	s_delay_alu instid0(VALU_DEP_1) | instskip(NEXT) | instid1(VALU_DEP_1)
	v_add_nc_u32_e32 v1, v1, v2
	v_mov_b32_dpp v2, v1 row_ror:4 row_mask:0xf bank_mask:0xf
	s_delay_alu instid0(VALU_DEP_1) | instskip(NEXT) | instid1(VALU_DEP_1)
	v_add_nc_u32_e32 v1, v1, v2
	v_mov_b32_dpp v2, v1 row_ror:8 row_mask:0xf bank_mask:0xf
	s_delay_alu instid0(VALU_DEP_1)
	v_add_nc_u32_e32 v1, v1, v2
	ds_swizzle_b32 v2, v1 offset:swizzle(BROADCAST,32,15)
	s_waitcnt lgkmcnt(0)
	v_dual_mov_b32 v2, 0 :: v_dual_add_nc_u32 v1, v1, v2
	ds_bpermute_b32 v1, v2, v1 offset:124
	v_mbcnt_lo_u32_b32 v2, -1, 0
	s_delay_alu instid0(VALU_DEP_1)
	v_cmpx_eq_u32_e32 0, v2
	s_cbranch_execz .LBB116_19
; %bb.18:
	v_lshrrev_b32_e32 v3, 3, v0
	s_delay_alu instid0(VALU_DEP_1)
	v_and_b32_e32 v3, 12, v3
	s_waitcnt lgkmcnt(0)
	ds_store_b32 v3, v1 offset:64
.LBB116_19:
	s_or_b32 exec_lo, exec_lo, s5
	s_delay_alu instid0(SALU_CYCLE_1)
	s_mov_b32 s5, exec_lo
	s_waitcnt lgkmcnt(0)
	s_barrier
	buffer_gl0_inv
	v_cmpx_gt_u32_e32 32, v0
	s_cbranch_execz .LBB116_21
; %bb.20:
	v_and_b32_e32 v1, 3, v2
	s_delay_alu instid0(VALU_DEP_1) | instskip(SKIP_4) | instid1(VALU_DEP_2)
	v_lshlrev_b32_e32 v3, 2, v1
	v_cmp_ne_u32_e32 vcc_lo, 3, v1
	ds_load_b32 v3, v3 offset:64
	v_add_co_ci_u32_e32 v4, vcc_lo, 0, v2, vcc_lo
	v_cmp_gt_u32_e32 vcc_lo, 2, v1
	v_lshlrev_b32_e32 v4, 2, v4
	v_cndmask_b32_e64 v1, 0, 1, vcc_lo
	s_delay_alu instid0(VALU_DEP_1) | instskip(NEXT) | instid1(VALU_DEP_1)
	v_lshlrev_b32_e32 v1, 1, v1
	v_add_lshl_u32 v1, v1, v2, 2
	s_waitcnt lgkmcnt(0)
	ds_bpermute_b32 v4, v4, v3
	s_waitcnt lgkmcnt(0)
	v_add_nc_u32_e32 v3, v4, v3
	ds_bpermute_b32 v1, v1, v3
	s_waitcnt lgkmcnt(0)
	v_add_nc_u32_e32 v1, v1, v3
.LBB116_21:
	s_or_b32 exec_lo, exec_lo, s5
	s_mov_b32 s5, 0
	s_branch .LBB116_297
.LBB116_22:
	s_mov_b32 s4, -1
.LBB116_23:
	s_mov_b32 s2, 0
                                        ; implicit-def: $vgpr1
	s_and_b32 vcc_lo, exec_lo, s4
	s_cbranch_vccz .LBB116_11
.LBB116_24:
	s_cmp_eq_u32 s26, 64
	s_cbranch_scc0 .LBB116_33
; %bb.25:
	s_lshl_b32 s4, s18, 13
	s_lshr_b64 s[6:7], s[20:21], 13
	s_mov_b32 s19, 0
	s_add_u32 s2, s24, s4
	s_addc_u32 s3, s25, 0
	s_cmp_lg_u64 s[6:7], s[18:19]
	s_cbranch_scc0 .LBB116_376
; %bb.26:
	s_clause 0x1d
	global_load_u8 v3, v0, s[2:3]
	global_load_u8 v4, v0, s[2:3] offset:256
	global_load_u8 v5, v0, s[2:3] offset:128
	;; [unrolled: 1-line block ×29, first 2 shown]
	v_add_co_u32 v1, s5, s2, v0
	s_delay_alu instid0(VALU_DEP_1) | instskip(SKIP_1) | instid1(VALU_DEP_2)
	v_add_co_ci_u32_e64 v2, null, s3, 0, s5
	s_mov_b32 s5, exec_lo
	v_add_co_u32 v1, vcc_lo, 0x1000, v1
	s_delay_alu instid0(VALU_DEP_2)
	v_add_co_ci_u32_e32 v2, vcc_lo, 0, v2, vcc_lo
	s_clause 0x1f
	global_load_u8 v33, v0, s[2:3] offset:3712
	global_load_u8 v34, v[1:2], off
	global_load_u8 v35, v0, s[2:3] offset:3968
	global_load_u8 v36, v[1:2], off offset:256
	global_load_u8 v37, v[1:2], off offset:128
	;; [unrolled: 1-line block ×29, first 2 shown]
	s_clause 0x1
	global_load_u8 v65, v[1:2], off offset:3712
	global_load_u8 v1, v[1:2], off offset:3968
	s_waitcnt vmcnt(62)
	v_cmp_ne_u16_e32 vcc_lo, 0, v3
	v_cndmask_b32_e64 v2, 0, 1, vcc_lo
	v_cmp_ne_u16_e32 vcc_lo, 0, v4
	v_cndmask_b32_e64 v3, 0, 1, vcc_lo
	s_waitcnt vmcnt(61)
	v_cmp_ne_u16_e32 vcc_lo, 0, v5
	v_add_co_ci_u32_e32 v2, vcc_lo, 0, v2, vcc_lo
	s_waitcnt vmcnt(60)
	v_cmp_ne_u16_e32 vcc_lo, 0, v6
	v_cndmask_b32_e64 v4, 0, 1, vcc_lo
	s_waitcnt vmcnt(59)
	v_cmp_ne_u16_e32 vcc_lo, 0, v7
	v_add_co_ci_u32_e32 v2, vcc_lo, v2, v3, vcc_lo
	s_waitcnt vmcnt(58)
	v_cmp_ne_u16_e32 vcc_lo, 0, v8
	v_cndmask_b32_e64 v3, 0, 1, vcc_lo
	s_waitcnt vmcnt(57)
	v_cmp_ne_u16_e32 vcc_lo, 0, v9
	v_add_co_ci_u32_e32 v2, vcc_lo, v2, v4, vcc_lo
	s_waitcnt vmcnt(56)
	v_cmp_ne_u16_e32 vcc_lo, 0, v10
	v_cndmask_b32_e64 v4, 0, 1, vcc_lo
	s_waitcnt vmcnt(55)
	v_cmp_ne_u16_e32 vcc_lo, 0, v11
	v_add_co_ci_u32_e32 v2, vcc_lo, v2, v3, vcc_lo
	s_waitcnt vmcnt(54)
	v_cmp_ne_u16_e32 vcc_lo, 0, v12
	v_cndmask_b32_e64 v3, 0, 1, vcc_lo
	s_waitcnt vmcnt(53)
	v_cmp_ne_u16_e32 vcc_lo, 0, v13
	v_add_co_ci_u32_e32 v2, vcc_lo, v2, v4, vcc_lo
	s_waitcnt vmcnt(52)
	v_cmp_ne_u16_e32 vcc_lo, 0, v14
	v_cndmask_b32_e64 v4, 0, 1, vcc_lo
	s_waitcnt vmcnt(51)
	v_cmp_ne_u16_e32 vcc_lo, 0, v15
	v_add_co_ci_u32_e32 v2, vcc_lo, v2, v3, vcc_lo
	s_waitcnt vmcnt(50)
	v_cmp_ne_u16_e32 vcc_lo, 0, v16
	v_cndmask_b32_e64 v3, 0, 1, vcc_lo
	s_waitcnt vmcnt(49)
	v_cmp_ne_u16_e32 vcc_lo, 0, v17
	v_add_co_ci_u32_e32 v2, vcc_lo, v2, v4, vcc_lo
	s_waitcnt vmcnt(48)
	v_cmp_ne_u16_e32 vcc_lo, 0, v18
	v_cndmask_b32_e64 v4, 0, 1, vcc_lo
	s_waitcnt vmcnt(47)
	v_cmp_ne_u16_e32 vcc_lo, 0, v19
	v_add_co_ci_u32_e32 v2, vcc_lo, v2, v3, vcc_lo
	s_waitcnt vmcnt(46)
	v_cmp_ne_u16_e32 vcc_lo, 0, v20
	v_cndmask_b32_e64 v3, 0, 1, vcc_lo
	s_waitcnt vmcnt(45)
	v_cmp_ne_u16_e32 vcc_lo, 0, v21
	v_add_co_ci_u32_e32 v2, vcc_lo, v2, v4, vcc_lo
	s_waitcnt vmcnt(44)
	v_cmp_ne_u16_e32 vcc_lo, 0, v22
	v_cndmask_b32_e64 v4, 0, 1, vcc_lo
	s_waitcnt vmcnt(43)
	v_cmp_ne_u16_e32 vcc_lo, 0, v23
	v_add_co_ci_u32_e32 v2, vcc_lo, v2, v3, vcc_lo
	s_waitcnt vmcnt(42)
	v_cmp_ne_u16_e32 vcc_lo, 0, v24
	v_cndmask_b32_e64 v3, 0, 1, vcc_lo
	s_waitcnt vmcnt(41)
	v_cmp_ne_u16_e32 vcc_lo, 0, v25
	v_add_co_ci_u32_e32 v2, vcc_lo, v2, v4, vcc_lo
	s_waitcnt vmcnt(40)
	v_cmp_ne_u16_e32 vcc_lo, 0, v26
	v_cndmask_b32_e64 v4, 0, 1, vcc_lo
	s_waitcnt vmcnt(39)
	v_cmp_ne_u16_e32 vcc_lo, 0, v27
	v_add_co_ci_u32_e32 v2, vcc_lo, v2, v3, vcc_lo
	s_waitcnt vmcnt(37)
	v_cmp_ne_u16_e32 vcc_lo, 0, v29
	v_cndmask_b32_e64 v3, 0, 1, vcc_lo
	v_cmp_ne_u16_e32 vcc_lo, 0, v28
	v_add_co_ci_u32_e32 v2, vcc_lo, v2, v4, vcc_lo
	s_waitcnt vmcnt(35)
	v_cmp_ne_u16_e32 vcc_lo, 0, v31
	v_cndmask_b32_e64 v4, 0, 1, vcc_lo
	v_cmp_ne_u16_e32 vcc_lo, 0, v30
	v_add_co_ci_u32_e32 v2, vcc_lo, v2, v3, vcc_lo
	s_waitcnt vmcnt(34)
	v_cmp_ne_u16_e32 vcc_lo, 0, v32
	v_cndmask_b32_e64 v3, 0, 1, vcc_lo
	s_waitcnt vmcnt(33)
	v_cmp_ne_u16_e32 vcc_lo, 0, v33
	v_add_co_ci_u32_e32 v2, vcc_lo, v2, v4, vcc_lo
	s_waitcnt vmcnt(32)
	v_cmp_ne_u16_e32 vcc_lo, 0, v34
	v_cndmask_b32_e64 v4, 0, 1, vcc_lo
	s_waitcnt vmcnt(31)
	;; [unrolled: 6-line block ×17, first 2 shown]
	v_cmp_ne_u16_e32 vcc_lo, 0, v65
	v_add_co_ci_u32_e32 v2, vcc_lo, v2, v4, vcc_lo
	s_waitcnt vmcnt(0)
	v_cmp_ne_u16_e32 vcc_lo, 0, v1
	s_delay_alu instid0(VALU_DEP_2) | instskip(SKIP_1) | instid1(VALU_DEP_2)
	v_add_co_ci_u32_e32 v1, vcc_lo, v2, v3, vcc_lo
	v_mov_b32_e32 v3, 0
	v_mov_b32_dpp v2, v1 quad_perm:[1,0,3,2] row_mask:0xf bank_mask:0xf
	s_delay_alu instid0(VALU_DEP_1) | instskip(NEXT) | instid1(VALU_DEP_1)
	v_add_nc_u32_e32 v1, v1, v2
	v_mov_b32_dpp v2, v1 quad_perm:[2,3,0,1] row_mask:0xf bank_mask:0xf
	s_delay_alu instid0(VALU_DEP_1) | instskip(NEXT) | instid1(VALU_DEP_1)
	v_add_nc_u32_e32 v1, v1, v2
	v_mov_b32_dpp v2, v1 row_ror:4 row_mask:0xf bank_mask:0xf
	s_delay_alu instid0(VALU_DEP_1) | instskip(NEXT) | instid1(VALU_DEP_1)
	v_add_nc_u32_e32 v1, v1, v2
	v_mov_b32_dpp v2, v1 row_ror:8 row_mask:0xf bank_mask:0xf
	s_delay_alu instid0(VALU_DEP_1)
	v_add_nc_u32_e32 v1, v1, v2
	ds_swizzle_b32 v2, v1 offset:swizzle(BROADCAST,32,15)
	s_waitcnt lgkmcnt(0)
	v_add_nc_u32_e32 v1, v1, v2
	v_mbcnt_lo_u32_b32 v2, -1, 0
	ds_bpermute_b32 v1, v3, v1 offset:124
	v_cmpx_eq_u32_e32 0, v2
	s_cbranch_execz .LBB116_28
; %bb.27:
	v_lshrrev_b32_e32 v3, 3, v0
	s_delay_alu instid0(VALU_DEP_1)
	v_and_b32_e32 v3, 12, v3
	s_waitcnt lgkmcnt(0)
	ds_store_b32 v3, v1 offset:96
.LBB116_28:
	s_or_b32 exec_lo, exec_lo, s5
	s_delay_alu instid0(SALU_CYCLE_1)
	s_mov_b32 s5, exec_lo
	s_waitcnt lgkmcnt(0)
	s_barrier
	buffer_gl0_inv
	v_cmpx_gt_u32_e32 32, v0
	s_cbranch_execz .LBB116_30
; %bb.29:
	v_and_b32_e32 v1, 3, v2
	s_delay_alu instid0(VALU_DEP_1) | instskip(SKIP_4) | instid1(VALU_DEP_2)
	v_lshlrev_b32_e32 v3, 2, v1
	v_cmp_ne_u32_e32 vcc_lo, 3, v1
	ds_load_b32 v3, v3 offset:96
	v_add_co_ci_u32_e32 v4, vcc_lo, 0, v2, vcc_lo
	v_cmp_gt_u32_e32 vcc_lo, 2, v1
	v_lshlrev_b32_e32 v4, 2, v4
	v_cndmask_b32_e64 v1, 0, 1, vcc_lo
	s_delay_alu instid0(VALU_DEP_1) | instskip(NEXT) | instid1(VALU_DEP_1)
	v_lshlrev_b32_e32 v1, 1, v1
	v_add_lshl_u32 v1, v1, v2, 2
	s_waitcnt lgkmcnt(0)
	ds_bpermute_b32 v4, v4, v3
	s_waitcnt lgkmcnt(0)
	v_add_nc_u32_e32 v3, v4, v3
	ds_bpermute_b32 v1, v1, v3
	s_waitcnt lgkmcnt(0)
	v_add_nc_u32_e32 v1, v1, v3
.LBB116_30:
	s_or_b32 exec_lo, exec_lo, s5
	s_mov_b32 s5, 0
	s_branch .LBB116_377
.LBB116_31:
                                        ; implicit-def: $vgpr1
	s_cbranch_execz .LBB116_512
	s_branch .LBB116_368
.LBB116_32:
                                        ; implicit-def: $vgpr1
	s_branch .LBB116_512
.LBB116_33:
                                        ; implicit-def: $vgpr1
	s_branch .LBB116_512
.LBB116_34:
                                        ; implicit-def: $vgpr1
	s_cbranch_execz .LBB116_10
; %bb.35:
	s_sub_i32 s5, s20, s5
	s_mov_b32 s6, exec_lo
                                        ; implicit-def: $vgpr1
	v_cmpx_gt_u32_e64 s5, v0
	s_cbranch_execz .LBB116_37
; %bb.36:
	global_load_u8 v1, v0, s[2:3]
	s_waitcnt vmcnt(0)
	v_cmp_ne_u16_e32 vcc_lo, 0, v1
	v_cndmask_b32_e64 v1, 0, 1, vcc_lo
.LBB116_37:
	s_or_b32 exec_lo, exec_lo, s6
	v_or_b32_e32 v3, 0x80, v0
	v_mov_b32_e32 v2, 0
	s_delay_alu instid0(VALU_DEP_2)
	v_cmp_gt_u32_e32 vcc_lo, s5, v3
	v_mov_b32_e32 v3, 0
	s_and_saveexec_b32 s6, vcc_lo
	s_cbranch_execz .LBB116_39
; %bb.38:
	global_load_u8 v3, v0, s[2:3] offset:128
	s_waitcnt vmcnt(0)
	v_cmp_ne_u16_e32 vcc_lo, 0, v3
	v_cndmask_b32_e64 v3, 0, 1, vcc_lo
.LBB116_39:
	s_or_b32 exec_lo, exec_lo, s6
	v_or_b32_e32 v4, 0x100, v0
	s_mov_b32 s6, exec_lo
	s_delay_alu instid0(VALU_DEP_1)
	v_cmpx_gt_u32_e64 s5, v4
	s_cbranch_execz .LBB116_41
; %bb.40:
	global_load_u8 v2, v0, s[2:3] offset:256
	s_waitcnt vmcnt(0)
	v_cmp_ne_u16_e32 vcc_lo, 0, v2
	v_cndmask_b32_e64 v2, 0, 1, vcc_lo
.LBB116_41:
	s_or_b32 exec_lo, exec_lo, s6
	v_or_b32_e32 v5, 0x180, v0
	v_mov_b32_e32 v4, 0
	s_delay_alu instid0(VALU_DEP_2)
	v_cmp_gt_u32_e32 vcc_lo, s5, v5
	v_mov_b32_e32 v5, 0
	s_and_saveexec_b32 s6, vcc_lo
	s_cbranch_execz .LBB116_43
; %bb.42:
	global_load_u8 v5, v0, s[2:3] offset:384
	s_waitcnt vmcnt(0)
	v_cmp_ne_u16_e32 vcc_lo, 0, v5
	v_cndmask_b32_e64 v5, 0, 1, vcc_lo
.LBB116_43:
	s_or_b32 exec_lo, exec_lo, s6
	v_or_b32_e32 v6, 0x200, v0
	s_mov_b32 s6, exec_lo
	s_delay_alu instid0(VALU_DEP_1)
	v_cmpx_gt_u32_e64 s5, v6
	s_cbranch_execz .LBB116_45
; %bb.44:
	global_load_u8 v4, v0, s[2:3] offset:512
	s_waitcnt vmcnt(0)
	v_cmp_ne_u16_e32 vcc_lo, 0, v4
	v_cndmask_b32_e64 v4, 0, 1, vcc_lo
.LBB116_45:
	;; [unrolled: 26-line block ×15, first 2 shown]
	s_or_b32 exec_lo, exec_lo, s6
	v_or_b32_e32 v33, 0xf80, v0
	v_mov_b32_e32 v32, 0
	s_delay_alu instid0(VALU_DEP_2)
	v_cmp_gt_u32_e32 vcc_lo, s5, v33
	v_mov_b32_e32 v33, 0
	s_and_saveexec_b32 s6, vcc_lo
	s_cbranch_execz .LBB116_99
; %bb.98:
	global_load_u8 v33, v0, s[2:3] offset:3968
	s_waitcnt vmcnt(0)
	v_cmp_ne_u16_e32 vcc_lo, 0, v33
	v_cndmask_b32_e64 v33, 0, 1, vcc_lo
.LBB116_99:
	s_or_b32 exec_lo, exec_lo, s6
	v_or_b32_e32 v34, 0x1000, v0
	s_mov_b32 s6, exec_lo
	s_delay_alu instid0(VALU_DEP_1)
	v_cmpx_gt_u32_e64 s5, v34
	s_cbranch_execz .LBB116_101
; %bb.100:
	global_load_u8 v32, v34, s[2:3]
	s_waitcnt vmcnt(0)
	v_cmp_ne_u16_e32 vcc_lo, 0, v32
	v_cndmask_b32_e64 v32, 0, 1, vcc_lo
.LBB116_101:
	s_or_b32 exec_lo, exec_lo, s6
	v_or_b32_e32 v36, 0x1080, v0
	v_dual_mov_b32 v34, 0 :: v_dual_mov_b32 v35, 0
	s_mov_b32 s6, exec_lo
	s_delay_alu instid0(VALU_DEP_2)
	v_cmpx_gt_u32_e64 s5, v36
	s_cbranch_execz .LBB116_103
; %bb.102:
	global_load_u8 v35, v36, s[2:3]
	s_waitcnt vmcnt(0)
	v_cmp_ne_u16_e32 vcc_lo, 0, v35
	v_cndmask_b32_e64 v35, 0, 1, vcc_lo
.LBB116_103:
	s_or_b32 exec_lo, exec_lo, s6
	v_or_b32_e32 v36, 0x1100, v0
	s_mov_b32 s6, exec_lo
	s_delay_alu instid0(VALU_DEP_1)
	v_cmpx_gt_u32_e64 s5, v36
	s_cbranch_execz .LBB116_105
; %bb.104:
	global_load_u8 v34, v36, s[2:3]
	s_waitcnt vmcnt(0)
	v_cmp_ne_u16_e32 vcc_lo, 0, v34
	v_cndmask_b32_e64 v34, 0, 1, vcc_lo
.LBB116_105:
	s_or_b32 exec_lo, exec_lo, s6
	v_or_b32_e32 v38, 0x1180, v0
	v_dual_mov_b32 v36, 0 :: v_dual_mov_b32 v37, 0
	s_mov_b32 s6, exec_lo
	s_delay_alu instid0(VALU_DEP_2)
	v_cmpx_gt_u32_e64 s5, v38
	s_cbranch_execz .LBB116_107
; %bb.106:
	global_load_u8 v37, v38, s[2:3]
	s_waitcnt vmcnt(0)
	v_cmp_ne_u16_e32 vcc_lo, 0, v37
	v_cndmask_b32_e64 v37, 0, 1, vcc_lo
.LBB116_107:
	;; [unrolled: 25-line block ×47, first 2 shown]
	s_or_b32 exec_lo, exec_lo, s6
	v_or_b32_e32 v128, 0x3f00, v0
	s_mov_b32 s6, exec_lo
	s_delay_alu instid0(VALU_DEP_1)
	v_cmpx_gt_u32_e64 s5, v128
	s_cbranch_execz .LBB116_289
; %bb.288:
	global_load_u8 v126, v128, s[2:3]
	s_waitcnt vmcnt(0)
	v_cmp_ne_u16_e32 vcc_lo, 0, v126
	v_cndmask_b32_e64 v126, 0, 1, vcc_lo
.LBB116_289:
	s_or_b32 exec_lo, exec_lo, s6
	v_or_b32_e32 v129, 0x3f80, v0
	v_mov_b32_e32 v128, 0
	s_mov_b32 s6, exec_lo
	s_delay_alu instid0(VALU_DEP_2)
	v_cmpx_gt_u32_e64 s5, v129
	s_cbranch_execz .LBB116_291
; %bb.290:
	global_load_u8 v128, v129, s[2:3]
	s_waitcnt vmcnt(0)
	v_cmp_ne_u16_e64 vcc_lo, 0, v128
	s_delay_alu instid0(VALU_DEP_1)
	v_cndmask_b32_e64 v128, 0, 1, vcc_lo
.LBB116_291:
	s_or_b32 exec_lo, exec_lo, s6
	v_add_nc_u32_e32 v1, v3, v1
	s_min_u32 s2, s5, 0x80
	s_mov_b32 s3, exec_lo
	s_delay_alu instid0(VALU_DEP_1) | instskip(SKIP_1) | instid1(VALU_DEP_2)
	v_add3_u32 v1, v1, v2, v5
	v_mbcnt_lo_u32_b32 v2, -1, 0
	v_add3_u32 v1, v1, v4, v7
	s_delay_alu instid0(VALU_DEP_2) | instskip(NEXT) | instid1(VALU_DEP_2)
	v_cmp_ne_u32_e32 vcc_lo, 31, v2
	v_add3_u32 v1, v1, v6, v9
	v_add_co_ci_u32_e32 v3, vcc_lo, 0, v2, vcc_lo
	v_cmp_gt_u32_e32 vcc_lo, 30, v2
	v_add_nc_u32_e32 v6, 1, v2
	s_delay_alu instid0(VALU_DEP_4) | instskip(NEXT) | instid1(VALU_DEP_4)
	v_add3_u32 v1, v1, v8, v11
	v_lshlrev_b32_e32 v3, 2, v3
	v_cndmask_b32_e64 v5, 0, 1, vcc_lo
	s_delay_alu instid0(VALU_DEP_3) | instskip(NEXT) | instid1(VALU_DEP_2)
	v_add3_u32 v1, v1, v10, v13
	v_lshlrev_b32_e32 v5, 1, v5
	s_delay_alu instid0(VALU_DEP_2) | instskip(NEXT) | instid1(VALU_DEP_2)
	v_add3_u32 v1, v1, v12, v15
	v_add_lshl_u32 v5, v5, v2, 2
	s_delay_alu instid0(VALU_DEP_2) | instskip(NEXT) | instid1(VALU_DEP_1)
	v_add3_u32 v1, v1, v14, v17
	v_add3_u32 v1, v1, v16, v19
	s_delay_alu instid0(VALU_DEP_1) | instskip(NEXT) | instid1(VALU_DEP_1)
	v_add3_u32 v1, v1, v18, v21
	v_add3_u32 v1, v1, v20, v23
	s_delay_alu instid0(VALU_DEP_1) | instskip(NEXT) | instid1(VALU_DEP_1)
	;; [unrolled: 3-line block ×27, first 2 shown]
	v_add3_u32 v1, v1, v122, v125
	v_add3_u32 v1, v1, v124, v127
	s_delay_alu instid0(VALU_DEP_1) | instskip(SKIP_2) | instid1(VALU_DEP_1)
	v_add3_u32 v1, v1, v126, v128
	ds_bpermute_b32 v3, v3, v1
	v_and_b32_e32 v4, 0x60, v0
	v_sub_nc_u32_e64 v4, s2, v4 clamp
	s_delay_alu instid0(VALU_DEP_1) | instskip(SKIP_3) | instid1(VALU_DEP_2)
	v_cmp_lt_u32_e32 vcc_lo, v6, v4
	s_waitcnt lgkmcnt(0)
	v_dual_cndmask_b32 v3, 0, v3 :: v_dual_add_nc_u32 v6, 2, v2
	v_cmp_gt_u32_e32 vcc_lo, 28, v2
	v_add_nc_u32_e32 v1, v3, v1
	ds_bpermute_b32 v3, v5, v1
	v_cndmask_b32_e64 v5, 0, 1, vcc_lo
	v_cmp_lt_u32_e32 vcc_lo, v6, v4
	v_add_nc_u32_e32 v6, 4, v2
	s_delay_alu instid0(VALU_DEP_3) | instskip(NEXT) | instid1(VALU_DEP_1)
	v_lshlrev_b32_e32 v5, 2, v5
	v_add_lshl_u32 v5, v5, v2, 2
	s_waitcnt lgkmcnt(0)
	v_cndmask_b32_e32 v3, 0, v3, vcc_lo
	v_cmp_gt_u32_e32 vcc_lo, 24, v2
	s_delay_alu instid0(VALU_DEP_2) | instskip(SKIP_4) | instid1(VALU_DEP_3)
	v_add_nc_u32_e32 v1, v1, v3
	ds_bpermute_b32 v3, v5, v1
	v_cndmask_b32_e64 v5, 0, 1, vcc_lo
	v_cmp_lt_u32_e32 vcc_lo, v6, v4
	v_add_nc_u32_e32 v6, 8, v2
	v_lshlrev_b32_e32 v5, 3, v5
	s_delay_alu instid0(VALU_DEP_1) | instskip(SKIP_3) | instid1(VALU_DEP_2)
	v_add_lshl_u32 v5, v5, v2, 2
	s_waitcnt lgkmcnt(0)
	v_cndmask_b32_e32 v3, 0, v3, vcc_lo
	v_cmp_gt_u32_e32 vcc_lo, 16, v2
	v_add_nc_u32_e32 v1, v1, v3
	ds_bpermute_b32 v3, v5, v1
	v_cndmask_b32_e64 v5, 0, 1, vcc_lo
	v_cmp_lt_u32_e32 vcc_lo, v6, v4
	s_delay_alu instid0(VALU_DEP_2) | instskip(NEXT) | instid1(VALU_DEP_1)
	v_lshlrev_b32_e32 v5, 4, v5
	v_add_lshl_u32 v5, v5, v2, 2
	s_waitcnt lgkmcnt(0)
	v_cndmask_b32_e32 v3, 0, v3, vcc_lo
	s_delay_alu instid0(VALU_DEP_1) | instskip(SKIP_2) | instid1(VALU_DEP_1)
	v_add_nc_u32_e32 v1, v1, v3
	ds_bpermute_b32 v3, v5, v1
	v_add_nc_u32_e32 v5, 16, v2
	v_cmp_lt_u32_e32 vcc_lo, v5, v4
	s_waitcnt lgkmcnt(0)
	v_cndmask_b32_e32 v3, 0, v3, vcc_lo
	s_delay_alu instid0(VALU_DEP_1)
	v_add_nc_u32_e32 v1, v1, v3
	v_cmpx_eq_u32_e32 0, v2
	s_cbranch_execz .LBB116_293
; %bb.292:
	v_lshrrev_b32_e32 v3, 3, v0
	s_delay_alu instid0(VALU_DEP_1)
	v_and_b32_e32 v3, 12, v3
	ds_store_b32 v3, v1 offset:128
.LBB116_293:
	s_or_b32 exec_lo, exec_lo, s3
	s_delay_alu instid0(SALU_CYCLE_1)
	s_mov_b32 s3, exec_lo
	s_waitcnt lgkmcnt(0)
	s_barrier
	buffer_gl0_inv
	v_cmpx_gt_u32_e32 4, v0
	s_cbranch_execz .LBB116_295
; %bb.294:
	v_and_b32_e32 v3, 3, v2
	s_add_i32 s2, s2, 31
	s_delay_alu instid0(SALU_CYCLE_1) | instskip(NEXT) | instid1(VALU_DEP_1)
	s_lshr_b32 s2, s2, 5
	v_cmp_ne_u32_e32 vcc_lo, 3, v3
	v_add_nc_u32_e32 v5, 1, v3
	v_add_co_ci_u32_e32 v4, vcc_lo, 0, v2, vcc_lo
	v_cmp_gt_u32_e32 vcc_lo, 2, v3
	v_add_nc_u32_e32 v3, 2, v3
	s_delay_alu instid0(VALU_DEP_3) | instskip(SKIP_3) | instid1(VALU_DEP_3)
	v_lshlrev_b32_e32 v4, 2, v4
	v_cndmask_b32_e64 v6, 0, 1, vcc_lo
	v_cmp_gt_u32_e32 vcc_lo, s2, v5
	v_lshlrev_b32_e32 v1, 2, v2
	v_lshlrev_b32_e32 v5, 1, v6
	ds_load_b32 v1, v1 offset:128
	v_add_lshl_u32 v2, v5, v2, 2
	s_waitcnt lgkmcnt(0)
	ds_bpermute_b32 v4, v4, v1
	s_waitcnt lgkmcnt(0)
	v_cndmask_b32_e32 v4, 0, v4, vcc_lo
	v_cmp_gt_u32_e32 vcc_lo, s2, v3
	s_delay_alu instid0(VALU_DEP_2) | instskip(SKIP_3) | instid1(VALU_DEP_1)
	v_add_nc_u32_e32 v1, v4, v1
	ds_bpermute_b32 v2, v2, v1
	s_waitcnt lgkmcnt(0)
	v_cndmask_b32_e32 v2, 0, v2, vcc_lo
	v_add_nc_u32_e32 v1, v1, v2
.LBB116_295:
	s_or_b32 exec_lo, exec_lo, s3
	v_cmp_eq_u32_e64 s2, 0, v0
	s_and_b32 vcc_lo, exec_lo, s4
	s_cbranch_vccnz .LBB116_24
	s_branch .LBB116_11
.LBB116_296:
	s_mov_b32 s5, -1
                                        ; implicit-def: $vgpr1
.LBB116_297:
	s_delay_alu instid0(SALU_CYCLE_1)
	s_and_b32 vcc_lo, exec_lo, s5
	s_cbranch_vccz .LBB116_367
; %bb.298:
	s_sub_i32 s4, s20, s4
	s_mov_b32 s5, exec_lo
                                        ; implicit-def: $vgpr1
	v_cmpx_gt_u32_e64 s4, v0
	s_cbranch_execz .LBB116_300
; %bb.299:
	global_load_u8 v1, v0, s[2:3]
	s_waitcnt vmcnt(0)
	v_cmp_ne_u16_e32 vcc_lo, 0, v1
	v_cndmask_b32_e64 v1, 0, 1, vcc_lo
.LBB116_300:
	s_or_b32 exec_lo, exec_lo, s5
	v_or_b32_e32 v3, 0x80, v0
	v_mov_b32_e32 v2, 0
	s_delay_alu instid0(VALU_DEP_2)
	v_cmp_gt_u32_e32 vcc_lo, s4, v3
	v_mov_b32_e32 v3, 0
	s_and_saveexec_b32 s5, vcc_lo
	s_cbranch_execz .LBB116_302
; %bb.301:
	global_load_u8 v3, v0, s[2:3] offset:128
	s_waitcnt vmcnt(0)
	v_cmp_ne_u16_e32 vcc_lo, 0, v3
	v_cndmask_b32_e64 v3, 0, 1, vcc_lo
.LBB116_302:
	s_or_b32 exec_lo, exec_lo, s5
	v_or_b32_e32 v4, 0x100, v0
	s_mov_b32 s5, exec_lo
	s_delay_alu instid0(VALU_DEP_1)
	v_cmpx_gt_u32_e64 s4, v4
	s_cbranch_execz .LBB116_304
; %bb.303:
	global_load_u8 v2, v0, s[2:3] offset:256
	s_waitcnt vmcnt(0)
	v_cmp_ne_u16_e32 vcc_lo, 0, v2
	v_cndmask_b32_e64 v2, 0, 1, vcc_lo
.LBB116_304:
	s_or_b32 exec_lo, exec_lo, s5
	v_or_b32_e32 v5, 0x180, v0
	v_mov_b32_e32 v4, 0
	s_delay_alu instid0(VALU_DEP_2)
	v_cmp_gt_u32_e32 vcc_lo, s4, v5
	v_mov_b32_e32 v5, 0
	s_and_saveexec_b32 s5, vcc_lo
	s_cbranch_execz .LBB116_306
; %bb.305:
	global_load_u8 v5, v0, s[2:3] offset:384
	s_waitcnt vmcnt(0)
	v_cmp_ne_u16_e32 vcc_lo, 0, v5
	v_cndmask_b32_e64 v5, 0, 1, vcc_lo
.LBB116_306:
	s_or_b32 exec_lo, exec_lo, s5
	v_or_b32_e32 v6, 0x200, v0
	s_mov_b32 s5, exec_lo
	s_delay_alu instid0(VALU_DEP_1)
	v_cmpx_gt_u32_e64 s4, v6
	s_cbranch_execz .LBB116_308
; %bb.307:
	global_load_u8 v4, v0, s[2:3] offset:512
	s_waitcnt vmcnt(0)
	v_cmp_ne_u16_e32 vcc_lo, 0, v4
	v_cndmask_b32_e64 v4, 0, 1, vcc_lo
.LBB116_308:
	;; [unrolled: 26-line block ×15, first 2 shown]
	s_or_b32 exec_lo, exec_lo, s5
	v_or_b32_e32 v32, 0xf80, v0
	s_delay_alu instid0(VALU_DEP_1)
	v_cmp_gt_u32_e32 vcc_lo, s4, v32
	v_mov_b32_e32 v32, 0
	s_and_saveexec_b32 s5, vcc_lo
	s_cbranch_execz .LBB116_362
; %bb.361:
	global_load_u8 v32, v0, s[2:3] offset:3968
	s_waitcnt vmcnt(0)
	v_cmp_ne_u16_e32 vcc_lo, 0, v32
	v_cndmask_b32_e64 v32, 0, 1, vcc_lo
.LBB116_362:
	s_or_b32 exec_lo, exec_lo, s5
	v_add_nc_u32_e32 v1, v3, v1
	s_min_u32 s2, s4, 0x80
	s_mov_b32 s3, exec_lo
	s_delay_alu instid0(VALU_DEP_1) | instskip(SKIP_1) | instid1(VALU_DEP_2)
	v_add3_u32 v1, v1, v2, v5
	v_mbcnt_lo_u32_b32 v2, -1, 0
	v_add3_u32 v1, v1, v4, v7
	s_delay_alu instid0(VALU_DEP_2) | instskip(NEXT) | instid1(VALU_DEP_2)
	v_cmp_ne_u32_e32 vcc_lo, 31, v2
	v_add3_u32 v1, v1, v6, v9
	v_add_co_ci_u32_e32 v3, vcc_lo, 0, v2, vcc_lo
	v_cmp_gt_u32_e32 vcc_lo, 30, v2
	v_add_nc_u32_e32 v6, 1, v2
	s_delay_alu instid0(VALU_DEP_4) | instskip(NEXT) | instid1(VALU_DEP_4)
	v_add3_u32 v1, v1, v8, v11
	v_lshlrev_b32_e32 v3, 2, v3
	v_cndmask_b32_e64 v5, 0, 1, vcc_lo
	s_delay_alu instid0(VALU_DEP_3) | instskip(NEXT) | instid1(VALU_DEP_2)
	v_add3_u32 v1, v1, v10, v13
	v_lshlrev_b32_e32 v5, 1, v5
	s_delay_alu instid0(VALU_DEP_2) | instskip(NEXT) | instid1(VALU_DEP_2)
	v_add3_u32 v1, v1, v12, v15
	v_add_lshl_u32 v5, v5, v2, 2
	s_delay_alu instid0(VALU_DEP_2) | instskip(NEXT) | instid1(VALU_DEP_1)
	v_add3_u32 v1, v1, v14, v17
	v_add3_u32 v1, v1, v16, v19
	s_delay_alu instid0(VALU_DEP_1) | instskip(NEXT) | instid1(VALU_DEP_1)
	v_add3_u32 v1, v1, v18, v21
	v_add3_u32 v1, v1, v20, v23
	s_delay_alu instid0(VALU_DEP_1) | instskip(NEXT) | instid1(VALU_DEP_1)
	;; [unrolled: 3-line block ×3, first 2 shown]
	v_add3_u32 v1, v1, v26, v29
	v_add3_u32 v1, v1, v28, v31
	s_delay_alu instid0(VALU_DEP_1) | instskip(SKIP_2) | instid1(VALU_DEP_1)
	v_add3_u32 v1, v1, v30, v32
	ds_bpermute_b32 v3, v3, v1
	v_and_b32_e32 v4, 0x60, v0
	v_sub_nc_u32_e64 v4, s2, v4 clamp
	s_delay_alu instid0(VALU_DEP_1) | instskip(SKIP_3) | instid1(VALU_DEP_2)
	v_cmp_lt_u32_e32 vcc_lo, v6, v4
	s_waitcnt lgkmcnt(0)
	v_dual_cndmask_b32 v3, 0, v3 :: v_dual_add_nc_u32 v6, 2, v2
	v_cmp_gt_u32_e32 vcc_lo, 28, v2
	v_add_nc_u32_e32 v1, v3, v1
	ds_bpermute_b32 v3, v5, v1
	v_cndmask_b32_e64 v5, 0, 1, vcc_lo
	v_cmp_lt_u32_e32 vcc_lo, v6, v4
	v_add_nc_u32_e32 v6, 4, v2
	s_delay_alu instid0(VALU_DEP_3) | instskip(NEXT) | instid1(VALU_DEP_1)
	v_lshlrev_b32_e32 v5, 2, v5
	v_add_lshl_u32 v5, v5, v2, 2
	s_waitcnt lgkmcnt(0)
	v_cndmask_b32_e32 v3, 0, v3, vcc_lo
	v_cmp_gt_u32_e32 vcc_lo, 24, v2
	s_delay_alu instid0(VALU_DEP_2) | instskip(SKIP_4) | instid1(VALU_DEP_3)
	v_add_nc_u32_e32 v1, v1, v3
	ds_bpermute_b32 v3, v5, v1
	v_cndmask_b32_e64 v5, 0, 1, vcc_lo
	v_cmp_lt_u32_e32 vcc_lo, v6, v4
	v_add_nc_u32_e32 v6, 8, v2
	v_lshlrev_b32_e32 v5, 3, v5
	s_delay_alu instid0(VALU_DEP_1) | instskip(SKIP_3) | instid1(VALU_DEP_2)
	v_add_lshl_u32 v5, v5, v2, 2
	s_waitcnt lgkmcnt(0)
	v_cndmask_b32_e32 v3, 0, v3, vcc_lo
	v_cmp_gt_u32_e32 vcc_lo, 16, v2
	v_add_nc_u32_e32 v1, v1, v3
	ds_bpermute_b32 v3, v5, v1
	v_cndmask_b32_e64 v5, 0, 1, vcc_lo
	v_cmp_lt_u32_e32 vcc_lo, v6, v4
	s_delay_alu instid0(VALU_DEP_2) | instskip(NEXT) | instid1(VALU_DEP_1)
	v_lshlrev_b32_e32 v5, 4, v5
	v_add_lshl_u32 v5, v5, v2, 2
	s_waitcnt lgkmcnt(0)
	v_cndmask_b32_e32 v3, 0, v3, vcc_lo
	s_delay_alu instid0(VALU_DEP_1) | instskip(SKIP_2) | instid1(VALU_DEP_1)
	v_add_nc_u32_e32 v1, v1, v3
	ds_bpermute_b32 v3, v5, v1
	v_add_nc_u32_e32 v5, 16, v2
	v_cmp_lt_u32_e32 vcc_lo, v5, v4
	s_waitcnt lgkmcnt(0)
	v_cndmask_b32_e32 v3, 0, v3, vcc_lo
	s_delay_alu instid0(VALU_DEP_1)
	v_add_nc_u32_e32 v1, v1, v3
	v_cmpx_eq_u32_e32 0, v2
	s_cbranch_execz .LBB116_364
; %bb.363:
	v_lshrrev_b32_e32 v3, 3, v0
	s_delay_alu instid0(VALU_DEP_1)
	v_and_b32_e32 v3, 12, v3
	ds_store_b32 v3, v1 offset:128
.LBB116_364:
	s_or_b32 exec_lo, exec_lo, s3
	s_delay_alu instid0(SALU_CYCLE_1)
	s_mov_b32 s3, exec_lo
	s_waitcnt lgkmcnt(0)
	s_barrier
	buffer_gl0_inv
	v_cmpx_gt_u32_e32 4, v0
	s_cbranch_execz .LBB116_366
; %bb.365:
	v_and_b32_e32 v3, 3, v2
	s_add_i32 s2, s2, 31
	s_delay_alu instid0(SALU_CYCLE_1) | instskip(NEXT) | instid1(VALU_DEP_1)
	s_lshr_b32 s2, s2, 5
	v_cmp_ne_u32_e32 vcc_lo, 3, v3
	v_add_nc_u32_e32 v5, 1, v3
	v_add_co_ci_u32_e32 v4, vcc_lo, 0, v2, vcc_lo
	v_cmp_gt_u32_e32 vcc_lo, 2, v3
	v_add_nc_u32_e32 v3, 2, v3
	s_delay_alu instid0(VALU_DEP_3) | instskip(SKIP_3) | instid1(VALU_DEP_3)
	v_lshlrev_b32_e32 v4, 2, v4
	v_cndmask_b32_e64 v6, 0, 1, vcc_lo
	v_cmp_gt_u32_e32 vcc_lo, s2, v5
	v_lshlrev_b32_e32 v1, 2, v2
	v_lshlrev_b32_e32 v5, 1, v6
	ds_load_b32 v1, v1 offset:128
	v_add_lshl_u32 v2, v5, v2, 2
	s_waitcnt lgkmcnt(0)
	ds_bpermute_b32 v4, v4, v1
	s_waitcnt lgkmcnt(0)
	v_cndmask_b32_e32 v4, 0, v4, vcc_lo
	v_cmp_gt_u32_e32 vcc_lo, s2, v3
	s_delay_alu instid0(VALU_DEP_2) | instskip(SKIP_3) | instid1(VALU_DEP_1)
	v_add_nc_u32_e32 v1, v4, v1
	ds_bpermute_b32 v2, v2, v1
	s_waitcnt lgkmcnt(0)
	v_cndmask_b32_e32 v2, 0, v2, vcc_lo
	v_add_nc_u32_e32 v1, v1, v2
.LBB116_366:
	s_or_b32 exec_lo, exec_lo, s3
.LBB116_367:
	v_cmp_eq_u32_e64 s2, 0, v0
	s_branch .LBB116_512
.LBB116_368:
	s_cmp_eq_u32 s26, 16
	s_cbranch_scc0 .LBB116_375
; %bb.369:
	s_lshl_b32 s2, s18, 11
	s_lshr_b64 s[4:5], s[20:21], 11
	s_mov_b32 s19, 0
	s_add_u32 s16, s24, s2
	s_addc_u32 s17, s25, 0
	s_cmp_lg_u64 s[4:5], s[18:19]
	s_cbranch_scc0 .LBB116_533
; %bb.370:
	s_clause 0xf
	global_load_u8 v1, v0, s[16:17]
	global_load_u8 v2, v0, s[16:17] offset:256
	global_load_u8 v3, v0, s[16:17] offset:128
	;; [unrolled: 1-line block ×15, first 2 shown]
	s_mov_b32 s3, exec_lo
	s_waitcnt vmcnt(15)
	v_cmp_ne_u16_e32 vcc_lo, 0, v1
	v_cndmask_b32_e64 v1, 0, 1, vcc_lo
	s_waitcnt vmcnt(14)
	v_cmp_ne_u16_e32 vcc_lo, 0, v2
	v_cndmask_b32_e64 v2, 0, 1, vcc_lo
	s_waitcnt vmcnt(13)
	v_cmp_ne_u16_e32 vcc_lo, 0, v3
	v_add_co_ci_u32_e32 v1, vcc_lo, 0, v1, vcc_lo
	s_waitcnt vmcnt(12)
	v_cmp_ne_u16_e32 vcc_lo, 0, v4
	v_cndmask_b32_e64 v3, 0, 1, vcc_lo
	s_waitcnt vmcnt(11)
	v_cmp_ne_u16_e32 vcc_lo, 0, v5
	v_add_co_ci_u32_e32 v1, vcc_lo, v1, v2, vcc_lo
	;; [unrolled: 6-line block ×7, first 2 shown]
	s_waitcnt vmcnt(0)
	v_cmp_ne_u16_e32 vcc_lo, 0, v16
	s_delay_alu instid0(VALU_DEP_2) | instskip(NEXT) | instid1(VALU_DEP_1)
	v_add_co_ci_u32_e32 v1, vcc_lo, v1, v2, vcc_lo
	v_mov_b32_dpp v2, v1 quad_perm:[1,0,3,2] row_mask:0xf bank_mask:0xf
	s_delay_alu instid0(VALU_DEP_1) | instskip(NEXT) | instid1(VALU_DEP_1)
	v_add_nc_u32_e32 v1, v1, v2
	v_mov_b32_dpp v2, v1 quad_perm:[2,3,0,1] row_mask:0xf bank_mask:0xf
	s_delay_alu instid0(VALU_DEP_1) | instskip(NEXT) | instid1(VALU_DEP_1)
	v_add_nc_u32_e32 v1, v1, v2
	v_mov_b32_dpp v2, v1 row_ror:4 row_mask:0xf bank_mask:0xf
	s_delay_alu instid0(VALU_DEP_1) | instskip(NEXT) | instid1(VALU_DEP_1)
	v_add_nc_u32_e32 v1, v1, v2
	v_mov_b32_dpp v2, v1 row_ror:8 row_mask:0xf bank_mask:0xf
	s_delay_alu instid0(VALU_DEP_1)
	v_add_nc_u32_e32 v1, v1, v2
	ds_swizzle_b32 v2, v1 offset:swizzle(BROADCAST,32,15)
	s_waitcnt lgkmcnt(0)
	v_dual_mov_b32 v2, 0 :: v_dual_add_nc_u32 v1, v1, v2
	ds_bpermute_b32 v1, v2, v1 offset:124
	v_mbcnt_lo_u32_b32 v2, -1, 0
	s_delay_alu instid0(VALU_DEP_1)
	v_cmpx_eq_u32_e32 0, v2
	s_cbranch_execz .LBB116_372
; %bb.371:
	v_lshrrev_b32_e32 v3, 3, v0
	s_delay_alu instid0(VALU_DEP_1)
	v_and_b32_e32 v3, 12, v3
	s_waitcnt lgkmcnt(0)
	ds_store_b32 v3, v1 offset:16
.LBB116_372:
	s_or_b32 exec_lo, exec_lo, s3
	s_delay_alu instid0(SALU_CYCLE_1)
	s_mov_b32 s3, exec_lo
	s_waitcnt lgkmcnt(0)
	s_barrier
	buffer_gl0_inv
	v_cmpx_gt_u32_e32 32, v0
	s_cbranch_execz .LBB116_374
; %bb.373:
	v_and_b32_e32 v1, 3, v2
	s_delay_alu instid0(VALU_DEP_1) | instskip(SKIP_4) | instid1(VALU_DEP_2)
	v_lshlrev_b32_e32 v3, 2, v1
	v_cmp_ne_u32_e32 vcc_lo, 3, v1
	ds_load_b32 v3, v3 offset:16
	v_add_co_ci_u32_e32 v4, vcc_lo, 0, v2, vcc_lo
	v_cmp_gt_u32_e32 vcc_lo, 2, v1
	v_lshlrev_b32_e32 v4, 2, v4
	v_cndmask_b32_e64 v1, 0, 1, vcc_lo
	s_delay_alu instid0(VALU_DEP_1) | instskip(NEXT) | instid1(VALU_DEP_1)
	v_lshlrev_b32_e32 v1, 1, v1
	v_add_lshl_u32 v1, v1, v2, 2
	s_waitcnt lgkmcnt(0)
	ds_bpermute_b32 v4, v4, v3
	s_waitcnt lgkmcnt(0)
	v_add_nc_u32_e32 v3, v4, v3
	ds_bpermute_b32 v1, v1, v3
	s_waitcnt lgkmcnt(0)
	v_add_nc_u32_e32 v1, v1, v3
.LBB116_374:
	s_or_b32 exec_lo, exec_lo, s3
	s_mov_b32 s3, 0
	s_branch .LBB116_534
.LBB116_375:
                                        ; implicit-def: $vgpr1
	s_branch .LBB116_623
.LBB116_376:
	s_mov_b32 s5, -1
                                        ; implicit-def: $vgpr1
.LBB116_377:
	s_delay_alu instid0(SALU_CYCLE_1)
	s_and_b32 vcc_lo, exec_lo, s5
	s_cbranch_vccz .LBB116_511
; %bb.378:
	s_sub_i32 s4, s20, s4
	s_mov_b32 s5, exec_lo
                                        ; implicit-def: $vgpr1
	v_cmpx_gt_u32_e64 s4, v0
	s_cbranch_execz .LBB116_380
; %bb.379:
	global_load_u8 v1, v0, s[2:3]
	s_waitcnt vmcnt(0)
	v_cmp_ne_u16_e32 vcc_lo, 0, v1
	v_cndmask_b32_e64 v1, 0, 1, vcc_lo
.LBB116_380:
	s_or_b32 exec_lo, exec_lo, s5
	v_or_b32_e32 v3, 0x80, v0
	v_mov_b32_e32 v2, 0
	s_delay_alu instid0(VALU_DEP_2)
	v_cmp_gt_u32_e32 vcc_lo, s4, v3
	v_mov_b32_e32 v3, 0
	s_and_saveexec_b32 s5, vcc_lo
	s_cbranch_execz .LBB116_382
; %bb.381:
	global_load_u8 v3, v0, s[2:3] offset:128
	s_waitcnt vmcnt(0)
	v_cmp_ne_u16_e32 vcc_lo, 0, v3
	v_cndmask_b32_e64 v3, 0, 1, vcc_lo
.LBB116_382:
	s_or_b32 exec_lo, exec_lo, s5
	v_or_b32_e32 v4, 0x100, v0
	s_mov_b32 s5, exec_lo
	s_delay_alu instid0(VALU_DEP_1)
	v_cmpx_gt_u32_e64 s4, v4
	s_cbranch_execz .LBB116_384
; %bb.383:
	global_load_u8 v2, v0, s[2:3] offset:256
	s_waitcnt vmcnt(0)
	v_cmp_ne_u16_e32 vcc_lo, 0, v2
	v_cndmask_b32_e64 v2, 0, 1, vcc_lo
.LBB116_384:
	s_or_b32 exec_lo, exec_lo, s5
	v_or_b32_e32 v5, 0x180, v0
	v_mov_b32_e32 v4, 0
	s_delay_alu instid0(VALU_DEP_2)
	v_cmp_gt_u32_e32 vcc_lo, s4, v5
	v_mov_b32_e32 v5, 0
	s_and_saveexec_b32 s5, vcc_lo
	s_cbranch_execz .LBB116_386
; %bb.385:
	global_load_u8 v5, v0, s[2:3] offset:384
	s_waitcnt vmcnt(0)
	v_cmp_ne_u16_e32 vcc_lo, 0, v5
	v_cndmask_b32_e64 v5, 0, 1, vcc_lo
.LBB116_386:
	s_or_b32 exec_lo, exec_lo, s5
	v_or_b32_e32 v6, 0x200, v0
	s_mov_b32 s5, exec_lo
	s_delay_alu instid0(VALU_DEP_1)
	v_cmpx_gt_u32_e64 s4, v6
	s_cbranch_execz .LBB116_388
; %bb.387:
	global_load_u8 v4, v0, s[2:3] offset:512
	s_waitcnt vmcnt(0)
	v_cmp_ne_u16_e32 vcc_lo, 0, v4
	v_cndmask_b32_e64 v4, 0, 1, vcc_lo
.LBB116_388:
	;; [unrolled: 26-line block ×15, first 2 shown]
	s_or_b32 exec_lo, exec_lo, s5
	v_or_b32_e32 v33, 0xf80, v0
	v_mov_b32_e32 v32, 0
	s_delay_alu instid0(VALU_DEP_2)
	v_cmp_gt_u32_e32 vcc_lo, s4, v33
	v_mov_b32_e32 v33, 0
	s_and_saveexec_b32 s5, vcc_lo
	s_cbranch_execz .LBB116_442
; %bb.441:
	global_load_u8 v33, v0, s[2:3] offset:3968
	s_waitcnt vmcnt(0)
	v_cmp_ne_u16_e32 vcc_lo, 0, v33
	v_cndmask_b32_e64 v33, 0, 1, vcc_lo
.LBB116_442:
	s_or_b32 exec_lo, exec_lo, s5
	v_or_b32_e32 v34, 0x1000, v0
	s_mov_b32 s5, exec_lo
	s_delay_alu instid0(VALU_DEP_1)
	v_cmpx_gt_u32_e64 s4, v34
	s_cbranch_execz .LBB116_444
; %bb.443:
	global_load_u8 v32, v34, s[2:3]
	s_waitcnt vmcnt(0)
	v_cmp_ne_u16_e32 vcc_lo, 0, v32
	v_cndmask_b32_e64 v32, 0, 1, vcc_lo
.LBB116_444:
	s_or_b32 exec_lo, exec_lo, s5
	v_or_b32_e32 v36, 0x1080, v0
	v_dual_mov_b32 v34, 0 :: v_dual_mov_b32 v35, 0
	s_mov_b32 s5, exec_lo
	s_delay_alu instid0(VALU_DEP_2)
	v_cmpx_gt_u32_e64 s4, v36
	s_cbranch_execz .LBB116_446
; %bb.445:
	global_load_u8 v35, v36, s[2:3]
	s_waitcnt vmcnt(0)
	v_cmp_ne_u16_e32 vcc_lo, 0, v35
	v_cndmask_b32_e64 v35, 0, 1, vcc_lo
.LBB116_446:
	s_or_b32 exec_lo, exec_lo, s5
	v_or_b32_e32 v36, 0x1100, v0
	s_mov_b32 s5, exec_lo
	s_delay_alu instid0(VALU_DEP_1)
	v_cmpx_gt_u32_e64 s4, v36
	s_cbranch_execz .LBB116_448
; %bb.447:
	global_load_u8 v34, v36, s[2:3]
	s_waitcnt vmcnt(0)
	v_cmp_ne_u16_e32 vcc_lo, 0, v34
	v_cndmask_b32_e64 v34, 0, 1, vcc_lo
.LBB116_448:
	s_or_b32 exec_lo, exec_lo, s5
	v_or_b32_e32 v38, 0x1180, v0
	v_dual_mov_b32 v36, 0 :: v_dual_mov_b32 v37, 0
	s_mov_b32 s5, exec_lo
	s_delay_alu instid0(VALU_DEP_2)
	v_cmpx_gt_u32_e64 s4, v38
	s_cbranch_execz .LBB116_450
; %bb.449:
	global_load_u8 v37, v38, s[2:3]
	s_waitcnt vmcnt(0)
	v_cmp_ne_u16_e32 vcc_lo, 0, v37
	v_cndmask_b32_e64 v37, 0, 1, vcc_lo
.LBB116_450:
	;; [unrolled: 25-line block ×15, first 2 shown]
	s_or_b32 exec_lo, exec_lo, s5
	v_or_b32_e32 v64, 0x1f00, v0
	s_mov_b32 s5, exec_lo
	s_delay_alu instid0(VALU_DEP_1)
	v_cmpx_gt_u32_e64 s4, v64
	s_cbranch_execz .LBB116_504
; %bb.503:
	global_load_u8 v62, v64, s[2:3]
	s_waitcnt vmcnt(0)
	v_cmp_ne_u16_e32 vcc_lo, 0, v62
	v_cndmask_b32_e64 v62, 0, 1, vcc_lo
.LBB116_504:
	s_or_b32 exec_lo, exec_lo, s5
	v_or_b32_e32 v65, 0x1f80, v0
	v_mov_b32_e32 v64, 0
	s_mov_b32 s5, exec_lo
	s_delay_alu instid0(VALU_DEP_2)
	v_cmpx_gt_u32_e64 s4, v65
	s_cbranch_execz .LBB116_506
; %bb.505:
	global_load_u8 v64, v65, s[2:3]
	s_waitcnt vmcnt(0)
	v_cmp_ne_u16_e32 vcc_lo, 0, v64
	v_cndmask_b32_e64 v64, 0, 1, vcc_lo
.LBB116_506:
	s_or_b32 exec_lo, exec_lo, s5
	v_add_nc_u32_e32 v1, v3, v1
	s_min_u32 s2, s4, 0x80
	s_mov_b32 s3, exec_lo
	s_delay_alu instid0(VALU_DEP_1) | instskip(SKIP_1) | instid1(VALU_DEP_2)
	v_add3_u32 v1, v1, v2, v5
	v_mbcnt_lo_u32_b32 v2, -1, 0
	v_add3_u32 v1, v1, v4, v7
	s_delay_alu instid0(VALU_DEP_2) | instskip(NEXT) | instid1(VALU_DEP_2)
	v_cmp_ne_u32_e32 vcc_lo, 31, v2
	v_add3_u32 v1, v1, v6, v9
	v_add_co_ci_u32_e32 v3, vcc_lo, 0, v2, vcc_lo
	v_cmp_gt_u32_e32 vcc_lo, 30, v2
	v_add_nc_u32_e32 v6, 1, v2
	s_delay_alu instid0(VALU_DEP_4) | instskip(NEXT) | instid1(VALU_DEP_4)
	v_add3_u32 v1, v1, v8, v11
	v_lshlrev_b32_e32 v3, 2, v3
	v_cndmask_b32_e64 v5, 0, 1, vcc_lo
	s_delay_alu instid0(VALU_DEP_3) | instskip(NEXT) | instid1(VALU_DEP_2)
	v_add3_u32 v1, v1, v10, v13
	v_lshlrev_b32_e32 v5, 1, v5
	s_delay_alu instid0(VALU_DEP_2) | instskip(NEXT) | instid1(VALU_DEP_2)
	v_add3_u32 v1, v1, v12, v15
	v_add_lshl_u32 v5, v5, v2, 2
	s_delay_alu instid0(VALU_DEP_2) | instskip(NEXT) | instid1(VALU_DEP_1)
	v_add3_u32 v1, v1, v14, v17
	v_add3_u32 v1, v1, v16, v19
	s_delay_alu instid0(VALU_DEP_1) | instskip(NEXT) | instid1(VALU_DEP_1)
	v_add3_u32 v1, v1, v18, v21
	v_add3_u32 v1, v1, v20, v23
	s_delay_alu instid0(VALU_DEP_1) | instskip(NEXT) | instid1(VALU_DEP_1)
	;; [unrolled: 3-line block ×11, first 2 shown]
	v_add3_u32 v1, v1, v58, v61
	v_add3_u32 v1, v1, v60, v63
	s_delay_alu instid0(VALU_DEP_1) | instskip(SKIP_2) | instid1(VALU_DEP_1)
	v_add3_u32 v1, v1, v62, v64
	ds_bpermute_b32 v3, v3, v1
	v_and_b32_e32 v4, 0x60, v0
	v_sub_nc_u32_e64 v4, s2, v4 clamp
	s_delay_alu instid0(VALU_DEP_1) | instskip(SKIP_3) | instid1(VALU_DEP_2)
	v_cmp_lt_u32_e32 vcc_lo, v6, v4
	s_waitcnt lgkmcnt(0)
	v_dual_cndmask_b32 v3, 0, v3 :: v_dual_add_nc_u32 v6, 2, v2
	v_cmp_gt_u32_e32 vcc_lo, 28, v2
	v_add_nc_u32_e32 v1, v3, v1
	ds_bpermute_b32 v3, v5, v1
	v_cndmask_b32_e64 v5, 0, 1, vcc_lo
	v_cmp_lt_u32_e32 vcc_lo, v6, v4
	v_add_nc_u32_e32 v6, 4, v2
	s_delay_alu instid0(VALU_DEP_3) | instskip(NEXT) | instid1(VALU_DEP_1)
	v_lshlrev_b32_e32 v5, 2, v5
	v_add_lshl_u32 v5, v5, v2, 2
	s_waitcnt lgkmcnt(0)
	v_cndmask_b32_e32 v3, 0, v3, vcc_lo
	v_cmp_gt_u32_e32 vcc_lo, 24, v2
	s_delay_alu instid0(VALU_DEP_2) | instskip(SKIP_4) | instid1(VALU_DEP_3)
	v_add_nc_u32_e32 v1, v1, v3
	ds_bpermute_b32 v3, v5, v1
	v_cndmask_b32_e64 v5, 0, 1, vcc_lo
	v_cmp_lt_u32_e32 vcc_lo, v6, v4
	v_add_nc_u32_e32 v6, 8, v2
	v_lshlrev_b32_e32 v5, 3, v5
	s_delay_alu instid0(VALU_DEP_1) | instskip(SKIP_3) | instid1(VALU_DEP_2)
	v_add_lshl_u32 v5, v5, v2, 2
	s_waitcnt lgkmcnt(0)
	v_cndmask_b32_e32 v3, 0, v3, vcc_lo
	v_cmp_gt_u32_e32 vcc_lo, 16, v2
	v_add_nc_u32_e32 v1, v1, v3
	ds_bpermute_b32 v3, v5, v1
	v_cndmask_b32_e64 v5, 0, 1, vcc_lo
	v_cmp_lt_u32_e32 vcc_lo, v6, v4
	s_delay_alu instid0(VALU_DEP_2) | instskip(NEXT) | instid1(VALU_DEP_1)
	v_lshlrev_b32_e32 v5, 4, v5
	v_add_lshl_u32 v5, v5, v2, 2
	s_waitcnt lgkmcnt(0)
	v_cndmask_b32_e32 v3, 0, v3, vcc_lo
	s_delay_alu instid0(VALU_DEP_1) | instskip(SKIP_2) | instid1(VALU_DEP_1)
	v_add_nc_u32_e32 v1, v1, v3
	ds_bpermute_b32 v3, v5, v1
	v_add_nc_u32_e32 v5, 16, v2
	v_cmp_lt_u32_e32 vcc_lo, v5, v4
	s_waitcnt lgkmcnt(0)
	v_cndmask_b32_e32 v3, 0, v3, vcc_lo
	s_delay_alu instid0(VALU_DEP_1)
	v_add_nc_u32_e32 v1, v1, v3
	v_cmpx_eq_u32_e32 0, v2
	s_cbranch_execz .LBB116_508
; %bb.507:
	v_lshrrev_b32_e32 v3, 3, v0
	s_delay_alu instid0(VALU_DEP_1)
	v_and_b32_e32 v3, 12, v3
	ds_store_b32 v3, v1 offset:128
.LBB116_508:
	s_or_b32 exec_lo, exec_lo, s3
	s_delay_alu instid0(SALU_CYCLE_1)
	s_mov_b32 s3, exec_lo
	s_waitcnt lgkmcnt(0)
	s_barrier
	buffer_gl0_inv
	v_cmpx_gt_u32_e32 4, v0
	s_cbranch_execz .LBB116_510
; %bb.509:
	v_and_b32_e32 v3, 3, v2
	s_add_i32 s2, s2, 31
	s_delay_alu instid0(SALU_CYCLE_1) | instskip(NEXT) | instid1(VALU_DEP_1)
	s_lshr_b32 s2, s2, 5
	v_cmp_ne_u32_e32 vcc_lo, 3, v3
	v_add_nc_u32_e32 v5, 1, v3
	v_add_co_ci_u32_e32 v4, vcc_lo, 0, v2, vcc_lo
	v_cmp_gt_u32_e32 vcc_lo, 2, v3
	v_add_nc_u32_e32 v3, 2, v3
	s_delay_alu instid0(VALU_DEP_3) | instskip(SKIP_3) | instid1(VALU_DEP_3)
	v_lshlrev_b32_e32 v4, 2, v4
	v_cndmask_b32_e64 v6, 0, 1, vcc_lo
	v_cmp_gt_u32_e32 vcc_lo, s2, v5
	v_lshlrev_b32_e32 v1, 2, v2
	v_lshlrev_b32_e32 v5, 1, v6
	ds_load_b32 v1, v1 offset:128
	v_add_lshl_u32 v2, v5, v2, 2
	s_waitcnt lgkmcnt(0)
	ds_bpermute_b32 v4, v4, v1
	s_waitcnt lgkmcnt(0)
	v_cndmask_b32_e32 v4, 0, v4, vcc_lo
	v_cmp_gt_u32_e32 vcc_lo, s2, v3
	s_delay_alu instid0(VALU_DEP_2) | instskip(SKIP_3) | instid1(VALU_DEP_1)
	v_add_nc_u32_e32 v1, v4, v1
	ds_bpermute_b32 v2, v2, v1
	s_waitcnt lgkmcnt(0)
	v_cndmask_b32_e32 v2, 0, v2, vcc_lo
	v_add_nc_u32_e32 v1, v1, v2
.LBB116_510:
	s_or_b32 exec_lo, exec_lo, s3
.LBB116_511:
	v_cmp_eq_u32_e64 s2, 0, v0
.LBB116_512:
	s_branch .LBB116_623
.LBB116_513:
	s_cmp_gt_i32 s26, 3
	s_cbranch_scc0 .LBB116_522
; %bb.514:
	s_cmp_gt_i32 s26, 7
	s_cbranch_scc0 .LBB116_523
; %bb.515:
	s_cmp_eq_u32 s26, 8
	s_cbranch_scc0 .LBB116_531
; %bb.516:
	s_lshl_b32 s2, s18, 10
	s_lshr_b64 s[4:5], s[20:21], 10
	s_mov_b32 s19, 0
	s_add_u32 s8, s24, s2
	s_addc_u32 s9, s25, 0
	s_cmp_lg_u64 s[4:5], s[18:19]
	s_cbranch_scc0 .LBB116_573
; %bb.517:
	s_clause 0x7
	global_load_u8 v1, v0, s[8:9]
	global_load_u8 v2, v0, s[8:9] offset:256
	global_load_u8 v3, v0, s[8:9] offset:128
	;; [unrolled: 1-line block ×7, first 2 shown]
	s_mov_b32 s3, exec_lo
	s_waitcnt vmcnt(7)
	v_cmp_ne_u16_e32 vcc_lo, 0, v1
	v_cndmask_b32_e64 v1, 0, 1, vcc_lo
	s_waitcnt vmcnt(6)
	v_cmp_ne_u16_e32 vcc_lo, 0, v2
	v_cndmask_b32_e64 v2, 0, 1, vcc_lo
	s_waitcnt vmcnt(5)
	v_cmp_ne_u16_e32 vcc_lo, 0, v3
	v_add_co_ci_u32_e32 v1, vcc_lo, 0, v1, vcc_lo
	s_waitcnt vmcnt(4)
	v_cmp_ne_u16_e32 vcc_lo, 0, v4
	v_cndmask_b32_e64 v3, 0, 1, vcc_lo
	s_waitcnt vmcnt(3)
	v_cmp_ne_u16_e32 vcc_lo, 0, v5
	v_add_co_ci_u32_e32 v1, vcc_lo, v1, v2, vcc_lo
	;; [unrolled: 6-line block ×3, first 2 shown]
	s_waitcnt vmcnt(0)
	v_cmp_ne_u16_e32 vcc_lo, 0, v8
	s_delay_alu instid0(VALU_DEP_2) | instskip(NEXT) | instid1(VALU_DEP_1)
	v_add_co_ci_u32_e32 v1, vcc_lo, v1, v2, vcc_lo
	v_mov_b32_dpp v2, v1 quad_perm:[1,0,3,2] row_mask:0xf bank_mask:0xf
	s_delay_alu instid0(VALU_DEP_1) | instskip(NEXT) | instid1(VALU_DEP_1)
	v_add_nc_u32_e32 v1, v1, v2
	v_mov_b32_dpp v2, v1 quad_perm:[2,3,0,1] row_mask:0xf bank_mask:0xf
	s_delay_alu instid0(VALU_DEP_1) | instskip(NEXT) | instid1(VALU_DEP_1)
	v_add_nc_u32_e32 v1, v1, v2
	v_mov_b32_dpp v2, v1 row_ror:4 row_mask:0xf bank_mask:0xf
	s_delay_alu instid0(VALU_DEP_1) | instskip(NEXT) | instid1(VALU_DEP_1)
	v_add_nc_u32_e32 v1, v1, v2
	v_mov_b32_dpp v2, v1 row_ror:8 row_mask:0xf bank_mask:0xf
	s_delay_alu instid0(VALU_DEP_1)
	v_add_nc_u32_e32 v1, v1, v2
	ds_swizzle_b32 v2, v1 offset:swizzle(BROADCAST,32,15)
	s_waitcnt lgkmcnt(0)
	v_dual_mov_b32 v2, 0 :: v_dual_add_nc_u32 v1, v1, v2
	ds_bpermute_b32 v1, v2, v1 offset:124
	v_mbcnt_lo_u32_b32 v2, -1, 0
	s_delay_alu instid0(VALU_DEP_1)
	v_cmpx_eq_u32_e32 0, v2
	s_cbranch_execz .LBB116_519
; %bb.518:
	v_lshrrev_b32_e32 v3, 3, v0
	s_delay_alu instid0(VALU_DEP_1)
	v_and_b32_e32 v3, 12, v3
	s_waitcnt lgkmcnt(0)
	ds_store_b32 v3, v1 offset:112
.LBB116_519:
	s_or_b32 exec_lo, exec_lo, s3
	s_delay_alu instid0(SALU_CYCLE_1)
	s_mov_b32 s3, exec_lo
	s_waitcnt lgkmcnt(0)
	s_barrier
	buffer_gl0_inv
	v_cmpx_gt_u32_e32 32, v0
	s_cbranch_execz .LBB116_521
; %bb.520:
	v_lshl_or_b32 v1, v2, 2, 0x70
	v_and_b32_e32 v3, 3, v2
	ds_load_b32 v1, v1
	v_cmp_ne_u32_e32 vcc_lo, 3, v3
	v_add_co_ci_u32_e32 v4, vcc_lo, 0, v2, vcc_lo
	v_cmp_gt_u32_e32 vcc_lo, 2, v3
	s_delay_alu instid0(VALU_DEP_2) | instskip(SKIP_1) | instid1(VALU_DEP_1)
	v_lshlrev_b32_e32 v4, 2, v4
	v_cndmask_b32_e64 v3, 0, 1, vcc_lo
	v_lshlrev_b32_e32 v3, 1, v3
	s_waitcnt lgkmcnt(0)
	ds_bpermute_b32 v4, v4, v1
	v_add_lshl_u32 v2, v3, v2, 2
	s_waitcnt lgkmcnt(0)
	v_add_nc_u32_e32 v1, v4, v1
	ds_bpermute_b32 v2, v2, v1
	s_waitcnt lgkmcnt(0)
	v_add_nc_u32_e32 v1, v2, v1
.LBB116_521:
	s_or_b32 exec_lo, exec_lo, s3
	s_mov_b32 s3, 0
	s_branch .LBB116_574
.LBB116_522:
                                        ; implicit-def: $vgpr1
	s_cbranch_execnz .LBB116_614
	s_branch .LBB116_623
.LBB116_523:
                                        ; implicit-def: $vgpr1
	s_cbranch_execz .LBB116_597
; %bb.524:
	s_cmp_eq_u32 s26, 4
	s_cbranch_scc0 .LBB116_532
; %bb.525:
	s_lshl_b32 s2, s18, 9
	s_lshr_b64 s[6:7], s[20:21], 9
	s_mov_b32 s19, 0
	s_add_u32 s4, s24, s2
	s_addc_u32 s5, s25, 0
	s_cmp_lg_u64 s[6:7], s[18:19]
	s_cbranch_scc0 .LBB116_598
; %bb.526:
	s_clause 0x3
	global_load_u8 v1, v0, s[4:5]
	global_load_u8 v2, v0, s[4:5] offset:256
	global_load_u8 v3, v0, s[4:5] offset:128
	;; [unrolled: 1-line block ×3, first 2 shown]
	s_mov_b32 s3, exec_lo
	s_waitcnt vmcnt(3)
	v_cmp_ne_u16_e32 vcc_lo, 0, v1
	v_cndmask_b32_e64 v1, 0, 1, vcc_lo
	s_waitcnt vmcnt(2)
	v_cmp_ne_u16_e32 vcc_lo, 0, v2
	v_cndmask_b32_e64 v2, 0, 1, vcc_lo
	s_waitcnt vmcnt(1)
	v_cmp_ne_u16_e32 vcc_lo, 0, v3
	v_add_co_ci_u32_e32 v1, vcc_lo, 0, v1, vcc_lo
	s_waitcnt vmcnt(0)
	v_cmp_ne_u16_e32 vcc_lo, 0, v4
	s_delay_alu instid0(VALU_DEP_2) | instskip(NEXT) | instid1(VALU_DEP_1)
	v_add_co_ci_u32_e32 v1, vcc_lo, v1, v2, vcc_lo
	v_mov_b32_dpp v2, v1 quad_perm:[1,0,3,2] row_mask:0xf bank_mask:0xf
	s_delay_alu instid0(VALU_DEP_1) | instskip(NEXT) | instid1(VALU_DEP_1)
	v_add_nc_u32_e32 v1, v1, v2
	v_mov_b32_dpp v2, v1 quad_perm:[2,3,0,1] row_mask:0xf bank_mask:0xf
	s_delay_alu instid0(VALU_DEP_1) | instskip(NEXT) | instid1(VALU_DEP_1)
	v_add_nc_u32_e32 v1, v1, v2
	v_mov_b32_dpp v2, v1 row_ror:4 row_mask:0xf bank_mask:0xf
	s_delay_alu instid0(VALU_DEP_1) | instskip(NEXT) | instid1(VALU_DEP_1)
	v_add_nc_u32_e32 v1, v1, v2
	v_mov_b32_dpp v2, v1 row_ror:8 row_mask:0xf bank_mask:0xf
	s_delay_alu instid0(VALU_DEP_1)
	v_add_nc_u32_e32 v1, v1, v2
	ds_swizzle_b32 v2, v1 offset:swizzle(BROADCAST,32,15)
	s_waitcnt lgkmcnt(0)
	v_dual_mov_b32 v2, 0 :: v_dual_add_nc_u32 v1, v1, v2
	ds_bpermute_b32 v1, v2, v1 offset:124
	v_mbcnt_lo_u32_b32 v2, -1, 0
	s_delay_alu instid0(VALU_DEP_1)
	v_cmpx_eq_u32_e32 0, v2
	s_cbranch_execz .LBB116_528
; %bb.527:
	v_lshrrev_b32_e32 v3, 3, v0
	s_delay_alu instid0(VALU_DEP_1)
	v_and_b32_e32 v3, 12, v3
	s_waitcnt lgkmcnt(0)
	ds_store_b32 v3, v1 offset:80
.LBB116_528:
	s_or_b32 exec_lo, exec_lo, s3
	s_delay_alu instid0(SALU_CYCLE_1)
	s_mov_b32 s3, exec_lo
	s_waitcnt lgkmcnt(0)
	s_barrier
	buffer_gl0_inv
	v_cmpx_gt_u32_e32 32, v0
	s_cbranch_execz .LBB116_530
; %bb.529:
	v_and_b32_e32 v1, 3, v2
	s_delay_alu instid0(VALU_DEP_1) | instskip(SKIP_4) | instid1(VALU_DEP_2)
	v_lshlrev_b32_e32 v3, 2, v1
	v_cmp_ne_u32_e32 vcc_lo, 3, v1
	ds_load_b32 v3, v3 offset:80
	v_add_co_ci_u32_e32 v4, vcc_lo, 0, v2, vcc_lo
	v_cmp_gt_u32_e32 vcc_lo, 2, v1
	v_lshlrev_b32_e32 v4, 2, v4
	v_cndmask_b32_e64 v1, 0, 1, vcc_lo
	s_delay_alu instid0(VALU_DEP_1) | instskip(NEXT) | instid1(VALU_DEP_1)
	v_lshlrev_b32_e32 v1, 1, v1
	v_add_lshl_u32 v1, v1, v2, 2
	s_waitcnt lgkmcnt(0)
	ds_bpermute_b32 v4, v4, v3
	s_waitcnt lgkmcnt(0)
	v_add_nc_u32_e32 v3, v4, v3
	ds_bpermute_b32 v1, v1, v3
	s_waitcnt lgkmcnt(0)
	v_add_nc_u32_e32 v1, v1, v3
.LBB116_530:
	s_or_b32 exec_lo, exec_lo, s3
	s_mov_b32 s3, 0
	s_branch .LBB116_599
.LBB116_531:
                                        ; implicit-def: $vgpr1
	s_branch .LBB116_597
.LBB116_532:
                                        ; implicit-def: $vgpr1
	s_branch .LBB116_623
.LBB116_533:
	s_mov_b32 s3, -1
                                        ; implicit-def: $vgpr1
.LBB116_534:
	s_delay_alu instid0(SALU_CYCLE_1)
	s_and_b32 vcc_lo, exec_lo, s3
	s_cbranch_vccz .LBB116_572
; %bb.535:
	s_sub_i32 s27, s20, s2
	s_mov_b32 s2, exec_lo
                                        ; implicit-def: $vgpr1_vgpr2_vgpr3_vgpr4_vgpr5_vgpr6_vgpr7_vgpr8_vgpr9_vgpr10_vgpr11_vgpr12_vgpr13_vgpr14_vgpr15_vgpr16
	v_cmpx_gt_u32_e64 s27, v0
	s_cbranch_execz .LBB116_537
; %bb.536:
	global_load_u8 v1, v0, s[16:17]
	s_waitcnt vmcnt(0)
	v_cmp_ne_u16_e32 vcc_lo, 0, v1
	v_cndmask_b32_e64 v1, 0, 1, vcc_lo
.LBB116_537:
	s_or_b32 exec_lo, exec_lo, s2
	v_or_b32_e32 v17, 0x80, v0
	s_delay_alu instid0(VALU_DEP_1)
	v_cmp_gt_u32_e32 vcc_lo, s27, v17
	s_and_saveexec_b32 s3, vcc_lo
	s_cbranch_execz .LBB116_539
; %bb.538:
	global_load_u8 v2, v0, s[16:17] offset:128
	s_waitcnt vmcnt(0)
	v_cmp_ne_u16_e64 s2, 0, v2
	s_delay_alu instid0(VALU_DEP_1)
	v_cndmask_b32_e64 v2, 0, 1, s2
.LBB116_539:
	s_or_b32 exec_lo, exec_lo, s3
	v_or_b32_e32 v17, 0x100, v0
	s_delay_alu instid0(VALU_DEP_1) | instskip(NEXT) | instid1(VALU_DEP_1)
	v_cmp_gt_u32_e64 s2, s27, v17
	s_and_saveexec_b32 s4, s2
	s_cbranch_execz .LBB116_541
; %bb.540:
	global_load_u8 v3, v0, s[16:17] offset:256
	s_waitcnt vmcnt(0)
	v_cmp_ne_u16_e64 s3, 0, v3
	s_delay_alu instid0(VALU_DEP_1)
	v_cndmask_b32_e64 v3, 0, 1, s3
.LBB116_541:
	s_or_b32 exec_lo, exec_lo, s4
	v_or_b32_e32 v17, 0x180, v0
	s_delay_alu instid0(VALU_DEP_1) | instskip(NEXT) | instid1(VALU_DEP_1)
	v_cmp_gt_u32_e64 s3, s27, v17
	s_and_saveexec_b32 s5, s3
	;; [unrolled: 13-line block ×14, first 2 shown]
	s_cbranch_execz .LBB116_567
; %bb.566:
	global_load_u8 v16, v0, s[16:17] offset:1920
	s_waitcnt vmcnt(0)
	v_cmp_ne_u16_e64 s16, 0, v16
	s_delay_alu instid0(VALU_DEP_1)
	v_cndmask_b32_e64 v16, 0, 1, s16
.LBB116_567:
	s_or_b32 exec_lo, exec_lo, s28
	v_cndmask_b32_e32 v2, 0, v2, vcc_lo
	v_cndmask_b32_e64 v3, 0, v3, s2
	v_cndmask_b32_e64 v4, 0, v4, s3
	s_min_u32 s2, s27, 0x80
	s_mov_b32 s3, exec_lo
	v_add_nc_u32_e32 v1, v2, v1
	v_cndmask_b32_e64 v2, 0, v5, s4
	v_cndmask_b32_e64 v5, 0, v6, s5
	v_cndmask_b32_e64 v6, 0, v14, s13
	s_delay_alu instid0(VALU_DEP_4) | instskip(SKIP_3) | instid1(VALU_DEP_4)
	v_add3_u32 v1, v1, v3, v4
	v_cndmask_b32_e64 v3, 0, v7, s6
	v_cndmask_b32_e64 v4, 0, v8, s7
	;; [unrolled: 1-line block ×3, first 2 shown]
	v_add3_u32 v1, v1, v2, v5
	v_cndmask_b32_e64 v2, 0, v9, s8
	v_cndmask_b32_e64 v5, 0, v10, s9
	s_delay_alu instid0(VALU_DEP_3) | instskip(SKIP_2) | instid1(VALU_DEP_3)
	v_add3_u32 v1, v1, v3, v4
	v_cndmask_b32_e64 v3, 0, v11, s10
	v_cndmask_b32_e64 v4, 0, v12, s11
	v_add3_u32 v1, v1, v2, v5
	v_mbcnt_lo_u32_b32 v2, -1, 0
	v_cndmask_b32_e64 v5, 0, v13, s12
	s_delay_alu instid0(VALU_DEP_3) | instskip(NEXT) | instid1(VALU_DEP_3)
	v_add3_u32 v1, v1, v3, v4
	v_cmp_ne_u32_e32 vcc_lo, 31, v2
	v_cndmask_b32_e64 v3, 0, v16, s15
	s_delay_alu instid0(VALU_DEP_3) | instskip(SKIP_3) | instid1(VALU_DEP_4)
	v_add3_u32 v1, v1, v5, v6
	v_add_co_ci_u32_e32 v4, vcc_lo, 0, v2, vcc_lo
	v_cmp_gt_u32_e32 vcc_lo, 30, v2
	v_add_nc_u32_e32 v6, 1, v2
	v_add3_u32 v1, v1, v7, v3
	s_delay_alu instid0(VALU_DEP_4) | instskip(SKIP_4) | instid1(VALU_DEP_2)
	v_lshlrev_b32_e32 v4, 2, v4
	v_cndmask_b32_e64 v5, 0, 1, vcc_lo
	ds_bpermute_b32 v3, v4, v1
	v_and_b32_e32 v4, 0x60, v0
	v_lshlrev_b32_e32 v5, 1, v5
	v_sub_nc_u32_e64 v4, s2, v4 clamp
	s_delay_alu instid0(VALU_DEP_2) | instskip(NEXT) | instid1(VALU_DEP_2)
	v_add_lshl_u32 v5, v5, v2, 2
	v_cmp_lt_u32_e32 vcc_lo, v6, v4
	s_waitcnt lgkmcnt(0)
	v_dual_cndmask_b32 v3, 0, v3 :: v_dual_add_nc_u32 v6, 2, v2
	v_cmp_gt_u32_e32 vcc_lo, 28, v2
	s_delay_alu instid0(VALU_DEP_2) | instskip(SKIP_4) | instid1(VALU_DEP_3)
	v_add_nc_u32_e32 v1, v1, v3
	ds_bpermute_b32 v3, v5, v1
	v_cndmask_b32_e64 v5, 0, 1, vcc_lo
	v_cmp_lt_u32_e32 vcc_lo, v6, v4
	v_add_nc_u32_e32 v6, 4, v2
	v_lshlrev_b32_e32 v5, 2, v5
	s_delay_alu instid0(VALU_DEP_1) | instskip(SKIP_3) | instid1(VALU_DEP_2)
	v_add_lshl_u32 v5, v5, v2, 2
	s_waitcnt lgkmcnt(0)
	v_cndmask_b32_e32 v3, 0, v3, vcc_lo
	v_cmp_gt_u32_e32 vcc_lo, 24, v2
	v_add_nc_u32_e32 v1, v1, v3
	ds_bpermute_b32 v3, v5, v1
	v_cndmask_b32_e64 v5, 0, 1, vcc_lo
	v_cmp_lt_u32_e32 vcc_lo, v6, v4
	v_add_nc_u32_e32 v6, 8, v2
	s_delay_alu instid0(VALU_DEP_3) | instskip(NEXT) | instid1(VALU_DEP_1)
	v_lshlrev_b32_e32 v5, 3, v5
	v_add_lshl_u32 v5, v5, v2, 2
	s_waitcnt lgkmcnt(0)
	v_cndmask_b32_e32 v3, 0, v3, vcc_lo
	v_cmp_gt_u32_e32 vcc_lo, 16, v2
	s_delay_alu instid0(VALU_DEP_2) | instskip(SKIP_3) | instid1(VALU_DEP_2)
	v_add_nc_u32_e32 v1, v1, v3
	ds_bpermute_b32 v3, v5, v1
	v_cndmask_b32_e64 v5, 0, 1, vcc_lo
	v_cmp_lt_u32_e32 vcc_lo, v6, v4
	v_lshlrev_b32_e32 v5, 4, v5
	s_delay_alu instid0(VALU_DEP_1) | instskip(SKIP_2) | instid1(VALU_DEP_1)
	v_add_lshl_u32 v5, v5, v2, 2
	s_waitcnt lgkmcnt(0)
	v_cndmask_b32_e32 v3, 0, v3, vcc_lo
	v_add_nc_u32_e32 v1, v1, v3
	ds_bpermute_b32 v3, v5, v1
	v_add_nc_u32_e32 v5, 16, v2
	s_delay_alu instid0(VALU_DEP_1) | instskip(SKIP_2) | instid1(VALU_DEP_1)
	v_cmp_lt_u32_e32 vcc_lo, v5, v4
	s_waitcnt lgkmcnt(0)
	v_cndmask_b32_e32 v3, 0, v3, vcc_lo
	v_add_nc_u32_e32 v1, v1, v3
	v_cmpx_eq_u32_e32 0, v2
	s_cbranch_execz .LBB116_569
; %bb.568:
	v_lshrrev_b32_e32 v3, 3, v0
	s_delay_alu instid0(VALU_DEP_1)
	v_and_b32_e32 v3, 12, v3
	ds_store_b32 v3, v1 offset:128
.LBB116_569:
	s_or_b32 exec_lo, exec_lo, s3
	s_delay_alu instid0(SALU_CYCLE_1)
	s_mov_b32 s3, exec_lo
	s_waitcnt lgkmcnt(0)
	s_barrier
	buffer_gl0_inv
	v_cmpx_gt_u32_e32 4, v0
	s_cbranch_execz .LBB116_571
; %bb.570:
	v_and_b32_e32 v3, 3, v2
	s_add_i32 s2, s2, 31
	s_delay_alu instid0(SALU_CYCLE_1) | instskip(NEXT) | instid1(VALU_DEP_1)
	s_lshr_b32 s2, s2, 5
	v_cmp_ne_u32_e32 vcc_lo, 3, v3
	v_add_nc_u32_e32 v5, 1, v3
	v_add_co_ci_u32_e32 v4, vcc_lo, 0, v2, vcc_lo
	v_cmp_gt_u32_e32 vcc_lo, 2, v3
	v_add_nc_u32_e32 v3, 2, v3
	s_delay_alu instid0(VALU_DEP_3) | instskip(SKIP_3) | instid1(VALU_DEP_3)
	v_lshlrev_b32_e32 v4, 2, v4
	v_cndmask_b32_e64 v6, 0, 1, vcc_lo
	v_cmp_gt_u32_e32 vcc_lo, s2, v5
	v_lshlrev_b32_e32 v1, 2, v2
	v_lshlrev_b32_e32 v5, 1, v6
	ds_load_b32 v1, v1 offset:128
	v_add_lshl_u32 v2, v5, v2, 2
	s_waitcnt lgkmcnt(0)
	ds_bpermute_b32 v4, v4, v1
	s_waitcnt lgkmcnt(0)
	v_cndmask_b32_e32 v4, 0, v4, vcc_lo
	v_cmp_gt_u32_e32 vcc_lo, s2, v3
	s_delay_alu instid0(VALU_DEP_2) | instskip(SKIP_3) | instid1(VALU_DEP_1)
	v_add_nc_u32_e32 v1, v4, v1
	ds_bpermute_b32 v2, v2, v1
	s_waitcnt lgkmcnt(0)
	v_cndmask_b32_e32 v2, 0, v2, vcc_lo
	v_add_nc_u32_e32 v1, v1, v2
.LBB116_571:
	s_or_b32 exec_lo, exec_lo, s3
.LBB116_572:
	v_cmp_eq_u32_e64 s2, 0, v0
	s_branch .LBB116_623
.LBB116_573:
	s_mov_b32 s3, -1
                                        ; implicit-def: $vgpr1
.LBB116_574:
	s_delay_alu instid0(SALU_CYCLE_1)
	s_and_b32 vcc_lo, exec_lo, s3
	s_cbranch_vccz .LBB116_596
; %bb.575:
	s_sub_i32 s10, s20, s2
	s_mov_b32 s2, exec_lo
                                        ; implicit-def: $vgpr1_vgpr2_vgpr3_vgpr4_vgpr5_vgpr6_vgpr7_vgpr8
	v_cmpx_gt_u32_e64 s10, v0
	s_cbranch_execz .LBB116_577
; %bb.576:
	global_load_u8 v1, v0, s[8:9]
	s_waitcnt vmcnt(0)
	v_cmp_ne_u16_e32 vcc_lo, 0, v1
	v_cndmask_b32_e64 v1, 0, 1, vcc_lo
.LBB116_577:
	s_or_b32 exec_lo, exec_lo, s2
	v_or_b32_e32 v9, 0x80, v0
	s_delay_alu instid0(VALU_DEP_1)
	v_cmp_gt_u32_e32 vcc_lo, s10, v9
	s_and_saveexec_b32 s3, vcc_lo
	s_cbranch_execz .LBB116_579
; %bb.578:
	global_load_u8 v2, v0, s[8:9] offset:128
	s_waitcnt vmcnt(0)
	v_cmp_ne_u16_e64 s2, 0, v2
	s_delay_alu instid0(VALU_DEP_1)
	v_cndmask_b32_e64 v2, 0, 1, s2
.LBB116_579:
	s_or_b32 exec_lo, exec_lo, s3
	v_or_b32_e32 v9, 0x100, v0
	s_delay_alu instid0(VALU_DEP_1) | instskip(NEXT) | instid1(VALU_DEP_1)
	v_cmp_gt_u32_e64 s2, s10, v9
	s_and_saveexec_b32 s4, s2
	s_cbranch_execz .LBB116_581
; %bb.580:
	global_load_u8 v3, v0, s[8:9] offset:256
	s_waitcnt vmcnt(0)
	v_cmp_ne_u16_e64 s3, 0, v3
	s_delay_alu instid0(VALU_DEP_1)
	v_cndmask_b32_e64 v3, 0, 1, s3
.LBB116_581:
	s_or_b32 exec_lo, exec_lo, s4
	v_or_b32_e32 v9, 0x180, v0
	s_delay_alu instid0(VALU_DEP_1) | instskip(NEXT) | instid1(VALU_DEP_1)
	v_cmp_gt_u32_e64 s3, s10, v9
	s_and_saveexec_b32 s5, s3
	;; [unrolled: 13-line block ×6, first 2 shown]
	s_cbranch_execz .LBB116_591
; %bb.590:
	global_load_u8 v8, v0, s[8:9] offset:896
	s_waitcnt vmcnt(0)
	v_cmp_ne_u16_e64 s8, 0, v8
	s_delay_alu instid0(VALU_DEP_1)
	v_cndmask_b32_e64 v8, 0, 1, s8
.LBB116_591:
	s_or_b32 exec_lo, exec_lo, s11
	v_cndmask_b32_e32 v2, 0, v2, vcc_lo
	v_cndmask_b32_e64 v3, 0, v3, s2
	v_cndmask_b32_e64 v4, 0, v4, s3
	;; [unrolled: 1-line block ×4, first 2 shown]
	v_add_nc_u32_e32 v1, v2, v1
	v_mbcnt_lo_u32_b32 v2, -1, 0
	v_cndmask_b32_e64 v7, 0, v7, s6
	s_min_u32 s2, s10, 0x80
	s_mov_b32 s3, exec_lo
	v_add3_u32 v1, v1, v3, v4
	v_cmp_ne_u32_e32 vcc_lo, 31, v2
	v_cndmask_b32_e64 v3, 0, v8, s7
	s_delay_alu instid0(VALU_DEP_3) | instskip(SKIP_3) | instid1(VALU_DEP_4)
	v_add3_u32 v1, v1, v5, v6
	v_add_co_ci_u32_e32 v4, vcc_lo, 0, v2, vcc_lo
	v_cmp_gt_u32_e32 vcc_lo, 30, v2
	v_add_nc_u32_e32 v6, 1, v2
	v_add3_u32 v1, v1, v7, v3
	s_delay_alu instid0(VALU_DEP_4) | instskip(SKIP_4) | instid1(VALU_DEP_2)
	v_lshlrev_b32_e32 v4, 2, v4
	v_cndmask_b32_e64 v5, 0, 1, vcc_lo
	ds_bpermute_b32 v3, v4, v1
	v_and_b32_e32 v4, 0x60, v0
	v_lshlrev_b32_e32 v5, 1, v5
	v_sub_nc_u32_e64 v4, s2, v4 clamp
	s_delay_alu instid0(VALU_DEP_2) | instskip(NEXT) | instid1(VALU_DEP_2)
	v_add_lshl_u32 v5, v5, v2, 2
	v_cmp_lt_u32_e32 vcc_lo, v6, v4
	s_waitcnt lgkmcnt(0)
	v_dual_cndmask_b32 v3, 0, v3 :: v_dual_add_nc_u32 v6, 2, v2
	v_cmp_gt_u32_e32 vcc_lo, 28, v2
	s_delay_alu instid0(VALU_DEP_2) | instskip(SKIP_4) | instid1(VALU_DEP_3)
	v_add_nc_u32_e32 v1, v1, v3
	ds_bpermute_b32 v3, v5, v1
	v_cndmask_b32_e64 v5, 0, 1, vcc_lo
	v_cmp_lt_u32_e32 vcc_lo, v6, v4
	v_add_nc_u32_e32 v6, 4, v2
	v_lshlrev_b32_e32 v5, 2, v5
	s_delay_alu instid0(VALU_DEP_1) | instskip(SKIP_3) | instid1(VALU_DEP_2)
	v_add_lshl_u32 v5, v5, v2, 2
	s_waitcnt lgkmcnt(0)
	v_cndmask_b32_e32 v3, 0, v3, vcc_lo
	v_cmp_gt_u32_e32 vcc_lo, 24, v2
	v_add_nc_u32_e32 v1, v1, v3
	ds_bpermute_b32 v3, v5, v1
	v_cndmask_b32_e64 v5, 0, 1, vcc_lo
	v_cmp_lt_u32_e32 vcc_lo, v6, v4
	v_add_nc_u32_e32 v6, 8, v2
	s_delay_alu instid0(VALU_DEP_3) | instskip(NEXT) | instid1(VALU_DEP_1)
	v_lshlrev_b32_e32 v5, 3, v5
	v_add_lshl_u32 v5, v5, v2, 2
	s_waitcnt lgkmcnt(0)
	v_cndmask_b32_e32 v3, 0, v3, vcc_lo
	v_cmp_gt_u32_e32 vcc_lo, 16, v2
	s_delay_alu instid0(VALU_DEP_2) | instskip(SKIP_3) | instid1(VALU_DEP_2)
	v_add_nc_u32_e32 v1, v1, v3
	ds_bpermute_b32 v3, v5, v1
	v_cndmask_b32_e64 v5, 0, 1, vcc_lo
	v_cmp_lt_u32_e32 vcc_lo, v6, v4
	v_lshlrev_b32_e32 v5, 4, v5
	s_delay_alu instid0(VALU_DEP_1) | instskip(SKIP_2) | instid1(VALU_DEP_1)
	v_add_lshl_u32 v5, v5, v2, 2
	s_waitcnt lgkmcnt(0)
	v_cndmask_b32_e32 v3, 0, v3, vcc_lo
	v_add_nc_u32_e32 v1, v1, v3
	ds_bpermute_b32 v3, v5, v1
	v_add_nc_u32_e32 v5, 16, v2
	s_delay_alu instid0(VALU_DEP_1) | instskip(SKIP_2) | instid1(VALU_DEP_1)
	v_cmp_lt_u32_e32 vcc_lo, v5, v4
	s_waitcnt lgkmcnt(0)
	v_cndmask_b32_e32 v3, 0, v3, vcc_lo
	v_add_nc_u32_e32 v1, v1, v3
	v_cmpx_eq_u32_e32 0, v2
	s_cbranch_execz .LBB116_593
; %bb.592:
	v_lshrrev_b32_e32 v3, 3, v0
	s_delay_alu instid0(VALU_DEP_1)
	v_and_b32_e32 v3, 12, v3
	ds_store_b32 v3, v1 offset:128
.LBB116_593:
	s_or_b32 exec_lo, exec_lo, s3
	s_delay_alu instid0(SALU_CYCLE_1)
	s_mov_b32 s3, exec_lo
	s_waitcnt lgkmcnt(0)
	s_barrier
	buffer_gl0_inv
	v_cmpx_gt_u32_e32 4, v0
	s_cbranch_execz .LBB116_595
; %bb.594:
	v_and_b32_e32 v3, 3, v2
	s_add_i32 s2, s2, 31
	s_delay_alu instid0(SALU_CYCLE_1) | instskip(NEXT) | instid1(VALU_DEP_1)
	s_lshr_b32 s2, s2, 5
	v_cmp_ne_u32_e32 vcc_lo, 3, v3
	v_add_nc_u32_e32 v5, 1, v3
	v_add_co_ci_u32_e32 v4, vcc_lo, 0, v2, vcc_lo
	v_cmp_gt_u32_e32 vcc_lo, 2, v3
	v_add_nc_u32_e32 v3, 2, v3
	s_delay_alu instid0(VALU_DEP_3) | instskip(SKIP_3) | instid1(VALU_DEP_3)
	v_lshlrev_b32_e32 v4, 2, v4
	v_cndmask_b32_e64 v6, 0, 1, vcc_lo
	v_cmp_gt_u32_e32 vcc_lo, s2, v5
	v_lshlrev_b32_e32 v1, 2, v2
	v_lshlrev_b32_e32 v5, 1, v6
	ds_load_b32 v1, v1 offset:128
	v_add_lshl_u32 v2, v5, v2, 2
	s_waitcnt lgkmcnt(0)
	ds_bpermute_b32 v4, v4, v1
	s_waitcnt lgkmcnt(0)
	v_cndmask_b32_e32 v4, 0, v4, vcc_lo
	v_cmp_gt_u32_e32 vcc_lo, s2, v3
	s_delay_alu instid0(VALU_DEP_2) | instskip(SKIP_3) | instid1(VALU_DEP_1)
	v_add_nc_u32_e32 v1, v4, v1
	ds_bpermute_b32 v2, v2, v1
	s_waitcnt lgkmcnt(0)
	v_cndmask_b32_e32 v2, 0, v2, vcc_lo
	v_add_nc_u32_e32 v1, v1, v2
.LBB116_595:
	s_or_b32 exec_lo, exec_lo, s3
.LBB116_596:
	v_cmp_eq_u32_e64 s2, 0, v0
.LBB116_597:
	s_branch .LBB116_623
.LBB116_598:
	s_mov_b32 s3, -1
                                        ; implicit-def: $vgpr1
.LBB116_599:
	s_delay_alu instid0(SALU_CYCLE_1)
	s_and_b32 vcc_lo, exec_lo, s3
	s_cbranch_vccz .LBB116_613
; %bb.600:
	s_sub_i32 s6, s20, s2
	s_mov_b32 s2, exec_lo
                                        ; implicit-def: $vgpr1_vgpr2_vgpr3_vgpr4
	v_cmpx_gt_u32_e64 s6, v0
	s_cbranch_execz .LBB116_602
; %bb.601:
	global_load_u8 v1, v0, s[4:5]
	s_waitcnt vmcnt(0)
	v_cmp_ne_u16_e32 vcc_lo, 0, v1
	v_cndmask_b32_e64 v1, 0, 1, vcc_lo
.LBB116_602:
	s_or_b32 exec_lo, exec_lo, s2
	v_or_b32_e32 v5, 0x80, v0
	s_delay_alu instid0(VALU_DEP_1)
	v_cmp_gt_u32_e32 vcc_lo, s6, v5
	s_and_saveexec_b32 s3, vcc_lo
	s_cbranch_execz .LBB116_604
; %bb.603:
	global_load_u8 v2, v0, s[4:5] offset:128
	s_waitcnt vmcnt(0)
	v_cmp_ne_u16_e64 s2, 0, v2
	s_delay_alu instid0(VALU_DEP_1)
	v_cndmask_b32_e64 v2, 0, 1, s2
.LBB116_604:
	s_or_b32 exec_lo, exec_lo, s3
	v_or_b32_e32 v5, 0x100, v0
	s_delay_alu instid0(VALU_DEP_1) | instskip(NEXT) | instid1(VALU_DEP_1)
	v_cmp_gt_u32_e64 s2, s6, v5
	s_and_saveexec_b32 s7, s2
	s_cbranch_execz .LBB116_606
; %bb.605:
	global_load_u8 v3, v0, s[4:5] offset:256
	s_waitcnt vmcnt(0)
	v_cmp_ne_u16_e64 s3, 0, v3
	s_delay_alu instid0(VALU_DEP_1)
	v_cndmask_b32_e64 v3, 0, 1, s3
.LBB116_606:
	s_or_b32 exec_lo, exec_lo, s7
	v_or_b32_e32 v5, 0x180, v0
	s_delay_alu instid0(VALU_DEP_1) | instskip(NEXT) | instid1(VALU_DEP_1)
	v_cmp_gt_u32_e64 s3, s6, v5
	s_and_saveexec_b32 s7, s3
	s_cbranch_execz .LBB116_608
; %bb.607:
	global_load_u8 v4, v0, s[4:5] offset:384
	s_waitcnt vmcnt(0)
	v_cmp_ne_u16_e64 s4, 0, v4
	s_delay_alu instid0(VALU_DEP_1)
	v_cndmask_b32_e64 v4, 0, 1, s4
.LBB116_608:
	s_or_b32 exec_lo, exec_lo, s7
	v_cndmask_b32_e32 v5, 0, v2, vcc_lo
	v_mbcnt_lo_u32_b32 v2, -1, 0
	v_cndmask_b32_e64 v3, 0, v3, s2
	v_cndmask_b32_e64 v4, 0, v4, s3
	s_min_u32 s2, s6, 0x80
	v_add_nc_u32_e32 v1, v5, v1
	v_cmp_ne_u32_e32 vcc_lo, 31, v2
	s_mov_b32 s3, exec_lo
	s_delay_alu instid0(VALU_DEP_2) | instskip(SKIP_3) | instid1(VALU_DEP_3)
	v_add3_u32 v1, v1, v3, v4
	v_and_b32_e32 v4, 0x60, v0
	v_add_co_ci_u32_e32 v5, vcc_lo, 0, v2, vcc_lo
	v_cmp_gt_u32_e32 vcc_lo, 30, v2
	v_sub_nc_u32_e64 v4, s2, v4 clamp
	s_delay_alu instid0(VALU_DEP_3) | instskip(SKIP_4) | instid1(VALU_DEP_2)
	v_lshlrev_b32_e32 v3, 2, v5
	v_cndmask_b32_e64 v5, 0, 1, vcc_lo
	ds_bpermute_b32 v3, v3, v1
	v_add_nc_u32_e32 v6, 1, v2
	v_lshlrev_b32_e32 v5, 1, v5
	v_cmp_lt_u32_e32 vcc_lo, v6, v4
	s_delay_alu instid0(VALU_DEP_2) | instskip(SKIP_3) | instid1(VALU_DEP_2)
	v_add_lshl_u32 v5, v5, v2, 2
	s_waitcnt lgkmcnt(0)
	v_cndmask_b32_e32 v3, 0, v3, vcc_lo
	v_cmp_gt_u32_e32 vcc_lo, 28, v2
	v_add_nc_u32_e32 v1, v3, v1
	ds_bpermute_b32 v3, v5, v1
	v_add_nc_u32_e32 v6, 2, v2
	v_cndmask_b32_e64 v5, 0, 1, vcc_lo
	s_delay_alu instid0(VALU_DEP_2) | instskip(NEXT) | instid1(VALU_DEP_2)
	v_cmp_lt_u32_e32 vcc_lo, v6, v4
	v_lshlrev_b32_e32 v5, 2, v5
	s_delay_alu instid0(VALU_DEP_1) | instskip(SKIP_3) | instid1(VALU_DEP_2)
	v_add_lshl_u32 v5, v5, v2, 2
	s_waitcnt lgkmcnt(0)
	v_cndmask_b32_e32 v3, 0, v3, vcc_lo
	v_cmp_gt_u32_e32 vcc_lo, 24, v2
	v_add_nc_u32_e32 v1, v1, v3
	ds_bpermute_b32 v3, v5, v1
	v_add_nc_u32_e32 v6, 4, v2
	v_cndmask_b32_e64 v5, 0, 1, vcc_lo
	s_delay_alu instid0(VALU_DEP_2) | instskip(NEXT) | instid1(VALU_DEP_2)
	v_cmp_lt_u32_e32 vcc_lo, v6, v4
	v_lshlrev_b32_e32 v5, 3, v5
	s_delay_alu instid0(VALU_DEP_1) | instskip(SKIP_3) | instid1(VALU_DEP_2)
	v_add_lshl_u32 v5, v5, v2, 2
	s_waitcnt lgkmcnt(0)
	v_cndmask_b32_e32 v3, 0, v3, vcc_lo
	v_cmp_gt_u32_e32 vcc_lo, 16, v2
	v_add_nc_u32_e32 v1, v1, v3
	ds_bpermute_b32 v3, v5, v1
	v_add_nc_u32_e32 v6, 8, v2
	v_cndmask_b32_e64 v5, 0, 1, vcc_lo
	s_delay_alu instid0(VALU_DEP_2) | instskip(NEXT) | instid1(VALU_DEP_2)
	v_cmp_lt_u32_e32 vcc_lo, v6, v4
	v_lshlrev_b32_e32 v5, 4, v5
	s_delay_alu instid0(VALU_DEP_1) | instskip(SKIP_2) | instid1(VALU_DEP_1)
	v_add_lshl_u32 v5, v5, v2, 2
	s_waitcnt lgkmcnt(0)
	v_cndmask_b32_e32 v3, 0, v3, vcc_lo
	v_add_nc_u32_e32 v1, v1, v3
	ds_bpermute_b32 v3, v5, v1
	v_add_nc_u32_e32 v5, 16, v2
	s_delay_alu instid0(VALU_DEP_1) | instskip(SKIP_2) | instid1(VALU_DEP_1)
	v_cmp_lt_u32_e32 vcc_lo, v5, v4
	s_waitcnt lgkmcnt(0)
	v_cndmask_b32_e32 v3, 0, v3, vcc_lo
	v_add_nc_u32_e32 v1, v1, v3
	v_cmpx_eq_u32_e32 0, v2
	s_cbranch_execz .LBB116_610
; %bb.609:
	v_lshrrev_b32_e32 v3, 3, v0
	s_delay_alu instid0(VALU_DEP_1)
	v_and_b32_e32 v3, 12, v3
	ds_store_b32 v3, v1 offset:128
.LBB116_610:
	s_or_b32 exec_lo, exec_lo, s3
	s_delay_alu instid0(SALU_CYCLE_1)
	s_mov_b32 s3, exec_lo
	s_waitcnt lgkmcnt(0)
	s_barrier
	buffer_gl0_inv
	v_cmpx_gt_u32_e32 4, v0
	s_cbranch_execz .LBB116_612
; %bb.611:
	v_and_b32_e32 v3, 3, v2
	s_add_i32 s2, s2, 31
	s_delay_alu instid0(SALU_CYCLE_1) | instskip(NEXT) | instid1(VALU_DEP_1)
	s_lshr_b32 s2, s2, 5
	v_cmp_ne_u32_e32 vcc_lo, 3, v3
	v_add_nc_u32_e32 v5, 1, v3
	v_add_co_ci_u32_e32 v4, vcc_lo, 0, v2, vcc_lo
	v_cmp_gt_u32_e32 vcc_lo, 2, v3
	v_add_nc_u32_e32 v3, 2, v3
	s_delay_alu instid0(VALU_DEP_3) | instskip(SKIP_3) | instid1(VALU_DEP_3)
	v_lshlrev_b32_e32 v4, 2, v4
	v_cndmask_b32_e64 v6, 0, 1, vcc_lo
	v_cmp_gt_u32_e32 vcc_lo, s2, v5
	v_lshlrev_b32_e32 v1, 2, v2
	v_lshlrev_b32_e32 v5, 1, v6
	ds_load_b32 v1, v1 offset:128
	v_add_lshl_u32 v2, v5, v2, 2
	s_waitcnt lgkmcnt(0)
	ds_bpermute_b32 v4, v4, v1
	s_waitcnt lgkmcnt(0)
	v_cndmask_b32_e32 v4, 0, v4, vcc_lo
	v_cmp_gt_u32_e32 vcc_lo, s2, v3
	s_delay_alu instid0(VALU_DEP_2) | instskip(SKIP_3) | instid1(VALU_DEP_1)
	v_add_nc_u32_e32 v1, v4, v1
	ds_bpermute_b32 v2, v2, v1
	s_waitcnt lgkmcnt(0)
	v_cndmask_b32_e32 v2, 0, v2, vcc_lo
	v_add_nc_u32_e32 v1, v1, v2
.LBB116_612:
	s_or_b32 exec_lo, exec_lo, s3
.LBB116_613:
	v_cmp_eq_u32_e64 s2, 0, v0
	s_branch .LBB116_623
.LBB116_614:
	s_cmp_gt_i32 s26, 1
	s_cbranch_scc0 .LBB116_622
; %bb.615:
	s_cmp_eq_u32 s26, 2
	s_cbranch_scc0 .LBB116_626
; %bb.616:
	s_lshl_b32 s3, s18, 8
	s_lshr_b64 s[6:7], s[20:21], 8
	s_mov_b32 s19, 0
	s_add_u32 s4, s24, s3
	s_addc_u32 s5, s25, 0
	s_cmp_lg_u64 s[6:7], s[18:19]
	s_cbranch_scc0 .LBB116_627
; %bb.617:
	s_clause 0x1
	global_load_u8 v1, v0, s[4:5]
	global_load_u8 v2, v0, s[4:5] offset:128
	s_waitcnt vmcnt(1)
	v_cmp_ne_u16_e32 vcc_lo, 0, v1
	v_cndmask_b32_e64 v1, 0, 1, vcc_lo
	s_waitcnt vmcnt(0)
	v_cmp_ne_u16_e32 vcc_lo, 0, v2
	s_delay_alu instid0(VALU_DEP_2) | instskip(SKIP_1) | instid1(VALU_DEP_1)
	v_add_co_ci_u32_e64 v2, s2, 0, v1, vcc_lo
	s_mov_b32 s2, exec_lo
	v_mov_b32_dpp v2, v2 quad_perm:[1,0,3,2] row_mask:0xf bank_mask:0xf
	s_delay_alu instid0(VALU_DEP_1) | instskip(NEXT) | instid1(VALU_DEP_1)
	v_add_co_ci_u32_e32 v1, vcc_lo, v2, v1, vcc_lo
	v_mov_b32_dpp v2, v1 quad_perm:[2,3,0,1] row_mask:0xf bank_mask:0xf
	s_delay_alu instid0(VALU_DEP_1) | instskip(NEXT) | instid1(VALU_DEP_1)
	v_add_nc_u32_e32 v1, v1, v2
	v_mov_b32_dpp v2, v1 row_ror:4 row_mask:0xf bank_mask:0xf
	s_delay_alu instid0(VALU_DEP_1) | instskip(NEXT) | instid1(VALU_DEP_1)
	v_add_nc_u32_e32 v1, v1, v2
	v_mov_b32_dpp v2, v1 row_ror:8 row_mask:0xf bank_mask:0xf
	s_delay_alu instid0(VALU_DEP_1)
	v_add_nc_u32_e32 v1, v1, v2
	ds_swizzle_b32 v2, v1 offset:swizzle(BROADCAST,32,15)
	s_waitcnt lgkmcnt(0)
	v_dual_mov_b32 v2, 0 :: v_dual_add_nc_u32 v1, v1, v2
	ds_bpermute_b32 v1, v2, v1 offset:124
	v_mbcnt_lo_u32_b32 v2, -1, 0
	s_delay_alu instid0(VALU_DEP_1)
	v_cmpx_eq_u32_e32 0, v2
	s_cbranch_execz .LBB116_619
; %bb.618:
	v_lshrrev_b32_e32 v3, 3, v0
	s_delay_alu instid0(VALU_DEP_1)
	v_and_b32_e32 v3, 12, v3
	s_waitcnt lgkmcnt(0)
	ds_store_b32 v3, v1 offset:48
.LBB116_619:
	s_or_b32 exec_lo, exec_lo, s2
	s_delay_alu instid0(SALU_CYCLE_1)
	s_mov_b32 s2, exec_lo
	s_waitcnt lgkmcnt(0)
	s_barrier
	buffer_gl0_inv
	v_cmpx_gt_u32_e32 32, v0
	s_cbranch_execz .LBB116_621
; %bb.620:
	v_and_b32_e32 v1, 3, v2
	s_delay_alu instid0(VALU_DEP_1) | instskip(SKIP_4) | instid1(VALU_DEP_2)
	v_lshlrev_b32_e32 v3, 2, v1
	v_cmp_ne_u32_e32 vcc_lo, 3, v1
	ds_load_b32 v3, v3 offset:48
	v_add_co_ci_u32_e32 v4, vcc_lo, 0, v2, vcc_lo
	v_cmp_gt_u32_e32 vcc_lo, 2, v1
	v_lshlrev_b32_e32 v4, 2, v4
	v_cndmask_b32_e64 v1, 0, 1, vcc_lo
	s_delay_alu instid0(VALU_DEP_1) | instskip(NEXT) | instid1(VALU_DEP_1)
	v_lshlrev_b32_e32 v1, 1, v1
	v_add_lshl_u32 v1, v1, v2, 2
	s_waitcnt lgkmcnt(0)
	ds_bpermute_b32 v4, v4, v3
	s_waitcnt lgkmcnt(0)
	v_add_nc_u32_e32 v3, v4, v3
	ds_bpermute_b32 v1, v1, v3
	s_waitcnt lgkmcnt(0)
	v_add_nc_u32_e32 v1, v1, v3
.LBB116_621:
	s_or_b32 exec_lo, exec_lo, s2
	s_mov_b32 s2, 0
	s_branch .LBB116_628
.LBB116_622:
                                        ; implicit-def: $vgpr1
	s_cbranch_execnz .LBB116_639
.LBB116_623:
	s_delay_alu instid0(VALU_DEP_1)
	s_and_saveexec_b32 s3, s2
	s_cbranch_execz .LBB116_625
.LBB116_624:
	s_load_b32 s2, s[0:1], 0x28
	s_cmp_lg_u64 s[20:21], 0
	s_cselect_b32 vcc_lo, -1, 0
	s_lshl_b64 s[0:1], s[18:19], 2
	v_dual_cndmask_b32 v0, 0, v1 :: v_dual_mov_b32 v1, 0
	s_add_u32 s0, s22, s0
	s_addc_u32 s1, s23, s1
	s_waitcnt lgkmcnt(0)
	s_delay_alu instid0(VALU_DEP_1)
	v_add_nc_u32_e32 v0, s2, v0
	global_store_b32 v1, v0, s[0:1]
.LBB116_625:
	s_nop 0
	s_sendmsg sendmsg(MSG_DEALLOC_VGPRS)
	s_endpgm
.LBB116_626:
                                        ; implicit-def: $vgpr1
	s_branch .LBB116_623
.LBB116_627:
	s_mov_b32 s2, -1
                                        ; implicit-def: $vgpr1
.LBB116_628:
	s_delay_alu instid0(SALU_CYCLE_1)
	s_and_b32 vcc_lo, exec_lo, s2
	s_cbranch_vccz .LBB116_638
; %bb.629:
	s_sub_i32 s3, s20, s3
	s_mov_b32 s2, exec_lo
                                        ; implicit-def: $vgpr1_vgpr2
	v_cmpx_gt_u32_e64 s3, v0
	s_cbranch_execz .LBB116_631
; %bb.630:
	global_load_u8 v1, v0, s[4:5]
	s_waitcnt vmcnt(0)
	v_cmp_ne_u16_e32 vcc_lo, 0, v1
	v_cndmask_b32_e64 v1, 0, 1, vcc_lo
.LBB116_631:
	s_or_b32 exec_lo, exec_lo, s2
	v_or_b32_e32 v3, 0x80, v0
	s_delay_alu instid0(VALU_DEP_1)
	v_cmp_gt_u32_e32 vcc_lo, s3, v3
	s_and_saveexec_b32 s6, vcc_lo
	s_cbranch_execz .LBB116_633
; %bb.632:
	global_load_u8 v2, v0, s[4:5] offset:128
	s_waitcnt vmcnt(0)
	v_cmp_ne_u16_e64 s2, 0, v2
	s_delay_alu instid0(VALU_DEP_1)
	v_cndmask_b32_e64 v2, 0, 1, s2
.LBB116_633:
	s_or_b32 exec_lo, exec_lo, s6
	v_mbcnt_lo_u32_b32 v3, -1, 0
	s_delay_alu instid0(VALU_DEP_2) | instskip(SKIP_2) | instid1(VALU_DEP_2)
	v_cndmask_b32_e32 v2, 0, v2, vcc_lo
	s_min_u32 s2, s3, 0x80
	s_mov_b32 s3, exec_lo
	v_cmp_ne_u32_e32 vcc_lo, 31, v3
	v_add_nc_u32_e32 v6, 1, v3
	v_add_co_ci_u32_e32 v4, vcc_lo, 0, v3, vcc_lo
	v_cmp_gt_u32_e32 vcc_lo, 30, v3
	v_cndmask_b32_e64 v5, 0, 1, vcc_lo
	s_delay_alu instid0(VALU_DEP_1) | instskip(SKIP_3) | instid1(VALU_DEP_4)
	v_lshlrev_b32_e32 v5, 1, v5
	v_add_nc_u32_e32 v1, v2, v1
	v_lshlrev_b32_e32 v2, 2, v4
	v_and_b32_e32 v4, 0x60, v0
	v_add_lshl_u32 v5, v5, v3, 2
	ds_bpermute_b32 v2, v2, v1
	v_sub_nc_u32_e64 v4, s2, v4 clamp
	s_delay_alu instid0(VALU_DEP_1) | instskip(SKIP_4) | instid1(VALU_DEP_2)
	v_cmp_lt_u32_e32 vcc_lo, v6, v4
	v_add_nc_u32_e32 v6, 2, v3
	s_waitcnt lgkmcnt(0)
	v_cndmask_b32_e32 v2, 0, v2, vcc_lo
	v_cmp_gt_u32_e32 vcc_lo, 28, v3
	v_add_nc_u32_e32 v1, v2, v1
	ds_bpermute_b32 v2, v5, v1
	v_cndmask_b32_e64 v5, 0, 1, vcc_lo
	v_cmp_lt_u32_e32 vcc_lo, v6, v4
	v_add_nc_u32_e32 v6, 4, v3
	s_delay_alu instid0(VALU_DEP_3) | instskip(NEXT) | instid1(VALU_DEP_1)
	v_lshlrev_b32_e32 v5, 2, v5
	v_add_lshl_u32 v5, v5, v3, 2
	s_waitcnt lgkmcnt(0)
	v_cndmask_b32_e32 v2, 0, v2, vcc_lo
	v_cmp_gt_u32_e32 vcc_lo, 24, v3
	s_delay_alu instid0(VALU_DEP_2) | instskip(SKIP_4) | instid1(VALU_DEP_3)
	v_add_nc_u32_e32 v1, v1, v2
	ds_bpermute_b32 v2, v5, v1
	v_cndmask_b32_e64 v5, 0, 1, vcc_lo
	v_cmp_lt_u32_e32 vcc_lo, v6, v4
	v_add_nc_u32_e32 v6, 8, v3
	v_lshlrev_b32_e32 v5, 3, v5
	s_delay_alu instid0(VALU_DEP_1) | instskip(SKIP_3) | instid1(VALU_DEP_2)
	v_add_lshl_u32 v5, v5, v3, 2
	s_waitcnt lgkmcnt(0)
	v_cndmask_b32_e32 v2, 0, v2, vcc_lo
	v_cmp_gt_u32_e32 vcc_lo, 16, v3
	v_add_nc_u32_e32 v1, v1, v2
	ds_bpermute_b32 v2, v5, v1
	v_cndmask_b32_e64 v5, 0, 1, vcc_lo
	v_cmp_lt_u32_e32 vcc_lo, v6, v4
	s_delay_alu instid0(VALU_DEP_2) | instskip(NEXT) | instid1(VALU_DEP_1)
	v_lshlrev_b32_e32 v5, 4, v5
	v_add_lshl_u32 v5, v5, v3, 2
	s_waitcnt lgkmcnt(0)
	v_cndmask_b32_e32 v2, 0, v2, vcc_lo
	s_delay_alu instid0(VALU_DEP_1) | instskip(SKIP_2) | instid1(VALU_DEP_1)
	v_add_nc_u32_e32 v1, v1, v2
	ds_bpermute_b32 v2, v5, v1
	v_add_nc_u32_e32 v5, 16, v3
	v_cmp_lt_u32_e32 vcc_lo, v5, v4
	s_waitcnt lgkmcnt(0)
	v_cndmask_b32_e32 v2, 0, v2, vcc_lo
	s_delay_alu instid0(VALU_DEP_1)
	v_add_nc_u32_e32 v1, v1, v2
	v_cmpx_eq_u32_e32 0, v3
	s_cbranch_execz .LBB116_635
; %bb.634:
	v_lshrrev_b32_e32 v2, 3, v0
	s_delay_alu instid0(VALU_DEP_1)
	v_and_b32_e32 v2, 12, v2
	ds_store_b32 v2, v1 offset:128
.LBB116_635:
	s_or_b32 exec_lo, exec_lo, s3
	s_delay_alu instid0(SALU_CYCLE_1)
	s_mov_b32 s3, exec_lo
	s_waitcnt lgkmcnt(0)
	s_barrier
	buffer_gl0_inv
	v_cmpx_gt_u32_e32 4, v0
	s_cbranch_execz .LBB116_637
; %bb.636:
	v_and_b32_e32 v2, 3, v3
	s_add_i32 s2, s2, 31
	s_delay_alu instid0(SALU_CYCLE_1) | instskip(NEXT) | instid1(VALU_DEP_1)
	s_lshr_b32 s2, s2, 5
	v_cmp_ne_u32_e32 vcc_lo, 3, v2
	v_add_nc_u32_e32 v5, 1, v2
	v_add_co_ci_u32_e32 v4, vcc_lo, 0, v3, vcc_lo
	v_cmp_gt_u32_e32 vcc_lo, 2, v2
	v_add_nc_u32_e32 v2, 2, v2
	s_delay_alu instid0(VALU_DEP_3) | instskip(SKIP_3) | instid1(VALU_DEP_3)
	v_lshlrev_b32_e32 v4, 2, v4
	v_cndmask_b32_e64 v6, 0, 1, vcc_lo
	v_cmp_gt_u32_e32 vcc_lo, s2, v5
	v_lshlrev_b32_e32 v1, 2, v3
	v_lshlrev_b32_e32 v5, 1, v6
	ds_load_b32 v1, v1 offset:128
	v_add_lshl_u32 v3, v5, v3, 2
	s_waitcnt lgkmcnt(0)
	ds_bpermute_b32 v4, v4, v1
	s_waitcnt lgkmcnt(0)
	v_cndmask_b32_e32 v4, 0, v4, vcc_lo
	v_cmp_gt_u32_e32 vcc_lo, s2, v2
	s_delay_alu instid0(VALU_DEP_2) | instskip(SKIP_3) | instid1(VALU_DEP_1)
	v_add_nc_u32_e32 v1, v4, v1
	ds_bpermute_b32 v3, v3, v1
	s_waitcnt lgkmcnt(0)
	v_cndmask_b32_e32 v2, 0, v3, vcc_lo
	v_add_nc_u32_e32 v1, v1, v2
.LBB116_637:
	s_or_b32 exec_lo, exec_lo, s3
.LBB116_638:
	v_cmp_eq_u32_e64 s2, 0, v0
	s_branch .LBB116_623
.LBB116_639:
	s_cmp_eq_u32 s26, 1
	s_cbranch_scc0 .LBB116_647
; %bb.640:
	v_mbcnt_lo_u32_b32 v2, -1, 0
	s_mov_b32 s19, 0
	s_lshr_b64 s[4:5], s[20:21], 7
	s_lshl_b32 s3, s18, 7
	s_cmp_lg_u64 s[4:5], s[18:19]
	s_cbranch_scc0 .LBB116_648
; %bb.641:
	s_add_u32 s4, s24, s3
	s_addc_u32 s5, s25, 0
	global_load_u8 v1, v0, s[4:5]
	s_waitcnt vmcnt(0)
	v_cmp_ne_u16_e32 vcc_lo, 0, v1
	v_cndmask_b32_e64 v1, 0, 1, vcc_lo
	s_delay_alu instid0(VALU_DEP_1) | instskip(NEXT) | instid1(VALU_DEP_1)
	v_mov_b32_dpp v1, v1 quad_perm:[1,0,3,2] row_mask:0xf bank_mask:0xf
	v_add_co_ci_u32_e64 v3, s2, 0, v1, vcc_lo
	s_mov_b32 s2, exec_lo
	s_delay_alu instid0(VALU_DEP_1) | instskip(NEXT) | instid1(VALU_DEP_1)
	v_mov_b32_dpp v3, v3 quad_perm:[2,3,0,1] row_mask:0xf bank_mask:0xf
	v_add_co_ci_u32_e32 v1, vcc_lo, v3, v1, vcc_lo
	s_delay_alu instid0(VALU_DEP_1) | instskip(NEXT) | instid1(VALU_DEP_1)
	v_mov_b32_dpp v3, v1 row_ror:4 row_mask:0xf bank_mask:0xf
	v_add_nc_u32_e32 v1, v1, v3
	s_delay_alu instid0(VALU_DEP_1) | instskip(NEXT) | instid1(VALU_DEP_1)
	v_mov_b32_dpp v3, v1 row_ror:8 row_mask:0xf bank_mask:0xf
	v_add_nc_u32_e32 v1, v1, v3
	ds_swizzle_b32 v3, v1 offset:swizzle(BROADCAST,32,15)
	s_waitcnt lgkmcnt(0)
	v_add_nc_u32_e32 v1, v1, v3
	v_mov_b32_e32 v3, 0
	ds_bpermute_b32 v1, v3, v1 offset:124
	v_cmpx_eq_u32_e32 0, v2
	s_cbranch_execz .LBB116_643
; %bb.642:
	v_lshrrev_b32_e32 v3, 3, v0
	s_delay_alu instid0(VALU_DEP_1)
	v_and_b32_e32 v3, 12, v3
	s_waitcnt lgkmcnt(0)
	ds_store_b32 v3, v1 offset:32
.LBB116_643:
	s_or_b32 exec_lo, exec_lo, s2
	s_delay_alu instid0(SALU_CYCLE_1)
	s_mov_b32 s2, exec_lo
	s_waitcnt lgkmcnt(0)
	s_barrier
	buffer_gl0_inv
	v_cmpx_gt_u32_e32 32, v0
	s_cbranch_execz .LBB116_645
; %bb.644:
	v_and_b32_e32 v1, 3, v2
	s_delay_alu instid0(VALU_DEP_1) | instskip(SKIP_4) | instid1(VALU_DEP_2)
	v_lshlrev_b32_e32 v3, 2, v1
	v_cmp_ne_u32_e32 vcc_lo, 3, v1
	ds_load_b32 v3, v3 offset:32
	v_add_co_ci_u32_e32 v4, vcc_lo, 0, v2, vcc_lo
	v_cmp_gt_u32_e32 vcc_lo, 2, v1
	v_lshlrev_b32_e32 v4, 2, v4
	v_cndmask_b32_e64 v1, 0, 1, vcc_lo
	s_delay_alu instid0(VALU_DEP_1) | instskip(NEXT) | instid1(VALU_DEP_1)
	v_lshlrev_b32_e32 v1, 1, v1
	v_add_lshl_u32 v1, v1, v2, 2
	s_waitcnt lgkmcnt(0)
	ds_bpermute_b32 v4, v4, v3
	s_waitcnt lgkmcnt(0)
	v_add_nc_u32_e32 v3, v4, v3
	ds_bpermute_b32 v1, v1, v3
	s_waitcnt lgkmcnt(0)
	v_add_nc_u32_e32 v1, v1, v3
.LBB116_645:
	s_or_b32 exec_lo, exec_lo, s2
.LBB116_646:
	v_cmp_eq_u32_e64 s2, 0, v0
	s_delay_alu instid0(VALU_DEP_1)
	s_and_saveexec_b32 s3, s2
	s_cbranch_execnz .LBB116_624
	s_branch .LBB116_625
.LBB116_647:
                                        ; implicit-def: $sgpr18_sgpr19
                                        ; implicit-def: $vgpr1
	s_and_saveexec_b32 s3, s2
	s_cbranch_execz .LBB116_625
	s_branch .LBB116_624
.LBB116_648:
                                        ; implicit-def: $vgpr1
	s_cbranch_execz .LBB116_646
; %bb.649:
	s_sub_i32 s2, s20, s3
	s_mov_b32 s4, exec_lo
                                        ; implicit-def: $vgpr1
	v_cmpx_gt_u32_e64 s2, v0
	s_cbranch_execz .LBB116_651
; %bb.650:
	s_add_u32 s6, s24, s3
	s_addc_u32 s7, s25, 0
	global_load_u8 v1, v0, s[6:7]
	s_waitcnt vmcnt(0)
	v_cmp_ne_u16_e32 vcc_lo, 0, v1
	v_cndmask_b32_e64 v1, 0, 1, vcc_lo
.LBB116_651:
	s_or_b32 exec_lo, exec_lo, s4
	v_cmp_ne_u32_e32 vcc_lo, 31, v2
	s_min_u32 s2, s2, 0x80
	v_add_nc_u32_e32 v5, 1, v2
	s_mov_b32 s3, exec_lo
	v_add_co_ci_u32_e32 v3, vcc_lo, 0, v2, vcc_lo
	v_cmp_gt_u32_e32 vcc_lo, 30, v2
	s_delay_alu instid0(VALU_DEP_2) | instskip(SKIP_4) | instid1(VALU_DEP_2)
	v_lshlrev_b32_e32 v3, 2, v3
	v_cndmask_b32_e64 v6, 0, 1, vcc_lo
	ds_bpermute_b32 v3, v3, v1
	v_and_b32_e32 v4, 0x60, v0
	v_lshlrev_b32_e32 v6, 1, v6
	v_sub_nc_u32_e64 v4, s2, v4 clamp
	s_delay_alu instid0(VALU_DEP_1) | instskip(NEXT) | instid1(VALU_DEP_3)
	v_cmp_lt_u32_e32 vcc_lo, v5, v4
	v_add_lshl_u32 v5, v6, v2, 2
	s_waitcnt lgkmcnt(0)
	v_dual_cndmask_b32 v3, 0, v3 :: v_dual_add_nc_u32 v6, 2, v2
	v_cmp_gt_u32_e32 vcc_lo, 28, v2
	s_delay_alu instid0(VALU_DEP_2) | instskip(SKIP_4) | instid1(VALU_DEP_3)
	v_add_nc_u32_e32 v1, v3, v1
	ds_bpermute_b32 v3, v5, v1
	v_cndmask_b32_e64 v5, 0, 1, vcc_lo
	v_cmp_lt_u32_e32 vcc_lo, v6, v4
	v_add_nc_u32_e32 v6, 4, v2
	v_lshlrev_b32_e32 v5, 2, v5
	s_delay_alu instid0(VALU_DEP_1) | instskip(SKIP_3) | instid1(VALU_DEP_2)
	v_add_lshl_u32 v5, v5, v2, 2
	s_waitcnt lgkmcnt(0)
	v_cndmask_b32_e32 v3, 0, v3, vcc_lo
	v_cmp_gt_u32_e32 vcc_lo, 24, v2
	v_add_nc_u32_e32 v1, v1, v3
	ds_bpermute_b32 v3, v5, v1
	v_cndmask_b32_e64 v5, 0, 1, vcc_lo
	v_cmp_lt_u32_e32 vcc_lo, v6, v4
	v_add_nc_u32_e32 v6, 8, v2
	s_delay_alu instid0(VALU_DEP_3) | instskip(NEXT) | instid1(VALU_DEP_1)
	v_lshlrev_b32_e32 v5, 3, v5
	v_add_lshl_u32 v5, v5, v2, 2
	s_waitcnt lgkmcnt(0)
	v_cndmask_b32_e32 v3, 0, v3, vcc_lo
	v_cmp_gt_u32_e32 vcc_lo, 16, v2
	s_delay_alu instid0(VALU_DEP_2) | instskip(SKIP_3) | instid1(VALU_DEP_2)
	v_add_nc_u32_e32 v1, v1, v3
	ds_bpermute_b32 v3, v5, v1
	v_cndmask_b32_e64 v5, 0, 1, vcc_lo
	v_cmp_lt_u32_e32 vcc_lo, v6, v4
	v_lshlrev_b32_e32 v5, 4, v5
	s_delay_alu instid0(VALU_DEP_1) | instskip(SKIP_2) | instid1(VALU_DEP_1)
	v_add_lshl_u32 v5, v5, v2, 2
	s_waitcnt lgkmcnt(0)
	v_cndmask_b32_e32 v3, 0, v3, vcc_lo
	v_add_nc_u32_e32 v1, v1, v3
	ds_bpermute_b32 v3, v5, v1
	v_add_nc_u32_e32 v5, 16, v2
	s_delay_alu instid0(VALU_DEP_1) | instskip(SKIP_2) | instid1(VALU_DEP_1)
	v_cmp_lt_u32_e32 vcc_lo, v5, v4
	s_waitcnt lgkmcnt(0)
	v_cndmask_b32_e32 v3, 0, v3, vcc_lo
	v_add_nc_u32_e32 v1, v1, v3
	v_cmpx_eq_u32_e32 0, v2
	s_cbranch_execz .LBB116_653
; %bb.652:
	v_lshrrev_b32_e32 v3, 3, v0
	s_delay_alu instid0(VALU_DEP_1)
	v_and_b32_e32 v3, 12, v3
	ds_store_b32 v3, v1 offset:128
.LBB116_653:
	s_or_b32 exec_lo, exec_lo, s3
	s_delay_alu instid0(SALU_CYCLE_1)
	s_mov_b32 s3, exec_lo
	s_waitcnt lgkmcnt(0)
	s_barrier
	buffer_gl0_inv
	v_cmpx_gt_u32_e32 4, v0
	s_cbranch_execz .LBB116_655
; %bb.654:
	v_and_b32_e32 v3, 3, v2
	s_add_i32 s2, s2, 31
	s_delay_alu instid0(SALU_CYCLE_1) | instskip(NEXT) | instid1(VALU_DEP_1)
	s_lshr_b32 s2, s2, 5
	v_cmp_ne_u32_e32 vcc_lo, 3, v3
	v_add_nc_u32_e32 v5, 1, v3
	v_add_co_ci_u32_e32 v4, vcc_lo, 0, v2, vcc_lo
	v_cmp_gt_u32_e32 vcc_lo, 2, v3
	v_add_nc_u32_e32 v3, 2, v3
	s_delay_alu instid0(VALU_DEP_3) | instskip(SKIP_3) | instid1(VALU_DEP_3)
	v_lshlrev_b32_e32 v4, 2, v4
	v_cndmask_b32_e64 v6, 0, 1, vcc_lo
	v_cmp_gt_u32_e32 vcc_lo, s2, v5
	v_lshlrev_b32_e32 v1, 2, v2
	v_lshlrev_b32_e32 v5, 1, v6
	ds_load_b32 v1, v1 offset:128
	v_add_lshl_u32 v2, v5, v2, 2
	s_waitcnt lgkmcnt(0)
	ds_bpermute_b32 v4, v4, v1
	s_waitcnt lgkmcnt(0)
	v_cndmask_b32_e32 v4, 0, v4, vcc_lo
	v_cmp_gt_u32_e32 vcc_lo, s2, v3
	s_delay_alu instid0(VALU_DEP_2) | instskip(SKIP_3) | instid1(VALU_DEP_1)
	v_add_nc_u32_e32 v1, v4, v1
	ds_bpermute_b32 v2, v2, v1
	s_waitcnt lgkmcnt(0)
	v_cndmask_b32_e32 v2, 0, v2, vcc_lo
	v_add_nc_u32_e32 v1, v1, v2
.LBB116_655:
	s_or_b32 exec_lo, exec_lo, s3
	v_cmp_eq_u32_e64 s2, 0, v0
	s_delay_alu instid0(VALU_DEP_1)
	s_and_saveexec_b32 s3, s2
	s_cbranch_execnz .LBB116_624
	s_branch .LBB116_625
	.section	.rodata,"a",@progbits
	.p2align	6, 0x0
	.amdhsa_kernel _ZN7rocprim17ROCPRIM_400000_NS6detail17trampoline_kernelINS0_14default_configENS1_22reduce_config_selectorIbEEZNS1_11reduce_implILb1ES3_N6hipcub16HIPCUB_304000_NS22TransformInputIteratorIbN2at6native12_GLOBAL__N_19NonZeroOpIaEEPKalEEPiiNS8_6detail34convert_binary_result_type_wrapperINS8_3SumESH_iEEEE10hipError_tPvRmT1_T2_T3_mT4_P12ihipStream_tbEUlT_E1_NS1_11comp_targetILNS1_3genE9ELNS1_11target_archE1100ELNS1_3gpuE3ELNS1_3repE0EEENS1_30default_config_static_selectorELNS0_4arch9wavefront6targetE0EEEvSQ_
		.amdhsa_group_segment_fixed_size 144
		.amdhsa_private_segment_fixed_size 0
		.amdhsa_kernarg_size 48
		.amdhsa_user_sgpr_count 15
		.amdhsa_user_sgpr_dispatch_ptr 0
		.amdhsa_user_sgpr_queue_ptr 0
		.amdhsa_user_sgpr_kernarg_segment_ptr 1
		.amdhsa_user_sgpr_dispatch_id 0
		.amdhsa_user_sgpr_private_segment_size 0
		.amdhsa_wavefront_size32 1
		.amdhsa_uses_dynamic_stack 0
		.amdhsa_enable_private_segment 0
		.amdhsa_system_sgpr_workgroup_id_x 1
		.amdhsa_system_sgpr_workgroup_id_y 0
		.amdhsa_system_sgpr_workgroup_id_z 0
		.amdhsa_system_sgpr_workgroup_info 0
		.amdhsa_system_vgpr_workitem_id 0
		.amdhsa_next_free_vgpr 130
		.amdhsa_next_free_sgpr 29
		.amdhsa_reserve_vcc 1
		.amdhsa_float_round_mode_32 0
		.amdhsa_float_round_mode_16_64 0
		.amdhsa_float_denorm_mode_32 3
		.amdhsa_float_denorm_mode_16_64 3
		.amdhsa_dx10_clamp 1
		.amdhsa_ieee_mode 1
		.amdhsa_fp16_overflow 0
		.amdhsa_workgroup_processor_mode 1
		.amdhsa_memory_ordered 1
		.amdhsa_forward_progress 0
		.amdhsa_shared_vgpr_count 0
		.amdhsa_exception_fp_ieee_invalid_op 0
		.amdhsa_exception_fp_denorm_src 0
		.amdhsa_exception_fp_ieee_div_zero 0
		.amdhsa_exception_fp_ieee_overflow 0
		.amdhsa_exception_fp_ieee_underflow 0
		.amdhsa_exception_fp_ieee_inexact 0
		.amdhsa_exception_int_div_zero 0
	.end_amdhsa_kernel
	.section	.text._ZN7rocprim17ROCPRIM_400000_NS6detail17trampoline_kernelINS0_14default_configENS1_22reduce_config_selectorIbEEZNS1_11reduce_implILb1ES3_N6hipcub16HIPCUB_304000_NS22TransformInputIteratorIbN2at6native12_GLOBAL__N_19NonZeroOpIaEEPKalEEPiiNS8_6detail34convert_binary_result_type_wrapperINS8_3SumESH_iEEEE10hipError_tPvRmT1_T2_T3_mT4_P12ihipStream_tbEUlT_E1_NS1_11comp_targetILNS1_3genE9ELNS1_11target_archE1100ELNS1_3gpuE3ELNS1_3repE0EEENS1_30default_config_static_selectorELNS0_4arch9wavefront6targetE0EEEvSQ_,"axG",@progbits,_ZN7rocprim17ROCPRIM_400000_NS6detail17trampoline_kernelINS0_14default_configENS1_22reduce_config_selectorIbEEZNS1_11reduce_implILb1ES3_N6hipcub16HIPCUB_304000_NS22TransformInputIteratorIbN2at6native12_GLOBAL__N_19NonZeroOpIaEEPKalEEPiiNS8_6detail34convert_binary_result_type_wrapperINS8_3SumESH_iEEEE10hipError_tPvRmT1_T2_T3_mT4_P12ihipStream_tbEUlT_E1_NS1_11comp_targetILNS1_3genE9ELNS1_11target_archE1100ELNS1_3gpuE3ELNS1_3repE0EEENS1_30default_config_static_selectorELNS0_4arch9wavefront6targetE0EEEvSQ_,comdat
.Lfunc_end116:
	.size	_ZN7rocprim17ROCPRIM_400000_NS6detail17trampoline_kernelINS0_14default_configENS1_22reduce_config_selectorIbEEZNS1_11reduce_implILb1ES3_N6hipcub16HIPCUB_304000_NS22TransformInputIteratorIbN2at6native12_GLOBAL__N_19NonZeroOpIaEEPKalEEPiiNS8_6detail34convert_binary_result_type_wrapperINS8_3SumESH_iEEEE10hipError_tPvRmT1_T2_T3_mT4_P12ihipStream_tbEUlT_E1_NS1_11comp_targetILNS1_3genE9ELNS1_11target_archE1100ELNS1_3gpuE3ELNS1_3repE0EEENS1_30default_config_static_selectorELNS0_4arch9wavefront6targetE0EEEvSQ_, .Lfunc_end116-_ZN7rocprim17ROCPRIM_400000_NS6detail17trampoline_kernelINS0_14default_configENS1_22reduce_config_selectorIbEEZNS1_11reduce_implILb1ES3_N6hipcub16HIPCUB_304000_NS22TransformInputIteratorIbN2at6native12_GLOBAL__N_19NonZeroOpIaEEPKalEEPiiNS8_6detail34convert_binary_result_type_wrapperINS8_3SumESH_iEEEE10hipError_tPvRmT1_T2_T3_mT4_P12ihipStream_tbEUlT_E1_NS1_11comp_targetILNS1_3genE9ELNS1_11target_archE1100ELNS1_3gpuE3ELNS1_3repE0EEENS1_30default_config_static_selectorELNS0_4arch9wavefront6targetE0EEEvSQ_
                                        ; -- End function
	.section	.AMDGPU.csdata,"",@progbits
; Kernel info:
; codeLenInByte = 29384
; NumSgprs: 31
; NumVgprs: 130
; ScratchSize: 0
; MemoryBound: 0
; FloatMode: 240
; IeeeMode: 1
; LDSByteSize: 144 bytes/workgroup (compile time only)
; SGPRBlocks: 3
; VGPRBlocks: 16
; NumSGPRsForWavesPerEU: 31
; NumVGPRsForWavesPerEU: 130
; Occupancy: 10
; WaveLimiterHint : 1
; COMPUTE_PGM_RSRC2:SCRATCH_EN: 0
; COMPUTE_PGM_RSRC2:USER_SGPR: 15
; COMPUTE_PGM_RSRC2:TRAP_HANDLER: 0
; COMPUTE_PGM_RSRC2:TGID_X_EN: 1
; COMPUTE_PGM_RSRC2:TGID_Y_EN: 0
; COMPUTE_PGM_RSRC2:TGID_Z_EN: 0
; COMPUTE_PGM_RSRC2:TIDIG_COMP_CNT: 0
	.section	.text._ZN7rocprim17ROCPRIM_400000_NS6detail17trampoline_kernelINS0_14default_configENS1_22reduce_config_selectorIbEEZNS1_11reduce_implILb1ES3_N6hipcub16HIPCUB_304000_NS22TransformInputIteratorIbN2at6native12_GLOBAL__N_19NonZeroOpIaEEPKalEEPiiNS8_6detail34convert_binary_result_type_wrapperINS8_3SumESH_iEEEE10hipError_tPvRmT1_T2_T3_mT4_P12ihipStream_tbEUlT_E1_NS1_11comp_targetILNS1_3genE8ELNS1_11target_archE1030ELNS1_3gpuE2ELNS1_3repE0EEENS1_30default_config_static_selectorELNS0_4arch9wavefront6targetE0EEEvSQ_,"axG",@progbits,_ZN7rocprim17ROCPRIM_400000_NS6detail17trampoline_kernelINS0_14default_configENS1_22reduce_config_selectorIbEEZNS1_11reduce_implILb1ES3_N6hipcub16HIPCUB_304000_NS22TransformInputIteratorIbN2at6native12_GLOBAL__N_19NonZeroOpIaEEPKalEEPiiNS8_6detail34convert_binary_result_type_wrapperINS8_3SumESH_iEEEE10hipError_tPvRmT1_T2_T3_mT4_P12ihipStream_tbEUlT_E1_NS1_11comp_targetILNS1_3genE8ELNS1_11target_archE1030ELNS1_3gpuE2ELNS1_3repE0EEENS1_30default_config_static_selectorELNS0_4arch9wavefront6targetE0EEEvSQ_,comdat
	.globl	_ZN7rocprim17ROCPRIM_400000_NS6detail17trampoline_kernelINS0_14default_configENS1_22reduce_config_selectorIbEEZNS1_11reduce_implILb1ES3_N6hipcub16HIPCUB_304000_NS22TransformInputIteratorIbN2at6native12_GLOBAL__N_19NonZeroOpIaEEPKalEEPiiNS8_6detail34convert_binary_result_type_wrapperINS8_3SumESH_iEEEE10hipError_tPvRmT1_T2_T3_mT4_P12ihipStream_tbEUlT_E1_NS1_11comp_targetILNS1_3genE8ELNS1_11target_archE1030ELNS1_3gpuE2ELNS1_3repE0EEENS1_30default_config_static_selectorELNS0_4arch9wavefront6targetE0EEEvSQ_ ; -- Begin function _ZN7rocprim17ROCPRIM_400000_NS6detail17trampoline_kernelINS0_14default_configENS1_22reduce_config_selectorIbEEZNS1_11reduce_implILb1ES3_N6hipcub16HIPCUB_304000_NS22TransformInputIteratorIbN2at6native12_GLOBAL__N_19NonZeroOpIaEEPKalEEPiiNS8_6detail34convert_binary_result_type_wrapperINS8_3SumESH_iEEEE10hipError_tPvRmT1_T2_T3_mT4_P12ihipStream_tbEUlT_E1_NS1_11comp_targetILNS1_3genE8ELNS1_11target_archE1030ELNS1_3gpuE2ELNS1_3repE0EEENS1_30default_config_static_selectorELNS0_4arch9wavefront6targetE0EEEvSQ_
	.p2align	8
	.type	_ZN7rocprim17ROCPRIM_400000_NS6detail17trampoline_kernelINS0_14default_configENS1_22reduce_config_selectorIbEEZNS1_11reduce_implILb1ES3_N6hipcub16HIPCUB_304000_NS22TransformInputIteratorIbN2at6native12_GLOBAL__N_19NonZeroOpIaEEPKalEEPiiNS8_6detail34convert_binary_result_type_wrapperINS8_3SumESH_iEEEE10hipError_tPvRmT1_T2_T3_mT4_P12ihipStream_tbEUlT_E1_NS1_11comp_targetILNS1_3genE8ELNS1_11target_archE1030ELNS1_3gpuE2ELNS1_3repE0EEENS1_30default_config_static_selectorELNS0_4arch9wavefront6targetE0EEEvSQ_,@function
_ZN7rocprim17ROCPRIM_400000_NS6detail17trampoline_kernelINS0_14default_configENS1_22reduce_config_selectorIbEEZNS1_11reduce_implILb1ES3_N6hipcub16HIPCUB_304000_NS22TransformInputIteratorIbN2at6native12_GLOBAL__N_19NonZeroOpIaEEPKalEEPiiNS8_6detail34convert_binary_result_type_wrapperINS8_3SumESH_iEEEE10hipError_tPvRmT1_T2_T3_mT4_P12ihipStream_tbEUlT_E1_NS1_11comp_targetILNS1_3genE8ELNS1_11target_archE1030ELNS1_3gpuE2ELNS1_3repE0EEENS1_30default_config_static_selectorELNS0_4arch9wavefront6targetE0EEEvSQ_: ; @_ZN7rocprim17ROCPRIM_400000_NS6detail17trampoline_kernelINS0_14default_configENS1_22reduce_config_selectorIbEEZNS1_11reduce_implILb1ES3_N6hipcub16HIPCUB_304000_NS22TransformInputIteratorIbN2at6native12_GLOBAL__N_19NonZeroOpIaEEPKalEEPiiNS8_6detail34convert_binary_result_type_wrapperINS8_3SumESH_iEEEE10hipError_tPvRmT1_T2_T3_mT4_P12ihipStream_tbEUlT_E1_NS1_11comp_targetILNS1_3genE8ELNS1_11target_archE1030ELNS1_3gpuE2ELNS1_3repE0EEENS1_30default_config_static_selectorELNS0_4arch9wavefront6targetE0EEEvSQ_
; %bb.0:
	.section	.rodata,"a",@progbits
	.p2align	6, 0x0
	.amdhsa_kernel _ZN7rocprim17ROCPRIM_400000_NS6detail17trampoline_kernelINS0_14default_configENS1_22reduce_config_selectorIbEEZNS1_11reduce_implILb1ES3_N6hipcub16HIPCUB_304000_NS22TransformInputIteratorIbN2at6native12_GLOBAL__N_19NonZeroOpIaEEPKalEEPiiNS8_6detail34convert_binary_result_type_wrapperINS8_3SumESH_iEEEE10hipError_tPvRmT1_T2_T3_mT4_P12ihipStream_tbEUlT_E1_NS1_11comp_targetILNS1_3genE8ELNS1_11target_archE1030ELNS1_3gpuE2ELNS1_3repE0EEENS1_30default_config_static_selectorELNS0_4arch9wavefront6targetE0EEEvSQ_
		.amdhsa_group_segment_fixed_size 0
		.amdhsa_private_segment_fixed_size 0
		.amdhsa_kernarg_size 48
		.amdhsa_user_sgpr_count 15
		.amdhsa_user_sgpr_dispatch_ptr 0
		.amdhsa_user_sgpr_queue_ptr 0
		.amdhsa_user_sgpr_kernarg_segment_ptr 1
		.amdhsa_user_sgpr_dispatch_id 0
		.amdhsa_user_sgpr_private_segment_size 0
		.amdhsa_wavefront_size32 1
		.amdhsa_uses_dynamic_stack 0
		.amdhsa_enable_private_segment 0
		.amdhsa_system_sgpr_workgroup_id_x 1
		.amdhsa_system_sgpr_workgroup_id_y 0
		.amdhsa_system_sgpr_workgroup_id_z 0
		.amdhsa_system_sgpr_workgroup_info 0
		.amdhsa_system_vgpr_workitem_id 0
		.amdhsa_next_free_vgpr 1
		.amdhsa_next_free_sgpr 1
		.amdhsa_reserve_vcc 0
		.amdhsa_float_round_mode_32 0
		.amdhsa_float_round_mode_16_64 0
		.amdhsa_float_denorm_mode_32 3
		.amdhsa_float_denorm_mode_16_64 3
		.amdhsa_dx10_clamp 1
		.amdhsa_ieee_mode 1
		.amdhsa_fp16_overflow 0
		.amdhsa_workgroup_processor_mode 1
		.amdhsa_memory_ordered 1
		.amdhsa_forward_progress 0
		.amdhsa_shared_vgpr_count 0
		.amdhsa_exception_fp_ieee_invalid_op 0
		.amdhsa_exception_fp_denorm_src 0
		.amdhsa_exception_fp_ieee_div_zero 0
		.amdhsa_exception_fp_ieee_overflow 0
		.amdhsa_exception_fp_ieee_underflow 0
		.amdhsa_exception_fp_ieee_inexact 0
		.amdhsa_exception_int_div_zero 0
	.end_amdhsa_kernel
	.section	.text._ZN7rocprim17ROCPRIM_400000_NS6detail17trampoline_kernelINS0_14default_configENS1_22reduce_config_selectorIbEEZNS1_11reduce_implILb1ES3_N6hipcub16HIPCUB_304000_NS22TransformInputIteratorIbN2at6native12_GLOBAL__N_19NonZeroOpIaEEPKalEEPiiNS8_6detail34convert_binary_result_type_wrapperINS8_3SumESH_iEEEE10hipError_tPvRmT1_T2_T3_mT4_P12ihipStream_tbEUlT_E1_NS1_11comp_targetILNS1_3genE8ELNS1_11target_archE1030ELNS1_3gpuE2ELNS1_3repE0EEENS1_30default_config_static_selectorELNS0_4arch9wavefront6targetE0EEEvSQ_,"axG",@progbits,_ZN7rocprim17ROCPRIM_400000_NS6detail17trampoline_kernelINS0_14default_configENS1_22reduce_config_selectorIbEEZNS1_11reduce_implILb1ES3_N6hipcub16HIPCUB_304000_NS22TransformInputIteratorIbN2at6native12_GLOBAL__N_19NonZeroOpIaEEPKalEEPiiNS8_6detail34convert_binary_result_type_wrapperINS8_3SumESH_iEEEE10hipError_tPvRmT1_T2_T3_mT4_P12ihipStream_tbEUlT_E1_NS1_11comp_targetILNS1_3genE8ELNS1_11target_archE1030ELNS1_3gpuE2ELNS1_3repE0EEENS1_30default_config_static_selectorELNS0_4arch9wavefront6targetE0EEEvSQ_,comdat
.Lfunc_end117:
	.size	_ZN7rocprim17ROCPRIM_400000_NS6detail17trampoline_kernelINS0_14default_configENS1_22reduce_config_selectorIbEEZNS1_11reduce_implILb1ES3_N6hipcub16HIPCUB_304000_NS22TransformInputIteratorIbN2at6native12_GLOBAL__N_19NonZeroOpIaEEPKalEEPiiNS8_6detail34convert_binary_result_type_wrapperINS8_3SumESH_iEEEE10hipError_tPvRmT1_T2_T3_mT4_P12ihipStream_tbEUlT_E1_NS1_11comp_targetILNS1_3genE8ELNS1_11target_archE1030ELNS1_3gpuE2ELNS1_3repE0EEENS1_30default_config_static_selectorELNS0_4arch9wavefront6targetE0EEEvSQ_, .Lfunc_end117-_ZN7rocprim17ROCPRIM_400000_NS6detail17trampoline_kernelINS0_14default_configENS1_22reduce_config_selectorIbEEZNS1_11reduce_implILb1ES3_N6hipcub16HIPCUB_304000_NS22TransformInputIteratorIbN2at6native12_GLOBAL__N_19NonZeroOpIaEEPKalEEPiiNS8_6detail34convert_binary_result_type_wrapperINS8_3SumESH_iEEEE10hipError_tPvRmT1_T2_T3_mT4_P12ihipStream_tbEUlT_E1_NS1_11comp_targetILNS1_3genE8ELNS1_11target_archE1030ELNS1_3gpuE2ELNS1_3repE0EEENS1_30default_config_static_selectorELNS0_4arch9wavefront6targetE0EEEvSQ_
                                        ; -- End function
	.section	.AMDGPU.csdata,"",@progbits
; Kernel info:
; codeLenInByte = 0
; NumSgprs: 0
; NumVgprs: 0
; ScratchSize: 0
; MemoryBound: 0
; FloatMode: 240
; IeeeMode: 1
; LDSByteSize: 0 bytes/workgroup (compile time only)
; SGPRBlocks: 0
; VGPRBlocks: 0
; NumSGPRsForWavesPerEU: 1
; NumVGPRsForWavesPerEU: 1
; Occupancy: 16
; WaveLimiterHint : 0
; COMPUTE_PGM_RSRC2:SCRATCH_EN: 0
; COMPUTE_PGM_RSRC2:USER_SGPR: 15
; COMPUTE_PGM_RSRC2:TRAP_HANDLER: 0
; COMPUTE_PGM_RSRC2:TGID_X_EN: 1
; COMPUTE_PGM_RSRC2:TGID_Y_EN: 0
; COMPUTE_PGM_RSRC2:TGID_Z_EN: 0
; COMPUTE_PGM_RSRC2:TIDIG_COMP_CNT: 0
	.section	.text._ZN7rocprim17ROCPRIM_400000_NS6detail17trampoline_kernelINS0_14default_configENS1_25partition_config_selectorILNS1_17partition_subalgoE5ElNS0_10empty_typeEbEEZZNS1_14partition_implILS5_5ELb0ES3_mN6hipcub16HIPCUB_304000_NS21CountingInputIteratorIllEEPS6_NSA_22TransformInputIteratorIbN2at6native12_GLOBAL__N_19NonZeroOpIaEEPKalEENS0_5tupleIJPlS6_EEENSN_IJSD_SD_EEES6_PiJS6_EEE10hipError_tPvRmT3_T4_T5_T6_T7_T9_mT8_P12ihipStream_tbDpT10_ENKUlT_T0_E_clISt17integral_constantIbLb0EES1B_EEDaS16_S17_EUlS16_E_NS1_11comp_targetILNS1_3genE0ELNS1_11target_archE4294967295ELNS1_3gpuE0ELNS1_3repE0EEENS1_30default_config_static_selectorELNS0_4arch9wavefront6targetE0EEEvT1_,"axG",@progbits,_ZN7rocprim17ROCPRIM_400000_NS6detail17trampoline_kernelINS0_14default_configENS1_25partition_config_selectorILNS1_17partition_subalgoE5ElNS0_10empty_typeEbEEZZNS1_14partition_implILS5_5ELb0ES3_mN6hipcub16HIPCUB_304000_NS21CountingInputIteratorIllEEPS6_NSA_22TransformInputIteratorIbN2at6native12_GLOBAL__N_19NonZeroOpIaEEPKalEENS0_5tupleIJPlS6_EEENSN_IJSD_SD_EEES6_PiJS6_EEE10hipError_tPvRmT3_T4_T5_T6_T7_T9_mT8_P12ihipStream_tbDpT10_ENKUlT_T0_E_clISt17integral_constantIbLb0EES1B_EEDaS16_S17_EUlS16_E_NS1_11comp_targetILNS1_3genE0ELNS1_11target_archE4294967295ELNS1_3gpuE0ELNS1_3repE0EEENS1_30default_config_static_selectorELNS0_4arch9wavefront6targetE0EEEvT1_,comdat
	.globl	_ZN7rocprim17ROCPRIM_400000_NS6detail17trampoline_kernelINS0_14default_configENS1_25partition_config_selectorILNS1_17partition_subalgoE5ElNS0_10empty_typeEbEEZZNS1_14partition_implILS5_5ELb0ES3_mN6hipcub16HIPCUB_304000_NS21CountingInputIteratorIllEEPS6_NSA_22TransformInputIteratorIbN2at6native12_GLOBAL__N_19NonZeroOpIaEEPKalEENS0_5tupleIJPlS6_EEENSN_IJSD_SD_EEES6_PiJS6_EEE10hipError_tPvRmT3_T4_T5_T6_T7_T9_mT8_P12ihipStream_tbDpT10_ENKUlT_T0_E_clISt17integral_constantIbLb0EES1B_EEDaS16_S17_EUlS16_E_NS1_11comp_targetILNS1_3genE0ELNS1_11target_archE4294967295ELNS1_3gpuE0ELNS1_3repE0EEENS1_30default_config_static_selectorELNS0_4arch9wavefront6targetE0EEEvT1_ ; -- Begin function _ZN7rocprim17ROCPRIM_400000_NS6detail17trampoline_kernelINS0_14default_configENS1_25partition_config_selectorILNS1_17partition_subalgoE5ElNS0_10empty_typeEbEEZZNS1_14partition_implILS5_5ELb0ES3_mN6hipcub16HIPCUB_304000_NS21CountingInputIteratorIllEEPS6_NSA_22TransformInputIteratorIbN2at6native12_GLOBAL__N_19NonZeroOpIaEEPKalEENS0_5tupleIJPlS6_EEENSN_IJSD_SD_EEES6_PiJS6_EEE10hipError_tPvRmT3_T4_T5_T6_T7_T9_mT8_P12ihipStream_tbDpT10_ENKUlT_T0_E_clISt17integral_constantIbLb0EES1B_EEDaS16_S17_EUlS16_E_NS1_11comp_targetILNS1_3genE0ELNS1_11target_archE4294967295ELNS1_3gpuE0ELNS1_3repE0EEENS1_30default_config_static_selectorELNS0_4arch9wavefront6targetE0EEEvT1_
	.p2align	8
	.type	_ZN7rocprim17ROCPRIM_400000_NS6detail17trampoline_kernelINS0_14default_configENS1_25partition_config_selectorILNS1_17partition_subalgoE5ElNS0_10empty_typeEbEEZZNS1_14partition_implILS5_5ELb0ES3_mN6hipcub16HIPCUB_304000_NS21CountingInputIteratorIllEEPS6_NSA_22TransformInputIteratorIbN2at6native12_GLOBAL__N_19NonZeroOpIaEEPKalEENS0_5tupleIJPlS6_EEENSN_IJSD_SD_EEES6_PiJS6_EEE10hipError_tPvRmT3_T4_T5_T6_T7_T9_mT8_P12ihipStream_tbDpT10_ENKUlT_T0_E_clISt17integral_constantIbLb0EES1B_EEDaS16_S17_EUlS16_E_NS1_11comp_targetILNS1_3genE0ELNS1_11target_archE4294967295ELNS1_3gpuE0ELNS1_3repE0EEENS1_30default_config_static_selectorELNS0_4arch9wavefront6targetE0EEEvT1_,@function
_ZN7rocprim17ROCPRIM_400000_NS6detail17trampoline_kernelINS0_14default_configENS1_25partition_config_selectorILNS1_17partition_subalgoE5ElNS0_10empty_typeEbEEZZNS1_14partition_implILS5_5ELb0ES3_mN6hipcub16HIPCUB_304000_NS21CountingInputIteratorIllEEPS6_NSA_22TransformInputIteratorIbN2at6native12_GLOBAL__N_19NonZeroOpIaEEPKalEENS0_5tupleIJPlS6_EEENSN_IJSD_SD_EEES6_PiJS6_EEE10hipError_tPvRmT3_T4_T5_T6_T7_T9_mT8_P12ihipStream_tbDpT10_ENKUlT_T0_E_clISt17integral_constantIbLb0EES1B_EEDaS16_S17_EUlS16_E_NS1_11comp_targetILNS1_3genE0ELNS1_11target_archE4294967295ELNS1_3gpuE0ELNS1_3repE0EEENS1_30default_config_static_selectorELNS0_4arch9wavefront6targetE0EEEvT1_: ; @_ZN7rocprim17ROCPRIM_400000_NS6detail17trampoline_kernelINS0_14default_configENS1_25partition_config_selectorILNS1_17partition_subalgoE5ElNS0_10empty_typeEbEEZZNS1_14partition_implILS5_5ELb0ES3_mN6hipcub16HIPCUB_304000_NS21CountingInputIteratorIllEEPS6_NSA_22TransformInputIteratorIbN2at6native12_GLOBAL__N_19NonZeroOpIaEEPKalEENS0_5tupleIJPlS6_EEENSN_IJSD_SD_EEES6_PiJS6_EEE10hipError_tPvRmT3_T4_T5_T6_T7_T9_mT8_P12ihipStream_tbDpT10_ENKUlT_T0_E_clISt17integral_constantIbLb0EES1B_EEDaS16_S17_EUlS16_E_NS1_11comp_targetILNS1_3genE0ELNS1_11target_archE4294967295ELNS1_3gpuE0ELNS1_3repE0EEENS1_30default_config_static_selectorELNS0_4arch9wavefront6targetE0EEEvT1_
; %bb.0:
	.section	.rodata,"a",@progbits
	.p2align	6, 0x0
	.amdhsa_kernel _ZN7rocprim17ROCPRIM_400000_NS6detail17trampoline_kernelINS0_14default_configENS1_25partition_config_selectorILNS1_17partition_subalgoE5ElNS0_10empty_typeEbEEZZNS1_14partition_implILS5_5ELb0ES3_mN6hipcub16HIPCUB_304000_NS21CountingInputIteratorIllEEPS6_NSA_22TransformInputIteratorIbN2at6native12_GLOBAL__N_19NonZeroOpIaEEPKalEENS0_5tupleIJPlS6_EEENSN_IJSD_SD_EEES6_PiJS6_EEE10hipError_tPvRmT3_T4_T5_T6_T7_T9_mT8_P12ihipStream_tbDpT10_ENKUlT_T0_E_clISt17integral_constantIbLb0EES1B_EEDaS16_S17_EUlS16_E_NS1_11comp_targetILNS1_3genE0ELNS1_11target_archE4294967295ELNS1_3gpuE0ELNS1_3repE0EEENS1_30default_config_static_selectorELNS0_4arch9wavefront6targetE0EEEvT1_
		.amdhsa_group_segment_fixed_size 0
		.amdhsa_private_segment_fixed_size 0
		.amdhsa_kernarg_size 120
		.amdhsa_user_sgpr_count 15
		.amdhsa_user_sgpr_dispatch_ptr 0
		.amdhsa_user_sgpr_queue_ptr 0
		.amdhsa_user_sgpr_kernarg_segment_ptr 1
		.amdhsa_user_sgpr_dispatch_id 0
		.amdhsa_user_sgpr_private_segment_size 0
		.amdhsa_wavefront_size32 1
		.amdhsa_uses_dynamic_stack 0
		.amdhsa_enable_private_segment 0
		.amdhsa_system_sgpr_workgroup_id_x 1
		.amdhsa_system_sgpr_workgroup_id_y 0
		.amdhsa_system_sgpr_workgroup_id_z 0
		.amdhsa_system_sgpr_workgroup_info 0
		.amdhsa_system_vgpr_workitem_id 0
		.amdhsa_next_free_vgpr 1
		.amdhsa_next_free_sgpr 1
		.amdhsa_reserve_vcc 0
		.amdhsa_float_round_mode_32 0
		.amdhsa_float_round_mode_16_64 0
		.amdhsa_float_denorm_mode_32 3
		.amdhsa_float_denorm_mode_16_64 3
		.amdhsa_dx10_clamp 1
		.amdhsa_ieee_mode 1
		.amdhsa_fp16_overflow 0
		.amdhsa_workgroup_processor_mode 1
		.amdhsa_memory_ordered 1
		.amdhsa_forward_progress 0
		.amdhsa_shared_vgpr_count 0
		.amdhsa_exception_fp_ieee_invalid_op 0
		.amdhsa_exception_fp_denorm_src 0
		.amdhsa_exception_fp_ieee_div_zero 0
		.amdhsa_exception_fp_ieee_overflow 0
		.amdhsa_exception_fp_ieee_underflow 0
		.amdhsa_exception_fp_ieee_inexact 0
		.amdhsa_exception_int_div_zero 0
	.end_amdhsa_kernel
	.section	.text._ZN7rocprim17ROCPRIM_400000_NS6detail17trampoline_kernelINS0_14default_configENS1_25partition_config_selectorILNS1_17partition_subalgoE5ElNS0_10empty_typeEbEEZZNS1_14partition_implILS5_5ELb0ES3_mN6hipcub16HIPCUB_304000_NS21CountingInputIteratorIllEEPS6_NSA_22TransformInputIteratorIbN2at6native12_GLOBAL__N_19NonZeroOpIaEEPKalEENS0_5tupleIJPlS6_EEENSN_IJSD_SD_EEES6_PiJS6_EEE10hipError_tPvRmT3_T4_T5_T6_T7_T9_mT8_P12ihipStream_tbDpT10_ENKUlT_T0_E_clISt17integral_constantIbLb0EES1B_EEDaS16_S17_EUlS16_E_NS1_11comp_targetILNS1_3genE0ELNS1_11target_archE4294967295ELNS1_3gpuE0ELNS1_3repE0EEENS1_30default_config_static_selectorELNS0_4arch9wavefront6targetE0EEEvT1_,"axG",@progbits,_ZN7rocprim17ROCPRIM_400000_NS6detail17trampoline_kernelINS0_14default_configENS1_25partition_config_selectorILNS1_17partition_subalgoE5ElNS0_10empty_typeEbEEZZNS1_14partition_implILS5_5ELb0ES3_mN6hipcub16HIPCUB_304000_NS21CountingInputIteratorIllEEPS6_NSA_22TransformInputIteratorIbN2at6native12_GLOBAL__N_19NonZeroOpIaEEPKalEENS0_5tupleIJPlS6_EEENSN_IJSD_SD_EEES6_PiJS6_EEE10hipError_tPvRmT3_T4_T5_T6_T7_T9_mT8_P12ihipStream_tbDpT10_ENKUlT_T0_E_clISt17integral_constantIbLb0EES1B_EEDaS16_S17_EUlS16_E_NS1_11comp_targetILNS1_3genE0ELNS1_11target_archE4294967295ELNS1_3gpuE0ELNS1_3repE0EEENS1_30default_config_static_selectorELNS0_4arch9wavefront6targetE0EEEvT1_,comdat
.Lfunc_end118:
	.size	_ZN7rocprim17ROCPRIM_400000_NS6detail17trampoline_kernelINS0_14default_configENS1_25partition_config_selectorILNS1_17partition_subalgoE5ElNS0_10empty_typeEbEEZZNS1_14partition_implILS5_5ELb0ES3_mN6hipcub16HIPCUB_304000_NS21CountingInputIteratorIllEEPS6_NSA_22TransformInputIteratorIbN2at6native12_GLOBAL__N_19NonZeroOpIaEEPKalEENS0_5tupleIJPlS6_EEENSN_IJSD_SD_EEES6_PiJS6_EEE10hipError_tPvRmT3_T4_T5_T6_T7_T9_mT8_P12ihipStream_tbDpT10_ENKUlT_T0_E_clISt17integral_constantIbLb0EES1B_EEDaS16_S17_EUlS16_E_NS1_11comp_targetILNS1_3genE0ELNS1_11target_archE4294967295ELNS1_3gpuE0ELNS1_3repE0EEENS1_30default_config_static_selectorELNS0_4arch9wavefront6targetE0EEEvT1_, .Lfunc_end118-_ZN7rocprim17ROCPRIM_400000_NS6detail17trampoline_kernelINS0_14default_configENS1_25partition_config_selectorILNS1_17partition_subalgoE5ElNS0_10empty_typeEbEEZZNS1_14partition_implILS5_5ELb0ES3_mN6hipcub16HIPCUB_304000_NS21CountingInputIteratorIllEEPS6_NSA_22TransformInputIteratorIbN2at6native12_GLOBAL__N_19NonZeroOpIaEEPKalEENS0_5tupleIJPlS6_EEENSN_IJSD_SD_EEES6_PiJS6_EEE10hipError_tPvRmT3_T4_T5_T6_T7_T9_mT8_P12ihipStream_tbDpT10_ENKUlT_T0_E_clISt17integral_constantIbLb0EES1B_EEDaS16_S17_EUlS16_E_NS1_11comp_targetILNS1_3genE0ELNS1_11target_archE4294967295ELNS1_3gpuE0ELNS1_3repE0EEENS1_30default_config_static_selectorELNS0_4arch9wavefront6targetE0EEEvT1_
                                        ; -- End function
	.section	.AMDGPU.csdata,"",@progbits
; Kernel info:
; codeLenInByte = 0
; NumSgprs: 0
; NumVgprs: 0
; ScratchSize: 0
; MemoryBound: 0
; FloatMode: 240
; IeeeMode: 1
; LDSByteSize: 0 bytes/workgroup (compile time only)
; SGPRBlocks: 0
; VGPRBlocks: 0
; NumSGPRsForWavesPerEU: 1
; NumVGPRsForWavesPerEU: 1
; Occupancy: 16
; WaveLimiterHint : 0
; COMPUTE_PGM_RSRC2:SCRATCH_EN: 0
; COMPUTE_PGM_RSRC2:USER_SGPR: 15
; COMPUTE_PGM_RSRC2:TRAP_HANDLER: 0
; COMPUTE_PGM_RSRC2:TGID_X_EN: 1
; COMPUTE_PGM_RSRC2:TGID_Y_EN: 0
; COMPUTE_PGM_RSRC2:TGID_Z_EN: 0
; COMPUTE_PGM_RSRC2:TIDIG_COMP_CNT: 0
	.section	.text._ZN7rocprim17ROCPRIM_400000_NS6detail17trampoline_kernelINS0_14default_configENS1_25partition_config_selectorILNS1_17partition_subalgoE5ElNS0_10empty_typeEbEEZZNS1_14partition_implILS5_5ELb0ES3_mN6hipcub16HIPCUB_304000_NS21CountingInputIteratorIllEEPS6_NSA_22TransformInputIteratorIbN2at6native12_GLOBAL__N_19NonZeroOpIaEEPKalEENS0_5tupleIJPlS6_EEENSN_IJSD_SD_EEES6_PiJS6_EEE10hipError_tPvRmT3_T4_T5_T6_T7_T9_mT8_P12ihipStream_tbDpT10_ENKUlT_T0_E_clISt17integral_constantIbLb0EES1B_EEDaS16_S17_EUlS16_E_NS1_11comp_targetILNS1_3genE5ELNS1_11target_archE942ELNS1_3gpuE9ELNS1_3repE0EEENS1_30default_config_static_selectorELNS0_4arch9wavefront6targetE0EEEvT1_,"axG",@progbits,_ZN7rocprim17ROCPRIM_400000_NS6detail17trampoline_kernelINS0_14default_configENS1_25partition_config_selectorILNS1_17partition_subalgoE5ElNS0_10empty_typeEbEEZZNS1_14partition_implILS5_5ELb0ES3_mN6hipcub16HIPCUB_304000_NS21CountingInputIteratorIllEEPS6_NSA_22TransformInputIteratorIbN2at6native12_GLOBAL__N_19NonZeroOpIaEEPKalEENS0_5tupleIJPlS6_EEENSN_IJSD_SD_EEES6_PiJS6_EEE10hipError_tPvRmT3_T4_T5_T6_T7_T9_mT8_P12ihipStream_tbDpT10_ENKUlT_T0_E_clISt17integral_constantIbLb0EES1B_EEDaS16_S17_EUlS16_E_NS1_11comp_targetILNS1_3genE5ELNS1_11target_archE942ELNS1_3gpuE9ELNS1_3repE0EEENS1_30default_config_static_selectorELNS0_4arch9wavefront6targetE0EEEvT1_,comdat
	.globl	_ZN7rocprim17ROCPRIM_400000_NS6detail17trampoline_kernelINS0_14default_configENS1_25partition_config_selectorILNS1_17partition_subalgoE5ElNS0_10empty_typeEbEEZZNS1_14partition_implILS5_5ELb0ES3_mN6hipcub16HIPCUB_304000_NS21CountingInputIteratorIllEEPS6_NSA_22TransformInputIteratorIbN2at6native12_GLOBAL__N_19NonZeroOpIaEEPKalEENS0_5tupleIJPlS6_EEENSN_IJSD_SD_EEES6_PiJS6_EEE10hipError_tPvRmT3_T4_T5_T6_T7_T9_mT8_P12ihipStream_tbDpT10_ENKUlT_T0_E_clISt17integral_constantIbLb0EES1B_EEDaS16_S17_EUlS16_E_NS1_11comp_targetILNS1_3genE5ELNS1_11target_archE942ELNS1_3gpuE9ELNS1_3repE0EEENS1_30default_config_static_selectorELNS0_4arch9wavefront6targetE0EEEvT1_ ; -- Begin function _ZN7rocprim17ROCPRIM_400000_NS6detail17trampoline_kernelINS0_14default_configENS1_25partition_config_selectorILNS1_17partition_subalgoE5ElNS0_10empty_typeEbEEZZNS1_14partition_implILS5_5ELb0ES3_mN6hipcub16HIPCUB_304000_NS21CountingInputIteratorIllEEPS6_NSA_22TransformInputIteratorIbN2at6native12_GLOBAL__N_19NonZeroOpIaEEPKalEENS0_5tupleIJPlS6_EEENSN_IJSD_SD_EEES6_PiJS6_EEE10hipError_tPvRmT3_T4_T5_T6_T7_T9_mT8_P12ihipStream_tbDpT10_ENKUlT_T0_E_clISt17integral_constantIbLb0EES1B_EEDaS16_S17_EUlS16_E_NS1_11comp_targetILNS1_3genE5ELNS1_11target_archE942ELNS1_3gpuE9ELNS1_3repE0EEENS1_30default_config_static_selectorELNS0_4arch9wavefront6targetE0EEEvT1_
	.p2align	8
	.type	_ZN7rocprim17ROCPRIM_400000_NS6detail17trampoline_kernelINS0_14default_configENS1_25partition_config_selectorILNS1_17partition_subalgoE5ElNS0_10empty_typeEbEEZZNS1_14partition_implILS5_5ELb0ES3_mN6hipcub16HIPCUB_304000_NS21CountingInputIteratorIllEEPS6_NSA_22TransformInputIteratorIbN2at6native12_GLOBAL__N_19NonZeroOpIaEEPKalEENS0_5tupleIJPlS6_EEENSN_IJSD_SD_EEES6_PiJS6_EEE10hipError_tPvRmT3_T4_T5_T6_T7_T9_mT8_P12ihipStream_tbDpT10_ENKUlT_T0_E_clISt17integral_constantIbLb0EES1B_EEDaS16_S17_EUlS16_E_NS1_11comp_targetILNS1_3genE5ELNS1_11target_archE942ELNS1_3gpuE9ELNS1_3repE0EEENS1_30default_config_static_selectorELNS0_4arch9wavefront6targetE0EEEvT1_,@function
_ZN7rocprim17ROCPRIM_400000_NS6detail17trampoline_kernelINS0_14default_configENS1_25partition_config_selectorILNS1_17partition_subalgoE5ElNS0_10empty_typeEbEEZZNS1_14partition_implILS5_5ELb0ES3_mN6hipcub16HIPCUB_304000_NS21CountingInputIteratorIllEEPS6_NSA_22TransformInputIteratorIbN2at6native12_GLOBAL__N_19NonZeroOpIaEEPKalEENS0_5tupleIJPlS6_EEENSN_IJSD_SD_EEES6_PiJS6_EEE10hipError_tPvRmT3_T4_T5_T6_T7_T9_mT8_P12ihipStream_tbDpT10_ENKUlT_T0_E_clISt17integral_constantIbLb0EES1B_EEDaS16_S17_EUlS16_E_NS1_11comp_targetILNS1_3genE5ELNS1_11target_archE942ELNS1_3gpuE9ELNS1_3repE0EEENS1_30default_config_static_selectorELNS0_4arch9wavefront6targetE0EEEvT1_: ; @_ZN7rocprim17ROCPRIM_400000_NS6detail17trampoline_kernelINS0_14default_configENS1_25partition_config_selectorILNS1_17partition_subalgoE5ElNS0_10empty_typeEbEEZZNS1_14partition_implILS5_5ELb0ES3_mN6hipcub16HIPCUB_304000_NS21CountingInputIteratorIllEEPS6_NSA_22TransformInputIteratorIbN2at6native12_GLOBAL__N_19NonZeroOpIaEEPKalEENS0_5tupleIJPlS6_EEENSN_IJSD_SD_EEES6_PiJS6_EEE10hipError_tPvRmT3_T4_T5_T6_T7_T9_mT8_P12ihipStream_tbDpT10_ENKUlT_T0_E_clISt17integral_constantIbLb0EES1B_EEDaS16_S17_EUlS16_E_NS1_11comp_targetILNS1_3genE5ELNS1_11target_archE942ELNS1_3gpuE9ELNS1_3repE0EEENS1_30default_config_static_selectorELNS0_4arch9wavefront6targetE0EEEvT1_
; %bb.0:
	.section	.rodata,"a",@progbits
	.p2align	6, 0x0
	.amdhsa_kernel _ZN7rocprim17ROCPRIM_400000_NS6detail17trampoline_kernelINS0_14default_configENS1_25partition_config_selectorILNS1_17partition_subalgoE5ElNS0_10empty_typeEbEEZZNS1_14partition_implILS5_5ELb0ES3_mN6hipcub16HIPCUB_304000_NS21CountingInputIteratorIllEEPS6_NSA_22TransformInputIteratorIbN2at6native12_GLOBAL__N_19NonZeroOpIaEEPKalEENS0_5tupleIJPlS6_EEENSN_IJSD_SD_EEES6_PiJS6_EEE10hipError_tPvRmT3_T4_T5_T6_T7_T9_mT8_P12ihipStream_tbDpT10_ENKUlT_T0_E_clISt17integral_constantIbLb0EES1B_EEDaS16_S17_EUlS16_E_NS1_11comp_targetILNS1_3genE5ELNS1_11target_archE942ELNS1_3gpuE9ELNS1_3repE0EEENS1_30default_config_static_selectorELNS0_4arch9wavefront6targetE0EEEvT1_
		.amdhsa_group_segment_fixed_size 0
		.amdhsa_private_segment_fixed_size 0
		.amdhsa_kernarg_size 120
		.amdhsa_user_sgpr_count 15
		.amdhsa_user_sgpr_dispatch_ptr 0
		.amdhsa_user_sgpr_queue_ptr 0
		.amdhsa_user_sgpr_kernarg_segment_ptr 1
		.amdhsa_user_sgpr_dispatch_id 0
		.amdhsa_user_sgpr_private_segment_size 0
		.amdhsa_wavefront_size32 1
		.amdhsa_uses_dynamic_stack 0
		.amdhsa_enable_private_segment 0
		.amdhsa_system_sgpr_workgroup_id_x 1
		.amdhsa_system_sgpr_workgroup_id_y 0
		.amdhsa_system_sgpr_workgroup_id_z 0
		.amdhsa_system_sgpr_workgroup_info 0
		.amdhsa_system_vgpr_workitem_id 0
		.amdhsa_next_free_vgpr 1
		.amdhsa_next_free_sgpr 1
		.amdhsa_reserve_vcc 0
		.amdhsa_float_round_mode_32 0
		.amdhsa_float_round_mode_16_64 0
		.amdhsa_float_denorm_mode_32 3
		.amdhsa_float_denorm_mode_16_64 3
		.amdhsa_dx10_clamp 1
		.amdhsa_ieee_mode 1
		.amdhsa_fp16_overflow 0
		.amdhsa_workgroup_processor_mode 1
		.amdhsa_memory_ordered 1
		.amdhsa_forward_progress 0
		.amdhsa_shared_vgpr_count 0
		.amdhsa_exception_fp_ieee_invalid_op 0
		.amdhsa_exception_fp_denorm_src 0
		.amdhsa_exception_fp_ieee_div_zero 0
		.amdhsa_exception_fp_ieee_overflow 0
		.amdhsa_exception_fp_ieee_underflow 0
		.amdhsa_exception_fp_ieee_inexact 0
		.amdhsa_exception_int_div_zero 0
	.end_amdhsa_kernel
	.section	.text._ZN7rocprim17ROCPRIM_400000_NS6detail17trampoline_kernelINS0_14default_configENS1_25partition_config_selectorILNS1_17partition_subalgoE5ElNS0_10empty_typeEbEEZZNS1_14partition_implILS5_5ELb0ES3_mN6hipcub16HIPCUB_304000_NS21CountingInputIteratorIllEEPS6_NSA_22TransformInputIteratorIbN2at6native12_GLOBAL__N_19NonZeroOpIaEEPKalEENS0_5tupleIJPlS6_EEENSN_IJSD_SD_EEES6_PiJS6_EEE10hipError_tPvRmT3_T4_T5_T6_T7_T9_mT8_P12ihipStream_tbDpT10_ENKUlT_T0_E_clISt17integral_constantIbLb0EES1B_EEDaS16_S17_EUlS16_E_NS1_11comp_targetILNS1_3genE5ELNS1_11target_archE942ELNS1_3gpuE9ELNS1_3repE0EEENS1_30default_config_static_selectorELNS0_4arch9wavefront6targetE0EEEvT1_,"axG",@progbits,_ZN7rocprim17ROCPRIM_400000_NS6detail17trampoline_kernelINS0_14default_configENS1_25partition_config_selectorILNS1_17partition_subalgoE5ElNS0_10empty_typeEbEEZZNS1_14partition_implILS5_5ELb0ES3_mN6hipcub16HIPCUB_304000_NS21CountingInputIteratorIllEEPS6_NSA_22TransformInputIteratorIbN2at6native12_GLOBAL__N_19NonZeroOpIaEEPKalEENS0_5tupleIJPlS6_EEENSN_IJSD_SD_EEES6_PiJS6_EEE10hipError_tPvRmT3_T4_T5_T6_T7_T9_mT8_P12ihipStream_tbDpT10_ENKUlT_T0_E_clISt17integral_constantIbLb0EES1B_EEDaS16_S17_EUlS16_E_NS1_11comp_targetILNS1_3genE5ELNS1_11target_archE942ELNS1_3gpuE9ELNS1_3repE0EEENS1_30default_config_static_selectorELNS0_4arch9wavefront6targetE0EEEvT1_,comdat
.Lfunc_end119:
	.size	_ZN7rocprim17ROCPRIM_400000_NS6detail17trampoline_kernelINS0_14default_configENS1_25partition_config_selectorILNS1_17partition_subalgoE5ElNS0_10empty_typeEbEEZZNS1_14partition_implILS5_5ELb0ES3_mN6hipcub16HIPCUB_304000_NS21CountingInputIteratorIllEEPS6_NSA_22TransformInputIteratorIbN2at6native12_GLOBAL__N_19NonZeroOpIaEEPKalEENS0_5tupleIJPlS6_EEENSN_IJSD_SD_EEES6_PiJS6_EEE10hipError_tPvRmT3_T4_T5_T6_T7_T9_mT8_P12ihipStream_tbDpT10_ENKUlT_T0_E_clISt17integral_constantIbLb0EES1B_EEDaS16_S17_EUlS16_E_NS1_11comp_targetILNS1_3genE5ELNS1_11target_archE942ELNS1_3gpuE9ELNS1_3repE0EEENS1_30default_config_static_selectorELNS0_4arch9wavefront6targetE0EEEvT1_, .Lfunc_end119-_ZN7rocprim17ROCPRIM_400000_NS6detail17trampoline_kernelINS0_14default_configENS1_25partition_config_selectorILNS1_17partition_subalgoE5ElNS0_10empty_typeEbEEZZNS1_14partition_implILS5_5ELb0ES3_mN6hipcub16HIPCUB_304000_NS21CountingInputIteratorIllEEPS6_NSA_22TransformInputIteratorIbN2at6native12_GLOBAL__N_19NonZeroOpIaEEPKalEENS0_5tupleIJPlS6_EEENSN_IJSD_SD_EEES6_PiJS6_EEE10hipError_tPvRmT3_T4_T5_T6_T7_T9_mT8_P12ihipStream_tbDpT10_ENKUlT_T0_E_clISt17integral_constantIbLb0EES1B_EEDaS16_S17_EUlS16_E_NS1_11comp_targetILNS1_3genE5ELNS1_11target_archE942ELNS1_3gpuE9ELNS1_3repE0EEENS1_30default_config_static_selectorELNS0_4arch9wavefront6targetE0EEEvT1_
                                        ; -- End function
	.section	.AMDGPU.csdata,"",@progbits
; Kernel info:
; codeLenInByte = 0
; NumSgprs: 0
; NumVgprs: 0
; ScratchSize: 0
; MemoryBound: 0
; FloatMode: 240
; IeeeMode: 1
; LDSByteSize: 0 bytes/workgroup (compile time only)
; SGPRBlocks: 0
; VGPRBlocks: 0
; NumSGPRsForWavesPerEU: 1
; NumVGPRsForWavesPerEU: 1
; Occupancy: 16
; WaveLimiterHint : 0
; COMPUTE_PGM_RSRC2:SCRATCH_EN: 0
; COMPUTE_PGM_RSRC2:USER_SGPR: 15
; COMPUTE_PGM_RSRC2:TRAP_HANDLER: 0
; COMPUTE_PGM_RSRC2:TGID_X_EN: 1
; COMPUTE_PGM_RSRC2:TGID_Y_EN: 0
; COMPUTE_PGM_RSRC2:TGID_Z_EN: 0
; COMPUTE_PGM_RSRC2:TIDIG_COMP_CNT: 0
	.section	.text._ZN7rocprim17ROCPRIM_400000_NS6detail17trampoline_kernelINS0_14default_configENS1_25partition_config_selectorILNS1_17partition_subalgoE5ElNS0_10empty_typeEbEEZZNS1_14partition_implILS5_5ELb0ES3_mN6hipcub16HIPCUB_304000_NS21CountingInputIteratorIllEEPS6_NSA_22TransformInputIteratorIbN2at6native12_GLOBAL__N_19NonZeroOpIaEEPKalEENS0_5tupleIJPlS6_EEENSN_IJSD_SD_EEES6_PiJS6_EEE10hipError_tPvRmT3_T4_T5_T6_T7_T9_mT8_P12ihipStream_tbDpT10_ENKUlT_T0_E_clISt17integral_constantIbLb0EES1B_EEDaS16_S17_EUlS16_E_NS1_11comp_targetILNS1_3genE4ELNS1_11target_archE910ELNS1_3gpuE8ELNS1_3repE0EEENS1_30default_config_static_selectorELNS0_4arch9wavefront6targetE0EEEvT1_,"axG",@progbits,_ZN7rocprim17ROCPRIM_400000_NS6detail17trampoline_kernelINS0_14default_configENS1_25partition_config_selectorILNS1_17partition_subalgoE5ElNS0_10empty_typeEbEEZZNS1_14partition_implILS5_5ELb0ES3_mN6hipcub16HIPCUB_304000_NS21CountingInputIteratorIllEEPS6_NSA_22TransformInputIteratorIbN2at6native12_GLOBAL__N_19NonZeroOpIaEEPKalEENS0_5tupleIJPlS6_EEENSN_IJSD_SD_EEES6_PiJS6_EEE10hipError_tPvRmT3_T4_T5_T6_T7_T9_mT8_P12ihipStream_tbDpT10_ENKUlT_T0_E_clISt17integral_constantIbLb0EES1B_EEDaS16_S17_EUlS16_E_NS1_11comp_targetILNS1_3genE4ELNS1_11target_archE910ELNS1_3gpuE8ELNS1_3repE0EEENS1_30default_config_static_selectorELNS0_4arch9wavefront6targetE0EEEvT1_,comdat
	.globl	_ZN7rocprim17ROCPRIM_400000_NS6detail17trampoline_kernelINS0_14default_configENS1_25partition_config_selectorILNS1_17partition_subalgoE5ElNS0_10empty_typeEbEEZZNS1_14partition_implILS5_5ELb0ES3_mN6hipcub16HIPCUB_304000_NS21CountingInputIteratorIllEEPS6_NSA_22TransformInputIteratorIbN2at6native12_GLOBAL__N_19NonZeroOpIaEEPKalEENS0_5tupleIJPlS6_EEENSN_IJSD_SD_EEES6_PiJS6_EEE10hipError_tPvRmT3_T4_T5_T6_T7_T9_mT8_P12ihipStream_tbDpT10_ENKUlT_T0_E_clISt17integral_constantIbLb0EES1B_EEDaS16_S17_EUlS16_E_NS1_11comp_targetILNS1_3genE4ELNS1_11target_archE910ELNS1_3gpuE8ELNS1_3repE0EEENS1_30default_config_static_selectorELNS0_4arch9wavefront6targetE0EEEvT1_ ; -- Begin function _ZN7rocprim17ROCPRIM_400000_NS6detail17trampoline_kernelINS0_14default_configENS1_25partition_config_selectorILNS1_17partition_subalgoE5ElNS0_10empty_typeEbEEZZNS1_14partition_implILS5_5ELb0ES3_mN6hipcub16HIPCUB_304000_NS21CountingInputIteratorIllEEPS6_NSA_22TransformInputIteratorIbN2at6native12_GLOBAL__N_19NonZeroOpIaEEPKalEENS0_5tupleIJPlS6_EEENSN_IJSD_SD_EEES6_PiJS6_EEE10hipError_tPvRmT3_T4_T5_T6_T7_T9_mT8_P12ihipStream_tbDpT10_ENKUlT_T0_E_clISt17integral_constantIbLb0EES1B_EEDaS16_S17_EUlS16_E_NS1_11comp_targetILNS1_3genE4ELNS1_11target_archE910ELNS1_3gpuE8ELNS1_3repE0EEENS1_30default_config_static_selectorELNS0_4arch9wavefront6targetE0EEEvT1_
	.p2align	8
	.type	_ZN7rocprim17ROCPRIM_400000_NS6detail17trampoline_kernelINS0_14default_configENS1_25partition_config_selectorILNS1_17partition_subalgoE5ElNS0_10empty_typeEbEEZZNS1_14partition_implILS5_5ELb0ES3_mN6hipcub16HIPCUB_304000_NS21CountingInputIteratorIllEEPS6_NSA_22TransformInputIteratorIbN2at6native12_GLOBAL__N_19NonZeroOpIaEEPKalEENS0_5tupleIJPlS6_EEENSN_IJSD_SD_EEES6_PiJS6_EEE10hipError_tPvRmT3_T4_T5_T6_T7_T9_mT8_P12ihipStream_tbDpT10_ENKUlT_T0_E_clISt17integral_constantIbLb0EES1B_EEDaS16_S17_EUlS16_E_NS1_11comp_targetILNS1_3genE4ELNS1_11target_archE910ELNS1_3gpuE8ELNS1_3repE0EEENS1_30default_config_static_selectorELNS0_4arch9wavefront6targetE0EEEvT1_,@function
_ZN7rocprim17ROCPRIM_400000_NS6detail17trampoline_kernelINS0_14default_configENS1_25partition_config_selectorILNS1_17partition_subalgoE5ElNS0_10empty_typeEbEEZZNS1_14partition_implILS5_5ELb0ES3_mN6hipcub16HIPCUB_304000_NS21CountingInputIteratorIllEEPS6_NSA_22TransformInputIteratorIbN2at6native12_GLOBAL__N_19NonZeroOpIaEEPKalEENS0_5tupleIJPlS6_EEENSN_IJSD_SD_EEES6_PiJS6_EEE10hipError_tPvRmT3_T4_T5_T6_T7_T9_mT8_P12ihipStream_tbDpT10_ENKUlT_T0_E_clISt17integral_constantIbLb0EES1B_EEDaS16_S17_EUlS16_E_NS1_11comp_targetILNS1_3genE4ELNS1_11target_archE910ELNS1_3gpuE8ELNS1_3repE0EEENS1_30default_config_static_selectorELNS0_4arch9wavefront6targetE0EEEvT1_: ; @_ZN7rocprim17ROCPRIM_400000_NS6detail17trampoline_kernelINS0_14default_configENS1_25partition_config_selectorILNS1_17partition_subalgoE5ElNS0_10empty_typeEbEEZZNS1_14partition_implILS5_5ELb0ES3_mN6hipcub16HIPCUB_304000_NS21CountingInputIteratorIllEEPS6_NSA_22TransformInputIteratorIbN2at6native12_GLOBAL__N_19NonZeroOpIaEEPKalEENS0_5tupleIJPlS6_EEENSN_IJSD_SD_EEES6_PiJS6_EEE10hipError_tPvRmT3_T4_T5_T6_T7_T9_mT8_P12ihipStream_tbDpT10_ENKUlT_T0_E_clISt17integral_constantIbLb0EES1B_EEDaS16_S17_EUlS16_E_NS1_11comp_targetILNS1_3genE4ELNS1_11target_archE910ELNS1_3gpuE8ELNS1_3repE0EEENS1_30default_config_static_selectorELNS0_4arch9wavefront6targetE0EEEvT1_
; %bb.0:
	.section	.rodata,"a",@progbits
	.p2align	6, 0x0
	.amdhsa_kernel _ZN7rocprim17ROCPRIM_400000_NS6detail17trampoline_kernelINS0_14default_configENS1_25partition_config_selectorILNS1_17partition_subalgoE5ElNS0_10empty_typeEbEEZZNS1_14partition_implILS5_5ELb0ES3_mN6hipcub16HIPCUB_304000_NS21CountingInputIteratorIllEEPS6_NSA_22TransformInputIteratorIbN2at6native12_GLOBAL__N_19NonZeroOpIaEEPKalEENS0_5tupleIJPlS6_EEENSN_IJSD_SD_EEES6_PiJS6_EEE10hipError_tPvRmT3_T4_T5_T6_T7_T9_mT8_P12ihipStream_tbDpT10_ENKUlT_T0_E_clISt17integral_constantIbLb0EES1B_EEDaS16_S17_EUlS16_E_NS1_11comp_targetILNS1_3genE4ELNS1_11target_archE910ELNS1_3gpuE8ELNS1_3repE0EEENS1_30default_config_static_selectorELNS0_4arch9wavefront6targetE0EEEvT1_
		.amdhsa_group_segment_fixed_size 0
		.amdhsa_private_segment_fixed_size 0
		.amdhsa_kernarg_size 120
		.amdhsa_user_sgpr_count 15
		.amdhsa_user_sgpr_dispatch_ptr 0
		.amdhsa_user_sgpr_queue_ptr 0
		.amdhsa_user_sgpr_kernarg_segment_ptr 1
		.amdhsa_user_sgpr_dispatch_id 0
		.amdhsa_user_sgpr_private_segment_size 0
		.amdhsa_wavefront_size32 1
		.amdhsa_uses_dynamic_stack 0
		.amdhsa_enable_private_segment 0
		.amdhsa_system_sgpr_workgroup_id_x 1
		.amdhsa_system_sgpr_workgroup_id_y 0
		.amdhsa_system_sgpr_workgroup_id_z 0
		.amdhsa_system_sgpr_workgroup_info 0
		.amdhsa_system_vgpr_workitem_id 0
		.amdhsa_next_free_vgpr 1
		.amdhsa_next_free_sgpr 1
		.amdhsa_reserve_vcc 0
		.amdhsa_float_round_mode_32 0
		.amdhsa_float_round_mode_16_64 0
		.amdhsa_float_denorm_mode_32 3
		.amdhsa_float_denorm_mode_16_64 3
		.amdhsa_dx10_clamp 1
		.amdhsa_ieee_mode 1
		.amdhsa_fp16_overflow 0
		.amdhsa_workgroup_processor_mode 1
		.amdhsa_memory_ordered 1
		.amdhsa_forward_progress 0
		.amdhsa_shared_vgpr_count 0
		.amdhsa_exception_fp_ieee_invalid_op 0
		.amdhsa_exception_fp_denorm_src 0
		.amdhsa_exception_fp_ieee_div_zero 0
		.amdhsa_exception_fp_ieee_overflow 0
		.amdhsa_exception_fp_ieee_underflow 0
		.amdhsa_exception_fp_ieee_inexact 0
		.amdhsa_exception_int_div_zero 0
	.end_amdhsa_kernel
	.section	.text._ZN7rocprim17ROCPRIM_400000_NS6detail17trampoline_kernelINS0_14default_configENS1_25partition_config_selectorILNS1_17partition_subalgoE5ElNS0_10empty_typeEbEEZZNS1_14partition_implILS5_5ELb0ES3_mN6hipcub16HIPCUB_304000_NS21CountingInputIteratorIllEEPS6_NSA_22TransformInputIteratorIbN2at6native12_GLOBAL__N_19NonZeroOpIaEEPKalEENS0_5tupleIJPlS6_EEENSN_IJSD_SD_EEES6_PiJS6_EEE10hipError_tPvRmT3_T4_T5_T6_T7_T9_mT8_P12ihipStream_tbDpT10_ENKUlT_T0_E_clISt17integral_constantIbLb0EES1B_EEDaS16_S17_EUlS16_E_NS1_11comp_targetILNS1_3genE4ELNS1_11target_archE910ELNS1_3gpuE8ELNS1_3repE0EEENS1_30default_config_static_selectorELNS0_4arch9wavefront6targetE0EEEvT1_,"axG",@progbits,_ZN7rocprim17ROCPRIM_400000_NS6detail17trampoline_kernelINS0_14default_configENS1_25partition_config_selectorILNS1_17partition_subalgoE5ElNS0_10empty_typeEbEEZZNS1_14partition_implILS5_5ELb0ES3_mN6hipcub16HIPCUB_304000_NS21CountingInputIteratorIllEEPS6_NSA_22TransformInputIteratorIbN2at6native12_GLOBAL__N_19NonZeroOpIaEEPKalEENS0_5tupleIJPlS6_EEENSN_IJSD_SD_EEES6_PiJS6_EEE10hipError_tPvRmT3_T4_T5_T6_T7_T9_mT8_P12ihipStream_tbDpT10_ENKUlT_T0_E_clISt17integral_constantIbLb0EES1B_EEDaS16_S17_EUlS16_E_NS1_11comp_targetILNS1_3genE4ELNS1_11target_archE910ELNS1_3gpuE8ELNS1_3repE0EEENS1_30default_config_static_selectorELNS0_4arch9wavefront6targetE0EEEvT1_,comdat
.Lfunc_end120:
	.size	_ZN7rocprim17ROCPRIM_400000_NS6detail17trampoline_kernelINS0_14default_configENS1_25partition_config_selectorILNS1_17partition_subalgoE5ElNS0_10empty_typeEbEEZZNS1_14partition_implILS5_5ELb0ES3_mN6hipcub16HIPCUB_304000_NS21CountingInputIteratorIllEEPS6_NSA_22TransformInputIteratorIbN2at6native12_GLOBAL__N_19NonZeroOpIaEEPKalEENS0_5tupleIJPlS6_EEENSN_IJSD_SD_EEES6_PiJS6_EEE10hipError_tPvRmT3_T4_T5_T6_T7_T9_mT8_P12ihipStream_tbDpT10_ENKUlT_T0_E_clISt17integral_constantIbLb0EES1B_EEDaS16_S17_EUlS16_E_NS1_11comp_targetILNS1_3genE4ELNS1_11target_archE910ELNS1_3gpuE8ELNS1_3repE0EEENS1_30default_config_static_selectorELNS0_4arch9wavefront6targetE0EEEvT1_, .Lfunc_end120-_ZN7rocprim17ROCPRIM_400000_NS6detail17trampoline_kernelINS0_14default_configENS1_25partition_config_selectorILNS1_17partition_subalgoE5ElNS0_10empty_typeEbEEZZNS1_14partition_implILS5_5ELb0ES3_mN6hipcub16HIPCUB_304000_NS21CountingInputIteratorIllEEPS6_NSA_22TransformInputIteratorIbN2at6native12_GLOBAL__N_19NonZeroOpIaEEPKalEENS0_5tupleIJPlS6_EEENSN_IJSD_SD_EEES6_PiJS6_EEE10hipError_tPvRmT3_T4_T5_T6_T7_T9_mT8_P12ihipStream_tbDpT10_ENKUlT_T0_E_clISt17integral_constantIbLb0EES1B_EEDaS16_S17_EUlS16_E_NS1_11comp_targetILNS1_3genE4ELNS1_11target_archE910ELNS1_3gpuE8ELNS1_3repE0EEENS1_30default_config_static_selectorELNS0_4arch9wavefront6targetE0EEEvT1_
                                        ; -- End function
	.section	.AMDGPU.csdata,"",@progbits
; Kernel info:
; codeLenInByte = 0
; NumSgprs: 0
; NumVgprs: 0
; ScratchSize: 0
; MemoryBound: 0
; FloatMode: 240
; IeeeMode: 1
; LDSByteSize: 0 bytes/workgroup (compile time only)
; SGPRBlocks: 0
; VGPRBlocks: 0
; NumSGPRsForWavesPerEU: 1
; NumVGPRsForWavesPerEU: 1
; Occupancy: 15
; WaveLimiterHint : 0
; COMPUTE_PGM_RSRC2:SCRATCH_EN: 0
; COMPUTE_PGM_RSRC2:USER_SGPR: 15
; COMPUTE_PGM_RSRC2:TRAP_HANDLER: 0
; COMPUTE_PGM_RSRC2:TGID_X_EN: 1
; COMPUTE_PGM_RSRC2:TGID_Y_EN: 0
; COMPUTE_PGM_RSRC2:TGID_Z_EN: 0
; COMPUTE_PGM_RSRC2:TIDIG_COMP_CNT: 0
	.section	.text._ZN7rocprim17ROCPRIM_400000_NS6detail17trampoline_kernelINS0_14default_configENS1_25partition_config_selectorILNS1_17partition_subalgoE5ElNS0_10empty_typeEbEEZZNS1_14partition_implILS5_5ELb0ES3_mN6hipcub16HIPCUB_304000_NS21CountingInputIteratorIllEEPS6_NSA_22TransformInputIteratorIbN2at6native12_GLOBAL__N_19NonZeroOpIaEEPKalEENS0_5tupleIJPlS6_EEENSN_IJSD_SD_EEES6_PiJS6_EEE10hipError_tPvRmT3_T4_T5_T6_T7_T9_mT8_P12ihipStream_tbDpT10_ENKUlT_T0_E_clISt17integral_constantIbLb0EES1B_EEDaS16_S17_EUlS16_E_NS1_11comp_targetILNS1_3genE3ELNS1_11target_archE908ELNS1_3gpuE7ELNS1_3repE0EEENS1_30default_config_static_selectorELNS0_4arch9wavefront6targetE0EEEvT1_,"axG",@progbits,_ZN7rocprim17ROCPRIM_400000_NS6detail17trampoline_kernelINS0_14default_configENS1_25partition_config_selectorILNS1_17partition_subalgoE5ElNS0_10empty_typeEbEEZZNS1_14partition_implILS5_5ELb0ES3_mN6hipcub16HIPCUB_304000_NS21CountingInputIteratorIllEEPS6_NSA_22TransformInputIteratorIbN2at6native12_GLOBAL__N_19NonZeroOpIaEEPKalEENS0_5tupleIJPlS6_EEENSN_IJSD_SD_EEES6_PiJS6_EEE10hipError_tPvRmT3_T4_T5_T6_T7_T9_mT8_P12ihipStream_tbDpT10_ENKUlT_T0_E_clISt17integral_constantIbLb0EES1B_EEDaS16_S17_EUlS16_E_NS1_11comp_targetILNS1_3genE3ELNS1_11target_archE908ELNS1_3gpuE7ELNS1_3repE0EEENS1_30default_config_static_selectorELNS0_4arch9wavefront6targetE0EEEvT1_,comdat
	.globl	_ZN7rocprim17ROCPRIM_400000_NS6detail17trampoline_kernelINS0_14default_configENS1_25partition_config_selectorILNS1_17partition_subalgoE5ElNS0_10empty_typeEbEEZZNS1_14partition_implILS5_5ELb0ES3_mN6hipcub16HIPCUB_304000_NS21CountingInputIteratorIllEEPS6_NSA_22TransformInputIteratorIbN2at6native12_GLOBAL__N_19NonZeroOpIaEEPKalEENS0_5tupleIJPlS6_EEENSN_IJSD_SD_EEES6_PiJS6_EEE10hipError_tPvRmT3_T4_T5_T6_T7_T9_mT8_P12ihipStream_tbDpT10_ENKUlT_T0_E_clISt17integral_constantIbLb0EES1B_EEDaS16_S17_EUlS16_E_NS1_11comp_targetILNS1_3genE3ELNS1_11target_archE908ELNS1_3gpuE7ELNS1_3repE0EEENS1_30default_config_static_selectorELNS0_4arch9wavefront6targetE0EEEvT1_ ; -- Begin function _ZN7rocprim17ROCPRIM_400000_NS6detail17trampoline_kernelINS0_14default_configENS1_25partition_config_selectorILNS1_17partition_subalgoE5ElNS0_10empty_typeEbEEZZNS1_14partition_implILS5_5ELb0ES3_mN6hipcub16HIPCUB_304000_NS21CountingInputIteratorIllEEPS6_NSA_22TransformInputIteratorIbN2at6native12_GLOBAL__N_19NonZeroOpIaEEPKalEENS0_5tupleIJPlS6_EEENSN_IJSD_SD_EEES6_PiJS6_EEE10hipError_tPvRmT3_T4_T5_T6_T7_T9_mT8_P12ihipStream_tbDpT10_ENKUlT_T0_E_clISt17integral_constantIbLb0EES1B_EEDaS16_S17_EUlS16_E_NS1_11comp_targetILNS1_3genE3ELNS1_11target_archE908ELNS1_3gpuE7ELNS1_3repE0EEENS1_30default_config_static_selectorELNS0_4arch9wavefront6targetE0EEEvT1_
	.p2align	8
	.type	_ZN7rocprim17ROCPRIM_400000_NS6detail17trampoline_kernelINS0_14default_configENS1_25partition_config_selectorILNS1_17partition_subalgoE5ElNS0_10empty_typeEbEEZZNS1_14partition_implILS5_5ELb0ES3_mN6hipcub16HIPCUB_304000_NS21CountingInputIteratorIllEEPS6_NSA_22TransformInputIteratorIbN2at6native12_GLOBAL__N_19NonZeroOpIaEEPKalEENS0_5tupleIJPlS6_EEENSN_IJSD_SD_EEES6_PiJS6_EEE10hipError_tPvRmT3_T4_T5_T6_T7_T9_mT8_P12ihipStream_tbDpT10_ENKUlT_T0_E_clISt17integral_constantIbLb0EES1B_EEDaS16_S17_EUlS16_E_NS1_11comp_targetILNS1_3genE3ELNS1_11target_archE908ELNS1_3gpuE7ELNS1_3repE0EEENS1_30default_config_static_selectorELNS0_4arch9wavefront6targetE0EEEvT1_,@function
_ZN7rocprim17ROCPRIM_400000_NS6detail17trampoline_kernelINS0_14default_configENS1_25partition_config_selectorILNS1_17partition_subalgoE5ElNS0_10empty_typeEbEEZZNS1_14partition_implILS5_5ELb0ES3_mN6hipcub16HIPCUB_304000_NS21CountingInputIteratorIllEEPS6_NSA_22TransformInputIteratorIbN2at6native12_GLOBAL__N_19NonZeroOpIaEEPKalEENS0_5tupleIJPlS6_EEENSN_IJSD_SD_EEES6_PiJS6_EEE10hipError_tPvRmT3_T4_T5_T6_T7_T9_mT8_P12ihipStream_tbDpT10_ENKUlT_T0_E_clISt17integral_constantIbLb0EES1B_EEDaS16_S17_EUlS16_E_NS1_11comp_targetILNS1_3genE3ELNS1_11target_archE908ELNS1_3gpuE7ELNS1_3repE0EEENS1_30default_config_static_selectorELNS0_4arch9wavefront6targetE0EEEvT1_: ; @_ZN7rocprim17ROCPRIM_400000_NS6detail17trampoline_kernelINS0_14default_configENS1_25partition_config_selectorILNS1_17partition_subalgoE5ElNS0_10empty_typeEbEEZZNS1_14partition_implILS5_5ELb0ES3_mN6hipcub16HIPCUB_304000_NS21CountingInputIteratorIllEEPS6_NSA_22TransformInputIteratorIbN2at6native12_GLOBAL__N_19NonZeroOpIaEEPKalEENS0_5tupleIJPlS6_EEENSN_IJSD_SD_EEES6_PiJS6_EEE10hipError_tPvRmT3_T4_T5_T6_T7_T9_mT8_P12ihipStream_tbDpT10_ENKUlT_T0_E_clISt17integral_constantIbLb0EES1B_EEDaS16_S17_EUlS16_E_NS1_11comp_targetILNS1_3genE3ELNS1_11target_archE908ELNS1_3gpuE7ELNS1_3repE0EEENS1_30default_config_static_selectorELNS0_4arch9wavefront6targetE0EEEvT1_
; %bb.0:
	.section	.rodata,"a",@progbits
	.p2align	6, 0x0
	.amdhsa_kernel _ZN7rocprim17ROCPRIM_400000_NS6detail17trampoline_kernelINS0_14default_configENS1_25partition_config_selectorILNS1_17partition_subalgoE5ElNS0_10empty_typeEbEEZZNS1_14partition_implILS5_5ELb0ES3_mN6hipcub16HIPCUB_304000_NS21CountingInputIteratorIllEEPS6_NSA_22TransformInputIteratorIbN2at6native12_GLOBAL__N_19NonZeroOpIaEEPKalEENS0_5tupleIJPlS6_EEENSN_IJSD_SD_EEES6_PiJS6_EEE10hipError_tPvRmT3_T4_T5_T6_T7_T9_mT8_P12ihipStream_tbDpT10_ENKUlT_T0_E_clISt17integral_constantIbLb0EES1B_EEDaS16_S17_EUlS16_E_NS1_11comp_targetILNS1_3genE3ELNS1_11target_archE908ELNS1_3gpuE7ELNS1_3repE0EEENS1_30default_config_static_selectorELNS0_4arch9wavefront6targetE0EEEvT1_
		.amdhsa_group_segment_fixed_size 0
		.amdhsa_private_segment_fixed_size 0
		.amdhsa_kernarg_size 120
		.amdhsa_user_sgpr_count 15
		.amdhsa_user_sgpr_dispatch_ptr 0
		.amdhsa_user_sgpr_queue_ptr 0
		.amdhsa_user_sgpr_kernarg_segment_ptr 1
		.amdhsa_user_sgpr_dispatch_id 0
		.amdhsa_user_sgpr_private_segment_size 0
		.amdhsa_wavefront_size32 1
		.amdhsa_uses_dynamic_stack 0
		.amdhsa_enable_private_segment 0
		.amdhsa_system_sgpr_workgroup_id_x 1
		.amdhsa_system_sgpr_workgroup_id_y 0
		.amdhsa_system_sgpr_workgroup_id_z 0
		.amdhsa_system_sgpr_workgroup_info 0
		.amdhsa_system_vgpr_workitem_id 0
		.amdhsa_next_free_vgpr 1
		.amdhsa_next_free_sgpr 1
		.amdhsa_reserve_vcc 0
		.amdhsa_float_round_mode_32 0
		.amdhsa_float_round_mode_16_64 0
		.amdhsa_float_denorm_mode_32 3
		.amdhsa_float_denorm_mode_16_64 3
		.amdhsa_dx10_clamp 1
		.amdhsa_ieee_mode 1
		.amdhsa_fp16_overflow 0
		.amdhsa_workgroup_processor_mode 1
		.amdhsa_memory_ordered 1
		.amdhsa_forward_progress 0
		.amdhsa_shared_vgpr_count 0
		.amdhsa_exception_fp_ieee_invalid_op 0
		.amdhsa_exception_fp_denorm_src 0
		.amdhsa_exception_fp_ieee_div_zero 0
		.amdhsa_exception_fp_ieee_overflow 0
		.amdhsa_exception_fp_ieee_underflow 0
		.amdhsa_exception_fp_ieee_inexact 0
		.amdhsa_exception_int_div_zero 0
	.end_amdhsa_kernel
	.section	.text._ZN7rocprim17ROCPRIM_400000_NS6detail17trampoline_kernelINS0_14default_configENS1_25partition_config_selectorILNS1_17partition_subalgoE5ElNS0_10empty_typeEbEEZZNS1_14partition_implILS5_5ELb0ES3_mN6hipcub16HIPCUB_304000_NS21CountingInputIteratorIllEEPS6_NSA_22TransformInputIteratorIbN2at6native12_GLOBAL__N_19NonZeroOpIaEEPKalEENS0_5tupleIJPlS6_EEENSN_IJSD_SD_EEES6_PiJS6_EEE10hipError_tPvRmT3_T4_T5_T6_T7_T9_mT8_P12ihipStream_tbDpT10_ENKUlT_T0_E_clISt17integral_constantIbLb0EES1B_EEDaS16_S17_EUlS16_E_NS1_11comp_targetILNS1_3genE3ELNS1_11target_archE908ELNS1_3gpuE7ELNS1_3repE0EEENS1_30default_config_static_selectorELNS0_4arch9wavefront6targetE0EEEvT1_,"axG",@progbits,_ZN7rocprim17ROCPRIM_400000_NS6detail17trampoline_kernelINS0_14default_configENS1_25partition_config_selectorILNS1_17partition_subalgoE5ElNS0_10empty_typeEbEEZZNS1_14partition_implILS5_5ELb0ES3_mN6hipcub16HIPCUB_304000_NS21CountingInputIteratorIllEEPS6_NSA_22TransformInputIteratorIbN2at6native12_GLOBAL__N_19NonZeroOpIaEEPKalEENS0_5tupleIJPlS6_EEENSN_IJSD_SD_EEES6_PiJS6_EEE10hipError_tPvRmT3_T4_T5_T6_T7_T9_mT8_P12ihipStream_tbDpT10_ENKUlT_T0_E_clISt17integral_constantIbLb0EES1B_EEDaS16_S17_EUlS16_E_NS1_11comp_targetILNS1_3genE3ELNS1_11target_archE908ELNS1_3gpuE7ELNS1_3repE0EEENS1_30default_config_static_selectorELNS0_4arch9wavefront6targetE0EEEvT1_,comdat
.Lfunc_end121:
	.size	_ZN7rocprim17ROCPRIM_400000_NS6detail17trampoline_kernelINS0_14default_configENS1_25partition_config_selectorILNS1_17partition_subalgoE5ElNS0_10empty_typeEbEEZZNS1_14partition_implILS5_5ELb0ES3_mN6hipcub16HIPCUB_304000_NS21CountingInputIteratorIllEEPS6_NSA_22TransformInputIteratorIbN2at6native12_GLOBAL__N_19NonZeroOpIaEEPKalEENS0_5tupleIJPlS6_EEENSN_IJSD_SD_EEES6_PiJS6_EEE10hipError_tPvRmT3_T4_T5_T6_T7_T9_mT8_P12ihipStream_tbDpT10_ENKUlT_T0_E_clISt17integral_constantIbLb0EES1B_EEDaS16_S17_EUlS16_E_NS1_11comp_targetILNS1_3genE3ELNS1_11target_archE908ELNS1_3gpuE7ELNS1_3repE0EEENS1_30default_config_static_selectorELNS0_4arch9wavefront6targetE0EEEvT1_, .Lfunc_end121-_ZN7rocprim17ROCPRIM_400000_NS6detail17trampoline_kernelINS0_14default_configENS1_25partition_config_selectorILNS1_17partition_subalgoE5ElNS0_10empty_typeEbEEZZNS1_14partition_implILS5_5ELb0ES3_mN6hipcub16HIPCUB_304000_NS21CountingInputIteratorIllEEPS6_NSA_22TransformInputIteratorIbN2at6native12_GLOBAL__N_19NonZeroOpIaEEPKalEENS0_5tupleIJPlS6_EEENSN_IJSD_SD_EEES6_PiJS6_EEE10hipError_tPvRmT3_T4_T5_T6_T7_T9_mT8_P12ihipStream_tbDpT10_ENKUlT_T0_E_clISt17integral_constantIbLb0EES1B_EEDaS16_S17_EUlS16_E_NS1_11comp_targetILNS1_3genE3ELNS1_11target_archE908ELNS1_3gpuE7ELNS1_3repE0EEENS1_30default_config_static_selectorELNS0_4arch9wavefront6targetE0EEEvT1_
                                        ; -- End function
	.section	.AMDGPU.csdata,"",@progbits
; Kernel info:
; codeLenInByte = 0
; NumSgprs: 0
; NumVgprs: 0
; ScratchSize: 0
; MemoryBound: 0
; FloatMode: 240
; IeeeMode: 1
; LDSByteSize: 0 bytes/workgroup (compile time only)
; SGPRBlocks: 0
; VGPRBlocks: 0
; NumSGPRsForWavesPerEU: 1
; NumVGPRsForWavesPerEU: 1
; Occupancy: 16
; WaveLimiterHint : 0
; COMPUTE_PGM_RSRC2:SCRATCH_EN: 0
; COMPUTE_PGM_RSRC2:USER_SGPR: 15
; COMPUTE_PGM_RSRC2:TRAP_HANDLER: 0
; COMPUTE_PGM_RSRC2:TGID_X_EN: 1
; COMPUTE_PGM_RSRC2:TGID_Y_EN: 0
; COMPUTE_PGM_RSRC2:TGID_Z_EN: 0
; COMPUTE_PGM_RSRC2:TIDIG_COMP_CNT: 0
	.section	.text._ZN7rocprim17ROCPRIM_400000_NS6detail17trampoline_kernelINS0_14default_configENS1_25partition_config_selectorILNS1_17partition_subalgoE5ElNS0_10empty_typeEbEEZZNS1_14partition_implILS5_5ELb0ES3_mN6hipcub16HIPCUB_304000_NS21CountingInputIteratorIllEEPS6_NSA_22TransformInputIteratorIbN2at6native12_GLOBAL__N_19NonZeroOpIaEEPKalEENS0_5tupleIJPlS6_EEENSN_IJSD_SD_EEES6_PiJS6_EEE10hipError_tPvRmT3_T4_T5_T6_T7_T9_mT8_P12ihipStream_tbDpT10_ENKUlT_T0_E_clISt17integral_constantIbLb0EES1B_EEDaS16_S17_EUlS16_E_NS1_11comp_targetILNS1_3genE2ELNS1_11target_archE906ELNS1_3gpuE6ELNS1_3repE0EEENS1_30default_config_static_selectorELNS0_4arch9wavefront6targetE0EEEvT1_,"axG",@progbits,_ZN7rocprim17ROCPRIM_400000_NS6detail17trampoline_kernelINS0_14default_configENS1_25partition_config_selectorILNS1_17partition_subalgoE5ElNS0_10empty_typeEbEEZZNS1_14partition_implILS5_5ELb0ES3_mN6hipcub16HIPCUB_304000_NS21CountingInputIteratorIllEEPS6_NSA_22TransformInputIteratorIbN2at6native12_GLOBAL__N_19NonZeroOpIaEEPKalEENS0_5tupleIJPlS6_EEENSN_IJSD_SD_EEES6_PiJS6_EEE10hipError_tPvRmT3_T4_T5_T6_T7_T9_mT8_P12ihipStream_tbDpT10_ENKUlT_T0_E_clISt17integral_constantIbLb0EES1B_EEDaS16_S17_EUlS16_E_NS1_11comp_targetILNS1_3genE2ELNS1_11target_archE906ELNS1_3gpuE6ELNS1_3repE0EEENS1_30default_config_static_selectorELNS0_4arch9wavefront6targetE0EEEvT1_,comdat
	.globl	_ZN7rocprim17ROCPRIM_400000_NS6detail17trampoline_kernelINS0_14default_configENS1_25partition_config_selectorILNS1_17partition_subalgoE5ElNS0_10empty_typeEbEEZZNS1_14partition_implILS5_5ELb0ES3_mN6hipcub16HIPCUB_304000_NS21CountingInputIteratorIllEEPS6_NSA_22TransformInputIteratorIbN2at6native12_GLOBAL__N_19NonZeroOpIaEEPKalEENS0_5tupleIJPlS6_EEENSN_IJSD_SD_EEES6_PiJS6_EEE10hipError_tPvRmT3_T4_T5_T6_T7_T9_mT8_P12ihipStream_tbDpT10_ENKUlT_T0_E_clISt17integral_constantIbLb0EES1B_EEDaS16_S17_EUlS16_E_NS1_11comp_targetILNS1_3genE2ELNS1_11target_archE906ELNS1_3gpuE6ELNS1_3repE0EEENS1_30default_config_static_selectorELNS0_4arch9wavefront6targetE0EEEvT1_ ; -- Begin function _ZN7rocprim17ROCPRIM_400000_NS6detail17trampoline_kernelINS0_14default_configENS1_25partition_config_selectorILNS1_17partition_subalgoE5ElNS0_10empty_typeEbEEZZNS1_14partition_implILS5_5ELb0ES3_mN6hipcub16HIPCUB_304000_NS21CountingInputIteratorIllEEPS6_NSA_22TransformInputIteratorIbN2at6native12_GLOBAL__N_19NonZeroOpIaEEPKalEENS0_5tupleIJPlS6_EEENSN_IJSD_SD_EEES6_PiJS6_EEE10hipError_tPvRmT3_T4_T5_T6_T7_T9_mT8_P12ihipStream_tbDpT10_ENKUlT_T0_E_clISt17integral_constantIbLb0EES1B_EEDaS16_S17_EUlS16_E_NS1_11comp_targetILNS1_3genE2ELNS1_11target_archE906ELNS1_3gpuE6ELNS1_3repE0EEENS1_30default_config_static_selectorELNS0_4arch9wavefront6targetE0EEEvT1_
	.p2align	8
	.type	_ZN7rocprim17ROCPRIM_400000_NS6detail17trampoline_kernelINS0_14default_configENS1_25partition_config_selectorILNS1_17partition_subalgoE5ElNS0_10empty_typeEbEEZZNS1_14partition_implILS5_5ELb0ES3_mN6hipcub16HIPCUB_304000_NS21CountingInputIteratorIllEEPS6_NSA_22TransformInputIteratorIbN2at6native12_GLOBAL__N_19NonZeroOpIaEEPKalEENS0_5tupleIJPlS6_EEENSN_IJSD_SD_EEES6_PiJS6_EEE10hipError_tPvRmT3_T4_T5_T6_T7_T9_mT8_P12ihipStream_tbDpT10_ENKUlT_T0_E_clISt17integral_constantIbLb0EES1B_EEDaS16_S17_EUlS16_E_NS1_11comp_targetILNS1_3genE2ELNS1_11target_archE906ELNS1_3gpuE6ELNS1_3repE0EEENS1_30default_config_static_selectorELNS0_4arch9wavefront6targetE0EEEvT1_,@function
_ZN7rocprim17ROCPRIM_400000_NS6detail17trampoline_kernelINS0_14default_configENS1_25partition_config_selectorILNS1_17partition_subalgoE5ElNS0_10empty_typeEbEEZZNS1_14partition_implILS5_5ELb0ES3_mN6hipcub16HIPCUB_304000_NS21CountingInputIteratorIllEEPS6_NSA_22TransformInputIteratorIbN2at6native12_GLOBAL__N_19NonZeroOpIaEEPKalEENS0_5tupleIJPlS6_EEENSN_IJSD_SD_EEES6_PiJS6_EEE10hipError_tPvRmT3_T4_T5_T6_T7_T9_mT8_P12ihipStream_tbDpT10_ENKUlT_T0_E_clISt17integral_constantIbLb0EES1B_EEDaS16_S17_EUlS16_E_NS1_11comp_targetILNS1_3genE2ELNS1_11target_archE906ELNS1_3gpuE6ELNS1_3repE0EEENS1_30default_config_static_selectorELNS0_4arch9wavefront6targetE0EEEvT1_: ; @_ZN7rocprim17ROCPRIM_400000_NS6detail17trampoline_kernelINS0_14default_configENS1_25partition_config_selectorILNS1_17partition_subalgoE5ElNS0_10empty_typeEbEEZZNS1_14partition_implILS5_5ELb0ES3_mN6hipcub16HIPCUB_304000_NS21CountingInputIteratorIllEEPS6_NSA_22TransformInputIteratorIbN2at6native12_GLOBAL__N_19NonZeroOpIaEEPKalEENS0_5tupleIJPlS6_EEENSN_IJSD_SD_EEES6_PiJS6_EEE10hipError_tPvRmT3_T4_T5_T6_T7_T9_mT8_P12ihipStream_tbDpT10_ENKUlT_T0_E_clISt17integral_constantIbLb0EES1B_EEDaS16_S17_EUlS16_E_NS1_11comp_targetILNS1_3genE2ELNS1_11target_archE906ELNS1_3gpuE6ELNS1_3repE0EEENS1_30default_config_static_selectorELNS0_4arch9wavefront6targetE0EEEvT1_
; %bb.0:
	.section	.rodata,"a",@progbits
	.p2align	6, 0x0
	.amdhsa_kernel _ZN7rocprim17ROCPRIM_400000_NS6detail17trampoline_kernelINS0_14default_configENS1_25partition_config_selectorILNS1_17partition_subalgoE5ElNS0_10empty_typeEbEEZZNS1_14partition_implILS5_5ELb0ES3_mN6hipcub16HIPCUB_304000_NS21CountingInputIteratorIllEEPS6_NSA_22TransformInputIteratorIbN2at6native12_GLOBAL__N_19NonZeroOpIaEEPKalEENS0_5tupleIJPlS6_EEENSN_IJSD_SD_EEES6_PiJS6_EEE10hipError_tPvRmT3_T4_T5_T6_T7_T9_mT8_P12ihipStream_tbDpT10_ENKUlT_T0_E_clISt17integral_constantIbLb0EES1B_EEDaS16_S17_EUlS16_E_NS1_11comp_targetILNS1_3genE2ELNS1_11target_archE906ELNS1_3gpuE6ELNS1_3repE0EEENS1_30default_config_static_selectorELNS0_4arch9wavefront6targetE0EEEvT1_
		.amdhsa_group_segment_fixed_size 0
		.amdhsa_private_segment_fixed_size 0
		.amdhsa_kernarg_size 120
		.amdhsa_user_sgpr_count 15
		.amdhsa_user_sgpr_dispatch_ptr 0
		.amdhsa_user_sgpr_queue_ptr 0
		.amdhsa_user_sgpr_kernarg_segment_ptr 1
		.amdhsa_user_sgpr_dispatch_id 0
		.amdhsa_user_sgpr_private_segment_size 0
		.amdhsa_wavefront_size32 1
		.amdhsa_uses_dynamic_stack 0
		.amdhsa_enable_private_segment 0
		.amdhsa_system_sgpr_workgroup_id_x 1
		.amdhsa_system_sgpr_workgroup_id_y 0
		.amdhsa_system_sgpr_workgroup_id_z 0
		.amdhsa_system_sgpr_workgroup_info 0
		.amdhsa_system_vgpr_workitem_id 0
		.amdhsa_next_free_vgpr 1
		.amdhsa_next_free_sgpr 1
		.amdhsa_reserve_vcc 0
		.amdhsa_float_round_mode_32 0
		.amdhsa_float_round_mode_16_64 0
		.amdhsa_float_denorm_mode_32 3
		.amdhsa_float_denorm_mode_16_64 3
		.amdhsa_dx10_clamp 1
		.amdhsa_ieee_mode 1
		.amdhsa_fp16_overflow 0
		.amdhsa_workgroup_processor_mode 1
		.amdhsa_memory_ordered 1
		.amdhsa_forward_progress 0
		.amdhsa_shared_vgpr_count 0
		.amdhsa_exception_fp_ieee_invalid_op 0
		.amdhsa_exception_fp_denorm_src 0
		.amdhsa_exception_fp_ieee_div_zero 0
		.amdhsa_exception_fp_ieee_overflow 0
		.amdhsa_exception_fp_ieee_underflow 0
		.amdhsa_exception_fp_ieee_inexact 0
		.amdhsa_exception_int_div_zero 0
	.end_amdhsa_kernel
	.section	.text._ZN7rocprim17ROCPRIM_400000_NS6detail17trampoline_kernelINS0_14default_configENS1_25partition_config_selectorILNS1_17partition_subalgoE5ElNS0_10empty_typeEbEEZZNS1_14partition_implILS5_5ELb0ES3_mN6hipcub16HIPCUB_304000_NS21CountingInputIteratorIllEEPS6_NSA_22TransformInputIteratorIbN2at6native12_GLOBAL__N_19NonZeroOpIaEEPKalEENS0_5tupleIJPlS6_EEENSN_IJSD_SD_EEES6_PiJS6_EEE10hipError_tPvRmT3_T4_T5_T6_T7_T9_mT8_P12ihipStream_tbDpT10_ENKUlT_T0_E_clISt17integral_constantIbLb0EES1B_EEDaS16_S17_EUlS16_E_NS1_11comp_targetILNS1_3genE2ELNS1_11target_archE906ELNS1_3gpuE6ELNS1_3repE0EEENS1_30default_config_static_selectorELNS0_4arch9wavefront6targetE0EEEvT1_,"axG",@progbits,_ZN7rocprim17ROCPRIM_400000_NS6detail17trampoline_kernelINS0_14default_configENS1_25partition_config_selectorILNS1_17partition_subalgoE5ElNS0_10empty_typeEbEEZZNS1_14partition_implILS5_5ELb0ES3_mN6hipcub16HIPCUB_304000_NS21CountingInputIteratorIllEEPS6_NSA_22TransformInputIteratorIbN2at6native12_GLOBAL__N_19NonZeroOpIaEEPKalEENS0_5tupleIJPlS6_EEENSN_IJSD_SD_EEES6_PiJS6_EEE10hipError_tPvRmT3_T4_T5_T6_T7_T9_mT8_P12ihipStream_tbDpT10_ENKUlT_T0_E_clISt17integral_constantIbLb0EES1B_EEDaS16_S17_EUlS16_E_NS1_11comp_targetILNS1_3genE2ELNS1_11target_archE906ELNS1_3gpuE6ELNS1_3repE0EEENS1_30default_config_static_selectorELNS0_4arch9wavefront6targetE0EEEvT1_,comdat
.Lfunc_end122:
	.size	_ZN7rocprim17ROCPRIM_400000_NS6detail17trampoline_kernelINS0_14default_configENS1_25partition_config_selectorILNS1_17partition_subalgoE5ElNS0_10empty_typeEbEEZZNS1_14partition_implILS5_5ELb0ES3_mN6hipcub16HIPCUB_304000_NS21CountingInputIteratorIllEEPS6_NSA_22TransformInputIteratorIbN2at6native12_GLOBAL__N_19NonZeroOpIaEEPKalEENS0_5tupleIJPlS6_EEENSN_IJSD_SD_EEES6_PiJS6_EEE10hipError_tPvRmT3_T4_T5_T6_T7_T9_mT8_P12ihipStream_tbDpT10_ENKUlT_T0_E_clISt17integral_constantIbLb0EES1B_EEDaS16_S17_EUlS16_E_NS1_11comp_targetILNS1_3genE2ELNS1_11target_archE906ELNS1_3gpuE6ELNS1_3repE0EEENS1_30default_config_static_selectorELNS0_4arch9wavefront6targetE0EEEvT1_, .Lfunc_end122-_ZN7rocprim17ROCPRIM_400000_NS6detail17trampoline_kernelINS0_14default_configENS1_25partition_config_selectorILNS1_17partition_subalgoE5ElNS0_10empty_typeEbEEZZNS1_14partition_implILS5_5ELb0ES3_mN6hipcub16HIPCUB_304000_NS21CountingInputIteratorIllEEPS6_NSA_22TransformInputIteratorIbN2at6native12_GLOBAL__N_19NonZeroOpIaEEPKalEENS0_5tupleIJPlS6_EEENSN_IJSD_SD_EEES6_PiJS6_EEE10hipError_tPvRmT3_T4_T5_T6_T7_T9_mT8_P12ihipStream_tbDpT10_ENKUlT_T0_E_clISt17integral_constantIbLb0EES1B_EEDaS16_S17_EUlS16_E_NS1_11comp_targetILNS1_3genE2ELNS1_11target_archE906ELNS1_3gpuE6ELNS1_3repE0EEENS1_30default_config_static_selectorELNS0_4arch9wavefront6targetE0EEEvT1_
                                        ; -- End function
	.section	.AMDGPU.csdata,"",@progbits
; Kernel info:
; codeLenInByte = 0
; NumSgprs: 0
; NumVgprs: 0
; ScratchSize: 0
; MemoryBound: 0
; FloatMode: 240
; IeeeMode: 1
; LDSByteSize: 0 bytes/workgroup (compile time only)
; SGPRBlocks: 0
; VGPRBlocks: 0
; NumSGPRsForWavesPerEU: 1
; NumVGPRsForWavesPerEU: 1
; Occupancy: 16
; WaveLimiterHint : 0
; COMPUTE_PGM_RSRC2:SCRATCH_EN: 0
; COMPUTE_PGM_RSRC2:USER_SGPR: 15
; COMPUTE_PGM_RSRC2:TRAP_HANDLER: 0
; COMPUTE_PGM_RSRC2:TGID_X_EN: 1
; COMPUTE_PGM_RSRC2:TGID_Y_EN: 0
; COMPUTE_PGM_RSRC2:TGID_Z_EN: 0
; COMPUTE_PGM_RSRC2:TIDIG_COMP_CNT: 0
	.section	.text._ZN7rocprim17ROCPRIM_400000_NS6detail17trampoline_kernelINS0_14default_configENS1_25partition_config_selectorILNS1_17partition_subalgoE5ElNS0_10empty_typeEbEEZZNS1_14partition_implILS5_5ELb0ES3_mN6hipcub16HIPCUB_304000_NS21CountingInputIteratorIllEEPS6_NSA_22TransformInputIteratorIbN2at6native12_GLOBAL__N_19NonZeroOpIaEEPKalEENS0_5tupleIJPlS6_EEENSN_IJSD_SD_EEES6_PiJS6_EEE10hipError_tPvRmT3_T4_T5_T6_T7_T9_mT8_P12ihipStream_tbDpT10_ENKUlT_T0_E_clISt17integral_constantIbLb0EES1B_EEDaS16_S17_EUlS16_E_NS1_11comp_targetILNS1_3genE10ELNS1_11target_archE1200ELNS1_3gpuE4ELNS1_3repE0EEENS1_30default_config_static_selectorELNS0_4arch9wavefront6targetE0EEEvT1_,"axG",@progbits,_ZN7rocprim17ROCPRIM_400000_NS6detail17trampoline_kernelINS0_14default_configENS1_25partition_config_selectorILNS1_17partition_subalgoE5ElNS0_10empty_typeEbEEZZNS1_14partition_implILS5_5ELb0ES3_mN6hipcub16HIPCUB_304000_NS21CountingInputIteratorIllEEPS6_NSA_22TransformInputIteratorIbN2at6native12_GLOBAL__N_19NonZeroOpIaEEPKalEENS0_5tupleIJPlS6_EEENSN_IJSD_SD_EEES6_PiJS6_EEE10hipError_tPvRmT3_T4_T5_T6_T7_T9_mT8_P12ihipStream_tbDpT10_ENKUlT_T0_E_clISt17integral_constantIbLb0EES1B_EEDaS16_S17_EUlS16_E_NS1_11comp_targetILNS1_3genE10ELNS1_11target_archE1200ELNS1_3gpuE4ELNS1_3repE0EEENS1_30default_config_static_selectorELNS0_4arch9wavefront6targetE0EEEvT1_,comdat
	.globl	_ZN7rocprim17ROCPRIM_400000_NS6detail17trampoline_kernelINS0_14default_configENS1_25partition_config_selectorILNS1_17partition_subalgoE5ElNS0_10empty_typeEbEEZZNS1_14partition_implILS5_5ELb0ES3_mN6hipcub16HIPCUB_304000_NS21CountingInputIteratorIllEEPS6_NSA_22TransformInputIteratorIbN2at6native12_GLOBAL__N_19NonZeroOpIaEEPKalEENS0_5tupleIJPlS6_EEENSN_IJSD_SD_EEES6_PiJS6_EEE10hipError_tPvRmT3_T4_T5_T6_T7_T9_mT8_P12ihipStream_tbDpT10_ENKUlT_T0_E_clISt17integral_constantIbLb0EES1B_EEDaS16_S17_EUlS16_E_NS1_11comp_targetILNS1_3genE10ELNS1_11target_archE1200ELNS1_3gpuE4ELNS1_3repE0EEENS1_30default_config_static_selectorELNS0_4arch9wavefront6targetE0EEEvT1_ ; -- Begin function _ZN7rocprim17ROCPRIM_400000_NS6detail17trampoline_kernelINS0_14default_configENS1_25partition_config_selectorILNS1_17partition_subalgoE5ElNS0_10empty_typeEbEEZZNS1_14partition_implILS5_5ELb0ES3_mN6hipcub16HIPCUB_304000_NS21CountingInputIteratorIllEEPS6_NSA_22TransformInputIteratorIbN2at6native12_GLOBAL__N_19NonZeroOpIaEEPKalEENS0_5tupleIJPlS6_EEENSN_IJSD_SD_EEES6_PiJS6_EEE10hipError_tPvRmT3_T4_T5_T6_T7_T9_mT8_P12ihipStream_tbDpT10_ENKUlT_T0_E_clISt17integral_constantIbLb0EES1B_EEDaS16_S17_EUlS16_E_NS1_11comp_targetILNS1_3genE10ELNS1_11target_archE1200ELNS1_3gpuE4ELNS1_3repE0EEENS1_30default_config_static_selectorELNS0_4arch9wavefront6targetE0EEEvT1_
	.p2align	8
	.type	_ZN7rocprim17ROCPRIM_400000_NS6detail17trampoline_kernelINS0_14default_configENS1_25partition_config_selectorILNS1_17partition_subalgoE5ElNS0_10empty_typeEbEEZZNS1_14partition_implILS5_5ELb0ES3_mN6hipcub16HIPCUB_304000_NS21CountingInputIteratorIllEEPS6_NSA_22TransformInputIteratorIbN2at6native12_GLOBAL__N_19NonZeroOpIaEEPKalEENS0_5tupleIJPlS6_EEENSN_IJSD_SD_EEES6_PiJS6_EEE10hipError_tPvRmT3_T4_T5_T6_T7_T9_mT8_P12ihipStream_tbDpT10_ENKUlT_T0_E_clISt17integral_constantIbLb0EES1B_EEDaS16_S17_EUlS16_E_NS1_11comp_targetILNS1_3genE10ELNS1_11target_archE1200ELNS1_3gpuE4ELNS1_3repE0EEENS1_30default_config_static_selectorELNS0_4arch9wavefront6targetE0EEEvT1_,@function
_ZN7rocprim17ROCPRIM_400000_NS6detail17trampoline_kernelINS0_14default_configENS1_25partition_config_selectorILNS1_17partition_subalgoE5ElNS0_10empty_typeEbEEZZNS1_14partition_implILS5_5ELb0ES3_mN6hipcub16HIPCUB_304000_NS21CountingInputIteratorIllEEPS6_NSA_22TransformInputIteratorIbN2at6native12_GLOBAL__N_19NonZeroOpIaEEPKalEENS0_5tupleIJPlS6_EEENSN_IJSD_SD_EEES6_PiJS6_EEE10hipError_tPvRmT3_T4_T5_T6_T7_T9_mT8_P12ihipStream_tbDpT10_ENKUlT_T0_E_clISt17integral_constantIbLb0EES1B_EEDaS16_S17_EUlS16_E_NS1_11comp_targetILNS1_3genE10ELNS1_11target_archE1200ELNS1_3gpuE4ELNS1_3repE0EEENS1_30default_config_static_selectorELNS0_4arch9wavefront6targetE0EEEvT1_: ; @_ZN7rocprim17ROCPRIM_400000_NS6detail17trampoline_kernelINS0_14default_configENS1_25partition_config_selectorILNS1_17partition_subalgoE5ElNS0_10empty_typeEbEEZZNS1_14partition_implILS5_5ELb0ES3_mN6hipcub16HIPCUB_304000_NS21CountingInputIteratorIllEEPS6_NSA_22TransformInputIteratorIbN2at6native12_GLOBAL__N_19NonZeroOpIaEEPKalEENS0_5tupleIJPlS6_EEENSN_IJSD_SD_EEES6_PiJS6_EEE10hipError_tPvRmT3_T4_T5_T6_T7_T9_mT8_P12ihipStream_tbDpT10_ENKUlT_T0_E_clISt17integral_constantIbLb0EES1B_EEDaS16_S17_EUlS16_E_NS1_11comp_targetILNS1_3genE10ELNS1_11target_archE1200ELNS1_3gpuE4ELNS1_3repE0EEENS1_30default_config_static_selectorELNS0_4arch9wavefront6targetE0EEEvT1_
; %bb.0:
	.section	.rodata,"a",@progbits
	.p2align	6, 0x0
	.amdhsa_kernel _ZN7rocprim17ROCPRIM_400000_NS6detail17trampoline_kernelINS0_14default_configENS1_25partition_config_selectorILNS1_17partition_subalgoE5ElNS0_10empty_typeEbEEZZNS1_14partition_implILS5_5ELb0ES3_mN6hipcub16HIPCUB_304000_NS21CountingInputIteratorIllEEPS6_NSA_22TransformInputIteratorIbN2at6native12_GLOBAL__N_19NonZeroOpIaEEPKalEENS0_5tupleIJPlS6_EEENSN_IJSD_SD_EEES6_PiJS6_EEE10hipError_tPvRmT3_T4_T5_T6_T7_T9_mT8_P12ihipStream_tbDpT10_ENKUlT_T0_E_clISt17integral_constantIbLb0EES1B_EEDaS16_S17_EUlS16_E_NS1_11comp_targetILNS1_3genE10ELNS1_11target_archE1200ELNS1_3gpuE4ELNS1_3repE0EEENS1_30default_config_static_selectorELNS0_4arch9wavefront6targetE0EEEvT1_
		.amdhsa_group_segment_fixed_size 0
		.amdhsa_private_segment_fixed_size 0
		.amdhsa_kernarg_size 120
		.amdhsa_user_sgpr_count 15
		.amdhsa_user_sgpr_dispatch_ptr 0
		.amdhsa_user_sgpr_queue_ptr 0
		.amdhsa_user_sgpr_kernarg_segment_ptr 1
		.amdhsa_user_sgpr_dispatch_id 0
		.amdhsa_user_sgpr_private_segment_size 0
		.amdhsa_wavefront_size32 1
		.amdhsa_uses_dynamic_stack 0
		.amdhsa_enable_private_segment 0
		.amdhsa_system_sgpr_workgroup_id_x 1
		.amdhsa_system_sgpr_workgroup_id_y 0
		.amdhsa_system_sgpr_workgroup_id_z 0
		.amdhsa_system_sgpr_workgroup_info 0
		.amdhsa_system_vgpr_workitem_id 0
		.amdhsa_next_free_vgpr 1
		.amdhsa_next_free_sgpr 1
		.amdhsa_reserve_vcc 0
		.amdhsa_float_round_mode_32 0
		.amdhsa_float_round_mode_16_64 0
		.amdhsa_float_denorm_mode_32 3
		.amdhsa_float_denorm_mode_16_64 3
		.amdhsa_dx10_clamp 1
		.amdhsa_ieee_mode 1
		.amdhsa_fp16_overflow 0
		.amdhsa_workgroup_processor_mode 1
		.amdhsa_memory_ordered 1
		.amdhsa_forward_progress 0
		.amdhsa_shared_vgpr_count 0
		.amdhsa_exception_fp_ieee_invalid_op 0
		.amdhsa_exception_fp_denorm_src 0
		.amdhsa_exception_fp_ieee_div_zero 0
		.amdhsa_exception_fp_ieee_overflow 0
		.amdhsa_exception_fp_ieee_underflow 0
		.amdhsa_exception_fp_ieee_inexact 0
		.amdhsa_exception_int_div_zero 0
	.end_amdhsa_kernel
	.section	.text._ZN7rocprim17ROCPRIM_400000_NS6detail17trampoline_kernelINS0_14default_configENS1_25partition_config_selectorILNS1_17partition_subalgoE5ElNS0_10empty_typeEbEEZZNS1_14partition_implILS5_5ELb0ES3_mN6hipcub16HIPCUB_304000_NS21CountingInputIteratorIllEEPS6_NSA_22TransformInputIteratorIbN2at6native12_GLOBAL__N_19NonZeroOpIaEEPKalEENS0_5tupleIJPlS6_EEENSN_IJSD_SD_EEES6_PiJS6_EEE10hipError_tPvRmT3_T4_T5_T6_T7_T9_mT8_P12ihipStream_tbDpT10_ENKUlT_T0_E_clISt17integral_constantIbLb0EES1B_EEDaS16_S17_EUlS16_E_NS1_11comp_targetILNS1_3genE10ELNS1_11target_archE1200ELNS1_3gpuE4ELNS1_3repE0EEENS1_30default_config_static_selectorELNS0_4arch9wavefront6targetE0EEEvT1_,"axG",@progbits,_ZN7rocprim17ROCPRIM_400000_NS6detail17trampoline_kernelINS0_14default_configENS1_25partition_config_selectorILNS1_17partition_subalgoE5ElNS0_10empty_typeEbEEZZNS1_14partition_implILS5_5ELb0ES3_mN6hipcub16HIPCUB_304000_NS21CountingInputIteratorIllEEPS6_NSA_22TransformInputIteratorIbN2at6native12_GLOBAL__N_19NonZeroOpIaEEPKalEENS0_5tupleIJPlS6_EEENSN_IJSD_SD_EEES6_PiJS6_EEE10hipError_tPvRmT3_T4_T5_T6_T7_T9_mT8_P12ihipStream_tbDpT10_ENKUlT_T0_E_clISt17integral_constantIbLb0EES1B_EEDaS16_S17_EUlS16_E_NS1_11comp_targetILNS1_3genE10ELNS1_11target_archE1200ELNS1_3gpuE4ELNS1_3repE0EEENS1_30default_config_static_selectorELNS0_4arch9wavefront6targetE0EEEvT1_,comdat
.Lfunc_end123:
	.size	_ZN7rocprim17ROCPRIM_400000_NS6detail17trampoline_kernelINS0_14default_configENS1_25partition_config_selectorILNS1_17partition_subalgoE5ElNS0_10empty_typeEbEEZZNS1_14partition_implILS5_5ELb0ES3_mN6hipcub16HIPCUB_304000_NS21CountingInputIteratorIllEEPS6_NSA_22TransformInputIteratorIbN2at6native12_GLOBAL__N_19NonZeroOpIaEEPKalEENS0_5tupleIJPlS6_EEENSN_IJSD_SD_EEES6_PiJS6_EEE10hipError_tPvRmT3_T4_T5_T6_T7_T9_mT8_P12ihipStream_tbDpT10_ENKUlT_T0_E_clISt17integral_constantIbLb0EES1B_EEDaS16_S17_EUlS16_E_NS1_11comp_targetILNS1_3genE10ELNS1_11target_archE1200ELNS1_3gpuE4ELNS1_3repE0EEENS1_30default_config_static_selectorELNS0_4arch9wavefront6targetE0EEEvT1_, .Lfunc_end123-_ZN7rocprim17ROCPRIM_400000_NS6detail17trampoline_kernelINS0_14default_configENS1_25partition_config_selectorILNS1_17partition_subalgoE5ElNS0_10empty_typeEbEEZZNS1_14partition_implILS5_5ELb0ES3_mN6hipcub16HIPCUB_304000_NS21CountingInputIteratorIllEEPS6_NSA_22TransformInputIteratorIbN2at6native12_GLOBAL__N_19NonZeroOpIaEEPKalEENS0_5tupleIJPlS6_EEENSN_IJSD_SD_EEES6_PiJS6_EEE10hipError_tPvRmT3_T4_T5_T6_T7_T9_mT8_P12ihipStream_tbDpT10_ENKUlT_T0_E_clISt17integral_constantIbLb0EES1B_EEDaS16_S17_EUlS16_E_NS1_11comp_targetILNS1_3genE10ELNS1_11target_archE1200ELNS1_3gpuE4ELNS1_3repE0EEENS1_30default_config_static_selectorELNS0_4arch9wavefront6targetE0EEEvT1_
                                        ; -- End function
	.section	.AMDGPU.csdata,"",@progbits
; Kernel info:
; codeLenInByte = 0
; NumSgprs: 0
; NumVgprs: 0
; ScratchSize: 0
; MemoryBound: 0
; FloatMode: 240
; IeeeMode: 1
; LDSByteSize: 0 bytes/workgroup (compile time only)
; SGPRBlocks: 0
; VGPRBlocks: 0
; NumSGPRsForWavesPerEU: 1
; NumVGPRsForWavesPerEU: 1
; Occupancy: 16
; WaveLimiterHint : 0
; COMPUTE_PGM_RSRC2:SCRATCH_EN: 0
; COMPUTE_PGM_RSRC2:USER_SGPR: 15
; COMPUTE_PGM_RSRC2:TRAP_HANDLER: 0
; COMPUTE_PGM_RSRC2:TGID_X_EN: 1
; COMPUTE_PGM_RSRC2:TGID_Y_EN: 0
; COMPUTE_PGM_RSRC2:TGID_Z_EN: 0
; COMPUTE_PGM_RSRC2:TIDIG_COMP_CNT: 0
	.section	.text._ZN7rocprim17ROCPRIM_400000_NS6detail17trampoline_kernelINS0_14default_configENS1_25partition_config_selectorILNS1_17partition_subalgoE5ElNS0_10empty_typeEbEEZZNS1_14partition_implILS5_5ELb0ES3_mN6hipcub16HIPCUB_304000_NS21CountingInputIteratorIllEEPS6_NSA_22TransformInputIteratorIbN2at6native12_GLOBAL__N_19NonZeroOpIaEEPKalEENS0_5tupleIJPlS6_EEENSN_IJSD_SD_EEES6_PiJS6_EEE10hipError_tPvRmT3_T4_T5_T6_T7_T9_mT8_P12ihipStream_tbDpT10_ENKUlT_T0_E_clISt17integral_constantIbLb0EES1B_EEDaS16_S17_EUlS16_E_NS1_11comp_targetILNS1_3genE9ELNS1_11target_archE1100ELNS1_3gpuE3ELNS1_3repE0EEENS1_30default_config_static_selectorELNS0_4arch9wavefront6targetE0EEEvT1_,"axG",@progbits,_ZN7rocprim17ROCPRIM_400000_NS6detail17trampoline_kernelINS0_14default_configENS1_25partition_config_selectorILNS1_17partition_subalgoE5ElNS0_10empty_typeEbEEZZNS1_14partition_implILS5_5ELb0ES3_mN6hipcub16HIPCUB_304000_NS21CountingInputIteratorIllEEPS6_NSA_22TransformInputIteratorIbN2at6native12_GLOBAL__N_19NonZeroOpIaEEPKalEENS0_5tupleIJPlS6_EEENSN_IJSD_SD_EEES6_PiJS6_EEE10hipError_tPvRmT3_T4_T5_T6_T7_T9_mT8_P12ihipStream_tbDpT10_ENKUlT_T0_E_clISt17integral_constantIbLb0EES1B_EEDaS16_S17_EUlS16_E_NS1_11comp_targetILNS1_3genE9ELNS1_11target_archE1100ELNS1_3gpuE3ELNS1_3repE0EEENS1_30default_config_static_selectorELNS0_4arch9wavefront6targetE0EEEvT1_,comdat
	.globl	_ZN7rocprim17ROCPRIM_400000_NS6detail17trampoline_kernelINS0_14default_configENS1_25partition_config_selectorILNS1_17partition_subalgoE5ElNS0_10empty_typeEbEEZZNS1_14partition_implILS5_5ELb0ES3_mN6hipcub16HIPCUB_304000_NS21CountingInputIteratorIllEEPS6_NSA_22TransformInputIteratorIbN2at6native12_GLOBAL__N_19NonZeroOpIaEEPKalEENS0_5tupleIJPlS6_EEENSN_IJSD_SD_EEES6_PiJS6_EEE10hipError_tPvRmT3_T4_T5_T6_T7_T9_mT8_P12ihipStream_tbDpT10_ENKUlT_T0_E_clISt17integral_constantIbLb0EES1B_EEDaS16_S17_EUlS16_E_NS1_11comp_targetILNS1_3genE9ELNS1_11target_archE1100ELNS1_3gpuE3ELNS1_3repE0EEENS1_30default_config_static_selectorELNS0_4arch9wavefront6targetE0EEEvT1_ ; -- Begin function _ZN7rocprim17ROCPRIM_400000_NS6detail17trampoline_kernelINS0_14default_configENS1_25partition_config_selectorILNS1_17partition_subalgoE5ElNS0_10empty_typeEbEEZZNS1_14partition_implILS5_5ELb0ES3_mN6hipcub16HIPCUB_304000_NS21CountingInputIteratorIllEEPS6_NSA_22TransformInputIteratorIbN2at6native12_GLOBAL__N_19NonZeroOpIaEEPKalEENS0_5tupleIJPlS6_EEENSN_IJSD_SD_EEES6_PiJS6_EEE10hipError_tPvRmT3_T4_T5_T6_T7_T9_mT8_P12ihipStream_tbDpT10_ENKUlT_T0_E_clISt17integral_constantIbLb0EES1B_EEDaS16_S17_EUlS16_E_NS1_11comp_targetILNS1_3genE9ELNS1_11target_archE1100ELNS1_3gpuE3ELNS1_3repE0EEENS1_30default_config_static_selectorELNS0_4arch9wavefront6targetE0EEEvT1_
	.p2align	8
	.type	_ZN7rocprim17ROCPRIM_400000_NS6detail17trampoline_kernelINS0_14default_configENS1_25partition_config_selectorILNS1_17partition_subalgoE5ElNS0_10empty_typeEbEEZZNS1_14partition_implILS5_5ELb0ES3_mN6hipcub16HIPCUB_304000_NS21CountingInputIteratorIllEEPS6_NSA_22TransformInputIteratorIbN2at6native12_GLOBAL__N_19NonZeroOpIaEEPKalEENS0_5tupleIJPlS6_EEENSN_IJSD_SD_EEES6_PiJS6_EEE10hipError_tPvRmT3_T4_T5_T6_T7_T9_mT8_P12ihipStream_tbDpT10_ENKUlT_T0_E_clISt17integral_constantIbLb0EES1B_EEDaS16_S17_EUlS16_E_NS1_11comp_targetILNS1_3genE9ELNS1_11target_archE1100ELNS1_3gpuE3ELNS1_3repE0EEENS1_30default_config_static_selectorELNS0_4arch9wavefront6targetE0EEEvT1_,@function
_ZN7rocprim17ROCPRIM_400000_NS6detail17trampoline_kernelINS0_14default_configENS1_25partition_config_selectorILNS1_17partition_subalgoE5ElNS0_10empty_typeEbEEZZNS1_14partition_implILS5_5ELb0ES3_mN6hipcub16HIPCUB_304000_NS21CountingInputIteratorIllEEPS6_NSA_22TransformInputIteratorIbN2at6native12_GLOBAL__N_19NonZeroOpIaEEPKalEENS0_5tupleIJPlS6_EEENSN_IJSD_SD_EEES6_PiJS6_EEE10hipError_tPvRmT3_T4_T5_T6_T7_T9_mT8_P12ihipStream_tbDpT10_ENKUlT_T0_E_clISt17integral_constantIbLb0EES1B_EEDaS16_S17_EUlS16_E_NS1_11comp_targetILNS1_3genE9ELNS1_11target_archE1100ELNS1_3gpuE3ELNS1_3repE0EEENS1_30default_config_static_selectorELNS0_4arch9wavefront6targetE0EEEvT1_: ; @_ZN7rocprim17ROCPRIM_400000_NS6detail17trampoline_kernelINS0_14default_configENS1_25partition_config_selectorILNS1_17partition_subalgoE5ElNS0_10empty_typeEbEEZZNS1_14partition_implILS5_5ELb0ES3_mN6hipcub16HIPCUB_304000_NS21CountingInputIteratorIllEEPS6_NSA_22TransformInputIteratorIbN2at6native12_GLOBAL__N_19NonZeroOpIaEEPKalEENS0_5tupleIJPlS6_EEENSN_IJSD_SD_EEES6_PiJS6_EEE10hipError_tPvRmT3_T4_T5_T6_T7_T9_mT8_P12ihipStream_tbDpT10_ENKUlT_T0_E_clISt17integral_constantIbLb0EES1B_EEDaS16_S17_EUlS16_E_NS1_11comp_targetILNS1_3genE9ELNS1_11target_archE1100ELNS1_3gpuE3ELNS1_3repE0EEENS1_30default_config_static_selectorELNS0_4arch9wavefront6targetE0EEEvT1_
; %bb.0:
	s_clause 0x4
	s_load_b128 s[8:11], s[0:1], 0x8
	s_load_b128 s[4:7], s[0:1], 0x48
	s_load_b32 s14, s[0:1], 0x70
	s_load_b64 s[2:3], s[0:1], 0x58
	s_load_b64 s[12:13], s[0:1], 0x20
	s_waitcnt lgkmcnt(0)
	s_add_u32 s8, s10, s8
	s_load_b64 s[6:7], s[6:7], 0x0
	s_mul_i32 s17, s14, 0x300
	s_addc_u32 s9, s11, s9
	s_add_i32 s14, s14, -1
	s_add_u32 s18, s10, s17
	s_addc_u32 s19, s11, 0
	s_cmp_eq_u32 s15, s14
	v_cmp_ge_u64_e64 s3, s[18:19], s[2:3]
	s_cselect_b32 s14, -1, 0
	s_mov_b32 s18, -1
	s_delay_alu instid0(VALU_DEP_1) | instskip(NEXT) | instid1(SALU_CYCLE_1)
	s_and_b32 s3, s14, s3
	s_xor_b32 s16, s3, -1
	s_mul_i32 s3, s15, 0x300
	s_and_b32 vcc_lo, exec_lo, s16
	s_cbranch_vccz .LBB124_2
; %bb.1:
	s_add_u32 s18, s8, s3
	s_addc_u32 s19, s9, 0
	v_add_co_u32 v1, s18, s18, v0
	s_delay_alu instid0(VALU_DEP_1) | instskip(SKIP_1) | instid1(VALU_DEP_3)
	v_add_co_ci_u32_e64 v2, null, s19, 0, s18
	v_lshlrev_b32_e32 v13, 3, v0
	v_add_co_u32 v3, vcc_lo, 0x80, v1
	s_delay_alu instid0(VALU_DEP_3)
	v_add_co_ci_u32_e32 v4, vcc_lo, 0, v2, vcc_lo
	v_add_co_u32 v5, vcc_lo, 0x100, v1
	v_add_co_ci_u32_e32 v6, vcc_lo, 0, v2, vcc_lo
	v_add_co_u32 v7, vcc_lo, 0x180, v1
	;; [unrolled: 2-line block ×4, first 2 shown]
	v_add_co_ci_u32_e32 v12, vcc_lo, 0, v2, vcc_lo
	ds_store_2addr_stride64_b64 v13, v[1:2], v[3:4] offset1:2
	ds_store_2addr_stride64_b64 v13, v[5:6], v[7:8] offset0:4 offset1:6
	ds_store_2addr_stride64_b64 v13, v[9:10], v[11:12] offset0:8 offset1:10
	s_waitcnt lgkmcnt(0)
	s_mov_b32 s18, 0
	s_barrier
.LBB124_2:
	v_or_b32_e32 v17, 0x100, v0
	v_or_b32_e32 v16, 0x180, v0
	;; [unrolled: 1-line block ×4, first 2 shown]
	s_and_not1_b32 vcc_lo, exec_lo, s18
	s_cbranch_vccnz .LBB124_4
; %bb.3:
	v_or_b32_e32 v3, 0x80, v0
	s_add_u32 s8, s8, s3
	s_addc_u32 s9, s9, 0
	v_add_co_u32 v1, s18, s8, v0
	s_delay_alu instid0(VALU_DEP_1) | instskip(SKIP_1) | instid1(VALU_DEP_1)
	v_add_co_ci_u32_e64 v2, null, s9, 0, s18
	v_add_co_u32 v3, s18, s8, v3
	v_add_co_ci_u32_e64 v4, null, s9, 0, s18
	v_add_co_u32 v5, s18, s8, v17
	s_delay_alu instid0(VALU_DEP_1) | instskip(SKIP_1) | instid1(VALU_DEP_1)
	v_add_co_ci_u32_e64 v6, null, s9, 0, s18
	v_add_co_u32 v7, s18, s8, v16
	v_add_co_ci_u32_e64 v8, null, s9, 0, s18
	v_add_co_u32 v9, s18, s8, v14
	v_lshlrev_b32_e32 v15, 3, v0
	v_add_co_u32 v11, s8, s8, v13
	v_add_co_ci_u32_e64 v10, null, s9, 0, s18
	v_add_co_ci_u32_e64 v12, null, s9, 0, s8
	ds_store_2addr_stride64_b64 v15, v[1:2], v[3:4] offset1:2
	ds_store_2addr_stride64_b64 v15, v[5:6], v[7:8] offset0:4 offset1:6
	ds_store_2addr_stride64_b64 v15, v[9:10], v[11:12] offset0:8 offset1:10
	s_waitcnt lgkmcnt(0)
	s_barrier
.LBB124_4:
	v_mul_u32_u24_e32 v1, 6, v0
	s_waitcnt lgkmcnt(0)
	buffer_gl0_inv
	s_add_u32 s8, s12, s10
	s_addc_u32 s9, s13, s11
	s_add_u32 s12, s8, s3
	v_lshlrev_b32_e32 v15, 3, v1
	s_addc_u32 s13, s9, 0
	s_and_b32 vcc_lo, exec_lo, s16
	s_mov_b32 s3, -1
	ds_load_b128 v[9:12], v15
	ds_load_b128 v[5:8], v15 offset:16
	ds_load_b128 v[1:4], v15 offset:32
	s_waitcnt lgkmcnt(0)
	s_barrier
	buffer_gl0_inv
	s_cbranch_vccz .LBB124_6
; %bb.5:
	s_clause 0x5
	global_load_u8 v18, v0, s[12:13]
	global_load_u8 v19, v0, s[12:13] offset:128
	global_load_u8 v20, v0, s[12:13] offset:256
	;; [unrolled: 1-line block ×5, first 2 shown]
	s_mov_b32 s3, 0
	s_waitcnt vmcnt(5)
	v_cmp_ne_u16_e32 vcc_lo, 0, v18
	v_cndmask_b32_e64 v18, 0, 1, vcc_lo
	s_waitcnt vmcnt(4)
	v_cmp_ne_u16_e32 vcc_lo, 0, v19
	v_cndmask_b32_e64 v19, 0, 1, vcc_lo
	;; [unrolled: 3-line block ×6, first 2 shown]
	ds_store_b8 v0, v18
	ds_store_b8 v0, v19 offset:128
	ds_store_b8 v0, v20 offset:256
	;; [unrolled: 1-line block ×5, first 2 shown]
	s_waitcnt lgkmcnt(0)
	s_barrier
.LBB124_6:
	s_load_b64 s[8:9], s[0:1], 0x68
	s_and_not1_b32 vcc_lo, exec_lo, s3
	s_cbranch_vccnz .LBB124_20
; %bb.7:
	s_add_i32 s17, s17, s10
	v_dual_mov_b32 v18, 0 :: v_dual_mov_b32 v19, 0
	s_sub_i32 s2, s2, s17
	s_mov_b32 s3, exec_lo
	s_addk_i32 s2, 0x300
	s_delay_alu instid0(SALU_CYCLE_1)
	v_cmpx_gt_u32_e64 s2, v0
	s_cbranch_execz .LBB124_9
; %bb.8:
	global_load_u8 v19, v0, s[12:13]
	s_waitcnt vmcnt(0)
	v_cmp_ne_u16_e32 vcc_lo, 0, v19
	v_cndmask_b32_e64 v19, 0, 1, vcc_lo
.LBB124_9:
	s_or_b32 exec_lo, exec_lo, s3
	v_or_b32_e32 v20, 0x80, v0
	s_mov_b32 s3, exec_lo
	s_delay_alu instid0(VALU_DEP_1)
	v_cmpx_gt_u32_e64 s2, v20
	s_cbranch_execz .LBB124_11
; %bb.10:
	global_load_u8 v18, v0, s[12:13] offset:128
	s_waitcnt vmcnt(0)
	v_cmp_ne_u16_e32 vcc_lo, 0, v18
	v_cndmask_b32_e64 v18, 0, 1, vcc_lo
.LBB124_11:
	s_or_b32 exec_lo, exec_lo, s3
	v_cmp_gt_u32_e32 vcc_lo, s2, v17
	v_dual_mov_b32 v17, 0 :: v_dual_mov_b32 v20, 0
	s_and_saveexec_b32 s3, vcc_lo
	s_cbranch_execz .LBB124_13
; %bb.12:
	global_load_u8 v20, v0, s[12:13] offset:256
	s_waitcnt vmcnt(0)
	v_cmp_ne_u16_e32 vcc_lo, 0, v20
	v_cndmask_b32_e64 v20, 0, 1, vcc_lo
.LBB124_13:
	s_or_b32 exec_lo, exec_lo, s3
	s_delay_alu instid0(SALU_CYCLE_1)
	s_mov_b32 s3, exec_lo
	v_cmpx_gt_u32_e64 s2, v16
	s_cbranch_execz .LBB124_15
; %bb.14:
	global_load_u8 v16, v0, s[12:13] offset:384
	s_waitcnt vmcnt(0)
	v_cmp_ne_u16_e32 vcc_lo, 0, v16
	v_cndmask_b32_e64 v17, 0, 1, vcc_lo
.LBB124_15:
	s_or_b32 exec_lo, exec_lo, s3
	v_cmp_gt_u32_e32 vcc_lo, s2, v14
	v_mov_b32_e32 v14, 0
	v_mov_b32_e32 v16, 0
	s_and_saveexec_b32 s3, vcc_lo
	s_cbranch_execz .LBB124_17
; %bb.16:
	global_load_u8 v16, v0, s[12:13] offset:512
	s_waitcnt vmcnt(0)
	v_cmp_ne_u16_e32 vcc_lo, 0, v16
	v_cndmask_b32_e64 v16, 0, 1, vcc_lo
.LBB124_17:
	s_or_b32 exec_lo, exec_lo, s3
	v_cmp_gt_u32_e32 vcc_lo, s2, v13
	s_and_saveexec_b32 s2, vcc_lo
	s_cbranch_execz .LBB124_19
; %bb.18:
	global_load_u8 v13, v0, s[12:13] offset:640
	s_waitcnt vmcnt(0)
	v_cmp_ne_u16_e32 vcc_lo, 0, v13
	v_cndmask_b32_e64 v14, 0, 1, vcc_lo
.LBB124_19:
	s_or_b32 exec_lo, exec_lo, s2
	ds_store_b8 v0, v19
	ds_store_b8 v0, v18 offset:128
	ds_store_b8 v0, v20 offset:256
	;; [unrolled: 1-line block ×5, first 2 shown]
	s_waitcnt lgkmcnt(0)
	s_barrier
.LBB124_20:
	v_mad_i32_i24 v43, 0xffffffd6, v0, v15
	s_waitcnt lgkmcnt(0)
	buffer_gl0_inv
	v_mbcnt_lo_u32_b32 v42, -1, 0
	s_cmp_lg_u32 s15, 0
	s_mov_b32 s3, -1
	ds_load_u16 v36, v43
	ds_load_u16 v33, v43 offset:2
	ds_load_u16 v31, v43 offset:4
	v_mov_b32_e32 v14, 0
	v_and_b32_e32 v44, 15, v42
	s_waitcnt lgkmcnt(0)
	s_barrier
	buffer_gl0_inv
	v_and_b32_e32 v41, 0xff, v36
	v_lshrrev_b16 v34, 8, v36
	v_lshrrev_b16 v35, 8, v33
	v_and_b32_e32 v39, 0xff, v33
	v_lshrrev_b16 v32, 8, v31
	v_and_b32_e32 v37, 0xff, v31
	v_and_b32_e32 v40, 0xffff, v34
	;; [unrolled: 1-line block ×3, first 2 shown]
	s_delay_alu instid0(VALU_DEP_4) | instskip(NEXT) | instid1(VALU_DEP_3)
	v_and_b32_e32 v16, 0xffff, v32
	v_add_co_u32 v13, s2, v40, v41
	s_delay_alu instid0(VALU_DEP_1) | instskip(SKIP_1) | instid1(VALU_DEP_3)
	v_add_co_ci_u32_e64 v15, null, 0, 0, s2
	v_cmp_ne_u32_e64 s2, 0, v44
	v_add_co_u32 v13, vcc_lo, v13, v39
	s_delay_alu instid0(VALU_DEP_3) | instskip(NEXT) | instid1(VALU_DEP_2)
	v_add_co_ci_u32_e32 v15, vcc_lo, 0, v15, vcc_lo
	v_add_co_u32 v13, vcc_lo, v13, v38
	s_delay_alu instid0(VALU_DEP_2) | instskip(NEXT) | instid1(VALU_DEP_2)
	v_add_co_ci_u32_e32 v15, vcc_lo, 0, v15, vcc_lo
	v_add_co_u32 v13, vcc_lo, v13, v37
	s_delay_alu instid0(VALU_DEP_2) | instskip(NEXT) | instid1(VALU_DEP_2)
	v_add_co_ci_u32_e32 v15, vcc_lo, 0, v15, vcc_lo
	v_add_co_u32 v21, vcc_lo, v13, v16
	s_delay_alu instid0(VALU_DEP_2)
	v_add_co_ci_u32_e32 v22, vcc_lo, 0, v15, vcc_lo
	s_cbranch_scc0 .LBB124_84
; %bb.21:
	s_delay_alu instid0(VALU_DEP_2)
	v_mov_b32_e32 v15, v21
	v_mov_b32_dpp v13, v21 row_shr:1 row_mask:0xf bank_mask:0xf
	v_mov_b32_dpp v18, v14 row_shr:1 row_mask:0xf bank_mask:0xf
	v_dual_mov_b32 v17, v21 :: v_dual_mov_b32 v16, v22
	s_and_saveexec_b32 s3, s2
; %bb.22:
	s_delay_alu instid0(VALU_DEP_3) | instskip(SKIP_1) | instid1(VALU_DEP_2)
	v_add_co_u32 v17, vcc_lo, v21, v13
	v_add_co_ci_u32_e32 v14, vcc_lo, 0, v22, vcc_lo
	v_add_co_u32 v13, vcc_lo, 0, v17
	s_delay_alu instid0(VALU_DEP_2) | instskip(NEXT) | instid1(VALU_DEP_1)
	v_add_co_ci_u32_e32 v14, vcc_lo, v18, v14, vcc_lo
	v_dual_mov_b32 v16, v14 :: v_dual_mov_b32 v15, v13
; %bb.23:
	s_or_b32 exec_lo, exec_lo, s3
	v_mov_b32_dpp v13, v17 row_shr:2 row_mask:0xf bank_mask:0xf
	v_mov_b32_dpp v18, v14 row_shr:2 row_mask:0xf bank_mask:0xf
	s_mov_b32 s3, exec_lo
	v_cmpx_lt_u32_e32 1, v44
; %bb.24:
	s_delay_alu instid0(VALU_DEP_3) | instskip(SKIP_1) | instid1(VALU_DEP_2)
	v_add_co_u32 v17, vcc_lo, v15, v13
	v_add_co_ci_u32_e32 v14, vcc_lo, 0, v16, vcc_lo
	v_add_co_u32 v13, vcc_lo, 0, v17
	s_delay_alu instid0(VALU_DEP_2) | instskip(NEXT) | instid1(VALU_DEP_1)
	v_add_co_ci_u32_e32 v14, vcc_lo, v18, v14, vcc_lo
	v_dual_mov_b32 v16, v14 :: v_dual_mov_b32 v15, v13
; %bb.25:
	s_or_b32 exec_lo, exec_lo, s3
	v_mov_b32_dpp v13, v17 row_shr:4 row_mask:0xf bank_mask:0xf
	v_mov_b32_dpp v18, v14 row_shr:4 row_mask:0xf bank_mask:0xf
	s_mov_b32 s3, exec_lo
	v_cmpx_lt_u32_e32 3, v44
	;; [unrolled: 14-line block ×3, first 2 shown]
; %bb.28:
	s_delay_alu instid0(VALU_DEP_3) | instskip(SKIP_1) | instid1(VALU_DEP_2)
	v_add_co_u32 v17, vcc_lo, v15, v18
	v_add_co_ci_u32_e32 v14, vcc_lo, 0, v16, vcc_lo
	v_add_co_u32 v15, vcc_lo, 0, v17
	s_delay_alu instid0(VALU_DEP_2) | instskip(NEXT) | instid1(VALU_DEP_1)
	v_add_co_ci_u32_e32 v16, vcc_lo, v13, v14, vcc_lo
	v_mov_b32_e32 v14, v16
; %bb.29:
	s_or_b32 exec_lo, exec_lo, s3
	ds_swizzle_b32 v13, v17 offset:swizzle(BROADCAST,32,15)
	ds_swizzle_b32 v18, v14 offset:swizzle(BROADCAST,32,15)
	v_and_b32_e32 v19, 16, v42
	s_mov_b32 s3, exec_lo
	s_delay_alu instid0(VALU_DEP_1)
	v_cmpx_ne_u32_e32 0, v19
	s_cbranch_execz .LBB124_31
; %bb.30:
	s_waitcnt lgkmcnt(1)
	v_add_co_u32 v17, vcc_lo, v15, v13
	v_add_co_ci_u32_e32 v14, vcc_lo, 0, v16, vcc_lo
	s_delay_alu instid0(VALU_DEP_2) | instskip(SKIP_1) | instid1(VALU_DEP_2)
	v_add_co_u32 v13, vcc_lo, 0, v17
	s_waitcnt lgkmcnt(0)
	v_add_co_ci_u32_e32 v14, vcc_lo, v18, v14, vcc_lo
	s_delay_alu instid0(VALU_DEP_1)
	v_dual_mov_b32 v16, v14 :: v_dual_mov_b32 v15, v13
.LBB124_31:
	s_or_b32 exec_lo, exec_lo, s3
	s_waitcnt lgkmcnt(0)
	v_or_b32_e32 v18, 31, v0
	v_lshrrev_b32_e32 v13, 5, v0
	s_mov_b32 s3, exec_lo
	s_delay_alu instid0(VALU_DEP_2)
	v_cmpx_eq_u32_e64 v18, v0
	s_cbranch_execz .LBB124_33
; %bb.32:
	s_delay_alu instid0(VALU_DEP_2)
	v_lshlrev_b32_e32 v18, 3, v13
	ds_store_b64 v18, v[15:16]
.LBB124_33:
	s_or_b32 exec_lo, exec_lo, s3
	s_delay_alu instid0(SALU_CYCLE_1)
	s_mov_b32 s3, exec_lo
	s_waitcnt lgkmcnt(0)
	s_barrier
	buffer_gl0_inv
	v_cmpx_gt_u32_e32 4, v0
	s_cbranch_execz .LBB124_39
; %bb.34:
	v_lshlrev_b32_e32 v18, 3, v0
	s_mov_b32 s10, exec_lo
	ds_load_b64 v[15:16], v18
	s_waitcnt lgkmcnt(0)
	v_dual_mov_b32 v20, v15 :: v_dual_and_b32 v19, 3, v42
	v_mov_b32_dpp v24, v15 row_shr:1 row_mask:0xf bank_mask:0xf
	v_mov_b32_dpp v23, v16 row_shr:1 row_mask:0xf bank_mask:0xf
	s_delay_alu instid0(VALU_DEP_3)
	v_cmpx_ne_u32_e32 0, v19
; %bb.35:
	s_delay_alu instid0(VALU_DEP_3) | instskip(SKIP_1) | instid1(VALU_DEP_2)
	v_add_co_u32 v20, vcc_lo, v15, v24
	v_add_co_ci_u32_e32 v16, vcc_lo, 0, v16, vcc_lo
	v_add_co_u32 v15, vcc_lo, 0, v20
	s_delay_alu instid0(VALU_DEP_2)
	v_add_co_ci_u32_e32 v16, vcc_lo, v23, v16, vcc_lo
; %bb.36:
	s_or_b32 exec_lo, exec_lo, s10
	v_mov_b32_dpp v23, v20 row_shr:2 row_mask:0xf bank_mask:0xf
	s_delay_alu instid0(VALU_DEP_2)
	v_mov_b32_dpp v20, v16 row_shr:2 row_mask:0xf bank_mask:0xf
	s_mov_b32 s10, exec_lo
	v_cmpx_lt_u32_e32 1, v19
; %bb.37:
	s_delay_alu instid0(VALU_DEP_3) | instskip(SKIP_1) | instid1(VALU_DEP_2)
	v_add_co_u32 v15, vcc_lo, v15, v23
	v_add_co_ci_u32_e32 v16, vcc_lo, 0, v16, vcc_lo
	v_add_co_u32 v15, vcc_lo, v15, 0
	s_delay_alu instid0(VALU_DEP_2)
	v_add_co_ci_u32_e32 v16, vcc_lo, v16, v20, vcc_lo
; %bb.38:
	s_or_b32 exec_lo, exec_lo, s10
	ds_store_b64 v18, v[15:16]
.LBB124_39:
	s_or_b32 exec_lo, exec_lo, s3
	v_cmp_gt_u32_e32 vcc_lo, 32, v0
	s_mov_b32 s10, exec_lo
	s_waitcnt lgkmcnt(0)
	s_barrier
	buffer_gl0_inv
                                        ; implicit-def: $vgpr23_vgpr24
	v_cmpx_lt_u32_e32 31, v0
	s_cbranch_execz .LBB124_41
; %bb.40:
	v_lshl_add_u32 v13, v13, 3, -8
	ds_load_b64 v[23:24], v13
	s_waitcnt lgkmcnt(0)
	v_add_co_u32 v17, s3, v17, v23
	s_delay_alu instid0(VALU_DEP_1)
	v_add_co_ci_u32_e64 v14, s3, v14, v24, s3
.LBB124_41:
	s_or_b32 exec_lo, exec_lo, s10
	v_add_nc_u32_e32 v13, -1, v42
	s_delay_alu instid0(VALU_DEP_1) | instskip(NEXT) | instid1(VALU_DEP_1)
	v_cmp_gt_i32_e64 s3, 0, v13
	v_cndmask_b32_e64 v13, v13, v42, s3
	v_cmp_eq_u32_e64 s3, 0, v42
	s_delay_alu instid0(VALU_DEP_2)
	v_lshlrev_b32_e32 v13, 2, v13
	ds_bpermute_b32 v29, v13, v17
	ds_bpermute_b32 v30, v13, v14
	s_and_saveexec_b32 s10, vcc_lo
	s_cbranch_execz .LBB124_79
; %bb.42:
	v_mov_b32_e32 v16, 0
	ds_load_b64 v[13:14], v16 offset:24
	s_and_saveexec_b32 s11, s3
	s_cbranch_execz .LBB124_44
; %bb.43:
	s_add_i32 s12, s15, 32
	s_mov_b32 s13, 0
	s_delay_alu instid0(SALU_CYCLE_1) | instskip(NEXT) | instid1(SALU_CYCLE_1)
	s_lshl_b64 s[12:13], s[12:13], 4
	s_add_u32 s12, s8, s12
	s_addc_u32 s13, s9, s13
	s_delay_alu instid0(SALU_CYCLE_1)
	v_dual_mov_b32 v15, 1 :: v_dual_mov_b32 v18, s13
	v_mov_b32_e32 v17, s12
	s_waitcnt lgkmcnt(0)
	;;#ASMSTART
	global_store_dwordx4 v[17:18], v[13:16] off	
s_waitcnt vmcnt(0)
	;;#ASMEND
.LBB124_44:
	s_or_b32 exec_lo, exec_lo, s11
	v_xad_u32 v25, v42, -1, s15
	s_mov_b32 s12, 0
	s_mov_b32 s11, exec_lo
	s_delay_alu instid0(VALU_DEP_1) | instskip(NEXT) | instid1(VALU_DEP_1)
	v_add_nc_u32_e32 v15, 32, v25
	v_lshlrev_b64 v[15:16], 4, v[15:16]
	s_delay_alu instid0(VALU_DEP_1) | instskip(NEXT) | instid1(VALU_DEP_2)
	v_add_co_u32 v15, vcc_lo, s8, v15
	v_add_co_ci_u32_e32 v16, vcc_lo, s9, v16, vcc_lo
	;;#ASMSTART
	global_load_dwordx4 v[17:20], v[15:16] off glc	
s_waitcnt vmcnt(0)
	;;#ASMEND
	v_and_b32_e32 v20, 0xff, v18
	v_and_b32_e32 v26, 0xff00, v18
	v_or3_b32 v17, v17, 0, 0
	v_and_b32_e32 v27, 0xff000000, v18
	v_and_b32_e32 v18, 0xff0000, v18
	s_delay_alu instid0(VALU_DEP_4) | instskip(SKIP_2) | instid1(VALU_DEP_3)
	v_or3_b32 v20, 0, v20, v26
	v_and_b32_e32 v26, 0xff, v19
	v_or3_b32 v17, v17, 0, 0
	v_or3_b32 v18, v20, v18, v27
	s_delay_alu instid0(VALU_DEP_3)
	v_cmpx_eq_u16_e32 0, v26
	s_cbranch_execz .LBB124_47
.LBB124_45:                             ; =>This Inner Loop Header: Depth=1
	;;#ASMSTART
	global_load_dwordx4 v[17:20], v[15:16] off glc	
s_waitcnt vmcnt(0)
	;;#ASMEND
	v_and_b32_e32 v20, 0xff, v19
	s_delay_alu instid0(VALU_DEP_1) | instskip(SKIP_1) | instid1(SALU_CYCLE_1)
	v_cmp_ne_u16_e32 vcc_lo, 0, v20
	s_or_b32 s12, vcc_lo, s12
	s_and_not1_b32 exec_lo, exec_lo, s12
	s_cbranch_execnz .LBB124_45
; %bb.46:
	s_or_b32 exec_lo, exec_lo, s12
.LBB124_47:
	s_delay_alu instid0(SALU_CYCLE_1)
	s_or_b32 exec_lo, exec_lo, s11
	v_cmp_ne_u32_e32 vcc_lo, 31, v42
	v_and_b32_e32 v16, 0xff, v19
	v_lshlrev_b32_e64 v46, v42, -1
	s_mov_b32 s11, exec_lo
	v_add_co_ci_u32_e32 v15, vcc_lo, 0, v42, vcc_lo
	s_delay_alu instid0(VALU_DEP_3) | instskip(NEXT) | instid1(VALU_DEP_2)
	v_cmp_eq_u16_e32 vcc_lo, 2, v16
	v_dual_mov_b32 v16, v17 :: v_dual_lshlrev_b32 v45, 2, v15
	v_and_or_b32 v15, vcc_lo, v46, 0x80000000
	ds_bpermute_b32 v26, v45, v17
	ds_bpermute_b32 v20, v45, v18
	v_ctz_i32_b32_e32 v15, v15
	s_delay_alu instid0(VALU_DEP_1)
	v_cmpx_lt_u32_e64 v42, v15
	s_cbranch_execz .LBB124_49
; %bb.48:
	s_waitcnt lgkmcnt(1)
	v_add_co_u32 v16, vcc_lo, v17, v26
	v_add_co_ci_u32_e32 v18, vcc_lo, 0, v18, vcc_lo
	s_delay_alu instid0(VALU_DEP_2) | instskip(SKIP_1) | instid1(VALU_DEP_2)
	v_add_co_u32 v17, vcc_lo, 0, v16
	s_waitcnt lgkmcnt(0)
	v_add_co_ci_u32_e32 v18, vcc_lo, v20, v18, vcc_lo
.LBB124_49:
	s_or_b32 exec_lo, exec_lo, s11
	v_cmp_gt_u32_e32 vcc_lo, 30, v42
	v_add_nc_u32_e32 v48, 2, v42
	s_mov_b32 s11, exec_lo
	s_waitcnt lgkmcnt(0)
	v_cndmask_b32_e64 v20, 0, 1, vcc_lo
	s_delay_alu instid0(VALU_DEP_1) | instskip(NEXT) | instid1(VALU_DEP_1)
	v_lshlrev_b32_e32 v20, 1, v20
	v_add_lshl_u32 v47, v20, v42, 2
	ds_bpermute_b32 v26, v47, v16
	ds_bpermute_b32 v20, v47, v18
	v_cmpx_le_u32_e64 v48, v15
	s_cbranch_execz .LBB124_51
; %bb.50:
	s_waitcnt lgkmcnt(1)
	v_add_co_u32 v16, vcc_lo, v17, v26
	v_add_co_ci_u32_e32 v18, vcc_lo, 0, v18, vcc_lo
	s_delay_alu instid0(VALU_DEP_2) | instskip(SKIP_1) | instid1(VALU_DEP_2)
	v_add_co_u32 v17, vcc_lo, 0, v16
	s_waitcnt lgkmcnt(0)
	v_add_co_ci_u32_e32 v18, vcc_lo, v20, v18, vcc_lo
.LBB124_51:
	s_or_b32 exec_lo, exec_lo, s11
	v_cmp_gt_u32_e32 vcc_lo, 28, v42
	v_add_nc_u32_e32 v50, 4, v42
	s_mov_b32 s11, exec_lo
	s_waitcnt lgkmcnt(0)
	v_cndmask_b32_e64 v20, 0, 1, vcc_lo
	s_delay_alu instid0(VALU_DEP_1) | instskip(NEXT) | instid1(VALU_DEP_1)
	v_lshlrev_b32_e32 v20, 2, v20
	v_add_lshl_u32 v49, v20, v42, 2
	ds_bpermute_b32 v26, v49, v16
	ds_bpermute_b32 v20, v49, v18
	v_cmpx_le_u32_e64 v50, v15
	;; [unrolled: 22-line block ×4, first 2 shown]
	s_cbranch_execz .LBB124_57
; %bb.56:
	s_waitcnt lgkmcnt(1)
	v_add_co_u32 v15, vcc_lo, v17, v20
	v_add_co_ci_u32_e32 v18, vcc_lo, 0, v18, vcc_lo
	s_delay_alu instid0(VALU_DEP_2) | instskip(SKIP_1) | instid1(VALU_DEP_2)
	v_add_co_u32 v17, vcc_lo, v15, 0
	s_waitcnt lgkmcnt(0)
	v_add_co_ci_u32_e32 v18, vcc_lo, v18, v16, vcc_lo
.LBB124_57:
	s_or_b32 exec_lo, exec_lo, s11
	v_mov_b32_e32 v26, 0
	s_branch .LBB124_59
.LBB124_58:                             ;   in Loop: Header=BB124_59 Depth=1
	s_or_b32 exec_lo, exec_lo, s11
	v_add_co_u32 v17, vcc_lo, v17, v15
	v_subrev_nc_u32_e32 v25, 32, v25
	v_add_co_ci_u32_e32 v18, vcc_lo, v18, v16, vcc_lo
.LBB124_59:                             ; =>This Loop Header: Depth=1
                                        ;     Child Loop BB124_62 Depth 2
	v_and_b32_e32 v15, 0xff, v19
	s_delay_alu instid0(VALU_DEP_1) | instskip(SKIP_2) | instid1(VALU_DEP_1)
	v_cmp_ne_u16_e32 vcc_lo, 2, v15
	v_cndmask_b32_e64 v15, 0, 1, vcc_lo
	;;#ASMSTART
	;;#ASMEND
	v_cmp_ne_u32_e32 vcc_lo, 0, v15
	s_waitcnt lgkmcnt(0)
	v_dual_mov_b32 v15, v17 :: v_dual_mov_b32 v16, v18
	s_cmp_lg_u32 vcc_lo, exec_lo
	s_cbranch_scc1 .LBB124_74
; %bb.60:                               ;   in Loop: Header=BB124_59 Depth=1
	v_lshlrev_b64 v[17:18], 4, v[25:26]
	s_mov_b32 s11, exec_lo
	s_delay_alu instid0(VALU_DEP_1) | instskip(NEXT) | instid1(VALU_DEP_2)
	v_add_co_u32 v27, vcc_lo, s8, v17
	v_add_co_ci_u32_e32 v28, vcc_lo, s9, v18, vcc_lo
	;;#ASMSTART
	global_load_dwordx4 v[17:20], v[27:28] off glc	
s_waitcnt vmcnt(0)
	;;#ASMEND
	v_and_b32_e32 v20, 0xff, v18
	v_and_b32_e32 v55, 0xff00, v18
	v_or3_b32 v17, v17, 0, 0
	v_and_b32_e32 v56, 0xff000000, v18
	v_and_b32_e32 v18, 0xff0000, v18
	s_delay_alu instid0(VALU_DEP_4) | instskip(SKIP_2) | instid1(VALU_DEP_3)
	v_or3_b32 v20, 0, v20, v55
	v_and_b32_e32 v55, 0xff, v19
	v_or3_b32 v17, v17, 0, 0
	v_or3_b32 v18, v20, v18, v56
	s_delay_alu instid0(VALU_DEP_3)
	v_cmpx_eq_u16_e32 0, v55
	s_cbranch_execz .LBB124_64
; %bb.61:                               ;   in Loop: Header=BB124_59 Depth=1
	s_mov_b32 s12, 0
.LBB124_62:                             ;   Parent Loop BB124_59 Depth=1
                                        ; =>  This Inner Loop Header: Depth=2
	;;#ASMSTART
	global_load_dwordx4 v[17:20], v[27:28] off glc	
s_waitcnt vmcnt(0)
	;;#ASMEND
	v_and_b32_e32 v20, 0xff, v19
	s_delay_alu instid0(VALU_DEP_1) | instskip(SKIP_1) | instid1(SALU_CYCLE_1)
	v_cmp_ne_u16_e32 vcc_lo, 0, v20
	s_or_b32 s12, vcc_lo, s12
	s_and_not1_b32 exec_lo, exec_lo, s12
	s_cbranch_execnz .LBB124_62
; %bb.63:                               ;   in Loop: Header=BB124_59 Depth=1
	s_or_b32 exec_lo, exec_lo, s12
.LBB124_64:                             ;   in Loop: Header=BB124_59 Depth=1
	s_delay_alu instid0(SALU_CYCLE_1)
	s_or_b32 exec_lo, exec_lo, s11
	v_dual_mov_b32 v27, v17 :: v_dual_and_b32 v20, 0xff, v19
	ds_bpermute_b32 v55, v45, v17
	ds_bpermute_b32 v28, v45, v18
	s_mov_b32 s11, exec_lo
	v_cmp_eq_u16_e32 vcc_lo, 2, v20
	v_and_or_b32 v20, vcc_lo, v46, 0x80000000
	s_delay_alu instid0(VALU_DEP_1) | instskip(NEXT) | instid1(VALU_DEP_1)
	v_ctz_i32_b32_e32 v20, v20
	v_cmpx_lt_u32_e64 v42, v20
	s_cbranch_execz .LBB124_66
; %bb.65:                               ;   in Loop: Header=BB124_59 Depth=1
	s_waitcnt lgkmcnt(1)
	v_add_co_u32 v27, vcc_lo, v17, v55
	v_add_co_ci_u32_e32 v18, vcc_lo, 0, v18, vcc_lo
	s_delay_alu instid0(VALU_DEP_2) | instskip(SKIP_1) | instid1(VALU_DEP_2)
	v_add_co_u32 v17, vcc_lo, 0, v27
	s_waitcnt lgkmcnt(0)
	v_add_co_ci_u32_e32 v18, vcc_lo, v28, v18, vcc_lo
.LBB124_66:                             ;   in Loop: Header=BB124_59 Depth=1
	s_or_b32 exec_lo, exec_lo, s11
	s_waitcnt lgkmcnt(1)
	ds_bpermute_b32 v55, v47, v27
	s_waitcnt lgkmcnt(1)
	ds_bpermute_b32 v28, v47, v18
	s_mov_b32 s11, exec_lo
	v_cmpx_le_u32_e64 v48, v20
	s_cbranch_execz .LBB124_68
; %bb.67:                               ;   in Loop: Header=BB124_59 Depth=1
	s_waitcnt lgkmcnt(1)
	v_add_co_u32 v27, vcc_lo, v17, v55
	v_add_co_ci_u32_e32 v18, vcc_lo, 0, v18, vcc_lo
	s_delay_alu instid0(VALU_DEP_2) | instskip(SKIP_1) | instid1(VALU_DEP_2)
	v_add_co_u32 v17, vcc_lo, 0, v27
	s_waitcnt lgkmcnt(0)
	v_add_co_ci_u32_e32 v18, vcc_lo, v28, v18, vcc_lo
.LBB124_68:                             ;   in Loop: Header=BB124_59 Depth=1
	s_or_b32 exec_lo, exec_lo, s11
	s_waitcnt lgkmcnt(1)
	ds_bpermute_b32 v55, v49, v27
	s_waitcnt lgkmcnt(1)
	ds_bpermute_b32 v28, v49, v18
	s_mov_b32 s11, exec_lo
	v_cmpx_le_u32_e64 v50, v20
	;; [unrolled: 17-line block ×3, first 2 shown]
	s_cbranch_execz .LBB124_72
; %bb.71:                               ;   in Loop: Header=BB124_59 Depth=1
	s_waitcnt lgkmcnt(1)
	v_add_co_u32 v27, vcc_lo, v17, v55
	v_add_co_ci_u32_e32 v18, vcc_lo, 0, v18, vcc_lo
	s_delay_alu instid0(VALU_DEP_2) | instskip(SKIP_1) | instid1(VALU_DEP_2)
	v_add_co_u32 v17, vcc_lo, 0, v27
	s_waitcnt lgkmcnt(0)
	v_add_co_ci_u32_e32 v18, vcc_lo, v28, v18, vcc_lo
.LBB124_72:                             ;   in Loop: Header=BB124_59 Depth=1
	s_or_b32 exec_lo, exec_lo, s11
	s_waitcnt lgkmcnt(0)
	ds_bpermute_b32 v28, v53, v27
	ds_bpermute_b32 v27, v53, v18
	s_mov_b32 s11, exec_lo
	v_cmpx_le_u32_e64 v54, v20
	s_cbranch_execz .LBB124_58
; %bb.73:                               ;   in Loop: Header=BB124_59 Depth=1
	s_waitcnt lgkmcnt(1)
	v_add_co_u32 v17, vcc_lo, v17, v28
	v_add_co_ci_u32_e32 v18, vcc_lo, 0, v18, vcc_lo
	s_delay_alu instid0(VALU_DEP_2) | instskip(SKIP_1) | instid1(VALU_DEP_2)
	v_add_co_u32 v17, vcc_lo, v17, 0
	s_waitcnt lgkmcnt(0)
	v_add_co_ci_u32_e32 v18, vcc_lo, v18, v27, vcc_lo
	s_branch .LBB124_58
.LBB124_74:                             ;   in Loop: Header=BB124_59 Depth=1
                                        ; implicit-def: $vgpr17_vgpr18
	s_cbranch_execz .LBB124_59
; %bb.75:
	s_and_saveexec_b32 s11, s3
	s_cbranch_execz .LBB124_77
; %bb.76:
	s_add_i32 s12, s15, 32
	s_mov_b32 s13, 0
	v_add_co_u32 v17, vcc_lo, v15, v13
	s_lshl_b64 s[12:13], s[12:13], 4
	v_dual_mov_b32 v19, 2 :: v_dual_mov_b32 v20, 0
	s_add_u32 s12, s8, s12
	s_addc_u32 s13, s9, s13
	v_add_co_ci_u32_e32 v18, vcc_lo, v16, v14, vcc_lo
	v_dual_mov_b32 v26, s13 :: v_dual_mov_b32 v25, s12
	;;#ASMSTART
	global_store_dwordx4 v[25:26], v[17:20] off	
s_waitcnt vmcnt(0)
	;;#ASMEND
	ds_store_b128 v20, v[13:16] offset:6144
.LBB124_77:
	s_or_b32 exec_lo, exec_lo, s11
	v_cmp_eq_u32_e32 vcc_lo, 0, v0
	s_and_b32 exec_lo, exec_lo, vcc_lo
	s_cbranch_execz .LBB124_79
; %bb.78:
	v_mov_b32_e32 v13, 0
	ds_store_b64 v13, v[15:16] offset:24
.LBB124_79:
	s_or_b32 exec_lo, exec_lo, s10
	s_waitcnt lgkmcnt(1)
	v_cndmask_b32_e64 v16, v29, v23, s3
	v_cmp_ne_u32_e32 vcc_lo, 0, v0
	v_mov_b32_e32 v15, 0
	s_waitcnt lgkmcnt(0)
	s_barrier
	buffer_gl0_inv
	v_cndmask_b32_e32 v16, 0, v16, vcc_lo
	ds_load_b64 v[13:14], v15 offset:24
	v_cndmask_b32_e64 v17, v30, v24, s3
	s_waitcnt lgkmcnt(0)
	s_barrier
	buffer_gl0_inv
	v_cndmask_b32_e32 v17, 0, v17, vcc_lo
	v_add_co_u32 v29, vcc_lo, v13, v16
	s_delay_alu instid0(VALU_DEP_2) | instskip(SKIP_3) | instid1(VALU_DEP_2)
	v_add_co_ci_u32_e32 v30, vcc_lo, v14, v17, vcc_lo
	ds_load_b128 v[13:16], v15 offset:6144
	v_add_co_u32 v27, vcc_lo, v29, v41
	v_add_co_ci_u32_e32 v28, vcc_lo, 0, v30, vcc_lo
	v_add_co_u32 v25, vcc_lo, v27, v40
	s_delay_alu instid0(VALU_DEP_2) | instskip(NEXT) | instid1(VALU_DEP_2)
	v_add_co_ci_u32_e32 v26, vcc_lo, 0, v28, vcc_lo
	v_add_co_u32 v23, vcc_lo, v25, v39
	s_delay_alu instid0(VALU_DEP_2) | instskip(NEXT) | instid1(VALU_DEP_2)
	;; [unrolled: 3-line block ×3, first 2 shown]
	v_add_co_ci_u32_e32 v20, vcc_lo, 0, v24, vcc_lo
	v_add_co_u32 v17, vcc_lo, v19, v37
	s_delay_alu instid0(VALU_DEP_2)
	v_add_co_ci_u32_e32 v18, vcc_lo, 0, v20, vcc_lo
	s_load_b64 s[10:11], s[0:1], 0x30
.LBB124_80:
	s_waitcnt lgkmcnt(0)
	v_cmp_gt_u64_e32 vcc_lo, 0x81, v[13:14]
	s_mov_b32 s0, -1
	s_cbranch_vccnz .LBB124_108
.LBB124_81:
	s_and_b32 vcc_lo, exec_lo, s0
	s_cbranch_vccnz .LBB124_127
.LBB124_82:
	v_cmp_eq_u32_e32 vcc_lo, 0, v0
	s_and_b32 s0, vcc_lo, s14
	s_delay_alu instid0(SALU_CYCLE_1)
	s_and_saveexec_b32 s1, s0
	s_cbranch_execnz .LBB124_143
.LBB124_83:
	s_nop 0
	s_sendmsg sendmsg(MSG_DEALLOC_VGPRS)
	s_endpgm
.LBB124_84:
                                        ; kill: def $vgpr13_vgpr14 killed $sgpr0_sgpr1 killed $exec
                                        ; implicit-def: $vgpr17_vgpr18
                                        ; implicit-def: $vgpr19_vgpr20
                                        ; implicit-def: $vgpr23_vgpr24
                                        ; implicit-def: $vgpr25_vgpr26
                                        ; implicit-def: $vgpr27_vgpr28
                                        ; implicit-def: $vgpr29_vgpr30
                                        ; implicit-def: $vgpr15_vgpr16
	s_load_b64 s[10:11], s[0:1], 0x30
	s_and_b32 vcc_lo, exec_lo, s3
	s_cbranch_vccz .LBB124_80
; %bb.85:
	s_waitcnt lgkmcnt(0)
	v_dual_mov_b32 v14, 0 :: v_dual_mov_b32 v15, v21
	v_mov_b32_dpp v16, v21 row_shr:1 row_mask:0xf bank_mask:0xf
	s_delay_alu instid0(VALU_DEP_2)
	v_mov_b32_dpp v13, v14 row_shr:1 row_mask:0xf bank_mask:0xf
	s_and_saveexec_b32 s0, s2
; %bb.86:
	s_delay_alu instid0(VALU_DEP_2) | instskip(SKIP_1) | instid1(VALU_DEP_2)
	v_add_co_u32 v15, vcc_lo, v21, v16
	v_add_co_ci_u32_e32 v14, vcc_lo, 0, v22, vcc_lo
	v_add_co_u32 v21, vcc_lo, 0, v15
	s_delay_alu instid0(VALU_DEP_2) | instskip(NEXT) | instid1(VALU_DEP_1)
	v_add_co_ci_u32_e32 v22, vcc_lo, v13, v14, vcc_lo
	v_mov_b32_e32 v14, v22
; %bb.87:
	s_or_b32 exec_lo, exec_lo, s0
	v_mov_b32_dpp v13, v15 row_shr:2 row_mask:0xf bank_mask:0xf
	s_delay_alu instid0(VALU_DEP_2)
	v_mov_b32_dpp v16, v14 row_shr:2 row_mask:0xf bank_mask:0xf
	s_mov_b32 s0, exec_lo
	v_cmpx_lt_u32_e32 1, v44
; %bb.88:
	s_delay_alu instid0(VALU_DEP_3) | instskip(SKIP_1) | instid1(VALU_DEP_2)
	v_add_co_u32 v15, vcc_lo, v21, v13
	v_add_co_ci_u32_e32 v14, vcc_lo, 0, v22, vcc_lo
	v_add_co_u32 v13, vcc_lo, 0, v15
	s_delay_alu instid0(VALU_DEP_2) | instskip(NEXT) | instid1(VALU_DEP_1)
	v_add_co_ci_u32_e32 v14, vcc_lo, v16, v14, vcc_lo
	v_dual_mov_b32 v22, v14 :: v_dual_mov_b32 v21, v13
; %bb.89:
	s_or_b32 exec_lo, exec_lo, s0
	v_mov_b32_dpp v13, v15 row_shr:4 row_mask:0xf bank_mask:0xf
	v_mov_b32_dpp v16, v14 row_shr:4 row_mask:0xf bank_mask:0xf
	s_mov_b32 s0, exec_lo
	v_cmpx_lt_u32_e32 3, v44
; %bb.90:
	s_delay_alu instid0(VALU_DEP_3) | instskip(SKIP_1) | instid1(VALU_DEP_2)
	v_add_co_u32 v15, vcc_lo, v21, v13
	v_add_co_ci_u32_e32 v14, vcc_lo, 0, v22, vcc_lo
	v_add_co_u32 v13, vcc_lo, 0, v15
	s_delay_alu instid0(VALU_DEP_2) | instskip(NEXT) | instid1(VALU_DEP_1)
	v_add_co_ci_u32_e32 v14, vcc_lo, v16, v14, vcc_lo
	v_dual_mov_b32 v22, v14 :: v_dual_mov_b32 v21, v13
; %bb.91:
	s_or_b32 exec_lo, exec_lo, s0
	v_mov_b32_dpp v16, v15 row_shr:8 row_mask:0xf bank_mask:0xf
	v_mov_b32_dpp v13, v14 row_shr:8 row_mask:0xf bank_mask:0xf
	s_mov_b32 s0, exec_lo
	v_cmpx_lt_u32_e32 7, v44
; %bb.92:
	s_delay_alu instid0(VALU_DEP_3) | instskip(SKIP_1) | instid1(VALU_DEP_2)
	v_add_co_u32 v15, vcc_lo, v21, v16
	v_add_co_ci_u32_e32 v14, vcc_lo, 0, v22, vcc_lo
	v_add_co_u32 v21, vcc_lo, 0, v15
	s_delay_alu instid0(VALU_DEP_2) | instskip(NEXT) | instid1(VALU_DEP_1)
	v_add_co_ci_u32_e32 v22, vcc_lo, v13, v14, vcc_lo
	v_mov_b32_e32 v14, v22
; %bb.93:
	s_or_b32 exec_lo, exec_lo, s0
	ds_swizzle_b32 v15, v15 offset:swizzle(BROADCAST,32,15)
	ds_swizzle_b32 v13, v14 offset:swizzle(BROADCAST,32,15)
	v_and_b32_e32 v14, 16, v42
	s_mov_b32 s0, exec_lo
	s_delay_alu instid0(VALU_DEP_1)
	v_cmpx_ne_u32_e32 0, v14
	s_cbranch_execz .LBB124_95
; %bb.94:
	s_waitcnt lgkmcnt(1)
	v_add_co_u32 v14, vcc_lo, v21, v15
	v_add_co_ci_u32_e32 v15, vcc_lo, 0, v22, vcc_lo
	s_delay_alu instid0(VALU_DEP_2) | instskip(SKIP_1) | instid1(VALU_DEP_2)
	v_add_co_u32 v21, vcc_lo, v14, 0
	s_waitcnt lgkmcnt(0)
	v_add_co_ci_u32_e32 v22, vcc_lo, v15, v13, vcc_lo
.LBB124_95:
	s_or_b32 exec_lo, exec_lo, s0
	s_waitcnt lgkmcnt(0)
	v_or_b32_e32 v13, 31, v0
	v_lshrrev_b32_e32 v15, 5, v0
	s_mov_b32 s0, exec_lo
	s_delay_alu instid0(VALU_DEP_2)
	v_cmpx_eq_u32_e64 v13, v0
	s_cbranch_execz .LBB124_97
; %bb.96:
	s_delay_alu instid0(VALU_DEP_2)
	v_lshlrev_b32_e32 v13, 3, v15
	ds_store_b64 v13, v[21:22]
.LBB124_97:
	s_or_b32 exec_lo, exec_lo, s0
	s_delay_alu instid0(SALU_CYCLE_1)
	s_mov_b32 s0, exec_lo
	s_waitcnt lgkmcnt(0)
	s_barrier
	buffer_gl0_inv
	v_cmpx_gt_u32_e32 4, v0
	s_cbranch_execz .LBB124_103
; %bb.98:
	v_lshlrev_b32_e32 v13, 1, v0
	s_mov_b32 s1, exec_lo
	s_delay_alu instid0(VALU_DEP_1)
	v_add_nc_u32_e32 v16, v43, v13
	ds_load_b64 v[13:14], v16
	s_waitcnt lgkmcnt(0)
	v_dual_mov_b32 v18, v13 :: v_dual_and_b32 v17, 3, v42
	v_mov_b32_dpp v20, v13 row_shr:1 row_mask:0xf bank_mask:0xf
	v_mov_b32_dpp v19, v14 row_shr:1 row_mask:0xf bank_mask:0xf
	s_delay_alu instid0(VALU_DEP_3)
	v_cmpx_ne_u32_e32 0, v17
; %bb.99:
	s_delay_alu instid0(VALU_DEP_3) | instskip(SKIP_1) | instid1(VALU_DEP_2)
	v_add_co_u32 v18, vcc_lo, v13, v20
	v_add_co_ci_u32_e32 v14, vcc_lo, 0, v14, vcc_lo
	v_add_co_u32 v13, vcc_lo, 0, v18
	s_delay_alu instid0(VALU_DEP_2)
	v_add_co_ci_u32_e32 v14, vcc_lo, v19, v14, vcc_lo
; %bb.100:
	s_or_b32 exec_lo, exec_lo, s1
	v_mov_b32_dpp v19, v18 row_shr:2 row_mask:0xf bank_mask:0xf
	s_delay_alu instid0(VALU_DEP_2)
	v_mov_b32_dpp v18, v14 row_shr:2 row_mask:0xf bank_mask:0xf
	s_mov_b32 s1, exec_lo
	v_cmpx_lt_u32_e32 1, v17
; %bb.101:
	s_delay_alu instid0(VALU_DEP_3) | instskip(SKIP_1) | instid1(VALU_DEP_2)
	v_add_co_u32 v13, vcc_lo, v13, v19
	v_add_co_ci_u32_e32 v14, vcc_lo, 0, v14, vcc_lo
	v_add_co_u32 v13, vcc_lo, v13, 0
	s_delay_alu instid0(VALU_DEP_2)
	v_add_co_ci_u32_e32 v14, vcc_lo, v14, v18, vcc_lo
; %bb.102:
	s_or_b32 exec_lo, exec_lo, s1
	ds_store_b64 v16, v[13:14]
.LBB124_103:
	s_or_b32 exec_lo, exec_lo, s0
	v_mov_b32_e32 v17, 0
	v_mov_b32_e32 v18, 0
	s_mov_b32 s0, exec_lo
	s_waitcnt lgkmcnt(0)
	s_barrier
	buffer_gl0_inv
	v_cmpx_lt_u32_e32 31, v0
	s_cbranch_execz .LBB124_105
; %bb.104:
	v_lshl_add_u32 v13, v15, 3, -8
	ds_load_b64 v[17:18], v13
.LBB124_105:
	s_or_b32 exec_lo, exec_lo, s0
	v_dual_mov_b32 v16, 0 :: v_dual_add_nc_u32 v13, -1, v42
	s_delay_alu instid0(VALU_DEP_1) | instskip(SKIP_4) | instid1(VALU_DEP_3)
	v_cmp_gt_i32_e32 vcc_lo, 0, v13
	v_cndmask_b32_e32 v13, v13, v42, vcc_lo
	s_waitcnt lgkmcnt(0)
	v_add_co_u32 v14, vcc_lo, v17, v21
	v_add_co_ci_u32_e32 v15, vcc_lo, v18, v22, vcc_lo
	v_lshlrev_b32_e32 v13, 2, v13
	v_cmp_eq_u32_e32 vcc_lo, 0, v0
	ds_bpermute_b32 v19, v13, v14
	ds_bpermute_b32 v20, v13, v15
	ds_load_b64 v[13:14], v16 offset:24
	s_and_saveexec_b32 s0, vcc_lo
	s_cbranch_execz .LBB124_107
; %bb.106:
	s_add_u32 s2, s8, 0x200
	s_addc_u32 s3, s9, 0
	s_delay_alu instid0(SALU_CYCLE_1)
	v_dual_mov_b32 v15, 2 :: v_dual_mov_b32 v22, s3
	v_mov_b32_e32 v21, s2
	s_waitcnt lgkmcnt(0)
	;;#ASMSTART
	global_store_dwordx4 v[21:22], v[13:16] off	
s_waitcnt vmcnt(0)
	;;#ASMEND
.LBB124_107:
	s_or_b32 exec_lo, exec_lo, s0
	v_cmp_eq_u32_e64 s0, 0, v42
	s_waitcnt lgkmcnt(0)
	s_barrier
	buffer_gl0_inv
	v_cndmask_b32_e64 v15, v19, v17, s0
	v_cndmask_b32_e64 v16, v20, v18, s0
	s_delay_alu instid0(VALU_DEP_2) | instskip(NEXT) | instid1(VALU_DEP_2)
	v_cndmask_b32_e64 v29, v15, 0, vcc_lo
	v_cndmask_b32_e64 v30, v16, 0, vcc_lo
	v_mov_b32_e32 v15, 0
	v_mov_b32_e32 v16, 0
	s_delay_alu instid0(VALU_DEP_4) | instskip(NEXT) | instid1(VALU_DEP_4)
	v_add_co_u32 v27, vcc_lo, v29, v41
	v_add_co_ci_u32_e32 v28, vcc_lo, 0, v30, vcc_lo
	s_delay_alu instid0(VALU_DEP_2) | instskip(NEXT) | instid1(VALU_DEP_2)
	v_add_co_u32 v25, vcc_lo, v27, v40
	v_add_co_ci_u32_e32 v26, vcc_lo, 0, v28, vcc_lo
	s_delay_alu instid0(VALU_DEP_2) | instskip(NEXT) | instid1(VALU_DEP_2)
	;; [unrolled: 3-line block ×4, first 2 shown]
	v_add_co_u32 v17, vcc_lo, v19, v37
	v_add_co_ci_u32_e32 v18, vcc_lo, 0, v20, vcc_lo
	v_cmp_gt_u64_e32 vcc_lo, 0x81, v[13:14]
	s_mov_b32 s0, -1
	s_cbranch_vccz .LBB124_81
.LBB124_108:
	v_add_co_u32 v21, vcc_lo, v15, v13
	v_add_co_ci_u32_e32 v22, vcc_lo, v16, v14, vcc_lo
	s_delay_alu instid0(VALU_DEP_1) | instskip(SKIP_1) | instid1(SALU_CYCLE_1)
	v_cmp_lt_u64_e32 vcc_lo, v[29:30], v[21:22]
	s_or_b32 s1, s16, vcc_lo
	s_and_saveexec_b32 s0, s1
	s_cbranch_execz .LBB124_111
; %bb.109:
	v_and_b32_e32 v37, 1, v36
	s_delay_alu instid0(VALU_DEP_1)
	v_cmp_eq_u32_e32 vcc_lo, 1, v37
	s_and_b32 exec_lo, exec_lo, vcc_lo
	s_cbranch_execz .LBB124_111
; %bb.110:
	v_lshlrev_b64 v[37:38], 3, v[29:30]
	s_lshl_b64 s[2:3], s[6:7], 3
	s_delay_alu instid0(SALU_CYCLE_1) | instskip(SKIP_1) | instid1(VALU_DEP_1)
	s_add_u32 s1, s10, s2
	s_addc_u32 s2, s11, s3
	v_add_co_u32 v37, vcc_lo, s1, v37
	s_delay_alu instid0(VALU_DEP_2)
	v_add_co_ci_u32_e32 v38, vcc_lo, s2, v38, vcc_lo
	global_store_b64 v[37:38], v[9:10], off
.LBB124_111:
	s_or_b32 exec_lo, exec_lo, s0
	v_cmp_lt_u64_e32 vcc_lo, v[27:28], v[21:22]
	s_or_b32 s1, s16, vcc_lo
	s_delay_alu instid0(SALU_CYCLE_1)
	s_and_saveexec_b32 s0, s1
	s_cbranch_execz .LBB124_114
; %bb.112:
	v_and_b32_e32 v30, 1, v34
	s_delay_alu instid0(VALU_DEP_1)
	v_cmp_eq_u32_e32 vcc_lo, 1, v30
	s_and_b32 exec_lo, exec_lo, vcc_lo
	s_cbranch_execz .LBB124_114
; %bb.113:
	v_lshlrev_b64 v[37:38], 3, v[27:28]
	s_lshl_b64 s[2:3], s[6:7], 3
	s_delay_alu instid0(SALU_CYCLE_1) | instskip(SKIP_1) | instid1(VALU_DEP_1)
	s_add_u32 s1, s10, s2
	s_addc_u32 s2, s11, s3
	v_add_co_u32 v37, vcc_lo, s1, v37
	s_delay_alu instid0(VALU_DEP_2)
	v_add_co_ci_u32_e32 v38, vcc_lo, s2, v38, vcc_lo
	global_store_b64 v[37:38], v[11:12], off
.LBB124_114:
	s_or_b32 exec_lo, exec_lo, s0
	v_cmp_lt_u64_e32 vcc_lo, v[25:26], v[21:22]
	s_or_b32 s1, s16, vcc_lo
	s_delay_alu instid0(SALU_CYCLE_1)
	s_and_saveexec_b32 s0, s1
	s_cbranch_execz .LBB124_117
; %bb.115:
	v_and_b32_e32 v28, 1, v33
	s_delay_alu instid0(VALU_DEP_1)
	v_cmp_eq_u32_e32 vcc_lo, 1, v28
	s_and_b32 exec_lo, exec_lo, vcc_lo
	s_cbranch_execz .LBB124_117
; %bb.116:
	v_lshlrev_b64 v[37:38], 3, v[25:26]
	s_lshl_b64 s[2:3], s[6:7], 3
	s_delay_alu instid0(SALU_CYCLE_1) | instskip(SKIP_1) | instid1(VALU_DEP_1)
	s_add_u32 s1, s10, s2
	s_addc_u32 s2, s11, s3
	v_add_co_u32 v37, vcc_lo, s1, v37
	s_delay_alu instid0(VALU_DEP_2)
	v_add_co_ci_u32_e32 v38, vcc_lo, s2, v38, vcc_lo
	global_store_b64 v[37:38], v[5:6], off
.LBB124_117:
	s_or_b32 exec_lo, exec_lo, s0
	v_cmp_lt_u64_e32 vcc_lo, v[23:24], v[21:22]
	s_or_b32 s1, s16, vcc_lo
	s_delay_alu instid0(SALU_CYCLE_1)
	s_and_saveexec_b32 s0, s1
	s_cbranch_execz .LBB124_120
; %bb.118:
	v_and_b32_e32 v26, 1, v35
	s_delay_alu instid0(VALU_DEP_1)
	v_cmp_eq_u32_e32 vcc_lo, 1, v26
	s_and_b32 exec_lo, exec_lo, vcc_lo
	s_cbranch_execz .LBB124_120
; %bb.119:
	v_lshlrev_b64 v[37:38], 3, v[23:24]
	s_lshl_b64 s[2:3], s[6:7], 3
	s_delay_alu instid0(SALU_CYCLE_1) | instskip(SKIP_1) | instid1(VALU_DEP_1)
	s_add_u32 s1, s10, s2
	s_addc_u32 s2, s11, s3
	v_add_co_u32 v37, vcc_lo, s1, v37
	s_delay_alu instid0(VALU_DEP_2)
	v_add_co_ci_u32_e32 v38, vcc_lo, s2, v38, vcc_lo
	global_store_b64 v[37:38], v[7:8], off
.LBB124_120:
	s_or_b32 exec_lo, exec_lo, s0
	v_cmp_lt_u64_e32 vcc_lo, v[19:20], v[21:22]
	s_or_b32 s1, s16, vcc_lo
	s_delay_alu instid0(SALU_CYCLE_1)
	s_and_saveexec_b32 s0, s1
	s_cbranch_execz .LBB124_123
; %bb.121:
	v_and_b32_e32 v24, 1, v31
	s_delay_alu instid0(VALU_DEP_1)
	v_cmp_eq_u32_e32 vcc_lo, 1, v24
	s_and_b32 exec_lo, exec_lo, vcc_lo
	s_cbranch_execz .LBB124_123
; %bb.122:
	v_lshlrev_b64 v[37:38], 3, v[19:20]
	s_lshl_b64 s[2:3], s[6:7], 3
	s_delay_alu instid0(SALU_CYCLE_1) | instskip(SKIP_1) | instid1(VALU_DEP_1)
	s_add_u32 s1, s10, s2
	s_addc_u32 s2, s11, s3
	v_add_co_u32 v37, vcc_lo, s1, v37
	s_delay_alu instid0(VALU_DEP_2)
	v_add_co_ci_u32_e32 v38, vcc_lo, s2, v38, vcc_lo
	global_store_b64 v[37:38], v[1:2], off
.LBB124_123:
	s_or_b32 exec_lo, exec_lo, s0
	v_cmp_lt_u64_e32 vcc_lo, v[17:18], v[21:22]
	s_or_b32 s1, s16, vcc_lo
	s_delay_alu instid0(SALU_CYCLE_1)
	s_and_saveexec_b32 s0, s1
	s_cbranch_execz .LBB124_126
; %bb.124:
	v_and_b32_e32 v20, 1, v32
	s_delay_alu instid0(VALU_DEP_1)
	v_cmp_eq_u32_e32 vcc_lo, 1, v20
	s_and_b32 exec_lo, exec_lo, vcc_lo
	s_cbranch_execz .LBB124_126
; %bb.125:
	v_lshlrev_b64 v[20:21], 3, v[17:18]
	s_lshl_b64 s[2:3], s[6:7], 3
	s_delay_alu instid0(SALU_CYCLE_1) | instskip(SKIP_1) | instid1(VALU_DEP_1)
	s_add_u32 s1, s10, s2
	s_addc_u32 s2, s11, s3
	v_add_co_u32 v20, vcc_lo, s1, v20
	s_delay_alu instid0(VALU_DEP_2)
	v_add_co_ci_u32_e32 v21, vcc_lo, s2, v21, vcc_lo
	global_store_b64 v[20:21], v[3:4], off
.LBB124_126:
	s_or_b32 exec_lo, exec_lo, s0
	s_branch .LBB124_82
.LBB124_127:
	v_and_b32_e32 v18, 1, v36
	s_mov_b32 s0, exec_lo
	s_delay_alu instid0(VALU_DEP_1)
	v_cmpx_eq_u32_e32 1, v18
	s_cbranch_execz .LBB124_129
; %bb.128:
	v_sub_nc_u32_e32 v18, v29, v15
	s_delay_alu instid0(VALU_DEP_1)
	v_lshlrev_b32_e32 v18, 3, v18
	ds_store_b64 v18, v[9:10]
.LBB124_129:
	s_or_b32 exec_lo, exec_lo, s0
	v_and_b32_e32 v9, 1, v34
	s_mov_b32 s0, exec_lo
	s_delay_alu instid0(VALU_DEP_1)
	v_cmpx_eq_u32_e32 1, v9
	s_cbranch_execz .LBB124_131
; %bb.130:
	v_sub_nc_u32_e32 v9, v27, v15
	s_delay_alu instid0(VALU_DEP_1)
	v_lshlrev_b32_e32 v9, 3, v9
	ds_store_b64 v9, v[11:12]
.LBB124_131:
	s_or_b32 exec_lo, exec_lo, s0
	;; [unrolled: 12-line block ×6, first 2 shown]
	v_mov_b32_e32 v3, 0
	s_mov_b32 s1, exec_lo
	s_waitcnt lgkmcnt(0)
	s_waitcnt_vscnt null, 0x0
	s_barrier
	buffer_gl0_inv
	v_mov_b32_e32 v1, v3
	s_delay_alu instid0(VALU_DEP_1)
	v_cmpx_gt_u64_e64 v[13:14], v[0:1]
	s_cbranch_execz .LBB124_142
; %bb.140:
	v_lshlrev_b64 v[4:5], 3, v[15:16]
	s_lshl_b64 s[2:3], s[6:7], 3
	v_or_b32_e32 v2, 0x80, v0
	s_delay_alu instid0(VALU_DEP_2) | instskip(NEXT) | instid1(VALU_DEP_3)
	v_add_co_u32 v4, vcc_lo, s10, v4
	v_add_co_ci_u32_e32 v5, vcc_lo, s11, v5, vcc_lo
	s_delay_alu instid0(VALU_DEP_2) | instskip(NEXT) | instid1(VALU_DEP_2)
	v_add_co_u32 v6, vcc_lo, v4, s2
	v_add_co_ci_u32_e32 v7, vcc_lo, s3, v5, vcc_lo
	v_dual_mov_b32 v5, v1 :: v_dual_mov_b32 v4, v0
	s_mov_b32 s2, 0
	.p2align	6
.LBB124_141:                            ; =>This Inner Loop Header: Depth=1
	s_delay_alu instid0(VALU_DEP_1) | instskip(NEXT) | instid1(VALU_DEP_2)
	v_lshlrev_b32_e32 v1, 3, v4
	v_lshlrev_b64 v[10:11], 3, v[4:5]
	v_dual_mov_b32 v5, v3 :: v_dual_mov_b32 v4, v2
	v_cmp_le_u64_e32 vcc_lo, v[13:14], v[2:3]
	v_add_nc_u32_e32 v2, 0x80, v2
	ds_load_b64 v[8:9], v1
	v_add_co_u32 v10, s0, v6, v10
	s_delay_alu instid0(VALU_DEP_1)
	v_add_co_ci_u32_e64 v11, s0, v7, v11, s0
	s_or_b32 s2, vcc_lo, s2
	s_waitcnt lgkmcnt(0)
	global_store_b64 v[10:11], v[8:9], off
	s_and_not1_b32 exec_lo, exec_lo, s2
	s_cbranch_execnz .LBB124_141
.LBB124_142:
	s_or_b32 exec_lo, exec_lo, s1
	v_cmp_eq_u32_e32 vcc_lo, 0, v0
	s_and_b32 s0, vcc_lo, s14
	s_delay_alu instid0(SALU_CYCLE_1)
	s_and_saveexec_b32 s1, s0
	s_cbranch_execz .LBB124_83
.LBB124_143:
	v_add_co_u32 v0, vcc_lo, v15, v13
	v_add_co_ci_u32_e32 v1, vcc_lo, v16, v14, vcc_lo
	v_mov_b32_e32 v2, 0
	s_delay_alu instid0(VALU_DEP_3) | instskip(NEXT) | instid1(VALU_DEP_3)
	v_add_co_u32 v0, vcc_lo, v0, s6
	v_add_co_ci_u32_e32 v1, vcc_lo, s7, v1, vcc_lo
	global_store_b64 v2, v[0:1], s[4:5]
	s_nop 0
	s_sendmsg sendmsg(MSG_DEALLOC_VGPRS)
	s_endpgm
	.section	.rodata,"a",@progbits
	.p2align	6, 0x0
	.amdhsa_kernel _ZN7rocprim17ROCPRIM_400000_NS6detail17trampoline_kernelINS0_14default_configENS1_25partition_config_selectorILNS1_17partition_subalgoE5ElNS0_10empty_typeEbEEZZNS1_14partition_implILS5_5ELb0ES3_mN6hipcub16HIPCUB_304000_NS21CountingInputIteratorIllEEPS6_NSA_22TransformInputIteratorIbN2at6native12_GLOBAL__N_19NonZeroOpIaEEPKalEENS0_5tupleIJPlS6_EEENSN_IJSD_SD_EEES6_PiJS6_EEE10hipError_tPvRmT3_T4_T5_T6_T7_T9_mT8_P12ihipStream_tbDpT10_ENKUlT_T0_E_clISt17integral_constantIbLb0EES1B_EEDaS16_S17_EUlS16_E_NS1_11comp_targetILNS1_3genE9ELNS1_11target_archE1100ELNS1_3gpuE3ELNS1_3repE0EEENS1_30default_config_static_selectorELNS0_4arch9wavefront6targetE0EEEvT1_
		.amdhsa_group_segment_fixed_size 6160
		.amdhsa_private_segment_fixed_size 0
		.amdhsa_kernarg_size 120
		.amdhsa_user_sgpr_count 15
		.amdhsa_user_sgpr_dispatch_ptr 0
		.amdhsa_user_sgpr_queue_ptr 0
		.amdhsa_user_sgpr_kernarg_segment_ptr 1
		.amdhsa_user_sgpr_dispatch_id 0
		.amdhsa_user_sgpr_private_segment_size 0
		.amdhsa_wavefront_size32 1
		.amdhsa_uses_dynamic_stack 0
		.amdhsa_enable_private_segment 0
		.amdhsa_system_sgpr_workgroup_id_x 1
		.amdhsa_system_sgpr_workgroup_id_y 0
		.amdhsa_system_sgpr_workgroup_id_z 0
		.amdhsa_system_sgpr_workgroup_info 0
		.amdhsa_system_vgpr_workitem_id 0
		.amdhsa_next_free_vgpr 57
		.amdhsa_next_free_sgpr 20
		.amdhsa_reserve_vcc 1
		.amdhsa_float_round_mode_32 0
		.amdhsa_float_round_mode_16_64 0
		.amdhsa_float_denorm_mode_32 3
		.amdhsa_float_denorm_mode_16_64 3
		.amdhsa_dx10_clamp 1
		.amdhsa_ieee_mode 1
		.amdhsa_fp16_overflow 0
		.amdhsa_workgroup_processor_mode 1
		.amdhsa_memory_ordered 1
		.amdhsa_forward_progress 0
		.amdhsa_shared_vgpr_count 0
		.amdhsa_exception_fp_ieee_invalid_op 0
		.amdhsa_exception_fp_denorm_src 0
		.amdhsa_exception_fp_ieee_div_zero 0
		.amdhsa_exception_fp_ieee_overflow 0
		.amdhsa_exception_fp_ieee_underflow 0
		.amdhsa_exception_fp_ieee_inexact 0
		.amdhsa_exception_int_div_zero 0
	.end_amdhsa_kernel
	.section	.text._ZN7rocprim17ROCPRIM_400000_NS6detail17trampoline_kernelINS0_14default_configENS1_25partition_config_selectorILNS1_17partition_subalgoE5ElNS0_10empty_typeEbEEZZNS1_14partition_implILS5_5ELb0ES3_mN6hipcub16HIPCUB_304000_NS21CountingInputIteratorIllEEPS6_NSA_22TransformInputIteratorIbN2at6native12_GLOBAL__N_19NonZeroOpIaEEPKalEENS0_5tupleIJPlS6_EEENSN_IJSD_SD_EEES6_PiJS6_EEE10hipError_tPvRmT3_T4_T5_T6_T7_T9_mT8_P12ihipStream_tbDpT10_ENKUlT_T0_E_clISt17integral_constantIbLb0EES1B_EEDaS16_S17_EUlS16_E_NS1_11comp_targetILNS1_3genE9ELNS1_11target_archE1100ELNS1_3gpuE3ELNS1_3repE0EEENS1_30default_config_static_selectorELNS0_4arch9wavefront6targetE0EEEvT1_,"axG",@progbits,_ZN7rocprim17ROCPRIM_400000_NS6detail17trampoline_kernelINS0_14default_configENS1_25partition_config_selectorILNS1_17partition_subalgoE5ElNS0_10empty_typeEbEEZZNS1_14partition_implILS5_5ELb0ES3_mN6hipcub16HIPCUB_304000_NS21CountingInputIteratorIllEEPS6_NSA_22TransformInputIteratorIbN2at6native12_GLOBAL__N_19NonZeroOpIaEEPKalEENS0_5tupleIJPlS6_EEENSN_IJSD_SD_EEES6_PiJS6_EEE10hipError_tPvRmT3_T4_T5_T6_T7_T9_mT8_P12ihipStream_tbDpT10_ENKUlT_T0_E_clISt17integral_constantIbLb0EES1B_EEDaS16_S17_EUlS16_E_NS1_11comp_targetILNS1_3genE9ELNS1_11target_archE1100ELNS1_3gpuE3ELNS1_3repE0EEENS1_30default_config_static_selectorELNS0_4arch9wavefront6targetE0EEEvT1_,comdat
.Lfunc_end124:
	.size	_ZN7rocprim17ROCPRIM_400000_NS6detail17trampoline_kernelINS0_14default_configENS1_25partition_config_selectorILNS1_17partition_subalgoE5ElNS0_10empty_typeEbEEZZNS1_14partition_implILS5_5ELb0ES3_mN6hipcub16HIPCUB_304000_NS21CountingInputIteratorIllEEPS6_NSA_22TransformInputIteratorIbN2at6native12_GLOBAL__N_19NonZeroOpIaEEPKalEENS0_5tupleIJPlS6_EEENSN_IJSD_SD_EEES6_PiJS6_EEE10hipError_tPvRmT3_T4_T5_T6_T7_T9_mT8_P12ihipStream_tbDpT10_ENKUlT_T0_E_clISt17integral_constantIbLb0EES1B_EEDaS16_S17_EUlS16_E_NS1_11comp_targetILNS1_3genE9ELNS1_11target_archE1100ELNS1_3gpuE3ELNS1_3repE0EEENS1_30default_config_static_selectorELNS0_4arch9wavefront6targetE0EEEvT1_, .Lfunc_end124-_ZN7rocprim17ROCPRIM_400000_NS6detail17trampoline_kernelINS0_14default_configENS1_25partition_config_selectorILNS1_17partition_subalgoE5ElNS0_10empty_typeEbEEZZNS1_14partition_implILS5_5ELb0ES3_mN6hipcub16HIPCUB_304000_NS21CountingInputIteratorIllEEPS6_NSA_22TransformInputIteratorIbN2at6native12_GLOBAL__N_19NonZeroOpIaEEPKalEENS0_5tupleIJPlS6_EEENSN_IJSD_SD_EEES6_PiJS6_EEE10hipError_tPvRmT3_T4_T5_T6_T7_T9_mT8_P12ihipStream_tbDpT10_ENKUlT_T0_E_clISt17integral_constantIbLb0EES1B_EEDaS16_S17_EUlS16_E_NS1_11comp_targetILNS1_3genE9ELNS1_11target_archE1100ELNS1_3gpuE3ELNS1_3repE0EEENS1_30default_config_static_selectorELNS0_4arch9wavefront6targetE0EEEvT1_
                                        ; -- End function
	.section	.AMDGPU.csdata,"",@progbits
; Kernel info:
; codeLenInByte = 6332
; NumSgprs: 22
; NumVgprs: 57
; ScratchSize: 0
; MemoryBound: 0
; FloatMode: 240
; IeeeMode: 1
; LDSByteSize: 6160 bytes/workgroup (compile time only)
; SGPRBlocks: 2
; VGPRBlocks: 7
; NumSGPRsForWavesPerEU: 22
; NumVGPRsForWavesPerEU: 57
; Occupancy: 16
; WaveLimiterHint : 1
; COMPUTE_PGM_RSRC2:SCRATCH_EN: 0
; COMPUTE_PGM_RSRC2:USER_SGPR: 15
; COMPUTE_PGM_RSRC2:TRAP_HANDLER: 0
; COMPUTE_PGM_RSRC2:TGID_X_EN: 1
; COMPUTE_PGM_RSRC2:TGID_Y_EN: 0
; COMPUTE_PGM_RSRC2:TGID_Z_EN: 0
; COMPUTE_PGM_RSRC2:TIDIG_COMP_CNT: 0
	.section	.text._ZN7rocprim17ROCPRIM_400000_NS6detail17trampoline_kernelINS0_14default_configENS1_25partition_config_selectorILNS1_17partition_subalgoE5ElNS0_10empty_typeEbEEZZNS1_14partition_implILS5_5ELb0ES3_mN6hipcub16HIPCUB_304000_NS21CountingInputIteratorIllEEPS6_NSA_22TransformInputIteratorIbN2at6native12_GLOBAL__N_19NonZeroOpIaEEPKalEENS0_5tupleIJPlS6_EEENSN_IJSD_SD_EEES6_PiJS6_EEE10hipError_tPvRmT3_T4_T5_T6_T7_T9_mT8_P12ihipStream_tbDpT10_ENKUlT_T0_E_clISt17integral_constantIbLb0EES1B_EEDaS16_S17_EUlS16_E_NS1_11comp_targetILNS1_3genE8ELNS1_11target_archE1030ELNS1_3gpuE2ELNS1_3repE0EEENS1_30default_config_static_selectorELNS0_4arch9wavefront6targetE0EEEvT1_,"axG",@progbits,_ZN7rocprim17ROCPRIM_400000_NS6detail17trampoline_kernelINS0_14default_configENS1_25partition_config_selectorILNS1_17partition_subalgoE5ElNS0_10empty_typeEbEEZZNS1_14partition_implILS5_5ELb0ES3_mN6hipcub16HIPCUB_304000_NS21CountingInputIteratorIllEEPS6_NSA_22TransformInputIteratorIbN2at6native12_GLOBAL__N_19NonZeroOpIaEEPKalEENS0_5tupleIJPlS6_EEENSN_IJSD_SD_EEES6_PiJS6_EEE10hipError_tPvRmT3_T4_T5_T6_T7_T9_mT8_P12ihipStream_tbDpT10_ENKUlT_T0_E_clISt17integral_constantIbLb0EES1B_EEDaS16_S17_EUlS16_E_NS1_11comp_targetILNS1_3genE8ELNS1_11target_archE1030ELNS1_3gpuE2ELNS1_3repE0EEENS1_30default_config_static_selectorELNS0_4arch9wavefront6targetE0EEEvT1_,comdat
	.globl	_ZN7rocprim17ROCPRIM_400000_NS6detail17trampoline_kernelINS0_14default_configENS1_25partition_config_selectorILNS1_17partition_subalgoE5ElNS0_10empty_typeEbEEZZNS1_14partition_implILS5_5ELb0ES3_mN6hipcub16HIPCUB_304000_NS21CountingInputIteratorIllEEPS6_NSA_22TransformInputIteratorIbN2at6native12_GLOBAL__N_19NonZeroOpIaEEPKalEENS0_5tupleIJPlS6_EEENSN_IJSD_SD_EEES6_PiJS6_EEE10hipError_tPvRmT3_T4_T5_T6_T7_T9_mT8_P12ihipStream_tbDpT10_ENKUlT_T0_E_clISt17integral_constantIbLb0EES1B_EEDaS16_S17_EUlS16_E_NS1_11comp_targetILNS1_3genE8ELNS1_11target_archE1030ELNS1_3gpuE2ELNS1_3repE0EEENS1_30default_config_static_selectorELNS0_4arch9wavefront6targetE0EEEvT1_ ; -- Begin function _ZN7rocprim17ROCPRIM_400000_NS6detail17trampoline_kernelINS0_14default_configENS1_25partition_config_selectorILNS1_17partition_subalgoE5ElNS0_10empty_typeEbEEZZNS1_14partition_implILS5_5ELb0ES3_mN6hipcub16HIPCUB_304000_NS21CountingInputIteratorIllEEPS6_NSA_22TransformInputIteratorIbN2at6native12_GLOBAL__N_19NonZeroOpIaEEPKalEENS0_5tupleIJPlS6_EEENSN_IJSD_SD_EEES6_PiJS6_EEE10hipError_tPvRmT3_T4_T5_T6_T7_T9_mT8_P12ihipStream_tbDpT10_ENKUlT_T0_E_clISt17integral_constantIbLb0EES1B_EEDaS16_S17_EUlS16_E_NS1_11comp_targetILNS1_3genE8ELNS1_11target_archE1030ELNS1_3gpuE2ELNS1_3repE0EEENS1_30default_config_static_selectorELNS0_4arch9wavefront6targetE0EEEvT1_
	.p2align	8
	.type	_ZN7rocprim17ROCPRIM_400000_NS6detail17trampoline_kernelINS0_14default_configENS1_25partition_config_selectorILNS1_17partition_subalgoE5ElNS0_10empty_typeEbEEZZNS1_14partition_implILS5_5ELb0ES3_mN6hipcub16HIPCUB_304000_NS21CountingInputIteratorIllEEPS6_NSA_22TransformInputIteratorIbN2at6native12_GLOBAL__N_19NonZeroOpIaEEPKalEENS0_5tupleIJPlS6_EEENSN_IJSD_SD_EEES6_PiJS6_EEE10hipError_tPvRmT3_T4_T5_T6_T7_T9_mT8_P12ihipStream_tbDpT10_ENKUlT_T0_E_clISt17integral_constantIbLb0EES1B_EEDaS16_S17_EUlS16_E_NS1_11comp_targetILNS1_3genE8ELNS1_11target_archE1030ELNS1_3gpuE2ELNS1_3repE0EEENS1_30default_config_static_selectorELNS0_4arch9wavefront6targetE0EEEvT1_,@function
_ZN7rocprim17ROCPRIM_400000_NS6detail17trampoline_kernelINS0_14default_configENS1_25partition_config_selectorILNS1_17partition_subalgoE5ElNS0_10empty_typeEbEEZZNS1_14partition_implILS5_5ELb0ES3_mN6hipcub16HIPCUB_304000_NS21CountingInputIteratorIllEEPS6_NSA_22TransformInputIteratorIbN2at6native12_GLOBAL__N_19NonZeroOpIaEEPKalEENS0_5tupleIJPlS6_EEENSN_IJSD_SD_EEES6_PiJS6_EEE10hipError_tPvRmT3_T4_T5_T6_T7_T9_mT8_P12ihipStream_tbDpT10_ENKUlT_T0_E_clISt17integral_constantIbLb0EES1B_EEDaS16_S17_EUlS16_E_NS1_11comp_targetILNS1_3genE8ELNS1_11target_archE1030ELNS1_3gpuE2ELNS1_3repE0EEENS1_30default_config_static_selectorELNS0_4arch9wavefront6targetE0EEEvT1_: ; @_ZN7rocprim17ROCPRIM_400000_NS6detail17trampoline_kernelINS0_14default_configENS1_25partition_config_selectorILNS1_17partition_subalgoE5ElNS0_10empty_typeEbEEZZNS1_14partition_implILS5_5ELb0ES3_mN6hipcub16HIPCUB_304000_NS21CountingInputIteratorIllEEPS6_NSA_22TransformInputIteratorIbN2at6native12_GLOBAL__N_19NonZeroOpIaEEPKalEENS0_5tupleIJPlS6_EEENSN_IJSD_SD_EEES6_PiJS6_EEE10hipError_tPvRmT3_T4_T5_T6_T7_T9_mT8_P12ihipStream_tbDpT10_ENKUlT_T0_E_clISt17integral_constantIbLb0EES1B_EEDaS16_S17_EUlS16_E_NS1_11comp_targetILNS1_3genE8ELNS1_11target_archE1030ELNS1_3gpuE2ELNS1_3repE0EEENS1_30default_config_static_selectorELNS0_4arch9wavefront6targetE0EEEvT1_
; %bb.0:
	.section	.rodata,"a",@progbits
	.p2align	6, 0x0
	.amdhsa_kernel _ZN7rocprim17ROCPRIM_400000_NS6detail17trampoline_kernelINS0_14default_configENS1_25partition_config_selectorILNS1_17partition_subalgoE5ElNS0_10empty_typeEbEEZZNS1_14partition_implILS5_5ELb0ES3_mN6hipcub16HIPCUB_304000_NS21CountingInputIteratorIllEEPS6_NSA_22TransformInputIteratorIbN2at6native12_GLOBAL__N_19NonZeroOpIaEEPKalEENS0_5tupleIJPlS6_EEENSN_IJSD_SD_EEES6_PiJS6_EEE10hipError_tPvRmT3_T4_T5_T6_T7_T9_mT8_P12ihipStream_tbDpT10_ENKUlT_T0_E_clISt17integral_constantIbLb0EES1B_EEDaS16_S17_EUlS16_E_NS1_11comp_targetILNS1_3genE8ELNS1_11target_archE1030ELNS1_3gpuE2ELNS1_3repE0EEENS1_30default_config_static_selectorELNS0_4arch9wavefront6targetE0EEEvT1_
		.amdhsa_group_segment_fixed_size 0
		.amdhsa_private_segment_fixed_size 0
		.amdhsa_kernarg_size 120
		.amdhsa_user_sgpr_count 15
		.amdhsa_user_sgpr_dispatch_ptr 0
		.amdhsa_user_sgpr_queue_ptr 0
		.amdhsa_user_sgpr_kernarg_segment_ptr 1
		.amdhsa_user_sgpr_dispatch_id 0
		.amdhsa_user_sgpr_private_segment_size 0
		.amdhsa_wavefront_size32 1
		.amdhsa_uses_dynamic_stack 0
		.amdhsa_enable_private_segment 0
		.amdhsa_system_sgpr_workgroup_id_x 1
		.amdhsa_system_sgpr_workgroup_id_y 0
		.amdhsa_system_sgpr_workgroup_id_z 0
		.amdhsa_system_sgpr_workgroup_info 0
		.amdhsa_system_vgpr_workitem_id 0
		.amdhsa_next_free_vgpr 1
		.amdhsa_next_free_sgpr 1
		.amdhsa_reserve_vcc 0
		.amdhsa_float_round_mode_32 0
		.amdhsa_float_round_mode_16_64 0
		.amdhsa_float_denorm_mode_32 3
		.amdhsa_float_denorm_mode_16_64 3
		.amdhsa_dx10_clamp 1
		.amdhsa_ieee_mode 1
		.amdhsa_fp16_overflow 0
		.amdhsa_workgroup_processor_mode 1
		.amdhsa_memory_ordered 1
		.amdhsa_forward_progress 0
		.amdhsa_shared_vgpr_count 0
		.amdhsa_exception_fp_ieee_invalid_op 0
		.amdhsa_exception_fp_denorm_src 0
		.amdhsa_exception_fp_ieee_div_zero 0
		.amdhsa_exception_fp_ieee_overflow 0
		.amdhsa_exception_fp_ieee_underflow 0
		.amdhsa_exception_fp_ieee_inexact 0
		.amdhsa_exception_int_div_zero 0
	.end_amdhsa_kernel
	.section	.text._ZN7rocprim17ROCPRIM_400000_NS6detail17trampoline_kernelINS0_14default_configENS1_25partition_config_selectorILNS1_17partition_subalgoE5ElNS0_10empty_typeEbEEZZNS1_14partition_implILS5_5ELb0ES3_mN6hipcub16HIPCUB_304000_NS21CountingInputIteratorIllEEPS6_NSA_22TransformInputIteratorIbN2at6native12_GLOBAL__N_19NonZeroOpIaEEPKalEENS0_5tupleIJPlS6_EEENSN_IJSD_SD_EEES6_PiJS6_EEE10hipError_tPvRmT3_T4_T5_T6_T7_T9_mT8_P12ihipStream_tbDpT10_ENKUlT_T0_E_clISt17integral_constantIbLb0EES1B_EEDaS16_S17_EUlS16_E_NS1_11comp_targetILNS1_3genE8ELNS1_11target_archE1030ELNS1_3gpuE2ELNS1_3repE0EEENS1_30default_config_static_selectorELNS0_4arch9wavefront6targetE0EEEvT1_,"axG",@progbits,_ZN7rocprim17ROCPRIM_400000_NS6detail17trampoline_kernelINS0_14default_configENS1_25partition_config_selectorILNS1_17partition_subalgoE5ElNS0_10empty_typeEbEEZZNS1_14partition_implILS5_5ELb0ES3_mN6hipcub16HIPCUB_304000_NS21CountingInputIteratorIllEEPS6_NSA_22TransformInputIteratorIbN2at6native12_GLOBAL__N_19NonZeroOpIaEEPKalEENS0_5tupleIJPlS6_EEENSN_IJSD_SD_EEES6_PiJS6_EEE10hipError_tPvRmT3_T4_T5_T6_T7_T9_mT8_P12ihipStream_tbDpT10_ENKUlT_T0_E_clISt17integral_constantIbLb0EES1B_EEDaS16_S17_EUlS16_E_NS1_11comp_targetILNS1_3genE8ELNS1_11target_archE1030ELNS1_3gpuE2ELNS1_3repE0EEENS1_30default_config_static_selectorELNS0_4arch9wavefront6targetE0EEEvT1_,comdat
.Lfunc_end125:
	.size	_ZN7rocprim17ROCPRIM_400000_NS6detail17trampoline_kernelINS0_14default_configENS1_25partition_config_selectorILNS1_17partition_subalgoE5ElNS0_10empty_typeEbEEZZNS1_14partition_implILS5_5ELb0ES3_mN6hipcub16HIPCUB_304000_NS21CountingInputIteratorIllEEPS6_NSA_22TransformInputIteratorIbN2at6native12_GLOBAL__N_19NonZeroOpIaEEPKalEENS0_5tupleIJPlS6_EEENSN_IJSD_SD_EEES6_PiJS6_EEE10hipError_tPvRmT3_T4_T5_T6_T7_T9_mT8_P12ihipStream_tbDpT10_ENKUlT_T0_E_clISt17integral_constantIbLb0EES1B_EEDaS16_S17_EUlS16_E_NS1_11comp_targetILNS1_3genE8ELNS1_11target_archE1030ELNS1_3gpuE2ELNS1_3repE0EEENS1_30default_config_static_selectorELNS0_4arch9wavefront6targetE0EEEvT1_, .Lfunc_end125-_ZN7rocprim17ROCPRIM_400000_NS6detail17trampoline_kernelINS0_14default_configENS1_25partition_config_selectorILNS1_17partition_subalgoE5ElNS0_10empty_typeEbEEZZNS1_14partition_implILS5_5ELb0ES3_mN6hipcub16HIPCUB_304000_NS21CountingInputIteratorIllEEPS6_NSA_22TransformInputIteratorIbN2at6native12_GLOBAL__N_19NonZeroOpIaEEPKalEENS0_5tupleIJPlS6_EEENSN_IJSD_SD_EEES6_PiJS6_EEE10hipError_tPvRmT3_T4_T5_T6_T7_T9_mT8_P12ihipStream_tbDpT10_ENKUlT_T0_E_clISt17integral_constantIbLb0EES1B_EEDaS16_S17_EUlS16_E_NS1_11comp_targetILNS1_3genE8ELNS1_11target_archE1030ELNS1_3gpuE2ELNS1_3repE0EEENS1_30default_config_static_selectorELNS0_4arch9wavefront6targetE0EEEvT1_
                                        ; -- End function
	.section	.AMDGPU.csdata,"",@progbits
; Kernel info:
; codeLenInByte = 0
; NumSgprs: 0
; NumVgprs: 0
; ScratchSize: 0
; MemoryBound: 0
; FloatMode: 240
; IeeeMode: 1
; LDSByteSize: 0 bytes/workgroup (compile time only)
; SGPRBlocks: 0
; VGPRBlocks: 0
; NumSGPRsForWavesPerEU: 1
; NumVGPRsForWavesPerEU: 1
; Occupancy: 16
; WaveLimiterHint : 0
; COMPUTE_PGM_RSRC2:SCRATCH_EN: 0
; COMPUTE_PGM_RSRC2:USER_SGPR: 15
; COMPUTE_PGM_RSRC2:TRAP_HANDLER: 0
; COMPUTE_PGM_RSRC2:TGID_X_EN: 1
; COMPUTE_PGM_RSRC2:TGID_Y_EN: 0
; COMPUTE_PGM_RSRC2:TGID_Z_EN: 0
; COMPUTE_PGM_RSRC2:TIDIG_COMP_CNT: 0
	.section	.text._ZN7rocprim17ROCPRIM_400000_NS6detail17trampoline_kernelINS0_14default_configENS1_25partition_config_selectorILNS1_17partition_subalgoE5ElNS0_10empty_typeEbEEZZNS1_14partition_implILS5_5ELb0ES3_mN6hipcub16HIPCUB_304000_NS21CountingInputIteratorIllEEPS6_NSA_22TransformInputIteratorIbN2at6native12_GLOBAL__N_19NonZeroOpIaEEPKalEENS0_5tupleIJPlS6_EEENSN_IJSD_SD_EEES6_PiJS6_EEE10hipError_tPvRmT3_T4_T5_T6_T7_T9_mT8_P12ihipStream_tbDpT10_ENKUlT_T0_E_clISt17integral_constantIbLb1EES1B_EEDaS16_S17_EUlS16_E_NS1_11comp_targetILNS1_3genE0ELNS1_11target_archE4294967295ELNS1_3gpuE0ELNS1_3repE0EEENS1_30default_config_static_selectorELNS0_4arch9wavefront6targetE0EEEvT1_,"axG",@progbits,_ZN7rocprim17ROCPRIM_400000_NS6detail17trampoline_kernelINS0_14default_configENS1_25partition_config_selectorILNS1_17partition_subalgoE5ElNS0_10empty_typeEbEEZZNS1_14partition_implILS5_5ELb0ES3_mN6hipcub16HIPCUB_304000_NS21CountingInputIteratorIllEEPS6_NSA_22TransformInputIteratorIbN2at6native12_GLOBAL__N_19NonZeroOpIaEEPKalEENS0_5tupleIJPlS6_EEENSN_IJSD_SD_EEES6_PiJS6_EEE10hipError_tPvRmT3_T4_T5_T6_T7_T9_mT8_P12ihipStream_tbDpT10_ENKUlT_T0_E_clISt17integral_constantIbLb1EES1B_EEDaS16_S17_EUlS16_E_NS1_11comp_targetILNS1_3genE0ELNS1_11target_archE4294967295ELNS1_3gpuE0ELNS1_3repE0EEENS1_30default_config_static_selectorELNS0_4arch9wavefront6targetE0EEEvT1_,comdat
	.globl	_ZN7rocprim17ROCPRIM_400000_NS6detail17trampoline_kernelINS0_14default_configENS1_25partition_config_selectorILNS1_17partition_subalgoE5ElNS0_10empty_typeEbEEZZNS1_14partition_implILS5_5ELb0ES3_mN6hipcub16HIPCUB_304000_NS21CountingInputIteratorIllEEPS6_NSA_22TransformInputIteratorIbN2at6native12_GLOBAL__N_19NonZeroOpIaEEPKalEENS0_5tupleIJPlS6_EEENSN_IJSD_SD_EEES6_PiJS6_EEE10hipError_tPvRmT3_T4_T5_T6_T7_T9_mT8_P12ihipStream_tbDpT10_ENKUlT_T0_E_clISt17integral_constantIbLb1EES1B_EEDaS16_S17_EUlS16_E_NS1_11comp_targetILNS1_3genE0ELNS1_11target_archE4294967295ELNS1_3gpuE0ELNS1_3repE0EEENS1_30default_config_static_selectorELNS0_4arch9wavefront6targetE0EEEvT1_ ; -- Begin function _ZN7rocprim17ROCPRIM_400000_NS6detail17trampoline_kernelINS0_14default_configENS1_25partition_config_selectorILNS1_17partition_subalgoE5ElNS0_10empty_typeEbEEZZNS1_14partition_implILS5_5ELb0ES3_mN6hipcub16HIPCUB_304000_NS21CountingInputIteratorIllEEPS6_NSA_22TransformInputIteratorIbN2at6native12_GLOBAL__N_19NonZeroOpIaEEPKalEENS0_5tupleIJPlS6_EEENSN_IJSD_SD_EEES6_PiJS6_EEE10hipError_tPvRmT3_T4_T5_T6_T7_T9_mT8_P12ihipStream_tbDpT10_ENKUlT_T0_E_clISt17integral_constantIbLb1EES1B_EEDaS16_S17_EUlS16_E_NS1_11comp_targetILNS1_3genE0ELNS1_11target_archE4294967295ELNS1_3gpuE0ELNS1_3repE0EEENS1_30default_config_static_selectorELNS0_4arch9wavefront6targetE0EEEvT1_
	.p2align	8
	.type	_ZN7rocprim17ROCPRIM_400000_NS6detail17trampoline_kernelINS0_14default_configENS1_25partition_config_selectorILNS1_17partition_subalgoE5ElNS0_10empty_typeEbEEZZNS1_14partition_implILS5_5ELb0ES3_mN6hipcub16HIPCUB_304000_NS21CountingInputIteratorIllEEPS6_NSA_22TransformInputIteratorIbN2at6native12_GLOBAL__N_19NonZeroOpIaEEPKalEENS0_5tupleIJPlS6_EEENSN_IJSD_SD_EEES6_PiJS6_EEE10hipError_tPvRmT3_T4_T5_T6_T7_T9_mT8_P12ihipStream_tbDpT10_ENKUlT_T0_E_clISt17integral_constantIbLb1EES1B_EEDaS16_S17_EUlS16_E_NS1_11comp_targetILNS1_3genE0ELNS1_11target_archE4294967295ELNS1_3gpuE0ELNS1_3repE0EEENS1_30default_config_static_selectorELNS0_4arch9wavefront6targetE0EEEvT1_,@function
_ZN7rocprim17ROCPRIM_400000_NS6detail17trampoline_kernelINS0_14default_configENS1_25partition_config_selectorILNS1_17partition_subalgoE5ElNS0_10empty_typeEbEEZZNS1_14partition_implILS5_5ELb0ES3_mN6hipcub16HIPCUB_304000_NS21CountingInputIteratorIllEEPS6_NSA_22TransformInputIteratorIbN2at6native12_GLOBAL__N_19NonZeroOpIaEEPKalEENS0_5tupleIJPlS6_EEENSN_IJSD_SD_EEES6_PiJS6_EEE10hipError_tPvRmT3_T4_T5_T6_T7_T9_mT8_P12ihipStream_tbDpT10_ENKUlT_T0_E_clISt17integral_constantIbLb1EES1B_EEDaS16_S17_EUlS16_E_NS1_11comp_targetILNS1_3genE0ELNS1_11target_archE4294967295ELNS1_3gpuE0ELNS1_3repE0EEENS1_30default_config_static_selectorELNS0_4arch9wavefront6targetE0EEEvT1_: ; @_ZN7rocprim17ROCPRIM_400000_NS6detail17trampoline_kernelINS0_14default_configENS1_25partition_config_selectorILNS1_17partition_subalgoE5ElNS0_10empty_typeEbEEZZNS1_14partition_implILS5_5ELb0ES3_mN6hipcub16HIPCUB_304000_NS21CountingInputIteratorIllEEPS6_NSA_22TransformInputIteratorIbN2at6native12_GLOBAL__N_19NonZeroOpIaEEPKalEENS0_5tupleIJPlS6_EEENSN_IJSD_SD_EEES6_PiJS6_EEE10hipError_tPvRmT3_T4_T5_T6_T7_T9_mT8_P12ihipStream_tbDpT10_ENKUlT_T0_E_clISt17integral_constantIbLb1EES1B_EEDaS16_S17_EUlS16_E_NS1_11comp_targetILNS1_3genE0ELNS1_11target_archE4294967295ELNS1_3gpuE0ELNS1_3repE0EEENS1_30default_config_static_selectorELNS0_4arch9wavefront6targetE0EEEvT1_
; %bb.0:
	.section	.rodata,"a",@progbits
	.p2align	6, 0x0
	.amdhsa_kernel _ZN7rocprim17ROCPRIM_400000_NS6detail17trampoline_kernelINS0_14default_configENS1_25partition_config_selectorILNS1_17partition_subalgoE5ElNS0_10empty_typeEbEEZZNS1_14partition_implILS5_5ELb0ES3_mN6hipcub16HIPCUB_304000_NS21CountingInputIteratorIllEEPS6_NSA_22TransformInputIteratorIbN2at6native12_GLOBAL__N_19NonZeroOpIaEEPKalEENS0_5tupleIJPlS6_EEENSN_IJSD_SD_EEES6_PiJS6_EEE10hipError_tPvRmT3_T4_T5_T6_T7_T9_mT8_P12ihipStream_tbDpT10_ENKUlT_T0_E_clISt17integral_constantIbLb1EES1B_EEDaS16_S17_EUlS16_E_NS1_11comp_targetILNS1_3genE0ELNS1_11target_archE4294967295ELNS1_3gpuE0ELNS1_3repE0EEENS1_30default_config_static_selectorELNS0_4arch9wavefront6targetE0EEEvT1_
		.amdhsa_group_segment_fixed_size 0
		.amdhsa_private_segment_fixed_size 0
		.amdhsa_kernarg_size 136
		.amdhsa_user_sgpr_count 15
		.amdhsa_user_sgpr_dispatch_ptr 0
		.amdhsa_user_sgpr_queue_ptr 0
		.amdhsa_user_sgpr_kernarg_segment_ptr 1
		.amdhsa_user_sgpr_dispatch_id 0
		.amdhsa_user_sgpr_private_segment_size 0
		.amdhsa_wavefront_size32 1
		.amdhsa_uses_dynamic_stack 0
		.amdhsa_enable_private_segment 0
		.amdhsa_system_sgpr_workgroup_id_x 1
		.amdhsa_system_sgpr_workgroup_id_y 0
		.amdhsa_system_sgpr_workgroup_id_z 0
		.amdhsa_system_sgpr_workgroup_info 0
		.amdhsa_system_vgpr_workitem_id 0
		.amdhsa_next_free_vgpr 1
		.amdhsa_next_free_sgpr 1
		.amdhsa_reserve_vcc 0
		.amdhsa_float_round_mode_32 0
		.amdhsa_float_round_mode_16_64 0
		.amdhsa_float_denorm_mode_32 3
		.amdhsa_float_denorm_mode_16_64 3
		.amdhsa_dx10_clamp 1
		.amdhsa_ieee_mode 1
		.amdhsa_fp16_overflow 0
		.amdhsa_workgroup_processor_mode 1
		.amdhsa_memory_ordered 1
		.amdhsa_forward_progress 0
		.amdhsa_shared_vgpr_count 0
		.amdhsa_exception_fp_ieee_invalid_op 0
		.amdhsa_exception_fp_denorm_src 0
		.amdhsa_exception_fp_ieee_div_zero 0
		.amdhsa_exception_fp_ieee_overflow 0
		.amdhsa_exception_fp_ieee_underflow 0
		.amdhsa_exception_fp_ieee_inexact 0
		.amdhsa_exception_int_div_zero 0
	.end_amdhsa_kernel
	.section	.text._ZN7rocprim17ROCPRIM_400000_NS6detail17trampoline_kernelINS0_14default_configENS1_25partition_config_selectorILNS1_17partition_subalgoE5ElNS0_10empty_typeEbEEZZNS1_14partition_implILS5_5ELb0ES3_mN6hipcub16HIPCUB_304000_NS21CountingInputIteratorIllEEPS6_NSA_22TransformInputIteratorIbN2at6native12_GLOBAL__N_19NonZeroOpIaEEPKalEENS0_5tupleIJPlS6_EEENSN_IJSD_SD_EEES6_PiJS6_EEE10hipError_tPvRmT3_T4_T5_T6_T7_T9_mT8_P12ihipStream_tbDpT10_ENKUlT_T0_E_clISt17integral_constantIbLb1EES1B_EEDaS16_S17_EUlS16_E_NS1_11comp_targetILNS1_3genE0ELNS1_11target_archE4294967295ELNS1_3gpuE0ELNS1_3repE0EEENS1_30default_config_static_selectorELNS0_4arch9wavefront6targetE0EEEvT1_,"axG",@progbits,_ZN7rocprim17ROCPRIM_400000_NS6detail17trampoline_kernelINS0_14default_configENS1_25partition_config_selectorILNS1_17partition_subalgoE5ElNS0_10empty_typeEbEEZZNS1_14partition_implILS5_5ELb0ES3_mN6hipcub16HIPCUB_304000_NS21CountingInputIteratorIllEEPS6_NSA_22TransformInputIteratorIbN2at6native12_GLOBAL__N_19NonZeroOpIaEEPKalEENS0_5tupleIJPlS6_EEENSN_IJSD_SD_EEES6_PiJS6_EEE10hipError_tPvRmT3_T4_T5_T6_T7_T9_mT8_P12ihipStream_tbDpT10_ENKUlT_T0_E_clISt17integral_constantIbLb1EES1B_EEDaS16_S17_EUlS16_E_NS1_11comp_targetILNS1_3genE0ELNS1_11target_archE4294967295ELNS1_3gpuE0ELNS1_3repE0EEENS1_30default_config_static_selectorELNS0_4arch9wavefront6targetE0EEEvT1_,comdat
.Lfunc_end126:
	.size	_ZN7rocprim17ROCPRIM_400000_NS6detail17trampoline_kernelINS0_14default_configENS1_25partition_config_selectorILNS1_17partition_subalgoE5ElNS0_10empty_typeEbEEZZNS1_14partition_implILS5_5ELb0ES3_mN6hipcub16HIPCUB_304000_NS21CountingInputIteratorIllEEPS6_NSA_22TransformInputIteratorIbN2at6native12_GLOBAL__N_19NonZeroOpIaEEPKalEENS0_5tupleIJPlS6_EEENSN_IJSD_SD_EEES6_PiJS6_EEE10hipError_tPvRmT3_T4_T5_T6_T7_T9_mT8_P12ihipStream_tbDpT10_ENKUlT_T0_E_clISt17integral_constantIbLb1EES1B_EEDaS16_S17_EUlS16_E_NS1_11comp_targetILNS1_3genE0ELNS1_11target_archE4294967295ELNS1_3gpuE0ELNS1_3repE0EEENS1_30default_config_static_selectorELNS0_4arch9wavefront6targetE0EEEvT1_, .Lfunc_end126-_ZN7rocprim17ROCPRIM_400000_NS6detail17trampoline_kernelINS0_14default_configENS1_25partition_config_selectorILNS1_17partition_subalgoE5ElNS0_10empty_typeEbEEZZNS1_14partition_implILS5_5ELb0ES3_mN6hipcub16HIPCUB_304000_NS21CountingInputIteratorIllEEPS6_NSA_22TransformInputIteratorIbN2at6native12_GLOBAL__N_19NonZeroOpIaEEPKalEENS0_5tupleIJPlS6_EEENSN_IJSD_SD_EEES6_PiJS6_EEE10hipError_tPvRmT3_T4_T5_T6_T7_T9_mT8_P12ihipStream_tbDpT10_ENKUlT_T0_E_clISt17integral_constantIbLb1EES1B_EEDaS16_S17_EUlS16_E_NS1_11comp_targetILNS1_3genE0ELNS1_11target_archE4294967295ELNS1_3gpuE0ELNS1_3repE0EEENS1_30default_config_static_selectorELNS0_4arch9wavefront6targetE0EEEvT1_
                                        ; -- End function
	.section	.AMDGPU.csdata,"",@progbits
; Kernel info:
; codeLenInByte = 0
; NumSgprs: 0
; NumVgprs: 0
; ScratchSize: 0
; MemoryBound: 0
; FloatMode: 240
; IeeeMode: 1
; LDSByteSize: 0 bytes/workgroup (compile time only)
; SGPRBlocks: 0
; VGPRBlocks: 0
; NumSGPRsForWavesPerEU: 1
; NumVGPRsForWavesPerEU: 1
; Occupancy: 16
; WaveLimiterHint : 0
; COMPUTE_PGM_RSRC2:SCRATCH_EN: 0
; COMPUTE_PGM_RSRC2:USER_SGPR: 15
; COMPUTE_PGM_RSRC2:TRAP_HANDLER: 0
; COMPUTE_PGM_RSRC2:TGID_X_EN: 1
; COMPUTE_PGM_RSRC2:TGID_Y_EN: 0
; COMPUTE_PGM_RSRC2:TGID_Z_EN: 0
; COMPUTE_PGM_RSRC2:TIDIG_COMP_CNT: 0
	.section	.text._ZN7rocprim17ROCPRIM_400000_NS6detail17trampoline_kernelINS0_14default_configENS1_25partition_config_selectorILNS1_17partition_subalgoE5ElNS0_10empty_typeEbEEZZNS1_14partition_implILS5_5ELb0ES3_mN6hipcub16HIPCUB_304000_NS21CountingInputIteratorIllEEPS6_NSA_22TransformInputIteratorIbN2at6native12_GLOBAL__N_19NonZeroOpIaEEPKalEENS0_5tupleIJPlS6_EEENSN_IJSD_SD_EEES6_PiJS6_EEE10hipError_tPvRmT3_T4_T5_T6_T7_T9_mT8_P12ihipStream_tbDpT10_ENKUlT_T0_E_clISt17integral_constantIbLb1EES1B_EEDaS16_S17_EUlS16_E_NS1_11comp_targetILNS1_3genE5ELNS1_11target_archE942ELNS1_3gpuE9ELNS1_3repE0EEENS1_30default_config_static_selectorELNS0_4arch9wavefront6targetE0EEEvT1_,"axG",@progbits,_ZN7rocprim17ROCPRIM_400000_NS6detail17trampoline_kernelINS0_14default_configENS1_25partition_config_selectorILNS1_17partition_subalgoE5ElNS0_10empty_typeEbEEZZNS1_14partition_implILS5_5ELb0ES3_mN6hipcub16HIPCUB_304000_NS21CountingInputIteratorIllEEPS6_NSA_22TransformInputIteratorIbN2at6native12_GLOBAL__N_19NonZeroOpIaEEPKalEENS0_5tupleIJPlS6_EEENSN_IJSD_SD_EEES6_PiJS6_EEE10hipError_tPvRmT3_T4_T5_T6_T7_T9_mT8_P12ihipStream_tbDpT10_ENKUlT_T0_E_clISt17integral_constantIbLb1EES1B_EEDaS16_S17_EUlS16_E_NS1_11comp_targetILNS1_3genE5ELNS1_11target_archE942ELNS1_3gpuE9ELNS1_3repE0EEENS1_30default_config_static_selectorELNS0_4arch9wavefront6targetE0EEEvT1_,comdat
	.globl	_ZN7rocprim17ROCPRIM_400000_NS6detail17trampoline_kernelINS0_14default_configENS1_25partition_config_selectorILNS1_17partition_subalgoE5ElNS0_10empty_typeEbEEZZNS1_14partition_implILS5_5ELb0ES3_mN6hipcub16HIPCUB_304000_NS21CountingInputIteratorIllEEPS6_NSA_22TransformInputIteratorIbN2at6native12_GLOBAL__N_19NonZeroOpIaEEPKalEENS0_5tupleIJPlS6_EEENSN_IJSD_SD_EEES6_PiJS6_EEE10hipError_tPvRmT3_T4_T5_T6_T7_T9_mT8_P12ihipStream_tbDpT10_ENKUlT_T0_E_clISt17integral_constantIbLb1EES1B_EEDaS16_S17_EUlS16_E_NS1_11comp_targetILNS1_3genE5ELNS1_11target_archE942ELNS1_3gpuE9ELNS1_3repE0EEENS1_30default_config_static_selectorELNS0_4arch9wavefront6targetE0EEEvT1_ ; -- Begin function _ZN7rocprim17ROCPRIM_400000_NS6detail17trampoline_kernelINS0_14default_configENS1_25partition_config_selectorILNS1_17partition_subalgoE5ElNS0_10empty_typeEbEEZZNS1_14partition_implILS5_5ELb0ES3_mN6hipcub16HIPCUB_304000_NS21CountingInputIteratorIllEEPS6_NSA_22TransformInputIteratorIbN2at6native12_GLOBAL__N_19NonZeroOpIaEEPKalEENS0_5tupleIJPlS6_EEENSN_IJSD_SD_EEES6_PiJS6_EEE10hipError_tPvRmT3_T4_T5_T6_T7_T9_mT8_P12ihipStream_tbDpT10_ENKUlT_T0_E_clISt17integral_constantIbLb1EES1B_EEDaS16_S17_EUlS16_E_NS1_11comp_targetILNS1_3genE5ELNS1_11target_archE942ELNS1_3gpuE9ELNS1_3repE0EEENS1_30default_config_static_selectorELNS0_4arch9wavefront6targetE0EEEvT1_
	.p2align	8
	.type	_ZN7rocprim17ROCPRIM_400000_NS6detail17trampoline_kernelINS0_14default_configENS1_25partition_config_selectorILNS1_17partition_subalgoE5ElNS0_10empty_typeEbEEZZNS1_14partition_implILS5_5ELb0ES3_mN6hipcub16HIPCUB_304000_NS21CountingInputIteratorIllEEPS6_NSA_22TransformInputIteratorIbN2at6native12_GLOBAL__N_19NonZeroOpIaEEPKalEENS0_5tupleIJPlS6_EEENSN_IJSD_SD_EEES6_PiJS6_EEE10hipError_tPvRmT3_T4_T5_T6_T7_T9_mT8_P12ihipStream_tbDpT10_ENKUlT_T0_E_clISt17integral_constantIbLb1EES1B_EEDaS16_S17_EUlS16_E_NS1_11comp_targetILNS1_3genE5ELNS1_11target_archE942ELNS1_3gpuE9ELNS1_3repE0EEENS1_30default_config_static_selectorELNS0_4arch9wavefront6targetE0EEEvT1_,@function
_ZN7rocprim17ROCPRIM_400000_NS6detail17trampoline_kernelINS0_14default_configENS1_25partition_config_selectorILNS1_17partition_subalgoE5ElNS0_10empty_typeEbEEZZNS1_14partition_implILS5_5ELb0ES3_mN6hipcub16HIPCUB_304000_NS21CountingInputIteratorIllEEPS6_NSA_22TransformInputIteratorIbN2at6native12_GLOBAL__N_19NonZeroOpIaEEPKalEENS0_5tupleIJPlS6_EEENSN_IJSD_SD_EEES6_PiJS6_EEE10hipError_tPvRmT3_T4_T5_T6_T7_T9_mT8_P12ihipStream_tbDpT10_ENKUlT_T0_E_clISt17integral_constantIbLb1EES1B_EEDaS16_S17_EUlS16_E_NS1_11comp_targetILNS1_3genE5ELNS1_11target_archE942ELNS1_3gpuE9ELNS1_3repE0EEENS1_30default_config_static_selectorELNS0_4arch9wavefront6targetE0EEEvT1_: ; @_ZN7rocprim17ROCPRIM_400000_NS6detail17trampoline_kernelINS0_14default_configENS1_25partition_config_selectorILNS1_17partition_subalgoE5ElNS0_10empty_typeEbEEZZNS1_14partition_implILS5_5ELb0ES3_mN6hipcub16HIPCUB_304000_NS21CountingInputIteratorIllEEPS6_NSA_22TransformInputIteratorIbN2at6native12_GLOBAL__N_19NonZeroOpIaEEPKalEENS0_5tupleIJPlS6_EEENSN_IJSD_SD_EEES6_PiJS6_EEE10hipError_tPvRmT3_T4_T5_T6_T7_T9_mT8_P12ihipStream_tbDpT10_ENKUlT_T0_E_clISt17integral_constantIbLb1EES1B_EEDaS16_S17_EUlS16_E_NS1_11comp_targetILNS1_3genE5ELNS1_11target_archE942ELNS1_3gpuE9ELNS1_3repE0EEENS1_30default_config_static_selectorELNS0_4arch9wavefront6targetE0EEEvT1_
; %bb.0:
	.section	.rodata,"a",@progbits
	.p2align	6, 0x0
	.amdhsa_kernel _ZN7rocprim17ROCPRIM_400000_NS6detail17trampoline_kernelINS0_14default_configENS1_25partition_config_selectorILNS1_17partition_subalgoE5ElNS0_10empty_typeEbEEZZNS1_14partition_implILS5_5ELb0ES3_mN6hipcub16HIPCUB_304000_NS21CountingInputIteratorIllEEPS6_NSA_22TransformInputIteratorIbN2at6native12_GLOBAL__N_19NonZeroOpIaEEPKalEENS0_5tupleIJPlS6_EEENSN_IJSD_SD_EEES6_PiJS6_EEE10hipError_tPvRmT3_T4_T5_T6_T7_T9_mT8_P12ihipStream_tbDpT10_ENKUlT_T0_E_clISt17integral_constantIbLb1EES1B_EEDaS16_S17_EUlS16_E_NS1_11comp_targetILNS1_3genE5ELNS1_11target_archE942ELNS1_3gpuE9ELNS1_3repE0EEENS1_30default_config_static_selectorELNS0_4arch9wavefront6targetE0EEEvT1_
		.amdhsa_group_segment_fixed_size 0
		.amdhsa_private_segment_fixed_size 0
		.amdhsa_kernarg_size 136
		.amdhsa_user_sgpr_count 15
		.amdhsa_user_sgpr_dispatch_ptr 0
		.amdhsa_user_sgpr_queue_ptr 0
		.amdhsa_user_sgpr_kernarg_segment_ptr 1
		.amdhsa_user_sgpr_dispatch_id 0
		.amdhsa_user_sgpr_private_segment_size 0
		.amdhsa_wavefront_size32 1
		.amdhsa_uses_dynamic_stack 0
		.amdhsa_enable_private_segment 0
		.amdhsa_system_sgpr_workgroup_id_x 1
		.amdhsa_system_sgpr_workgroup_id_y 0
		.amdhsa_system_sgpr_workgroup_id_z 0
		.amdhsa_system_sgpr_workgroup_info 0
		.amdhsa_system_vgpr_workitem_id 0
		.amdhsa_next_free_vgpr 1
		.amdhsa_next_free_sgpr 1
		.amdhsa_reserve_vcc 0
		.amdhsa_float_round_mode_32 0
		.amdhsa_float_round_mode_16_64 0
		.amdhsa_float_denorm_mode_32 3
		.amdhsa_float_denorm_mode_16_64 3
		.amdhsa_dx10_clamp 1
		.amdhsa_ieee_mode 1
		.amdhsa_fp16_overflow 0
		.amdhsa_workgroup_processor_mode 1
		.amdhsa_memory_ordered 1
		.amdhsa_forward_progress 0
		.amdhsa_shared_vgpr_count 0
		.amdhsa_exception_fp_ieee_invalid_op 0
		.amdhsa_exception_fp_denorm_src 0
		.amdhsa_exception_fp_ieee_div_zero 0
		.amdhsa_exception_fp_ieee_overflow 0
		.amdhsa_exception_fp_ieee_underflow 0
		.amdhsa_exception_fp_ieee_inexact 0
		.amdhsa_exception_int_div_zero 0
	.end_amdhsa_kernel
	.section	.text._ZN7rocprim17ROCPRIM_400000_NS6detail17trampoline_kernelINS0_14default_configENS1_25partition_config_selectorILNS1_17partition_subalgoE5ElNS0_10empty_typeEbEEZZNS1_14partition_implILS5_5ELb0ES3_mN6hipcub16HIPCUB_304000_NS21CountingInputIteratorIllEEPS6_NSA_22TransformInputIteratorIbN2at6native12_GLOBAL__N_19NonZeroOpIaEEPKalEENS0_5tupleIJPlS6_EEENSN_IJSD_SD_EEES6_PiJS6_EEE10hipError_tPvRmT3_T4_T5_T6_T7_T9_mT8_P12ihipStream_tbDpT10_ENKUlT_T0_E_clISt17integral_constantIbLb1EES1B_EEDaS16_S17_EUlS16_E_NS1_11comp_targetILNS1_3genE5ELNS1_11target_archE942ELNS1_3gpuE9ELNS1_3repE0EEENS1_30default_config_static_selectorELNS0_4arch9wavefront6targetE0EEEvT1_,"axG",@progbits,_ZN7rocprim17ROCPRIM_400000_NS6detail17trampoline_kernelINS0_14default_configENS1_25partition_config_selectorILNS1_17partition_subalgoE5ElNS0_10empty_typeEbEEZZNS1_14partition_implILS5_5ELb0ES3_mN6hipcub16HIPCUB_304000_NS21CountingInputIteratorIllEEPS6_NSA_22TransformInputIteratorIbN2at6native12_GLOBAL__N_19NonZeroOpIaEEPKalEENS0_5tupleIJPlS6_EEENSN_IJSD_SD_EEES6_PiJS6_EEE10hipError_tPvRmT3_T4_T5_T6_T7_T9_mT8_P12ihipStream_tbDpT10_ENKUlT_T0_E_clISt17integral_constantIbLb1EES1B_EEDaS16_S17_EUlS16_E_NS1_11comp_targetILNS1_3genE5ELNS1_11target_archE942ELNS1_3gpuE9ELNS1_3repE0EEENS1_30default_config_static_selectorELNS0_4arch9wavefront6targetE0EEEvT1_,comdat
.Lfunc_end127:
	.size	_ZN7rocprim17ROCPRIM_400000_NS6detail17trampoline_kernelINS0_14default_configENS1_25partition_config_selectorILNS1_17partition_subalgoE5ElNS0_10empty_typeEbEEZZNS1_14partition_implILS5_5ELb0ES3_mN6hipcub16HIPCUB_304000_NS21CountingInputIteratorIllEEPS6_NSA_22TransformInputIteratorIbN2at6native12_GLOBAL__N_19NonZeroOpIaEEPKalEENS0_5tupleIJPlS6_EEENSN_IJSD_SD_EEES6_PiJS6_EEE10hipError_tPvRmT3_T4_T5_T6_T7_T9_mT8_P12ihipStream_tbDpT10_ENKUlT_T0_E_clISt17integral_constantIbLb1EES1B_EEDaS16_S17_EUlS16_E_NS1_11comp_targetILNS1_3genE5ELNS1_11target_archE942ELNS1_3gpuE9ELNS1_3repE0EEENS1_30default_config_static_selectorELNS0_4arch9wavefront6targetE0EEEvT1_, .Lfunc_end127-_ZN7rocprim17ROCPRIM_400000_NS6detail17trampoline_kernelINS0_14default_configENS1_25partition_config_selectorILNS1_17partition_subalgoE5ElNS0_10empty_typeEbEEZZNS1_14partition_implILS5_5ELb0ES3_mN6hipcub16HIPCUB_304000_NS21CountingInputIteratorIllEEPS6_NSA_22TransformInputIteratorIbN2at6native12_GLOBAL__N_19NonZeroOpIaEEPKalEENS0_5tupleIJPlS6_EEENSN_IJSD_SD_EEES6_PiJS6_EEE10hipError_tPvRmT3_T4_T5_T6_T7_T9_mT8_P12ihipStream_tbDpT10_ENKUlT_T0_E_clISt17integral_constantIbLb1EES1B_EEDaS16_S17_EUlS16_E_NS1_11comp_targetILNS1_3genE5ELNS1_11target_archE942ELNS1_3gpuE9ELNS1_3repE0EEENS1_30default_config_static_selectorELNS0_4arch9wavefront6targetE0EEEvT1_
                                        ; -- End function
	.section	.AMDGPU.csdata,"",@progbits
; Kernel info:
; codeLenInByte = 0
; NumSgprs: 0
; NumVgprs: 0
; ScratchSize: 0
; MemoryBound: 0
; FloatMode: 240
; IeeeMode: 1
; LDSByteSize: 0 bytes/workgroup (compile time only)
; SGPRBlocks: 0
; VGPRBlocks: 0
; NumSGPRsForWavesPerEU: 1
; NumVGPRsForWavesPerEU: 1
; Occupancy: 16
; WaveLimiterHint : 0
; COMPUTE_PGM_RSRC2:SCRATCH_EN: 0
; COMPUTE_PGM_RSRC2:USER_SGPR: 15
; COMPUTE_PGM_RSRC2:TRAP_HANDLER: 0
; COMPUTE_PGM_RSRC2:TGID_X_EN: 1
; COMPUTE_PGM_RSRC2:TGID_Y_EN: 0
; COMPUTE_PGM_RSRC2:TGID_Z_EN: 0
; COMPUTE_PGM_RSRC2:TIDIG_COMP_CNT: 0
	.section	.text._ZN7rocprim17ROCPRIM_400000_NS6detail17trampoline_kernelINS0_14default_configENS1_25partition_config_selectorILNS1_17partition_subalgoE5ElNS0_10empty_typeEbEEZZNS1_14partition_implILS5_5ELb0ES3_mN6hipcub16HIPCUB_304000_NS21CountingInputIteratorIllEEPS6_NSA_22TransformInputIteratorIbN2at6native12_GLOBAL__N_19NonZeroOpIaEEPKalEENS0_5tupleIJPlS6_EEENSN_IJSD_SD_EEES6_PiJS6_EEE10hipError_tPvRmT3_T4_T5_T6_T7_T9_mT8_P12ihipStream_tbDpT10_ENKUlT_T0_E_clISt17integral_constantIbLb1EES1B_EEDaS16_S17_EUlS16_E_NS1_11comp_targetILNS1_3genE4ELNS1_11target_archE910ELNS1_3gpuE8ELNS1_3repE0EEENS1_30default_config_static_selectorELNS0_4arch9wavefront6targetE0EEEvT1_,"axG",@progbits,_ZN7rocprim17ROCPRIM_400000_NS6detail17trampoline_kernelINS0_14default_configENS1_25partition_config_selectorILNS1_17partition_subalgoE5ElNS0_10empty_typeEbEEZZNS1_14partition_implILS5_5ELb0ES3_mN6hipcub16HIPCUB_304000_NS21CountingInputIteratorIllEEPS6_NSA_22TransformInputIteratorIbN2at6native12_GLOBAL__N_19NonZeroOpIaEEPKalEENS0_5tupleIJPlS6_EEENSN_IJSD_SD_EEES6_PiJS6_EEE10hipError_tPvRmT3_T4_T5_T6_T7_T9_mT8_P12ihipStream_tbDpT10_ENKUlT_T0_E_clISt17integral_constantIbLb1EES1B_EEDaS16_S17_EUlS16_E_NS1_11comp_targetILNS1_3genE4ELNS1_11target_archE910ELNS1_3gpuE8ELNS1_3repE0EEENS1_30default_config_static_selectorELNS0_4arch9wavefront6targetE0EEEvT1_,comdat
	.globl	_ZN7rocprim17ROCPRIM_400000_NS6detail17trampoline_kernelINS0_14default_configENS1_25partition_config_selectorILNS1_17partition_subalgoE5ElNS0_10empty_typeEbEEZZNS1_14partition_implILS5_5ELb0ES3_mN6hipcub16HIPCUB_304000_NS21CountingInputIteratorIllEEPS6_NSA_22TransformInputIteratorIbN2at6native12_GLOBAL__N_19NonZeroOpIaEEPKalEENS0_5tupleIJPlS6_EEENSN_IJSD_SD_EEES6_PiJS6_EEE10hipError_tPvRmT3_T4_T5_T6_T7_T9_mT8_P12ihipStream_tbDpT10_ENKUlT_T0_E_clISt17integral_constantIbLb1EES1B_EEDaS16_S17_EUlS16_E_NS1_11comp_targetILNS1_3genE4ELNS1_11target_archE910ELNS1_3gpuE8ELNS1_3repE0EEENS1_30default_config_static_selectorELNS0_4arch9wavefront6targetE0EEEvT1_ ; -- Begin function _ZN7rocprim17ROCPRIM_400000_NS6detail17trampoline_kernelINS0_14default_configENS1_25partition_config_selectorILNS1_17partition_subalgoE5ElNS0_10empty_typeEbEEZZNS1_14partition_implILS5_5ELb0ES3_mN6hipcub16HIPCUB_304000_NS21CountingInputIteratorIllEEPS6_NSA_22TransformInputIteratorIbN2at6native12_GLOBAL__N_19NonZeroOpIaEEPKalEENS0_5tupleIJPlS6_EEENSN_IJSD_SD_EEES6_PiJS6_EEE10hipError_tPvRmT3_T4_T5_T6_T7_T9_mT8_P12ihipStream_tbDpT10_ENKUlT_T0_E_clISt17integral_constantIbLb1EES1B_EEDaS16_S17_EUlS16_E_NS1_11comp_targetILNS1_3genE4ELNS1_11target_archE910ELNS1_3gpuE8ELNS1_3repE0EEENS1_30default_config_static_selectorELNS0_4arch9wavefront6targetE0EEEvT1_
	.p2align	8
	.type	_ZN7rocprim17ROCPRIM_400000_NS6detail17trampoline_kernelINS0_14default_configENS1_25partition_config_selectorILNS1_17partition_subalgoE5ElNS0_10empty_typeEbEEZZNS1_14partition_implILS5_5ELb0ES3_mN6hipcub16HIPCUB_304000_NS21CountingInputIteratorIllEEPS6_NSA_22TransformInputIteratorIbN2at6native12_GLOBAL__N_19NonZeroOpIaEEPKalEENS0_5tupleIJPlS6_EEENSN_IJSD_SD_EEES6_PiJS6_EEE10hipError_tPvRmT3_T4_T5_T6_T7_T9_mT8_P12ihipStream_tbDpT10_ENKUlT_T0_E_clISt17integral_constantIbLb1EES1B_EEDaS16_S17_EUlS16_E_NS1_11comp_targetILNS1_3genE4ELNS1_11target_archE910ELNS1_3gpuE8ELNS1_3repE0EEENS1_30default_config_static_selectorELNS0_4arch9wavefront6targetE0EEEvT1_,@function
_ZN7rocprim17ROCPRIM_400000_NS6detail17trampoline_kernelINS0_14default_configENS1_25partition_config_selectorILNS1_17partition_subalgoE5ElNS0_10empty_typeEbEEZZNS1_14partition_implILS5_5ELb0ES3_mN6hipcub16HIPCUB_304000_NS21CountingInputIteratorIllEEPS6_NSA_22TransformInputIteratorIbN2at6native12_GLOBAL__N_19NonZeroOpIaEEPKalEENS0_5tupleIJPlS6_EEENSN_IJSD_SD_EEES6_PiJS6_EEE10hipError_tPvRmT3_T4_T5_T6_T7_T9_mT8_P12ihipStream_tbDpT10_ENKUlT_T0_E_clISt17integral_constantIbLb1EES1B_EEDaS16_S17_EUlS16_E_NS1_11comp_targetILNS1_3genE4ELNS1_11target_archE910ELNS1_3gpuE8ELNS1_3repE0EEENS1_30default_config_static_selectorELNS0_4arch9wavefront6targetE0EEEvT1_: ; @_ZN7rocprim17ROCPRIM_400000_NS6detail17trampoline_kernelINS0_14default_configENS1_25partition_config_selectorILNS1_17partition_subalgoE5ElNS0_10empty_typeEbEEZZNS1_14partition_implILS5_5ELb0ES3_mN6hipcub16HIPCUB_304000_NS21CountingInputIteratorIllEEPS6_NSA_22TransformInputIteratorIbN2at6native12_GLOBAL__N_19NonZeroOpIaEEPKalEENS0_5tupleIJPlS6_EEENSN_IJSD_SD_EEES6_PiJS6_EEE10hipError_tPvRmT3_T4_T5_T6_T7_T9_mT8_P12ihipStream_tbDpT10_ENKUlT_T0_E_clISt17integral_constantIbLb1EES1B_EEDaS16_S17_EUlS16_E_NS1_11comp_targetILNS1_3genE4ELNS1_11target_archE910ELNS1_3gpuE8ELNS1_3repE0EEENS1_30default_config_static_selectorELNS0_4arch9wavefront6targetE0EEEvT1_
; %bb.0:
	.section	.rodata,"a",@progbits
	.p2align	6, 0x0
	.amdhsa_kernel _ZN7rocprim17ROCPRIM_400000_NS6detail17trampoline_kernelINS0_14default_configENS1_25partition_config_selectorILNS1_17partition_subalgoE5ElNS0_10empty_typeEbEEZZNS1_14partition_implILS5_5ELb0ES3_mN6hipcub16HIPCUB_304000_NS21CountingInputIteratorIllEEPS6_NSA_22TransformInputIteratorIbN2at6native12_GLOBAL__N_19NonZeroOpIaEEPKalEENS0_5tupleIJPlS6_EEENSN_IJSD_SD_EEES6_PiJS6_EEE10hipError_tPvRmT3_T4_T5_T6_T7_T9_mT8_P12ihipStream_tbDpT10_ENKUlT_T0_E_clISt17integral_constantIbLb1EES1B_EEDaS16_S17_EUlS16_E_NS1_11comp_targetILNS1_3genE4ELNS1_11target_archE910ELNS1_3gpuE8ELNS1_3repE0EEENS1_30default_config_static_selectorELNS0_4arch9wavefront6targetE0EEEvT1_
		.amdhsa_group_segment_fixed_size 0
		.amdhsa_private_segment_fixed_size 0
		.amdhsa_kernarg_size 136
		.amdhsa_user_sgpr_count 15
		.amdhsa_user_sgpr_dispatch_ptr 0
		.amdhsa_user_sgpr_queue_ptr 0
		.amdhsa_user_sgpr_kernarg_segment_ptr 1
		.amdhsa_user_sgpr_dispatch_id 0
		.amdhsa_user_sgpr_private_segment_size 0
		.amdhsa_wavefront_size32 1
		.amdhsa_uses_dynamic_stack 0
		.amdhsa_enable_private_segment 0
		.amdhsa_system_sgpr_workgroup_id_x 1
		.amdhsa_system_sgpr_workgroup_id_y 0
		.amdhsa_system_sgpr_workgroup_id_z 0
		.amdhsa_system_sgpr_workgroup_info 0
		.amdhsa_system_vgpr_workitem_id 0
		.amdhsa_next_free_vgpr 1
		.amdhsa_next_free_sgpr 1
		.amdhsa_reserve_vcc 0
		.amdhsa_float_round_mode_32 0
		.amdhsa_float_round_mode_16_64 0
		.amdhsa_float_denorm_mode_32 3
		.amdhsa_float_denorm_mode_16_64 3
		.amdhsa_dx10_clamp 1
		.amdhsa_ieee_mode 1
		.amdhsa_fp16_overflow 0
		.amdhsa_workgroup_processor_mode 1
		.amdhsa_memory_ordered 1
		.amdhsa_forward_progress 0
		.amdhsa_shared_vgpr_count 0
		.amdhsa_exception_fp_ieee_invalid_op 0
		.amdhsa_exception_fp_denorm_src 0
		.amdhsa_exception_fp_ieee_div_zero 0
		.amdhsa_exception_fp_ieee_overflow 0
		.amdhsa_exception_fp_ieee_underflow 0
		.amdhsa_exception_fp_ieee_inexact 0
		.amdhsa_exception_int_div_zero 0
	.end_amdhsa_kernel
	.section	.text._ZN7rocprim17ROCPRIM_400000_NS6detail17trampoline_kernelINS0_14default_configENS1_25partition_config_selectorILNS1_17partition_subalgoE5ElNS0_10empty_typeEbEEZZNS1_14partition_implILS5_5ELb0ES3_mN6hipcub16HIPCUB_304000_NS21CountingInputIteratorIllEEPS6_NSA_22TransformInputIteratorIbN2at6native12_GLOBAL__N_19NonZeroOpIaEEPKalEENS0_5tupleIJPlS6_EEENSN_IJSD_SD_EEES6_PiJS6_EEE10hipError_tPvRmT3_T4_T5_T6_T7_T9_mT8_P12ihipStream_tbDpT10_ENKUlT_T0_E_clISt17integral_constantIbLb1EES1B_EEDaS16_S17_EUlS16_E_NS1_11comp_targetILNS1_3genE4ELNS1_11target_archE910ELNS1_3gpuE8ELNS1_3repE0EEENS1_30default_config_static_selectorELNS0_4arch9wavefront6targetE0EEEvT1_,"axG",@progbits,_ZN7rocprim17ROCPRIM_400000_NS6detail17trampoline_kernelINS0_14default_configENS1_25partition_config_selectorILNS1_17partition_subalgoE5ElNS0_10empty_typeEbEEZZNS1_14partition_implILS5_5ELb0ES3_mN6hipcub16HIPCUB_304000_NS21CountingInputIteratorIllEEPS6_NSA_22TransformInputIteratorIbN2at6native12_GLOBAL__N_19NonZeroOpIaEEPKalEENS0_5tupleIJPlS6_EEENSN_IJSD_SD_EEES6_PiJS6_EEE10hipError_tPvRmT3_T4_T5_T6_T7_T9_mT8_P12ihipStream_tbDpT10_ENKUlT_T0_E_clISt17integral_constantIbLb1EES1B_EEDaS16_S17_EUlS16_E_NS1_11comp_targetILNS1_3genE4ELNS1_11target_archE910ELNS1_3gpuE8ELNS1_3repE0EEENS1_30default_config_static_selectorELNS0_4arch9wavefront6targetE0EEEvT1_,comdat
.Lfunc_end128:
	.size	_ZN7rocprim17ROCPRIM_400000_NS6detail17trampoline_kernelINS0_14default_configENS1_25partition_config_selectorILNS1_17partition_subalgoE5ElNS0_10empty_typeEbEEZZNS1_14partition_implILS5_5ELb0ES3_mN6hipcub16HIPCUB_304000_NS21CountingInputIteratorIllEEPS6_NSA_22TransformInputIteratorIbN2at6native12_GLOBAL__N_19NonZeroOpIaEEPKalEENS0_5tupleIJPlS6_EEENSN_IJSD_SD_EEES6_PiJS6_EEE10hipError_tPvRmT3_T4_T5_T6_T7_T9_mT8_P12ihipStream_tbDpT10_ENKUlT_T0_E_clISt17integral_constantIbLb1EES1B_EEDaS16_S17_EUlS16_E_NS1_11comp_targetILNS1_3genE4ELNS1_11target_archE910ELNS1_3gpuE8ELNS1_3repE0EEENS1_30default_config_static_selectorELNS0_4arch9wavefront6targetE0EEEvT1_, .Lfunc_end128-_ZN7rocprim17ROCPRIM_400000_NS6detail17trampoline_kernelINS0_14default_configENS1_25partition_config_selectorILNS1_17partition_subalgoE5ElNS0_10empty_typeEbEEZZNS1_14partition_implILS5_5ELb0ES3_mN6hipcub16HIPCUB_304000_NS21CountingInputIteratorIllEEPS6_NSA_22TransformInputIteratorIbN2at6native12_GLOBAL__N_19NonZeroOpIaEEPKalEENS0_5tupleIJPlS6_EEENSN_IJSD_SD_EEES6_PiJS6_EEE10hipError_tPvRmT3_T4_T5_T6_T7_T9_mT8_P12ihipStream_tbDpT10_ENKUlT_T0_E_clISt17integral_constantIbLb1EES1B_EEDaS16_S17_EUlS16_E_NS1_11comp_targetILNS1_3genE4ELNS1_11target_archE910ELNS1_3gpuE8ELNS1_3repE0EEENS1_30default_config_static_selectorELNS0_4arch9wavefront6targetE0EEEvT1_
                                        ; -- End function
	.section	.AMDGPU.csdata,"",@progbits
; Kernel info:
; codeLenInByte = 0
; NumSgprs: 0
; NumVgprs: 0
; ScratchSize: 0
; MemoryBound: 0
; FloatMode: 240
; IeeeMode: 1
; LDSByteSize: 0 bytes/workgroup (compile time only)
; SGPRBlocks: 0
; VGPRBlocks: 0
; NumSGPRsForWavesPerEU: 1
; NumVGPRsForWavesPerEU: 1
; Occupancy: 15
; WaveLimiterHint : 0
; COMPUTE_PGM_RSRC2:SCRATCH_EN: 0
; COMPUTE_PGM_RSRC2:USER_SGPR: 15
; COMPUTE_PGM_RSRC2:TRAP_HANDLER: 0
; COMPUTE_PGM_RSRC2:TGID_X_EN: 1
; COMPUTE_PGM_RSRC2:TGID_Y_EN: 0
; COMPUTE_PGM_RSRC2:TGID_Z_EN: 0
; COMPUTE_PGM_RSRC2:TIDIG_COMP_CNT: 0
	.section	.text._ZN7rocprim17ROCPRIM_400000_NS6detail17trampoline_kernelINS0_14default_configENS1_25partition_config_selectorILNS1_17partition_subalgoE5ElNS0_10empty_typeEbEEZZNS1_14partition_implILS5_5ELb0ES3_mN6hipcub16HIPCUB_304000_NS21CountingInputIteratorIllEEPS6_NSA_22TransformInputIteratorIbN2at6native12_GLOBAL__N_19NonZeroOpIaEEPKalEENS0_5tupleIJPlS6_EEENSN_IJSD_SD_EEES6_PiJS6_EEE10hipError_tPvRmT3_T4_T5_T6_T7_T9_mT8_P12ihipStream_tbDpT10_ENKUlT_T0_E_clISt17integral_constantIbLb1EES1B_EEDaS16_S17_EUlS16_E_NS1_11comp_targetILNS1_3genE3ELNS1_11target_archE908ELNS1_3gpuE7ELNS1_3repE0EEENS1_30default_config_static_selectorELNS0_4arch9wavefront6targetE0EEEvT1_,"axG",@progbits,_ZN7rocprim17ROCPRIM_400000_NS6detail17trampoline_kernelINS0_14default_configENS1_25partition_config_selectorILNS1_17partition_subalgoE5ElNS0_10empty_typeEbEEZZNS1_14partition_implILS5_5ELb0ES3_mN6hipcub16HIPCUB_304000_NS21CountingInputIteratorIllEEPS6_NSA_22TransformInputIteratorIbN2at6native12_GLOBAL__N_19NonZeroOpIaEEPKalEENS0_5tupleIJPlS6_EEENSN_IJSD_SD_EEES6_PiJS6_EEE10hipError_tPvRmT3_T4_T5_T6_T7_T9_mT8_P12ihipStream_tbDpT10_ENKUlT_T0_E_clISt17integral_constantIbLb1EES1B_EEDaS16_S17_EUlS16_E_NS1_11comp_targetILNS1_3genE3ELNS1_11target_archE908ELNS1_3gpuE7ELNS1_3repE0EEENS1_30default_config_static_selectorELNS0_4arch9wavefront6targetE0EEEvT1_,comdat
	.globl	_ZN7rocprim17ROCPRIM_400000_NS6detail17trampoline_kernelINS0_14default_configENS1_25partition_config_selectorILNS1_17partition_subalgoE5ElNS0_10empty_typeEbEEZZNS1_14partition_implILS5_5ELb0ES3_mN6hipcub16HIPCUB_304000_NS21CountingInputIteratorIllEEPS6_NSA_22TransformInputIteratorIbN2at6native12_GLOBAL__N_19NonZeroOpIaEEPKalEENS0_5tupleIJPlS6_EEENSN_IJSD_SD_EEES6_PiJS6_EEE10hipError_tPvRmT3_T4_T5_T6_T7_T9_mT8_P12ihipStream_tbDpT10_ENKUlT_T0_E_clISt17integral_constantIbLb1EES1B_EEDaS16_S17_EUlS16_E_NS1_11comp_targetILNS1_3genE3ELNS1_11target_archE908ELNS1_3gpuE7ELNS1_3repE0EEENS1_30default_config_static_selectorELNS0_4arch9wavefront6targetE0EEEvT1_ ; -- Begin function _ZN7rocprim17ROCPRIM_400000_NS6detail17trampoline_kernelINS0_14default_configENS1_25partition_config_selectorILNS1_17partition_subalgoE5ElNS0_10empty_typeEbEEZZNS1_14partition_implILS5_5ELb0ES3_mN6hipcub16HIPCUB_304000_NS21CountingInputIteratorIllEEPS6_NSA_22TransformInputIteratorIbN2at6native12_GLOBAL__N_19NonZeroOpIaEEPKalEENS0_5tupleIJPlS6_EEENSN_IJSD_SD_EEES6_PiJS6_EEE10hipError_tPvRmT3_T4_T5_T6_T7_T9_mT8_P12ihipStream_tbDpT10_ENKUlT_T0_E_clISt17integral_constantIbLb1EES1B_EEDaS16_S17_EUlS16_E_NS1_11comp_targetILNS1_3genE3ELNS1_11target_archE908ELNS1_3gpuE7ELNS1_3repE0EEENS1_30default_config_static_selectorELNS0_4arch9wavefront6targetE0EEEvT1_
	.p2align	8
	.type	_ZN7rocprim17ROCPRIM_400000_NS6detail17trampoline_kernelINS0_14default_configENS1_25partition_config_selectorILNS1_17partition_subalgoE5ElNS0_10empty_typeEbEEZZNS1_14partition_implILS5_5ELb0ES3_mN6hipcub16HIPCUB_304000_NS21CountingInputIteratorIllEEPS6_NSA_22TransformInputIteratorIbN2at6native12_GLOBAL__N_19NonZeroOpIaEEPKalEENS0_5tupleIJPlS6_EEENSN_IJSD_SD_EEES6_PiJS6_EEE10hipError_tPvRmT3_T4_T5_T6_T7_T9_mT8_P12ihipStream_tbDpT10_ENKUlT_T0_E_clISt17integral_constantIbLb1EES1B_EEDaS16_S17_EUlS16_E_NS1_11comp_targetILNS1_3genE3ELNS1_11target_archE908ELNS1_3gpuE7ELNS1_3repE0EEENS1_30default_config_static_selectorELNS0_4arch9wavefront6targetE0EEEvT1_,@function
_ZN7rocprim17ROCPRIM_400000_NS6detail17trampoline_kernelINS0_14default_configENS1_25partition_config_selectorILNS1_17partition_subalgoE5ElNS0_10empty_typeEbEEZZNS1_14partition_implILS5_5ELb0ES3_mN6hipcub16HIPCUB_304000_NS21CountingInputIteratorIllEEPS6_NSA_22TransformInputIteratorIbN2at6native12_GLOBAL__N_19NonZeroOpIaEEPKalEENS0_5tupleIJPlS6_EEENSN_IJSD_SD_EEES6_PiJS6_EEE10hipError_tPvRmT3_T4_T5_T6_T7_T9_mT8_P12ihipStream_tbDpT10_ENKUlT_T0_E_clISt17integral_constantIbLb1EES1B_EEDaS16_S17_EUlS16_E_NS1_11comp_targetILNS1_3genE3ELNS1_11target_archE908ELNS1_3gpuE7ELNS1_3repE0EEENS1_30default_config_static_selectorELNS0_4arch9wavefront6targetE0EEEvT1_: ; @_ZN7rocprim17ROCPRIM_400000_NS6detail17trampoline_kernelINS0_14default_configENS1_25partition_config_selectorILNS1_17partition_subalgoE5ElNS0_10empty_typeEbEEZZNS1_14partition_implILS5_5ELb0ES3_mN6hipcub16HIPCUB_304000_NS21CountingInputIteratorIllEEPS6_NSA_22TransformInputIteratorIbN2at6native12_GLOBAL__N_19NonZeroOpIaEEPKalEENS0_5tupleIJPlS6_EEENSN_IJSD_SD_EEES6_PiJS6_EEE10hipError_tPvRmT3_T4_T5_T6_T7_T9_mT8_P12ihipStream_tbDpT10_ENKUlT_T0_E_clISt17integral_constantIbLb1EES1B_EEDaS16_S17_EUlS16_E_NS1_11comp_targetILNS1_3genE3ELNS1_11target_archE908ELNS1_3gpuE7ELNS1_3repE0EEENS1_30default_config_static_selectorELNS0_4arch9wavefront6targetE0EEEvT1_
; %bb.0:
	.section	.rodata,"a",@progbits
	.p2align	6, 0x0
	.amdhsa_kernel _ZN7rocprim17ROCPRIM_400000_NS6detail17trampoline_kernelINS0_14default_configENS1_25partition_config_selectorILNS1_17partition_subalgoE5ElNS0_10empty_typeEbEEZZNS1_14partition_implILS5_5ELb0ES3_mN6hipcub16HIPCUB_304000_NS21CountingInputIteratorIllEEPS6_NSA_22TransformInputIteratorIbN2at6native12_GLOBAL__N_19NonZeroOpIaEEPKalEENS0_5tupleIJPlS6_EEENSN_IJSD_SD_EEES6_PiJS6_EEE10hipError_tPvRmT3_T4_T5_T6_T7_T9_mT8_P12ihipStream_tbDpT10_ENKUlT_T0_E_clISt17integral_constantIbLb1EES1B_EEDaS16_S17_EUlS16_E_NS1_11comp_targetILNS1_3genE3ELNS1_11target_archE908ELNS1_3gpuE7ELNS1_3repE0EEENS1_30default_config_static_selectorELNS0_4arch9wavefront6targetE0EEEvT1_
		.amdhsa_group_segment_fixed_size 0
		.amdhsa_private_segment_fixed_size 0
		.amdhsa_kernarg_size 136
		.amdhsa_user_sgpr_count 15
		.amdhsa_user_sgpr_dispatch_ptr 0
		.amdhsa_user_sgpr_queue_ptr 0
		.amdhsa_user_sgpr_kernarg_segment_ptr 1
		.amdhsa_user_sgpr_dispatch_id 0
		.amdhsa_user_sgpr_private_segment_size 0
		.amdhsa_wavefront_size32 1
		.amdhsa_uses_dynamic_stack 0
		.amdhsa_enable_private_segment 0
		.amdhsa_system_sgpr_workgroup_id_x 1
		.amdhsa_system_sgpr_workgroup_id_y 0
		.amdhsa_system_sgpr_workgroup_id_z 0
		.amdhsa_system_sgpr_workgroup_info 0
		.amdhsa_system_vgpr_workitem_id 0
		.amdhsa_next_free_vgpr 1
		.amdhsa_next_free_sgpr 1
		.amdhsa_reserve_vcc 0
		.amdhsa_float_round_mode_32 0
		.amdhsa_float_round_mode_16_64 0
		.amdhsa_float_denorm_mode_32 3
		.amdhsa_float_denorm_mode_16_64 3
		.amdhsa_dx10_clamp 1
		.amdhsa_ieee_mode 1
		.amdhsa_fp16_overflow 0
		.amdhsa_workgroup_processor_mode 1
		.amdhsa_memory_ordered 1
		.amdhsa_forward_progress 0
		.amdhsa_shared_vgpr_count 0
		.amdhsa_exception_fp_ieee_invalid_op 0
		.amdhsa_exception_fp_denorm_src 0
		.amdhsa_exception_fp_ieee_div_zero 0
		.amdhsa_exception_fp_ieee_overflow 0
		.amdhsa_exception_fp_ieee_underflow 0
		.amdhsa_exception_fp_ieee_inexact 0
		.amdhsa_exception_int_div_zero 0
	.end_amdhsa_kernel
	.section	.text._ZN7rocprim17ROCPRIM_400000_NS6detail17trampoline_kernelINS0_14default_configENS1_25partition_config_selectorILNS1_17partition_subalgoE5ElNS0_10empty_typeEbEEZZNS1_14partition_implILS5_5ELb0ES3_mN6hipcub16HIPCUB_304000_NS21CountingInputIteratorIllEEPS6_NSA_22TransformInputIteratorIbN2at6native12_GLOBAL__N_19NonZeroOpIaEEPKalEENS0_5tupleIJPlS6_EEENSN_IJSD_SD_EEES6_PiJS6_EEE10hipError_tPvRmT3_T4_T5_T6_T7_T9_mT8_P12ihipStream_tbDpT10_ENKUlT_T0_E_clISt17integral_constantIbLb1EES1B_EEDaS16_S17_EUlS16_E_NS1_11comp_targetILNS1_3genE3ELNS1_11target_archE908ELNS1_3gpuE7ELNS1_3repE0EEENS1_30default_config_static_selectorELNS0_4arch9wavefront6targetE0EEEvT1_,"axG",@progbits,_ZN7rocprim17ROCPRIM_400000_NS6detail17trampoline_kernelINS0_14default_configENS1_25partition_config_selectorILNS1_17partition_subalgoE5ElNS0_10empty_typeEbEEZZNS1_14partition_implILS5_5ELb0ES3_mN6hipcub16HIPCUB_304000_NS21CountingInputIteratorIllEEPS6_NSA_22TransformInputIteratorIbN2at6native12_GLOBAL__N_19NonZeroOpIaEEPKalEENS0_5tupleIJPlS6_EEENSN_IJSD_SD_EEES6_PiJS6_EEE10hipError_tPvRmT3_T4_T5_T6_T7_T9_mT8_P12ihipStream_tbDpT10_ENKUlT_T0_E_clISt17integral_constantIbLb1EES1B_EEDaS16_S17_EUlS16_E_NS1_11comp_targetILNS1_3genE3ELNS1_11target_archE908ELNS1_3gpuE7ELNS1_3repE0EEENS1_30default_config_static_selectorELNS0_4arch9wavefront6targetE0EEEvT1_,comdat
.Lfunc_end129:
	.size	_ZN7rocprim17ROCPRIM_400000_NS6detail17trampoline_kernelINS0_14default_configENS1_25partition_config_selectorILNS1_17partition_subalgoE5ElNS0_10empty_typeEbEEZZNS1_14partition_implILS5_5ELb0ES3_mN6hipcub16HIPCUB_304000_NS21CountingInputIteratorIllEEPS6_NSA_22TransformInputIteratorIbN2at6native12_GLOBAL__N_19NonZeroOpIaEEPKalEENS0_5tupleIJPlS6_EEENSN_IJSD_SD_EEES6_PiJS6_EEE10hipError_tPvRmT3_T4_T5_T6_T7_T9_mT8_P12ihipStream_tbDpT10_ENKUlT_T0_E_clISt17integral_constantIbLb1EES1B_EEDaS16_S17_EUlS16_E_NS1_11comp_targetILNS1_3genE3ELNS1_11target_archE908ELNS1_3gpuE7ELNS1_3repE0EEENS1_30default_config_static_selectorELNS0_4arch9wavefront6targetE0EEEvT1_, .Lfunc_end129-_ZN7rocprim17ROCPRIM_400000_NS6detail17trampoline_kernelINS0_14default_configENS1_25partition_config_selectorILNS1_17partition_subalgoE5ElNS0_10empty_typeEbEEZZNS1_14partition_implILS5_5ELb0ES3_mN6hipcub16HIPCUB_304000_NS21CountingInputIteratorIllEEPS6_NSA_22TransformInputIteratorIbN2at6native12_GLOBAL__N_19NonZeroOpIaEEPKalEENS0_5tupleIJPlS6_EEENSN_IJSD_SD_EEES6_PiJS6_EEE10hipError_tPvRmT3_T4_T5_T6_T7_T9_mT8_P12ihipStream_tbDpT10_ENKUlT_T0_E_clISt17integral_constantIbLb1EES1B_EEDaS16_S17_EUlS16_E_NS1_11comp_targetILNS1_3genE3ELNS1_11target_archE908ELNS1_3gpuE7ELNS1_3repE0EEENS1_30default_config_static_selectorELNS0_4arch9wavefront6targetE0EEEvT1_
                                        ; -- End function
	.section	.AMDGPU.csdata,"",@progbits
; Kernel info:
; codeLenInByte = 0
; NumSgprs: 0
; NumVgprs: 0
; ScratchSize: 0
; MemoryBound: 0
; FloatMode: 240
; IeeeMode: 1
; LDSByteSize: 0 bytes/workgroup (compile time only)
; SGPRBlocks: 0
; VGPRBlocks: 0
; NumSGPRsForWavesPerEU: 1
; NumVGPRsForWavesPerEU: 1
; Occupancy: 16
; WaveLimiterHint : 0
; COMPUTE_PGM_RSRC2:SCRATCH_EN: 0
; COMPUTE_PGM_RSRC2:USER_SGPR: 15
; COMPUTE_PGM_RSRC2:TRAP_HANDLER: 0
; COMPUTE_PGM_RSRC2:TGID_X_EN: 1
; COMPUTE_PGM_RSRC2:TGID_Y_EN: 0
; COMPUTE_PGM_RSRC2:TGID_Z_EN: 0
; COMPUTE_PGM_RSRC2:TIDIG_COMP_CNT: 0
	.section	.text._ZN7rocprim17ROCPRIM_400000_NS6detail17trampoline_kernelINS0_14default_configENS1_25partition_config_selectorILNS1_17partition_subalgoE5ElNS0_10empty_typeEbEEZZNS1_14partition_implILS5_5ELb0ES3_mN6hipcub16HIPCUB_304000_NS21CountingInputIteratorIllEEPS6_NSA_22TransformInputIteratorIbN2at6native12_GLOBAL__N_19NonZeroOpIaEEPKalEENS0_5tupleIJPlS6_EEENSN_IJSD_SD_EEES6_PiJS6_EEE10hipError_tPvRmT3_T4_T5_T6_T7_T9_mT8_P12ihipStream_tbDpT10_ENKUlT_T0_E_clISt17integral_constantIbLb1EES1B_EEDaS16_S17_EUlS16_E_NS1_11comp_targetILNS1_3genE2ELNS1_11target_archE906ELNS1_3gpuE6ELNS1_3repE0EEENS1_30default_config_static_selectorELNS0_4arch9wavefront6targetE0EEEvT1_,"axG",@progbits,_ZN7rocprim17ROCPRIM_400000_NS6detail17trampoline_kernelINS0_14default_configENS1_25partition_config_selectorILNS1_17partition_subalgoE5ElNS0_10empty_typeEbEEZZNS1_14partition_implILS5_5ELb0ES3_mN6hipcub16HIPCUB_304000_NS21CountingInputIteratorIllEEPS6_NSA_22TransformInputIteratorIbN2at6native12_GLOBAL__N_19NonZeroOpIaEEPKalEENS0_5tupleIJPlS6_EEENSN_IJSD_SD_EEES6_PiJS6_EEE10hipError_tPvRmT3_T4_T5_T6_T7_T9_mT8_P12ihipStream_tbDpT10_ENKUlT_T0_E_clISt17integral_constantIbLb1EES1B_EEDaS16_S17_EUlS16_E_NS1_11comp_targetILNS1_3genE2ELNS1_11target_archE906ELNS1_3gpuE6ELNS1_3repE0EEENS1_30default_config_static_selectorELNS0_4arch9wavefront6targetE0EEEvT1_,comdat
	.globl	_ZN7rocprim17ROCPRIM_400000_NS6detail17trampoline_kernelINS0_14default_configENS1_25partition_config_selectorILNS1_17partition_subalgoE5ElNS0_10empty_typeEbEEZZNS1_14partition_implILS5_5ELb0ES3_mN6hipcub16HIPCUB_304000_NS21CountingInputIteratorIllEEPS6_NSA_22TransformInputIteratorIbN2at6native12_GLOBAL__N_19NonZeroOpIaEEPKalEENS0_5tupleIJPlS6_EEENSN_IJSD_SD_EEES6_PiJS6_EEE10hipError_tPvRmT3_T4_T5_T6_T7_T9_mT8_P12ihipStream_tbDpT10_ENKUlT_T0_E_clISt17integral_constantIbLb1EES1B_EEDaS16_S17_EUlS16_E_NS1_11comp_targetILNS1_3genE2ELNS1_11target_archE906ELNS1_3gpuE6ELNS1_3repE0EEENS1_30default_config_static_selectorELNS0_4arch9wavefront6targetE0EEEvT1_ ; -- Begin function _ZN7rocprim17ROCPRIM_400000_NS6detail17trampoline_kernelINS0_14default_configENS1_25partition_config_selectorILNS1_17partition_subalgoE5ElNS0_10empty_typeEbEEZZNS1_14partition_implILS5_5ELb0ES3_mN6hipcub16HIPCUB_304000_NS21CountingInputIteratorIllEEPS6_NSA_22TransformInputIteratorIbN2at6native12_GLOBAL__N_19NonZeroOpIaEEPKalEENS0_5tupleIJPlS6_EEENSN_IJSD_SD_EEES6_PiJS6_EEE10hipError_tPvRmT3_T4_T5_T6_T7_T9_mT8_P12ihipStream_tbDpT10_ENKUlT_T0_E_clISt17integral_constantIbLb1EES1B_EEDaS16_S17_EUlS16_E_NS1_11comp_targetILNS1_3genE2ELNS1_11target_archE906ELNS1_3gpuE6ELNS1_3repE0EEENS1_30default_config_static_selectorELNS0_4arch9wavefront6targetE0EEEvT1_
	.p2align	8
	.type	_ZN7rocprim17ROCPRIM_400000_NS6detail17trampoline_kernelINS0_14default_configENS1_25partition_config_selectorILNS1_17partition_subalgoE5ElNS0_10empty_typeEbEEZZNS1_14partition_implILS5_5ELb0ES3_mN6hipcub16HIPCUB_304000_NS21CountingInputIteratorIllEEPS6_NSA_22TransformInputIteratorIbN2at6native12_GLOBAL__N_19NonZeroOpIaEEPKalEENS0_5tupleIJPlS6_EEENSN_IJSD_SD_EEES6_PiJS6_EEE10hipError_tPvRmT3_T4_T5_T6_T7_T9_mT8_P12ihipStream_tbDpT10_ENKUlT_T0_E_clISt17integral_constantIbLb1EES1B_EEDaS16_S17_EUlS16_E_NS1_11comp_targetILNS1_3genE2ELNS1_11target_archE906ELNS1_3gpuE6ELNS1_3repE0EEENS1_30default_config_static_selectorELNS0_4arch9wavefront6targetE0EEEvT1_,@function
_ZN7rocprim17ROCPRIM_400000_NS6detail17trampoline_kernelINS0_14default_configENS1_25partition_config_selectorILNS1_17partition_subalgoE5ElNS0_10empty_typeEbEEZZNS1_14partition_implILS5_5ELb0ES3_mN6hipcub16HIPCUB_304000_NS21CountingInputIteratorIllEEPS6_NSA_22TransformInputIteratorIbN2at6native12_GLOBAL__N_19NonZeroOpIaEEPKalEENS0_5tupleIJPlS6_EEENSN_IJSD_SD_EEES6_PiJS6_EEE10hipError_tPvRmT3_T4_T5_T6_T7_T9_mT8_P12ihipStream_tbDpT10_ENKUlT_T0_E_clISt17integral_constantIbLb1EES1B_EEDaS16_S17_EUlS16_E_NS1_11comp_targetILNS1_3genE2ELNS1_11target_archE906ELNS1_3gpuE6ELNS1_3repE0EEENS1_30default_config_static_selectorELNS0_4arch9wavefront6targetE0EEEvT1_: ; @_ZN7rocprim17ROCPRIM_400000_NS6detail17trampoline_kernelINS0_14default_configENS1_25partition_config_selectorILNS1_17partition_subalgoE5ElNS0_10empty_typeEbEEZZNS1_14partition_implILS5_5ELb0ES3_mN6hipcub16HIPCUB_304000_NS21CountingInputIteratorIllEEPS6_NSA_22TransformInputIteratorIbN2at6native12_GLOBAL__N_19NonZeroOpIaEEPKalEENS0_5tupleIJPlS6_EEENSN_IJSD_SD_EEES6_PiJS6_EEE10hipError_tPvRmT3_T4_T5_T6_T7_T9_mT8_P12ihipStream_tbDpT10_ENKUlT_T0_E_clISt17integral_constantIbLb1EES1B_EEDaS16_S17_EUlS16_E_NS1_11comp_targetILNS1_3genE2ELNS1_11target_archE906ELNS1_3gpuE6ELNS1_3repE0EEENS1_30default_config_static_selectorELNS0_4arch9wavefront6targetE0EEEvT1_
; %bb.0:
	.section	.rodata,"a",@progbits
	.p2align	6, 0x0
	.amdhsa_kernel _ZN7rocprim17ROCPRIM_400000_NS6detail17trampoline_kernelINS0_14default_configENS1_25partition_config_selectorILNS1_17partition_subalgoE5ElNS0_10empty_typeEbEEZZNS1_14partition_implILS5_5ELb0ES3_mN6hipcub16HIPCUB_304000_NS21CountingInputIteratorIllEEPS6_NSA_22TransformInputIteratorIbN2at6native12_GLOBAL__N_19NonZeroOpIaEEPKalEENS0_5tupleIJPlS6_EEENSN_IJSD_SD_EEES6_PiJS6_EEE10hipError_tPvRmT3_T4_T5_T6_T7_T9_mT8_P12ihipStream_tbDpT10_ENKUlT_T0_E_clISt17integral_constantIbLb1EES1B_EEDaS16_S17_EUlS16_E_NS1_11comp_targetILNS1_3genE2ELNS1_11target_archE906ELNS1_3gpuE6ELNS1_3repE0EEENS1_30default_config_static_selectorELNS0_4arch9wavefront6targetE0EEEvT1_
		.amdhsa_group_segment_fixed_size 0
		.amdhsa_private_segment_fixed_size 0
		.amdhsa_kernarg_size 136
		.amdhsa_user_sgpr_count 15
		.amdhsa_user_sgpr_dispatch_ptr 0
		.amdhsa_user_sgpr_queue_ptr 0
		.amdhsa_user_sgpr_kernarg_segment_ptr 1
		.amdhsa_user_sgpr_dispatch_id 0
		.amdhsa_user_sgpr_private_segment_size 0
		.amdhsa_wavefront_size32 1
		.amdhsa_uses_dynamic_stack 0
		.amdhsa_enable_private_segment 0
		.amdhsa_system_sgpr_workgroup_id_x 1
		.amdhsa_system_sgpr_workgroup_id_y 0
		.amdhsa_system_sgpr_workgroup_id_z 0
		.amdhsa_system_sgpr_workgroup_info 0
		.amdhsa_system_vgpr_workitem_id 0
		.amdhsa_next_free_vgpr 1
		.amdhsa_next_free_sgpr 1
		.amdhsa_reserve_vcc 0
		.amdhsa_float_round_mode_32 0
		.amdhsa_float_round_mode_16_64 0
		.amdhsa_float_denorm_mode_32 3
		.amdhsa_float_denorm_mode_16_64 3
		.amdhsa_dx10_clamp 1
		.amdhsa_ieee_mode 1
		.amdhsa_fp16_overflow 0
		.amdhsa_workgroup_processor_mode 1
		.amdhsa_memory_ordered 1
		.amdhsa_forward_progress 0
		.amdhsa_shared_vgpr_count 0
		.amdhsa_exception_fp_ieee_invalid_op 0
		.amdhsa_exception_fp_denorm_src 0
		.amdhsa_exception_fp_ieee_div_zero 0
		.amdhsa_exception_fp_ieee_overflow 0
		.amdhsa_exception_fp_ieee_underflow 0
		.amdhsa_exception_fp_ieee_inexact 0
		.amdhsa_exception_int_div_zero 0
	.end_amdhsa_kernel
	.section	.text._ZN7rocprim17ROCPRIM_400000_NS6detail17trampoline_kernelINS0_14default_configENS1_25partition_config_selectorILNS1_17partition_subalgoE5ElNS0_10empty_typeEbEEZZNS1_14partition_implILS5_5ELb0ES3_mN6hipcub16HIPCUB_304000_NS21CountingInputIteratorIllEEPS6_NSA_22TransformInputIteratorIbN2at6native12_GLOBAL__N_19NonZeroOpIaEEPKalEENS0_5tupleIJPlS6_EEENSN_IJSD_SD_EEES6_PiJS6_EEE10hipError_tPvRmT3_T4_T5_T6_T7_T9_mT8_P12ihipStream_tbDpT10_ENKUlT_T0_E_clISt17integral_constantIbLb1EES1B_EEDaS16_S17_EUlS16_E_NS1_11comp_targetILNS1_3genE2ELNS1_11target_archE906ELNS1_3gpuE6ELNS1_3repE0EEENS1_30default_config_static_selectorELNS0_4arch9wavefront6targetE0EEEvT1_,"axG",@progbits,_ZN7rocprim17ROCPRIM_400000_NS6detail17trampoline_kernelINS0_14default_configENS1_25partition_config_selectorILNS1_17partition_subalgoE5ElNS0_10empty_typeEbEEZZNS1_14partition_implILS5_5ELb0ES3_mN6hipcub16HIPCUB_304000_NS21CountingInputIteratorIllEEPS6_NSA_22TransformInputIteratorIbN2at6native12_GLOBAL__N_19NonZeroOpIaEEPKalEENS0_5tupleIJPlS6_EEENSN_IJSD_SD_EEES6_PiJS6_EEE10hipError_tPvRmT3_T4_T5_T6_T7_T9_mT8_P12ihipStream_tbDpT10_ENKUlT_T0_E_clISt17integral_constantIbLb1EES1B_EEDaS16_S17_EUlS16_E_NS1_11comp_targetILNS1_3genE2ELNS1_11target_archE906ELNS1_3gpuE6ELNS1_3repE0EEENS1_30default_config_static_selectorELNS0_4arch9wavefront6targetE0EEEvT1_,comdat
.Lfunc_end130:
	.size	_ZN7rocprim17ROCPRIM_400000_NS6detail17trampoline_kernelINS0_14default_configENS1_25partition_config_selectorILNS1_17partition_subalgoE5ElNS0_10empty_typeEbEEZZNS1_14partition_implILS5_5ELb0ES3_mN6hipcub16HIPCUB_304000_NS21CountingInputIteratorIllEEPS6_NSA_22TransformInputIteratorIbN2at6native12_GLOBAL__N_19NonZeroOpIaEEPKalEENS0_5tupleIJPlS6_EEENSN_IJSD_SD_EEES6_PiJS6_EEE10hipError_tPvRmT3_T4_T5_T6_T7_T9_mT8_P12ihipStream_tbDpT10_ENKUlT_T0_E_clISt17integral_constantIbLb1EES1B_EEDaS16_S17_EUlS16_E_NS1_11comp_targetILNS1_3genE2ELNS1_11target_archE906ELNS1_3gpuE6ELNS1_3repE0EEENS1_30default_config_static_selectorELNS0_4arch9wavefront6targetE0EEEvT1_, .Lfunc_end130-_ZN7rocprim17ROCPRIM_400000_NS6detail17trampoline_kernelINS0_14default_configENS1_25partition_config_selectorILNS1_17partition_subalgoE5ElNS0_10empty_typeEbEEZZNS1_14partition_implILS5_5ELb0ES3_mN6hipcub16HIPCUB_304000_NS21CountingInputIteratorIllEEPS6_NSA_22TransformInputIteratorIbN2at6native12_GLOBAL__N_19NonZeroOpIaEEPKalEENS0_5tupleIJPlS6_EEENSN_IJSD_SD_EEES6_PiJS6_EEE10hipError_tPvRmT3_T4_T5_T6_T7_T9_mT8_P12ihipStream_tbDpT10_ENKUlT_T0_E_clISt17integral_constantIbLb1EES1B_EEDaS16_S17_EUlS16_E_NS1_11comp_targetILNS1_3genE2ELNS1_11target_archE906ELNS1_3gpuE6ELNS1_3repE0EEENS1_30default_config_static_selectorELNS0_4arch9wavefront6targetE0EEEvT1_
                                        ; -- End function
	.section	.AMDGPU.csdata,"",@progbits
; Kernel info:
; codeLenInByte = 0
; NumSgprs: 0
; NumVgprs: 0
; ScratchSize: 0
; MemoryBound: 0
; FloatMode: 240
; IeeeMode: 1
; LDSByteSize: 0 bytes/workgroup (compile time only)
; SGPRBlocks: 0
; VGPRBlocks: 0
; NumSGPRsForWavesPerEU: 1
; NumVGPRsForWavesPerEU: 1
; Occupancy: 16
; WaveLimiterHint : 0
; COMPUTE_PGM_RSRC2:SCRATCH_EN: 0
; COMPUTE_PGM_RSRC2:USER_SGPR: 15
; COMPUTE_PGM_RSRC2:TRAP_HANDLER: 0
; COMPUTE_PGM_RSRC2:TGID_X_EN: 1
; COMPUTE_PGM_RSRC2:TGID_Y_EN: 0
; COMPUTE_PGM_RSRC2:TGID_Z_EN: 0
; COMPUTE_PGM_RSRC2:TIDIG_COMP_CNT: 0
	.section	.text._ZN7rocprim17ROCPRIM_400000_NS6detail17trampoline_kernelINS0_14default_configENS1_25partition_config_selectorILNS1_17partition_subalgoE5ElNS0_10empty_typeEbEEZZNS1_14partition_implILS5_5ELb0ES3_mN6hipcub16HIPCUB_304000_NS21CountingInputIteratorIllEEPS6_NSA_22TransformInputIteratorIbN2at6native12_GLOBAL__N_19NonZeroOpIaEEPKalEENS0_5tupleIJPlS6_EEENSN_IJSD_SD_EEES6_PiJS6_EEE10hipError_tPvRmT3_T4_T5_T6_T7_T9_mT8_P12ihipStream_tbDpT10_ENKUlT_T0_E_clISt17integral_constantIbLb1EES1B_EEDaS16_S17_EUlS16_E_NS1_11comp_targetILNS1_3genE10ELNS1_11target_archE1200ELNS1_3gpuE4ELNS1_3repE0EEENS1_30default_config_static_selectorELNS0_4arch9wavefront6targetE0EEEvT1_,"axG",@progbits,_ZN7rocprim17ROCPRIM_400000_NS6detail17trampoline_kernelINS0_14default_configENS1_25partition_config_selectorILNS1_17partition_subalgoE5ElNS0_10empty_typeEbEEZZNS1_14partition_implILS5_5ELb0ES3_mN6hipcub16HIPCUB_304000_NS21CountingInputIteratorIllEEPS6_NSA_22TransformInputIteratorIbN2at6native12_GLOBAL__N_19NonZeroOpIaEEPKalEENS0_5tupleIJPlS6_EEENSN_IJSD_SD_EEES6_PiJS6_EEE10hipError_tPvRmT3_T4_T5_T6_T7_T9_mT8_P12ihipStream_tbDpT10_ENKUlT_T0_E_clISt17integral_constantIbLb1EES1B_EEDaS16_S17_EUlS16_E_NS1_11comp_targetILNS1_3genE10ELNS1_11target_archE1200ELNS1_3gpuE4ELNS1_3repE0EEENS1_30default_config_static_selectorELNS0_4arch9wavefront6targetE0EEEvT1_,comdat
	.globl	_ZN7rocprim17ROCPRIM_400000_NS6detail17trampoline_kernelINS0_14default_configENS1_25partition_config_selectorILNS1_17partition_subalgoE5ElNS0_10empty_typeEbEEZZNS1_14partition_implILS5_5ELb0ES3_mN6hipcub16HIPCUB_304000_NS21CountingInputIteratorIllEEPS6_NSA_22TransformInputIteratorIbN2at6native12_GLOBAL__N_19NonZeroOpIaEEPKalEENS0_5tupleIJPlS6_EEENSN_IJSD_SD_EEES6_PiJS6_EEE10hipError_tPvRmT3_T4_T5_T6_T7_T9_mT8_P12ihipStream_tbDpT10_ENKUlT_T0_E_clISt17integral_constantIbLb1EES1B_EEDaS16_S17_EUlS16_E_NS1_11comp_targetILNS1_3genE10ELNS1_11target_archE1200ELNS1_3gpuE4ELNS1_3repE0EEENS1_30default_config_static_selectorELNS0_4arch9wavefront6targetE0EEEvT1_ ; -- Begin function _ZN7rocprim17ROCPRIM_400000_NS6detail17trampoline_kernelINS0_14default_configENS1_25partition_config_selectorILNS1_17partition_subalgoE5ElNS0_10empty_typeEbEEZZNS1_14partition_implILS5_5ELb0ES3_mN6hipcub16HIPCUB_304000_NS21CountingInputIteratorIllEEPS6_NSA_22TransformInputIteratorIbN2at6native12_GLOBAL__N_19NonZeroOpIaEEPKalEENS0_5tupleIJPlS6_EEENSN_IJSD_SD_EEES6_PiJS6_EEE10hipError_tPvRmT3_T4_T5_T6_T7_T9_mT8_P12ihipStream_tbDpT10_ENKUlT_T0_E_clISt17integral_constantIbLb1EES1B_EEDaS16_S17_EUlS16_E_NS1_11comp_targetILNS1_3genE10ELNS1_11target_archE1200ELNS1_3gpuE4ELNS1_3repE0EEENS1_30default_config_static_selectorELNS0_4arch9wavefront6targetE0EEEvT1_
	.p2align	8
	.type	_ZN7rocprim17ROCPRIM_400000_NS6detail17trampoline_kernelINS0_14default_configENS1_25partition_config_selectorILNS1_17partition_subalgoE5ElNS0_10empty_typeEbEEZZNS1_14partition_implILS5_5ELb0ES3_mN6hipcub16HIPCUB_304000_NS21CountingInputIteratorIllEEPS6_NSA_22TransformInputIteratorIbN2at6native12_GLOBAL__N_19NonZeroOpIaEEPKalEENS0_5tupleIJPlS6_EEENSN_IJSD_SD_EEES6_PiJS6_EEE10hipError_tPvRmT3_T4_T5_T6_T7_T9_mT8_P12ihipStream_tbDpT10_ENKUlT_T0_E_clISt17integral_constantIbLb1EES1B_EEDaS16_S17_EUlS16_E_NS1_11comp_targetILNS1_3genE10ELNS1_11target_archE1200ELNS1_3gpuE4ELNS1_3repE0EEENS1_30default_config_static_selectorELNS0_4arch9wavefront6targetE0EEEvT1_,@function
_ZN7rocprim17ROCPRIM_400000_NS6detail17trampoline_kernelINS0_14default_configENS1_25partition_config_selectorILNS1_17partition_subalgoE5ElNS0_10empty_typeEbEEZZNS1_14partition_implILS5_5ELb0ES3_mN6hipcub16HIPCUB_304000_NS21CountingInputIteratorIllEEPS6_NSA_22TransformInputIteratorIbN2at6native12_GLOBAL__N_19NonZeroOpIaEEPKalEENS0_5tupleIJPlS6_EEENSN_IJSD_SD_EEES6_PiJS6_EEE10hipError_tPvRmT3_T4_T5_T6_T7_T9_mT8_P12ihipStream_tbDpT10_ENKUlT_T0_E_clISt17integral_constantIbLb1EES1B_EEDaS16_S17_EUlS16_E_NS1_11comp_targetILNS1_3genE10ELNS1_11target_archE1200ELNS1_3gpuE4ELNS1_3repE0EEENS1_30default_config_static_selectorELNS0_4arch9wavefront6targetE0EEEvT1_: ; @_ZN7rocprim17ROCPRIM_400000_NS6detail17trampoline_kernelINS0_14default_configENS1_25partition_config_selectorILNS1_17partition_subalgoE5ElNS0_10empty_typeEbEEZZNS1_14partition_implILS5_5ELb0ES3_mN6hipcub16HIPCUB_304000_NS21CountingInputIteratorIllEEPS6_NSA_22TransformInputIteratorIbN2at6native12_GLOBAL__N_19NonZeroOpIaEEPKalEENS0_5tupleIJPlS6_EEENSN_IJSD_SD_EEES6_PiJS6_EEE10hipError_tPvRmT3_T4_T5_T6_T7_T9_mT8_P12ihipStream_tbDpT10_ENKUlT_T0_E_clISt17integral_constantIbLb1EES1B_EEDaS16_S17_EUlS16_E_NS1_11comp_targetILNS1_3genE10ELNS1_11target_archE1200ELNS1_3gpuE4ELNS1_3repE0EEENS1_30default_config_static_selectorELNS0_4arch9wavefront6targetE0EEEvT1_
; %bb.0:
	.section	.rodata,"a",@progbits
	.p2align	6, 0x0
	.amdhsa_kernel _ZN7rocprim17ROCPRIM_400000_NS6detail17trampoline_kernelINS0_14default_configENS1_25partition_config_selectorILNS1_17partition_subalgoE5ElNS0_10empty_typeEbEEZZNS1_14partition_implILS5_5ELb0ES3_mN6hipcub16HIPCUB_304000_NS21CountingInputIteratorIllEEPS6_NSA_22TransformInputIteratorIbN2at6native12_GLOBAL__N_19NonZeroOpIaEEPKalEENS0_5tupleIJPlS6_EEENSN_IJSD_SD_EEES6_PiJS6_EEE10hipError_tPvRmT3_T4_T5_T6_T7_T9_mT8_P12ihipStream_tbDpT10_ENKUlT_T0_E_clISt17integral_constantIbLb1EES1B_EEDaS16_S17_EUlS16_E_NS1_11comp_targetILNS1_3genE10ELNS1_11target_archE1200ELNS1_3gpuE4ELNS1_3repE0EEENS1_30default_config_static_selectorELNS0_4arch9wavefront6targetE0EEEvT1_
		.amdhsa_group_segment_fixed_size 0
		.amdhsa_private_segment_fixed_size 0
		.amdhsa_kernarg_size 136
		.amdhsa_user_sgpr_count 15
		.amdhsa_user_sgpr_dispatch_ptr 0
		.amdhsa_user_sgpr_queue_ptr 0
		.amdhsa_user_sgpr_kernarg_segment_ptr 1
		.amdhsa_user_sgpr_dispatch_id 0
		.amdhsa_user_sgpr_private_segment_size 0
		.amdhsa_wavefront_size32 1
		.amdhsa_uses_dynamic_stack 0
		.amdhsa_enable_private_segment 0
		.amdhsa_system_sgpr_workgroup_id_x 1
		.amdhsa_system_sgpr_workgroup_id_y 0
		.amdhsa_system_sgpr_workgroup_id_z 0
		.amdhsa_system_sgpr_workgroup_info 0
		.amdhsa_system_vgpr_workitem_id 0
		.amdhsa_next_free_vgpr 1
		.amdhsa_next_free_sgpr 1
		.amdhsa_reserve_vcc 0
		.amdhsa_float_round_mode_32 0
		.amdhsa_float_round_mode_16_64 0
		.amdhsa_float_denorm_mode_32 3
		.amdhsa_float_denorm_mode_16_64 3
		.amdhsa_dx10_clamp 1
		.amdhsa_ieee_mode 1
		.amdhsa_fp16_overflow 0
		.amdhsa_workgroup_processor_mode 1
		.amdhsa_memory_ordered 1
		.amdhsa_forward_progress 0
		.amdhsa_shared_vgpr_count 0
		.amdhsa_exception_fp_ieee_invalid_op 0
		.amdhsa_exception_fp_denorm_src 0
		.amdhsa_exception_fp_ieee_div_zero 0
		.amdhsa_exception_fp_ieee_overflow 0
		.amdhsa_exception_fp_ieee_underflow 0
		.amdhsa_exception_fp_ieee_inexact 0
		.amdhsa_exception_int_div_zero 0
	.end_amdhsa_kernel
	.section	.text._ZN7rocprim17ROCPRIM_400000_NS6detail17trampoline_kernelINS0_14default_configENS1_25partition_config_selectorILNS1_17partition_subalgoE5ElNS0_10empty_typeEbEEZZNS1_14partition_implILS5_5ELb0ES3_mN6hipcub16HIPCUB_304000_NS21CountingInputIteratorIllEEPS6_NSA_22TransformInputIteratorIbN2at6native12_GLOBAL__N_19NonZeroOpIaEEPKalEENS0_5tupleIJPlS6_EEENSN_IJSD_SD_EEES6_PiJS6_EEE10hipError_tPvRmT3_T4_T5_T6_T7_T9_mT8_P12ihipStream_tbDpT10_ENKUlT_T0_E_clISt17integral_constantIbLb1EES1B_EEDaS16_S17_EUlS16_E_NS1_11comp_targetILNS1_3genE10ELNS1_11target_archE1200ELNS1_3gpuE4ELNS1_3repE0EEENS1_30default_config_static_selectorELNS0_4arch9wavefront6targetE0EEEvT1_,"axG",@progbits,_ZN7rocprim17ROCPRIM_400000_NS6detail17trampoline_kernelINS0_14default_configENS1_25partition_config_selectorILNS1_17partition_subalgoE5ElNS0_10empty_typeEbEEZZNS1_14partition_implILS5_5ELb0ES3_mN6hipcub16HIPCUB_304000_NS21CountingInputIteratorIllEEPS6_NSA_22TransformInputIteratorIbN2at6native12_GLOBAL__N_19NonZeroOpIaEEPKalEENS0_5tupleIJPlS6_EEENSN_IJSD_SD_EEES6_PiJS6_EEE10hipError_tPvRmT3_T4_T5_T6_T7_T9_mT8_P12ihipStream_tbDpT10_ENKUlT_T0_E_clISt17integral_constantIbLb1EES1B_EEDaS16_S17_EUlS16_E_NS1_11comp_targetILNS1_3genE10ELNS1_11target_archE1200ELNS1_3gpuE4ELNS1_3repE0EEENS1_30default_config_static_selectorELNS0_4arch9wavefront6targetE0EEEvT1_,comdat
.Lfunc_end131:
	.size	_ZN7rocprim17ROCPRIM_400000_NS6detail17trampoline_kernelINS0_14default_configENS1_25partition_config_selectorILNS1_17partition_subalgoE5ElNS0_10empty_typeEbEEZZNS1_14partition_implILS5_5ELb0ES3_mN6hipcub16HIPCUB_304000_NS21CountingInputIteratorIllEEPS6_NSA_22TransformInputIteratorIbN2at6native12_GLOBAL__N_19NonZeroOpIaEEPKalEENS0_5tupleIJPlS6_EEENSN_IJSD_SD_EEES6_PiJS6_EEE10hipError_tPvRmT3_T4_T5_T6_T7_T9_mT8_P12ihipStream_tbDpT10_ENKUlT_T0_E_clISt17integral_constantIbLb1EES1B_EEDaS16_S17_EUlS16_E_NS1_11comp_targetILNS1_3genE10ELNS1_11target_archE1200ELNS1_3gpuE4ELNS1_3repE0EEENS1_30default_config_static_selectorELNS0_4arch9wavefront6targetE0EEEvT1_, .Lfunc_end131-_ZN7rocprim17ROCPRIM_400000_NS6detail17trampoline_kernelINS0_14default_configENS1_25partition_config_selectorILNS1_17partition_subalgoE5ElNS0_10empty_typeEbEEZZNS1_14partition_implILS5_5ELb0ES3_mN6hipcub16HIPCUB_304000_NS21CountingInputIteratorIllEEPS6_NSA_22TransformInputIteratorIbN2at6native12_GLOBAL__N_19NonZeroOpIaEEPKalEENS0_5tupleIJPlS6_EEENSN_IJSD_SD_EEES6_PiJS6_EEE10hipError_tPvRmT3_T4_T5_T6_T7_T9_mT8_P12ihipStream_tbDpT10_ENKUlT_T0_E_clISt17integral_constantIbLb1EES1B_EEDaS16_S17_EUlS16_E_NS1_11comp_targetILNS1_3genE10ELNS1_11target_archE1200ELNS1_3gpuE4ELNS1_3repE0EEENS1_30default_config_static_selectorELNS0_4arch9wavefront6targetE0EEEvT1_
                                        ; -- End function
	.section	.AMDGPU.csdata,"",@progbits
; Kernel info:
; codeLenInByte = 0
; NumSgprs: 0
; NumVgprs: 0
; ScratchSize: 0
; MemoryBound: 0
; FloatMode: 240
; IeeeMode: 1
; LDSByteSize: 0 bytes/workgroup (compile time only)
; SGPRBlocks: 0
; VGPRBlocks: 0
; NumSGPRsForWavesPerEU: 1
; NumVGPRsForWavesPerEU: 1
; Occupancy: 16
; WaveLimiterHint : 0
; COMPUTE_PGM_RSRC2:SCRATCH_EN: 0
; COMPUTE_PGM_RSRC2:USER_SGPR: 15
; COMPUTE_PGM_RSRC2:TRAP_HANDLER: 0
; COMPUTE_PGM_RSRC2:TGID_X_EN: 1
; COMPUTE_PGM_RSRC2:TGID_Y_EN: 0
; COMPUTE_PGM_RSRC2:TGID_Z_EN: 0
; COMPUTE_PGM_RSRC2:TIDIG_COMP_CNT: 0
	.section	.text._ZN7rocprim17ROCPRIM_400000_NS6detail17trampoline_kernelINS0_14default_configENS1_25partition_config_selectorILNS1_17partition_subalgoE5ElNS0_10empty_typeEbEEZZNS1_14partition_implILS5_5ELb0ES3_mN6hipcub16HIPCUB_304000_NS21CountingInputIteratorIllEEPS6_NSA_22TransformInputIteratorIbN2at6native12_GLOBAL__N_19NonZeroOpIaEEPKalEENS0_5tupleIJPlS6_EEENSN_IJSD_SD_EEES6_PiJS6_EEE10hipError_tPvRmT3_T4_T5_T6_T7_T9_mT8_P12ihipStream_tbDpT10_ENKUlT_T0_E_clISt17integral_constantIbLb1EES1B_EEDaS16_S17_EUlS16_E_NS1_11comp_targetILNS1_3genE9ELNS1_11target_archE1100ELNS1_3gpuE3ELNS1_3repE0EEENS1_30default_config_static_selectorELNS0_4arch9wavefront6targetE0EEEvT1_,"axG",@progbits,_ZN7rocprim17ROCPRIM_400000_NS6detail17trampoline_kernelINS0_14default_configENS1_25partition_config_selectorILNS1_17partition_subalgoE5ElNS0_10empty_typeEbEEZZNS1_14partition_implILS5_5ELb0ES3_mN6hipcub16HIPCUB_304000_NS21CountingInputIteratorIllEEPS6_NSA_22TransformInputIteratorIbN2at6native12_GLOBAL__N_19NonZeroOpIaEEPKalEENS0_5tupleIJPlS6_EEENSN_IJSD_SD_EEES6_PiJS6_EEE10hipError_tPvRmT3_T4_T5_T6_T7_T9_mT8_P12ihipStream_tbDpT10_ENKUlT_T0_E_clISt17integral_constantIbLb1EES1B_EEDaS16_S17_EUlS16_E_NS1_11comp_targetILNS1_3genE9ELNS1_11target_archE1100ELNS1_3gpuE3ELNS1_3repE0EEENS1_30default_config_static_selectorELNS0_4arch9wavefront6targetE0EEEvT1_,comdat
	.globl	_ZN7rocprim17ROCPRIM_400000_NS6detail17trampoline_kernelINS0_14default_configENS1_25partition_config_selectorILNS1_17partition_subalgoE5ElNS0_10empty_typeEbEEZZNS1_14partition_implILS5_5ELb0ES3_mN6hipcub16HIPCUB_304000_NS21CountingInputIteratorIllEEPS6_NSA_22TransformInputIteratorIbN2at6native12_GLOBAL__N_19NonZeroOpIaEEPKalEENS0_5tupleIJPlS6_EEENSN_IJSD_SD_EEES6_PiJS6_EEE10hipError_tPvRmT3_T4_T5_T6_T7_T9_mT8_P12ihipStream_tbDpT10_ENKUlT_T0_E_clISt17integral_constantIbLb1EES1B_EEDaS16_S17_EUlS16_E_NS1_11comp_targetILNS1_3genE9ELNS1_11target_archE1100ELNS1_3gpuE3ELNS1_3repE0EEENS1_30default_config_static_selectorELNS0_4arch9wavefront6targetE0EEEvT1_ ; -- Begin function _ZN7rocprim17ROCPRIM_400000_NS6detail17trampoline_kernelINS0_14default_configENS1_25partition_config_selectorILNS1_17partition_subalgoE5ElNS0_10empty_typeEbEEZZNS1_14partition_implILS5_5ELb0ES3_mN6hipcub16HIPCUB_304000_NS21CountingInputIteratorIllEEPS6_NSA_22TransformInputIteratorIbN2at6native12_GLOBAL__N_19NonZeroOpIaEEPKalEENS0_5tupleIJPlS6_EEENSN_IJSD_SD_EEES6_PiJS6_EEE10hipError_tPvRmT3_T4_T5_T6_T7_T9_mT8_P12ihipStream_tbDpT10_ENKUlT_T0_E_clISt17integral_constantIbLb1EES1B_EEDaS16_S17_EUlS16_E_NS1_11comp_targetILNS1_3genE9ELNS1_11target_archE1100ELNS1_3gpuE3ELNS1_3repE0EEENS1_30default_config_static_selectorELNS0_4arch9wavefront6targetE0EEEvT1_
	.p2align	8
	.type	_ZN7rocprim17ROCPRIM_400000_NS6detail17trampoline_kernelINS0_14default_configENS1_25partition_config_selectorILNS1_17partition_subalgoE5ElNS0_10empty_typeEbEEZZNS1_14partition_implILS5_5ELb0ES3_mN6hipcub16HIPCUB_304000_NS21CountingInputIteratorIllEEPS6_NSA_22TransformInputIteratorIbN2at6native12_GLOBAL__N_19NonZeroOpIaEEPKalEENS0_5tupleIJPlS6_EEENSN_IJSD_SD_EEES6_PiJS6_EEE10hipError_tPvRmT3_T4_T5_T6_T7_T9_mT8_P12ihipStream_tbDpT10_ENKUlT_T0_E_clISt17integral_constantIbLb1EES1B_EEDaS16_S17_EUlS16_E_NS1_11comp_targetILNS1_3genE9ELNS1_11target_archE1100ELNS1_3gpuE3ELNS1_3repE0EEENS1_30default_config_static_selectorELNS0_4arch9wavefront6targetE0EEEvT1_,@function
_ZN7rocprim17ROCPRIM_400000_NS6detail17trampoline_kernelINS0_14default_configENS1_25partition_config_selectorILNS1_17partition_subalgoE5ElNS0_10empty_typeEbEEZZNS1_14partition_implILS5_5ELb0ES3_mN6hipcub16HIPCUB_304000_NS21CountingInputIteratorIllEEPS6_NSA_22TransformInputIteratorIbN2at6native12_GLOBAL__N_19NonZeroOpIaEEPKalEENS0_5tupleIJPlS6_EEENSN_IJSD_SD_EEES6_PiJS6_EEE10hipError_tPvRmT3_T4_T5_T6_T7_T9_mT8_P12ihipStream_tbDpT10_ENKUlT_T0_E_clISt17integral_constantIbLb1EES1B_EEDaS16_S17_EUlS16_E_NS1_11comp_targetILNS1_3genE9ELNS1_11target_archE1100ELNS1_3gpuE3ELNS1_3repE0EEENS1_30default_config_static_selectorELNS0_4arch9wavefront6targetE0EEEvT1_: ; @_ZN7rocprim17ROCPRIM_400000_NS6detail17trampoline_kernelINS0_14default_configENS1_25partition_config_selectorILNS1_17partition_subalgoE5ElNS0_10empty_typeEbEEZZNS1_14partition_implILS5_5ELb0ES3_mN6hipcub16HIPCUB_304000_NS21CountingInputIteratorIllEEPS6_NSA_22TransformInputIteratorIbN2at6native12_GLOBAL__N_19NonZeroOpIaEEPKalEENS0_5tupleIJPlS6_EEENSN_IJSD_SD_EEES6_PiJS6_EEE10hipError_tPvRmT3_T4_T5_T6_T7_T9_mT8_P12ihipStream_tbDpT10_ENKUlT_T0_E_clISt17integral_constantIbLb1EES1B_EEDaS16_S17_EUlS16_E_NS1_11comp_targetILNS1_3genE9ELNS1_11target_archE1100ELNS1_3gpuE3ELNS1_3repE0EEENS1_30default_config_static_selectorELNS0_4arch9wavefront6targetE0EEEvT1_
; %bb.0:
	s_clause 0x4
	s_load_b64 s[18:19], s[0:1], 0x20
	s_load_b64 s[12:13], s[0:1], 0x30
	;; [unrolled: 1-line block ×3, first 2 shown]
	s_load_b128 s[4:7], s[0:1], 0x48
	s_load_b64 s[14:15], s[0:1], 0x68
	v_cmp_eq_u32_e64 s2, 0, v0
	s_delay_alu instid0(VALU_DEP_1)
	s_and_saveexec_b32 s3, s2
	s_cbranch_execz .LBB132_4
; %bb.1:
	s_mov_b32 s9, exec_lo
	s_mov_b32 s8, exec_lo
	v_mbcnt_lo_u32_b32 v1, s9, 0
                                        ; implicit-def: $vgpr2
	s_delay_alu instid0(VALU_DEP_1)
	v_cmpx_eq_u32_e32 0, v1
	s_cbranch_execz .LBB132_3
; %bb.2:
	s_load_b64 s[10:11], s[0:1], 0x78
	s_bcnt1_i32_b32 s9, s9
	s_delay_alu instid0(SALU_CYCLE_1)
	v_dual_mov_b32 v2, 0 :: v_dual_mov_b32 v3, s9
	s_waitcnt lgkmcnt(0)
	global_atomic_add_u32 v2, v2, v3, s[10:11] glc
.LBB132_3:
	s_or_b32 exec_lo, exec_lo, s8
	s_waitcnt vmcnt(0)
	v_readfirstlane_b32 s8, v2
	s_delay_alu instid0(VALU_DEP_1)
	v_dual_mov_b32 v2, 0 :: v_dual_add_nc_u32 v1, s8, v1
	ds_store_b32 v2, v1
.LBB132_4:
	s_or_b32 exec_lo, exec_lo, s3
	v_mov_b32_e32 v1, 0
	s_clause 0x1
	s_load_b128 s[8:11], s[0:1], 0x8
	s_load_b32 s0, s[0:1], 0x70
	s_waitcnt lgkmcnt(0)
	s_barrier
	buffer_gl0_inv
	ds_load_b32 v3, v1
	s_waitcnt lgkmcnt(0)
	s_barrier
	buffer_gl0_inv
	global_load_b64 v[1:2], v1, s[6:7]
	s_add_u32 s1, s10, s8
	s_mul_i32 s20, s0, 0x300
	s_addc_u32 s21, s11, s9
	s_add_i32 s0, s0, -1
	s_add_u32 s6, s10, s20
	v_readfirstlane_b32 s9, v3
	s_addc_u32 s7, s11, 0
	s_delay_alu instid0(SALU_CYCLE_1) | instskip(SKIP_1) | instid1(VALU_DEP_2)
	v_cmp_ge_u64_e64 s6, s[6:7], s[16:17]
	s_mov_b32 s17, -1
	s_cmp_eq_u32 s9, s0
	s_mul_i32 s0, s9, 0x300
	s_cselect_b32 s3, -1, 0
	s_delay_alu instid0(VALU_DEP_1) | instid1(SALU_CYCLE_1)
	s_and_b32 s6, s6, s3
	s_delay_alu instid0(SALU_CYCLE_1) | instskip(NEXT) | instid1(SALU_CYCLE_1)
	s_xor_b32 s8, s6, -1
	s_and_b32 vcc_lo, exec_lo, s8
	s_waitcnt vmcnt(0)
	v_readfirstlane_b32 s6, v1
	v_readfirstlane_b32 s7, v2
	s_cbranch_vccz .LBB132_6
; %bb.5:
	s_add_u32 s17, s0, s1
	s_addc_u32 s22, 0, s21
	v_add_co_u32 v1, s17, s17, v0
	s_delay_alu instid0(VALU_DEP_1) | instskip(SKIP_1) | instid1(VALU_DEP_3)
	v_add_co_ci_u32_e64 v2, null, s22, 0, s17
	v_lshlrev_b32_e32 v13, 3, v0
	v_add_co_u32 v3, vcc_lo, 0x80, v1
	s_delay_alu instid0(VALU_DEP_3)
	v_add_co_ci_u32_e32 v4, vcc_lo, 0, v2, vcc_lo
	v_add_co_u32 v5, vcc_lo, 0x100, v1
	v_add_co_ci_u32_e32 v6, vcc_lo, 0, v2, vcc_lo
	v_add_co_u32 v7, vcc_lo, 0x180, v1
	;; [unrolled: 2-line block ×4, first 2 shown]
	v_add_co_ci_u32_e32 v12, vcc_lo, 0, v2, vcc_lo
	ds_store_2addr_stride64_b64 v13, v[1:2], v[3:4] offset1:2
	ds_store_2addr_stride64_b64 v13, v[5:6], v[7:8] offset0:4 offset1:6
	ds_store_2addr_stride64_b64 v13, v[9:10], v[11:12] offset0:8 offset1:10
	s_waitcnt lgkmcnt(0)
	s_mov_b32 s17, 0
	s_barrier
.LBB132_6:
	v_or_b32_e32 v17, 0x100, v0
	v_or_b32_e32 v16, 0x180, v0
	;; [unrolled: 1-line block ×4, first 2 shown]
	s_and_not1_b32 vcc_lo, exec_lo, s17
	s_cbranch_vccnz .LBB132_8
; %bb.7:
	v_or_b32_e32 v3, 0x80, v0
	s_add_u32 s1, s1, s0
	s_addc_u32 s17, s21, 0
	v_add_co_u32 v1, s21, s1, v0
	s_delay_alu instid0(VALU_DEP_1) | instskip(SKIP_1) | instid1(VALU_DEP_1)
	v_add_co_ci_u32_e64 v2, null, s17, 0, s21
	v_add_co_u32 v3, s21, s1, v3
	v_add_co_ci_u32_e64 v4, null, s17, 0, s21
	v_add_co_u32 v5, s21, s1, v17
	s_delay_alu instid0(VALU_DEP_1) | instskip(SKIP_1) | instid1(VALU_DEP_1)
	v_add_co_ci_u32_e64 v6, null, s17, 0, s21
	v_add_co_u32 v7, s21, s1, v16
	v_add_co_ci_u32_e64 v8, null, s17, 0, s21
	v_add_co_u32 v9, s21, s1, v14
	v_lshlrev_b32_e32 v15, 3, v0
	v_add_co_u32 v11, s1, s1, v13
	v_add_co_ci_u32_e64 v10, null, s17, 0, s21
	v_add_co_ci_u32_e64 v12, null, s17, 0, s1
	ds_store_2addr_stride64_b64 v15, v[1:2], v[3:4] offset1:2
	ds_store_2addr_stride64_b64 v15, v[5:6], v[7:8] offset0:4 offset1:6
	ds_store_2addr_stride64_b64 v15, v[9:10], v[11:12] offset0:8 offset1:10
	s_waitcnt lgkmcnt(0)
	s_barrier
.LBB132_8:
	v_mul_u32_u24_e32 v1, 6, v0
	buffer_gl0_inv
	s_add_u32 s1, s18, s10
	s_addc_u32 s11, s19, s11
	s_add_u32 s0, s1, s0
	v_lshlrev_b32_e32 v15, 3, v1
	s_addc_u32 s1, s11, 0
	s_and_b32 vcc_lo, exec_lo, s8
	s_mov_b32 s11, -1
	ds_load_b128 v[9:12], v15
	ds_load_b128 v[5:8], v15 offset:16
	ds_load_b128 v[1:4], v15 offset:32
	s_waitcnt lgkmcnt(0)
	s_barrier
	buffer_gl0_inv
	s_cbranch_vccz .LBB132_10
; %bb.9:
	s_clause 0x5
	global_load_u8 v18, v0, s[0:1]
	global_load_u8 v19, v0, s[0:1] offset:128
	global_load_u8 v20, v0, s[0:1] offset:256
	;; [unrolled: 1-line block ×5, first 2 shown]
	s_mov_b32 s11, 0
	s_waitcnt vmcnt(5)
	v_cmp_ne_u16_e32 vcc_lo, 0, v18
	v_cndmask_b32_e64 v18, 0, 1, vcc_lo
	s_waitcnt vmcnt(4)
	v_cmp_ne_u16_e32 vcc_lo, 0, v19
	v_cndmask_b32_e64 v19, 0, 1, vcc_lo
	;; [unrolled: 3-line block ×6, first 2 shown]
	ds_store_b8 v0, v18
	ds_store_b8 v0, v19 offset:128
	ds_store_b8 v0, v20 offset:256
	;; [unrolled: 1-line block ×5, first 2 shown]
	s_waitcnt lgkmcnt(0)
	s_barrier
.LBB132_10:
	s_and_not1_b32 vcc_lo, exec_lo, s11
	s_cbranch_vccnz .LBB132_24
; %bb.11:
	s_add_i32 s20, s20, s10
	v_dual_mov_b32 v18, 0 :: v_dual_mov_b32 v19, 0
	s_sub_i32 s10, s16, s20
	s_mov_b32 s11, exec_lo
	s_addk_i32 s10, 0x300
	s_delay_alu instid0(SALU_CYCLE_1)
	v_cmpx_gt_u32_e64 s10, v0
	s_cbranch_execz .LBB132_13
; %bb.12:
	global_load_u8 v19, v0, s[0:1]
	s_waitcnt vmcnt(0)
	v_cmp_ne_u16_e32 vcc_lo, 0, v19
	v_cndmask_b32_e64 v19, 0, 1, vcc_lo
.LBB132_13:
	s_or_b32 exec_lo, exec_lo, s11
	v_or_b32_e32 v20, 0x80, v0
	s_mov_b32 s11, exec_lo
	s_delay_alu instid0(VALU_DEP_1)
	v_cmpx_gt_u32_e64 s10, v20
	s_cbranch_execz .LBB132_15
; %bb.14:
	global_load_u8 v18, v0, s[0:1] offset:128
	s_waitcnt vmcnt(0)
	v_cmp_ne_u16_e32 vcc_lo, 0, v18
	v_cndmask_b32_e64 v18, 0, 1, vcc_lo
.LBB132_15:
	s_or_b32 exec_lo, exec_lo, s11
	v_cmp_gt_u32_e32 vcc_lo, s10, v17
	v_dual_mov_b32 v17, 0 :: v_dual_mov_b32 v20, 0
	s_and_saveexec_b32 s11, vcc_lo
	s_cbranch_execz .LBB132_17
; %bb.16:
	global_load_u8 v20, v0, s[0:1] offset:256
	s_waitcnt vmcnt(0)
	v_cmp_ne_u16_e32 vcc_lo, 0, v20
	v_cndmask_b32_e64 v20, 0, 1, vcc_lo
.LBB132_17:
	s_or_b32 exec_lo, exec_lo, s11
	s_delay_alu instid0(SALU_CYCLE_1)
	s_mov_b32 s11, exec_lo
	v_cmpx_gt_u32_e64 s10, v16
	s_cbranch_execz .LBB132_19
; %bb.18:
	global_load_u8 v16, v0, s[0:1] offset:384
	s_waitcnt vmcnt(0)
	v_cmp_ne_u16_e32 vcc_lo, 0, v16
	v_cndmask_b32_e64 v17, 0, 1, vcc_lo
.LBB132_19:
	s_or_b32 exec_lo, exec_lo, s11
	v_cmp_gt_u32_e32 vcc_lo, s10, v14
	v_mov_b32_e32 v14, 0
	v_mov_b32_e32 v16, 0
	s_and_saveexec_b32 s11, vcc_lo
	s_cbranch_execz .LBB132_21
; %bb.20:
	global_load_u8 v16, v0, s[0:1] offset:512
	s_waitcnt vmcnt(0)
	v_cmp_ne_u16_e32 vcc_lo, 0, v16
	v_cndmask_b32_e64 v16, 0, 1, vcc_lo
.LBB132_21:
	s_or_b32 exec_lo, exec_lo, s11
	v_cmp_gt_u32_e32 vcc_lo, s10, v13
	s_and_saveexec_b32 s10, vcc_lo
	s_cbranch_execz .LBB132_23
; %bb.22:
	global_load_u8 v13, v0, s[0:1] offset:640
	s_waitcnt vmcnt(0)
	v_cmp_ne_u16_e32 vcc_lo, 0, v13
	v_cndmask_b32_e64 v14, 0, 1, vcc_lo
.LBB132_23:
	s_or_b32 exec_lo, exec_lo, s10
	ds_store_b8 v0, v19
	ds_store_b8 v0, v18 offset:128
	ds_store_b8 v0, v20 offset:256
	;; [unrolled: 1-line block ×5, first 2 shown]
	s_waitcnt lgkmcnt(0)
	s_barrier
.LBB132_24:
	v_mad_i32_i24 v43, 0xffffffd6, v0, v15
	buffer_gl0_inv
	v_mbcnt_lo_u32_b32 v42, -1, 0
	s_cmp_lg_u32 s9, 0
	s_mov_b32 s1, -1
	ds_load_u16 v36, v43
	ds_load_u16 v33, v43 offset:2
	ds_load_u16 v31, v43 offset:4
	v_mov_b32_e32 v14, 0
	v_and_b32_e32 v44, 15, v42
	s_waitcnt lgkmcnt(0)
	s_barrier
	buffer_gl0_inv
	v_and_b32_e32 v41, 0xff, v36
	v_lshrrev_b16 v34, 8, v36
	v_lshrrev_b16 v35, 8, v33
	v_and_b32_e32 v39, 0xff, v33
	v_lshrrev_b16 v32, 8, v31
	v_and_b32_e32 v37, 0xff, v31
	v_and_b32_e32 v40, 0xffff, v34
	;; [unrolled: 1-line block ×3, first 2 shown]
	s_delay_alu instid0(VALU_DEP_4) | instskip(NEXT) | instid1(VALU_DEP_3)
	v_and_b32_e32 v16, 0xffff, v32
	v_add_co_u32 v13, s0, v40, v41
	s_delay_alu instid0(VALU_DEP_1) | instskip(SKIP_1) | instid1(VALU_DEP_3)
	v_add_co_ci_u32_e64 v15, null, 0, 0, s0
	v_cmp_ne_u32_e64 s0, 0, v44
	v_add_co_u32 v13, vcc_lo, v13, v39
	s_delay_alu instid0(VALU_DEP_3) | instskip(NEXT) | instid1(VALU_DEP_2)
	v_add_co_ci_u32_e32 v15, vcc_lo, 0, v15, vcc_lo
	v_add_co_u32 v13, vcc_lo, v13, v38
	s_delay_alu instid0(VALU_DEP_2) | instskip(NEXT) | instid1(VALU_DEP_2)
	v_add_co_ci_u32_e32 v15, vcc_lo, 0, v15, vcc_lo
	v_add_co_u32 v13, vcc_lo, v13, v37
	s_delay_alu instid0(VALU_DEP_2) | instskip(NEXT) | instid1(VALU_DEP_2)
	v_add_co_ci_u32_e32 v15, vcc_lo, 0, v15, vcc_lo
	v_add_co_u32 v21, vcc_lo, v13, v16
	s_delay_alu instid0(VALU_DEP_2)
	v_add_co_ci_u32_e32 v22, vcc_lo, 0, v15, vcc_lo
	s_cbranch_scc0 .LBB132_93
; %bb.25:
	s_delay_alu instid0(VALU_DEP_2)
	v_mov_b32_e32 v15, v21
	v_mov_b32_dpp v13, v21 row_shr:1 row_mask:0xf bank_mask:0xf
	v_mov_b32_dpp v18, v14 row_shr:1 row_mask:0xf bank_mask:0xf
	v_dual_mov_b32 v17, v21 :: v_dual_mov_b32 v16, v22
	s_and_saveexec_b32 s1, s0
; %bb.26:
	s_delay_alu instid0(VALU_DEP_3) | instskip(SKIP_1) | instid1(VALU_DEP_2)
	v_add_co_u32 v17, vcc_lo, v21, v13
	v_add_co_ci_u32_e32 v14, vcc_lo, 0, v22, vcc_lo
	v_add_co_u32 v13, vcc_lo, 0, v17
	s_delay_alu instid0(VALU_DEP_2) | instskip(NEXT) | instid1(VALU_DEP_1)
	v_add_co_ci_u32_e32 v14, vcc_lo, v18, v14, vcc_lo
	v_dual_mov_b32 v16, v14 :: v_dual_mov_b32 v15, v13
; %bb.27:
	s_or_b32 exec_lo, exec_lo, s1
	v_mov_b32_dpp v13, v17 row_shr:2 row_mask:0xf bank_mask:0xf
	v_mov_b32_dpp v18, v14 row_shr:2 row_mask:0xf bank_mask:0xf
	s_mov_b32 s1, exec_lo
	v_cmpx_lt_u32_e32 1, v44
; %bb.28:
	s_delay_alu instid0(VALU_DEP_3) | instskip(SKIP_1) | instid1(VALU_DEP_2)
	v_add_co_u32 v17, vcc_lo, v15, v13
	v_add_co_ci_u32_e32 v14, vcc_lo, 0, v16, vcc_lo
	v_add_co_u32 v13, vcc_lo, 0, v17
	s_delay_alu instid0(VALU_DEP_2) | instskip(NEXT) | instid1(VALU_DEP_1)
	v_add_co_ci_u32_e32 v14, vcc_lo, v18, v14, vcc_lo
	v_dual_mov_b32 v16, v14 :: v_dual_mov_b32 v15, v13
; %bb.29:
	s_or_b32 exec_lo, exec_lo, s1
	v_mov_b32_dpp v13, v17 row_shr:4 row_mask:0xf bank_mask:0xf
	v_mov_b32_dpp v18, v14 row_shr:4 row_mask:0xf bank_mask:0xf
	s_mov_b32 s1, exec_lo
	v_cmpx_lt_u32_e32 3, v44
	;; [unrolled: 14-line block ×3, first 2 shown]
; %bb.32:
	s_delay_alu instid0(VALU_DEP_3) | instskip(SKIP_1) | instid1(VALU_DEP_2)
	v_add_co_u32 v17, vcc_lo, v15, v18
	v_add_co_ci_u32_e32 v14, vcc_lo, 0, v16, vcc_lo
	v_add_co_u32 v15, vcc_lo, 0, v17
	s_delay_alu instid0(VALU_DEP_2) | instskip(NEXT) | instid1(VALU_DEP_1)
	v_add_co_ci_u32_e32 v16, vcc_lo, v13, v14, vcc_lo
	v_mov_b32_e32 v14, v16
; %bb.33:
	s_or_b32 exec_lo, exec_lo, s1
	ds_swizzle_b32 v13, v17 offset:swizzle(BROADCAST,32,15)
	ds_swizzle_b32 v18, v14 offset:swizzle(BROADCAST,32,15)
	v_and_b32_e32 v19, 16, v42
	s_mov_b32 s1, exec_lo
	s_delay_alu instid0(VALU_DEP_1)
	v_cmpx_ne_u32_e32 0, v19
	s_cbranch_execz .LBB132_35
; %bb.34:
	s_waitcnt lgkmcnt(1)
	v_add_co_u32 v17, vcc_lo, v15, v13
	v_add_co_ci_u32_e32 v14, vcc_lo, 0, v16, vcc_lo
	s_delay_alu instid0(VALU_DEP_2) | instskip(SKIP_1) | instid1(VALU_DEP_2)
	v_add_co_u32 v13, vcc_lo, 0, v17
	s_waitcnt lgkmcnt(0)
	v_add_co_ci_u32_e32 v14, vcc_lo, v18, v14, vcc_lo
	s_delay_alu instid0(VALU_DEP_1)
	v_dual_mov_b32 v16, v14 :: v_dual_mov_b32 v15, v13
.LBB132_35:
	s_or_b32 exec_lo, exec_lo, s1
	s_waitcnt lgkmcnt(0)
	v_or_b32_e32 v18, 31, v0
	v_lshrrev_b32_e32 v13, 5, v0
	s_mov_b32 s1, exec_lo
	s_delay_alu instid0(VALU_DEP_2)
	v_cmpx_eq_u32_e64 v18, v0
	s_cbranch_execz .LBB132_37
; %bb.36:
	s_delay_alu instid0(VALU_DEP_2)
	v_lshlrev_b32_e32 v18, 3, v13
	ds_store_b64 v18, v[15:16]
.LBB132_37:
	s_or_b32 exec_lo, exec_lo, s1
	s_delay_alu instid0(SALU_CYCLE_1)
	s_mov_b32 s1, exec_lo
	s_waitcnt lgkmcnt(0)
	s_barrier
	buffer_gl0_inv
	v_cmpx_gt_u32_e32 4, v0
	s_cbranch_execz .LBB132_43
; %bb.38:
	v_lshlrev_b32_e32 v18, 3, v0
	s_mov_b32 s10, exec_lo
	ds_load_b64 v[15:16], v18
	s_waitcnt lgkmcnt(0)
	v_dual_mov_b32 v20, v15 :: v_dual_and_b32 v19, 3, v42
	v_mov_b32_dpp v24, v15 row_shr:1 row_mask:0xf bank_mask:0xf
	v_mov_b32_dpp v23, v16 row_shr:1 row_mask:0xf bank_mask:0xf
	s_delay_alu instid0(VALU_DEP_3)
	v_cmpx_ne_u32_e32 0, v19
; %bb.39:
	s_delay_alu instid0(VALU_DEP_3) | instskip(SKIP_1) | instid1(VALU_DEP_2)
	v_add_co_u32 v20, vcc_lo, v15, v24
	v_add_co_ci_u32_e32 v16, vcc_lo, 0, v16, vcc_lo
	v_add_co_u32 v15, vcc_lo, 0, v20
	s_delay_alu instid0(VALU_DEP_2)
	v_add_co_ci_u32_e32 v16, vcc_lo, v23, v16, vcc_lo
; %bb.40:
	s_or_b32 exec_lo, exec_lo, s10
	v_mov_b32_dpp v23, v20 row_shr:2 row_mask:0xf bank_mask:0xf
	s_delay_alu instid0(VALU_DEP_2)
	v_mov_b32_dpp v20, v16 row_shr:2 row_mask:0xf bank_mask:0xf
	s_mov_b32 s10, exec_lo
	v_cmpx_lt_u32_e32 1, v19
; %bb.41:
	s_delay_alu instid0(VALU_DEP_3) | instskip(SKIP_1) | instid1(VALU_DEP_2)
	v_add_co_u32 v15, vcc_lo, v15, v23
	v_add_co_ci_u32_e32 v16, vcc_lo, 0, v16, vcc_lo
	v_add_co_u32 v15, vcc_lo, v15, 0
	s_delay_alu instid0(VALU_DEP_2)
	v_add_co_ci_u32_e32 v16, vcc_lo, v16, v20, vcc_lo
; %bb.42:
	s_or_b32 exec_lo, exec_lo, s10
	ds_store_b64 v18, v[15:16]
.LBB132_43:
	s_or_b32 exec_lo, exec_lo, s1
	v_cmp_gt_u32_e32 vcc_lo, 32, v0
	s_mov_b32 s10, exec_lo
	s_waitcnt lgkmcnt(0)
	s_barrier
	buffer_gl0_inv
                                        ; implicit-def: $vgpr23_vgpr24
	v_cmpx_lt_u32_e32 31, v0
	s_cbranch_execz .LBB132_45
; %bb.44:
	v_lshl_add_u32 v13, v13, 3, -8
	ds_load_b64 v[23:24], v13
	s_waitcnt lgkmcnt(0)
	v_add_co_u32 v17, s1, v17, v23
	s_delay_alu instid0(VALU_DEP_1)
	v_add_co_ci_u32_e64 v14, s1, v14, v24, s1
.LBB132_45:
	s_or_b32 exec_lo, exec_lo, s10
	v_add_nc_u32_e32 v13, -1, v42
	s_delay_alu instid0(VALU_DEP_1) | instskip(NEXT) | instid1(VALU_DEP_1)
	v_cmp_gt_i32_e64 s1, 0, v13
	v_cndmask_b32_e64 v13, v13, v42, s1
	v_cmp_eq_u32_e64 s1, 0, v42
	s_delay_alu instid0(VALU_DEP_2)
	v_lshlrev_b32_e32 v13, 2, v13
	ds_bpermute_b32 v29, v13, v17
	ds_bpermute_b32 v30, v13, v14
	s_and_saveexec_b32 s10, vcc_lo
	s_cbranch_execz .LBB132_88
; %bb.46:
	v_mov_b32_e32 v16, 0
	ds_load_b64 v[13:14], v16 offset:24
	s_and_saveexec_b32 s11, s1
	s_cbranch_execz .LBB132_48
; %bb.47:
	s_add_i32 s16, s9, 32
	s_mov_b32 s17, 0
	s_delay_alu instid0(SALU_CYCLE_1) | instskip(NEXT) | instid1(SALU_CYCLE_1)
	s_lshl_b64 s[16:17], s[16:17], 4
	s_add_u32 s16, s14, s16
	s_addc_u32 s17, s15, s17
	s_delay_alu instid0(SALU_CYCLE_1)
	v_dual_mov_b32 v15, 1 :: v_dual_mov_b32 v18, s17
	v_mov_b32_e32 v17, s16
	s_waitcnt lgkmcnt(0)
	;;#ASMSTART
	global_store_dwordx4 v[17:18], v[13:16] off	
s_waitcnt vmcnt(0)
	;;#ASMEND
.LBB132_48:
	s_or_b32 exec_lo, exec_lo, s11
	v_xad_u32 v25, v42, -1, s9
	s_mov_b32 s16, 0
	s_mov_b32 s11, exec_lo
	s_delay_alu instid0(VALU_DEP_1) | instskip(NEXT) | instid1(VALU_DEP_1)
	v_add_nc_u32_e32 v15, 32, v25
	v_lshlrev_b64 v[15:16], 4, v[15:16]
	s_delay_alu instid0(VALU_DEP_1) | instskip(NEXT) | instid1(VALU_DEP_2)
	v_add_co_u32 v15, vcc_lo, s14, v15
	v_add_co_ci_u32_e32 v16, vcc_lo, s15, v16, vcc_lo
	;;#ASMSTART
	global_load_dwordx4 v[17:20], v[15:16] off glc	
s_waitcnt vmcnt(0)
	;;#ASMEND
	v_and_b32_e32 v20, 0xff, v18
	v_and_b32_e32 v26, 0xff00, v18
	v_or3_b32 v17, v17, 0, 0
	v_and_b32_e32 v27, 0xff000000, v18
	v_and_b32_e32 v18, 0xff0000, v18
	s_delay_alu instid0(VALU_DEP_4) | instskip(SKIP_2) | instid1(VALU_DEP_3)
	v_or3_b32 v20, 0, v20, v26
	v_and_b32_e32 v26, 0xff, v19
	v_or3_b32 v17, v17, 0, 0
	v_or3_b32 v18, v20, v18, v27
	s_delay_alu instid0(VALU_DEP_3)
	v_cmpx_eq_u16_e32 0, v26
	s_cbranch_execz .LBB132_54
; %bb.49:
	s_mov_b32 s17, 1
	.p2align	6
.LBB132_50:                             ; =>This Loop Header: Depth=1
                                        ;     Child Loop BB132_51 Depth 2
	s_delay_alu instid0(SALU_CYCLE_1)
	s_max_u32 s18, s17, 1
.LBB132_51:                             ;   Parent Loop BB132_50 Depth=1
                                        ; =>  This Inner Loop Header: Depth=2
	s_delay_alu instid0(SALU_CYCLE_1)
	s_add_i32 s18, s18, -1
	s_sleep 1
	s_cmp_eq_u32 s18, 0
	s_cbranch_scc0 .LBB132_51
; %bb.52:                               ;   in Loop: Header=BB132_50 Depth=1
	;;#ASMSTART
	global_load_dwordx4 v[17:20], v[15:16] off glc	
s_waitcnt vmcnt(0)
	;;#ASMEND
	v_and_b32_e32 v20, 0xff, v19
	s_cmp_lt_u32 s17, 32
	s_cselect_b32 s18, -1, 0
	s_delay_alu instid0(SALU_CYCLE_1) | instskip(NEXT) | instid1(VALU_DEP_1)
	s_cmp_lg_u32 s18, 0
	v_cmp_ne_u16_e32 vcc_lo, 0, v20
	s_addc_u32 s17, s17, 0
	s_or_b32 s16, vcc_lo, s16
	s_delay_alu instid0(SALU_CYCLE_1)
	s_and_not1_b32 exec_lo, exec_lo, s16
	s_cbranch_execnz .LBB132_50
; %bb.53:
	s_or_b32 exec_lo, exec_lo, s16
.LBB132_54:
	s_delay_alu instid0(SALU_CYCLE_1)
	s_or_b32 exec_lo, exec_lo, s11
	v_cmp_ne_u32_e32 vcc_lo, 31, v42
	v_and_b32_e32 v16, 0xff, v19
	v_lshlrev_b32_e64 v46, v42, -1
	s_mov_b32 s11, exec_lo
	v_add_co_ci_u32_e32 v15, vcc_lo, 0, v42, vcc_lo
	s_delay_alu instid0(VALU_DEP_3) | instskip(NEXT) | instid1(VALU_DEP_2)
	v_cmp_eq_u16_e32 vcc_lo, 2, v16
	v_dual_mov_b32 v16, v17 :: v_dual_lshlrev_b32 v45, 2, v15
	v_and_or_b32 v15, vcc_lo, v46, 0x80000000
	ds_bpermute_b32 v26, v45, v17
	ds_bpermute_b32 v20, v45, v18
	v_ctz_i32_b32_e32 v15, v15
	s_delay_alu instid0(VALU_DEP_1)
	v_cmpx_lt_u32_e64 v42, v15
	s_cbranch_execz .LBB132_56
; %bb.55:
	s_waitcnt lgkmcnt(1)
	v_add_co_u32 v16, vcc_lo, v17, v26
	v_add_co_ci_u32_e32 v18, vcc_lo, 0, v18, vcc_lo
	s_delay_alu instid0(VALU_DEP_2) | instskip(SKIP_1) | instid1(VALU_DEP_2)
	v_add_co_u32 v17, vcc_lo, 0, v16
	s_waitcnt lgkmcnt(0)
	v_add_co_ci_u32_e32 v18, vcc_lo, v20, v18, vcc_lo
.LBB132_56:
	s_or_b32 exec_lo, exec_lo, s11
	v_cmp_gt_u32_e32 vcc_lo, 30, v42
	v_add_nc_u32_e32 v48, 2, v42
	s_mov_b32 s11, exec_lo
	s_waitcnt lgkmcnt(0)
	v_cndmask_b32_e64 v20, 0, 1, vcc_lo
	s_delay_alu instid0(VALU_DEP_1) | instskip(NEXT) | instid1(VALU_DEP_1)
	v_lshlrev_b32_e32 v20, 1, v20
	v_add_lshl_u32 v47, v20, v42, 2
	ds_bpermute_b32 v26, v47, v16
	ds_bpermute_b32 v20, v47, v18
	v_cmpx_le_u32_e64 v48, v15
	s_cbranch_execz .LBB132_58
; %bb.57:
	s_waitcnt lgkmcnt(1)
	v_add_co_u32 v16, vcc_lo, v17, v26
	v_add_co_ci_u32_e32 v18, vcc_lo, 0, v18, vcc_lo
	s_delay_alu instid0(VALU_DEP_2) | instskip(SKIP_1) | instid1(VALU_DEP_2)
	v_add_co_u32 v17, vcc_lo, 0, v16
	s_waitcnt lgkmcnt(0)
	v_add_co_ci_u32_e32 v18, vcc_lo, v20, v18, vcc_lo
.LBB132_58:
	s_or_b32 exec_lo, exec_lo, s11
	v_cmp_gt_u32_e32 vcc_lo, 28, v42
	v_add_nc_u32_e32 v50, 4, v42
	s_mov_b32 s11, exec_lo
	s_waitcnt lgkmcnt(0)
	v_cndmask_b32_e64 v20, 0, 1, vcc_lo
	s_delay_alu instid0(VALU_DEP_1) | instskip(NEXT) | instid1(VALU_DEP_1)
	v_lshlrev_b32_e32 v20, 2, v20
	v_add_lshl_u32 v49, v20, v42, 2
	ds_bpermute_b32 v26, v49, v16
	ds_bpermute_b32 v20, v49, v18
	v_cmpx_le_u32_e64 v50, v15
	;; [unrolled: 22-line block ×4, first 2 shown]
	s_cbranch_execz .LBB132_64
; %bb.63:
	s_waitcnt lgkmcnt(1)
	v_add_co_u32 v15, vcc_lo, v17, v20
	v_add_co_ci_u32_e32 v18, vcc_lo, 0, v18, vcc_lo
	s_delay_alu instid0(VALU_DEP_2) | instskip(SKIP_1) | instid1(VALU_DEP_2)
	v_add_co_u32 v17, vcc_lo, v15, 0
	s_waitcnt lgkmcnt(0)
	v_add_co_ci_u32_e32 v18, vcc_lo, v18, v16, vcc_lo
.LBB132_64:
	s_or_b32 exec_lo, exec_lo, s11
	v_mov_b32_e32 v26, 0
	s_branch .LBB132_66
.LBB132_65:                             ;   in Loop: Header=BB132_66 Depth=1
	s_or_b32 exec_lo, exec_lo, s11
	v_add_co_u32 v17, vcc_lo, v17, v15
	v_subrev_nc_u32_e32 v25, 32, v25
	v_add_co_ci_u32_e32 v18, vcc_lo, v18, v16, vcc_lo
.LBB132_66:                             ; =>This Loop Header: Depth=1
                                        ;     Child Loop BB132_69 Depth 2
                                        ;       Child Loop BB132_70 Depth 3
	v_and_b32_e32 v15, 0xff, v19
	s_delay_alu instid0(VALU_DEP_1) | instskip(SKIP_2) | instid1(VALU_DEP_1)
	v_cmp_ne_u16_e32 vcc_lo, 2, v15
	v_cndmask_b32_e64 v15, 0, 1, vcc_lo
	;;#ASMSTART
	;;#ASMEND
	v_cmp_ne_u32_e32 vcc_lo, 0, v15
	s_waitcnt lgkmcnt(0)
	v_dual_mov_b32 v15, v17 :: v_dual_mov_b32 v16, v18
	s_cmp_lg_u32 vcc_lo, exec_lo
	s_cbranch_scc1 .LBB132_83
; %bb.67:                               ;   in Loop: Header=BB132_66 Depth=1
	v_lshlrev_b64 v[17:18], 4, v[25:26]
	s_mov_b32 s11, exec_lo
	s_delay_alu instid0(VALU_DEP_1) | instskip(NEXT) | instid1(VALU_DEP_2)
	v_add_co_u32 v27, vcc_lo, s14, v17
	v_add_co_ci_u32_e32 v28, vcc_lo, s15, v18, vcc_lo
	;;#ASMSTART
	global_load_dwordx4 v[17:20], v[27:28] off glc	
s_waitcnt vmcnt(0)
	;;#ASMEND
	v_and_b32_e32 v20, 0xff, v18
	v_and_b32_e32 v55, 0xff00, v18
	v_or3_b32 v17, v17, 0, 0
	v_and_b32_e32 v56, 0xff000000, v18
	v_and_b32_e32 v18, 0xff0000, v18
	s_delay_alu instid0(VALU_DEP_4) | instskip(SKIP_2) | instid1(VALU_DEP_3)
	v_or3_b32 v20, 0, v20, v55
	v_and_b32_e32 v55, 0xff, v19
	v_or3_b32 v17, v17, 0, 0
	v_or3_b32 v18, v20, v18, v56
	s_delay_alu instid0(VALU_DEP_3)
	v_cmpx_eq_u16_e32 0, v55
	s_cbranch_execz .LBB132_73
; %bb.68:                               ;   in Loop: Header=BB132_66 Depth=1
	s_mov_b32 s17, 1
	s_mov_b32 s16, 0
	.p2align	6
.LBB132_69:                             ;   Parent Loop BB132_66 Depth=1
                                        ; =>  This Loop Header: Depth=2
                                        ;       Child Loop BB132_70 Depth 3
	s_max_u32 s18, s17, 1
.LBB132_70:                             ;   Parent Loop BB132_66 Depth=1
                                        ;     Parent Loop BB132_69 Depth=2
                                        ; =>    This Inner Loop Header: Depth=3
	s_delay_alu instid0(SALU_CYCLE_1)
	s_add_i32 s18, s18, -1
	s_sleep 1
	s_cmp_eq_u32 s18, 0
	s_cbranch_scc0 .LBB132_70
; %bb.71:                               ;   in Loop: Header=BB132_69 Depth=2
	;;#ASMSTART
	global_load_dwordx4 v[17:20], v[27:28] off glc	
s_waitcnt vmcnt(0)
	;;#ASMEND
	v_and_b32_e32 v20, 0xff, v19
	s_cmp_lt_u32 s17, 32
	s_cselect_b32 s18, -1, 0
	s_delay_alu instid0(SALU_CYCLE_1) | instskip(NEXT) | instid1(VALU_DEP_1)
	s_cmp_lg_u32 s18, 0
	v_cmp_ne_u16_e32 vcc_lo, 0, v20
	s_addc_u32 s17, s17, 0
	s_or_b32 s16, vcc_lo, s16
	s_delay_alu instid0(SALU_CYCLE_1)
	s_and_not1_b32 exec_lo, exec_lo, s16
	s_cbranch_execnz .LBB132_69
; %bb.72:                               ;   in Loop: Header=BB132_66 Depth=1
	s_or_b32 exec_lo, exec_lo, s16
.LBB132_73:                             ;   in Loop: Header=BB132_66 Depth=1
	s_delay_alu instid0(SALU_CYCLE_1)
	s_or_b32 exec_lo, exec_lo, s11
	v_dual_mov_b32 v27, v17 :: v_dual_and_b32 v20, 0xff, v19
	ds_bpermute_b32 v55, v45, v17
	ds_bpermute_b32 v28, v45, v18
	s_mov_b32 s11, exec_lo
	v_cmp_eq_u16_e32 vcc_lo, 2, v20
	v_and_or_b32 v20, vcc_lo, v46, 0x80000000
	s_delay_alu instid0(VALU_DEP_1) | instskip(NEXT) | instid1(VALU_DEP_1)
	v_ctz_i32_b32_e32 v20, v20
	v_cmpx_lt_u32_e64 v42, v20
	s_cbranch_execz .LBB132_75
; %bb.74:                               ;   in Loop: Header=BB132_66 Depth=1
	s_waitcnt lgkmcnt(1)
	v_add_co_u32 v27, vcc_lo, v17, v55
	v_add_co_ci_u32_e32 v18, vcc_lo, 0, v18, vcc_lo
	s_delay_alu instid0(VALU_DEP_2) | instskip(SKIP_1) | instid1(VALU_DEP_2)
	v_add_co_u32 v17, vcc_lo, 0, v27
	s_waitcnt lgkmcnt(0)
	v_add_co_ci_u32_e32 v18, vcc_lo, v28, v18, vcc_lo
.LBB132_75:                             ;   in Loop: Header=BB132_66 Depth=1
	s_or_b32 exec_lo, exec_lo, s11
	s_waitcnt lgkmcnt(1)
	ds_bpermute_b32 v55, v47, v27
	s_waitcnt lgkmcnt(1)
	ds_bpermute_b32 v28, v47, v18
	s_mov_b32 s11, exec_lo
	v_cmpx_le_u32_e64 v48, v20
	s_cbranch_execz .LBB132_77
; %bb.76:                               ;   in Loop: Header=BB132_66 Depth=1
	s_waitcnt lgkmcnt(1)
	v_add_co_u32 v27, vcc_lo, v17, v55
	v_add_co_ci_u32_e32 v18, vcc_lo, 0, v18, vcc_lo
	s_delay_alu instid0(VALU_DEP_2) | instskip(SKIP_1) | instid1(VALU_DEP_2)
	v_add_co_u32 v17, vcc_lo, 0, v27
	s_waitcnt lgkmcnt(0)
	v_add_co_ci_u32_e32 v18, vcc_lo, v28, v18, vcc_lo
.LBB132_77:                             ;   in Loop: Header=BB132_66 Depth=1
	s_or_b32 exec_lo, exec_lo, s11
	s_waitcnt lgkmcnt(1)
	ds_bpermute_b32 v55, v49, v27
	s_waitcnt lgkmcnt(1)
	ds_bpermute_b32 v28, v49, v18
	s_mov_b32 s11, exec_lo
	v_cmpx_le_u32_e64 v50, v20
	;; [unrolled: 17-line block ×3, first 2 shown]
	s_cbranch_execz .LBB132_81
; %bb.80:                               ;   in Loop: Header=BB132_66 Depth=1
	s_waitcnt lgkmcnt(1)
	v_add_co_u32 v27, vcc_lo, v17, v55
	v_add_co_ci_u32_e32 v18, vcc_lo, 0, v18, vcc_lo
	s_delay_alu instid0(VALU_DEP_2) | instskip(SKIP_1) | instid1(VALU_DEP_2)
	v_add_co_u32 v17, vcc_lo, 0, v27
	s_waitcnt lgkmcnt(0)
	v_add_co_ci_u32_e32 v18, vcc_lo, v28, v18, vcc_lo
.LBB132_81:                             ;   in Loop: Header=BB132_66 Depth=1
	s_or_b32 exec_lo, exec_lo, s11
	s_waitcnt lgkmcnt(0)
	ds_bpermute_b32 v28, v53, v27
	ds_bpermute_b32 v27, v53, v18
	s_mov_b32 s11, exec_lo
	v_cmpx_le_u32_e64 v54, v20
	s_cbranch_execz .LBB132_65
; %bb.82:                               ;   in Loop: Header=BB132_66 Depth=1
	s_waitcnt lgkmcnt(1)
	v_add_co_u32 v17, vcc_lo, v17, v28
	v_add_co_ci_u32_e32 v18, vcc_lo, 0, v18, vcc_lo
	s_delay_alu instid0(VALU_DEP_2) | instskip(SKIP_1) | instid1(VALU_DEP_2)
	v_add_co_u32 v17, vcc_lo, v17, 0
	s_waitcnt lgkmcnt(0)
	v_add_co_ci_u32_e32 v18, vcc_lo, v18, v27, vcc_lo
	s_branch .LBB132_65
.LBB132_83:                             ;   in Loop: Header=BB132_66 Depth=1
                                        ; implicit-def: $vgpr17_vgpr18
	s_cbranch_execz .LBB132_66
; %bb.84:
	s_and_saveexec_b32 s11, s1
	s_cbranch_execz .LBB132_86
; %bb.85:
	s_add_i32 s16, s9, 32
	s_mov_b32 s17, 0
	v_add_co_u32 v17, vcc_lo, v15, v13
	s_lshl_b64 s[16:17], s[16:17], 4
	v_dual_mov_b32 v19, 2 :: v_dual_mov_b32 v20, 0
	s_add_u32 s16, s14, s16
	s_addc_u32 s17, s15, s17
	v_add_co_ci_u32_e32 v18, vcc_lo, v16, v14, vcc_lo
	v_dual_mov_b32 v26, s17 :: v_dual_mov_b32 v25, s16
	;;#ASMSTART
	global_store_dwordx4 v[25:26], v[17:20] off	
s_waitcnt vmcnt(0)
	;;#ASMEND
	ds_store_b128 v20, v[13:16] offset:6144
.LBB132_86:
	s_or_b32 exec_lo, exec_lo, s11
	s_delay_alu instid0(SALU_CYCLE_1)
	s_and_b32 exec_lo, exec_lo, s2
	s_cbranch_execz .LBB132_88
; %bb.87:
	v_mov_b32_e32 v13, 0
	ds_store_b64 v13, v[15:16] offset:24
.LBB132_88:
	s_or_b32 exec_lo, exec_lo, s10
	v_mov_b32_e32 v15, 0
	s_waitcnt lgkmcnt(0)
	s_barrier
	buffer_gl0_inv
	v_cndmask_b32_e64 v16, v29, v23, s1
	ds_load_b64 v[13:14], v15 offset:24
	v_cndmask_b32_e64 v17, v30, v24, s1
	s_waitcnt lgkmcnt(0)
	s_barrier
	v_cndmask_b32_e64 v16, v16, 0, s2
	buffer_gl0_inv
	v_cndmask_b32_e64 v17, v17, 0, s2
	v_add_co_u32 v29, vcc_lo, v13, v16
	s_delay_alu instid0(VALU_DEP_2) | instskip(SKIP_3) | instid1(VALU_DEP_2)
	v_add_co_ci_u32_e32 v30, vcc_lo, v14, v17, vcc_lo
	ds_load_b128 v[13:16], v15 offset:6144
	v_add_co_u32 v27, vcc_lo, v29, v41
	v_add_co_ci_u32_e32 v28, vcc_lo, 0, v30, vcc_lo
	v_add_co_u32 v25, vcc_lo, v27, v40
	s_delay_alu instid0(VALU_DEP_2) | instskip(NEXT) | instid1(VALU_DEP_2)
	v_add_co_ci_u32_e32 v26, vcc_lo, 0, v28, vcc_lo
	v_add_co_u32 v23, vcc_lo, v25, v39
	s_delay_alu instid0(VALU_DEP_2) | instskip(NEXT) | instid1(VALU_DEP_2)
	;; [unrolled: 3-line block ×3, first 2 shown]
	v_add_co_ci_u32_e32 v20, vcc_lo, 0, v24, vcc_lo
	v_add_co_u32 v17, vcc_lo, v19, v37
	s_delay_alu instid0(VALU_DEP_2)
	v_add_co_ci_u32_e32 v18, vcc_lo, 0, v20, vcc_lo
.LBB132_89:
	s_waitcnt lgkmcnt(0)
	v_cmp_gt_u64_e32 vcc_lo, 0x81, v[13:14]
	s_mov_b32 s0, -1
	s_cbranch_vccnz .LBB132_117
.LBB132_90:
	s_and_b32 vcc_lo, exec_lo, s0
	s_cbranch_vccnz .LBB132_136
.LBB132_91:
	s_and_b32 s0, s2, s3
	s_delay_alu instid0(SALU_CYCLE_1)
	s_and_saveexec_b32 s1, s0
	s_cbranch_execnz .LBB132_152
.LBB132_92:
	s_nop 0
	s_sendmsg sendmsg(MSG_DEALLOC_VGPRS)
	s_endpgm
.LBB132_93:
                                        ; kill: def $vgpr13_vgpr14 killed $sgpr0_sgpr1 killed $exec
                                        ; implicit-def: $vgpr17_vgpr18
                                        ; implicit-def: $vgpr19_vgpr20
                                        ; implicit-def: $vgpr23_vgpr24
                                        ; implicit-def: $vgpr25_vgpr26
                                        ; implicit-def: $vgpr27_vgpr28
                                        ; implicit-def: $vgpr29_vgpr30
                                        ; implicit-def: $vgpr15_vgpr16
	s_and_b32 vcc_lo, exec_lo, s1
	s_cbranch_vccz .LBB132_89
; %bb.94:
	s_waitcnt lgkmcnt(0)
	v_dual_mov_b32 v14, 0 :: v_dual_mov_b32 v15, v21
	v_mov_b32_dpp v16, v21 row_shr:1 row_mask:0xf bank_mask:0xf
	s_delay_alu instid0(VALU_DEP_2)
	v_mov_b32_dpp v13, v14 row_shr:1 row_mask:0xf bank_mask:0xf
	s_and_saveexec_b32 s1, s0
; %bb.95:
	s_delay_alu instid0(VALU_DEP_2) | instskip(SKIP_1) | instid1(VALU_DEP_2)
	v_add_co_u32 v15, vcc_lo, v21, v16
	v_add_co_ci_u32_e32 v14, vcc_lo, 0, v22, vcc_lo
	v_add_co_u32 v21, vcc_lo, 0, v15
	s_delay_alu instid0(VALU_DEP_2) | instskip(NEXT) | instid1(VALU_DEP_1)
	v_add_co_ci_u32_e32 v22, vcc_lo, v13, v14, vcc_lo
	v_mov_b32_e32 v14, v22
; %bb.96:
	s_or_b32 exec_lo, exec_lo, s1
	v_mov_b32_dpp v13, v15 row_shr:2 row_mask:0xf bank_mask:0xf
	s_delay_alu instid0(VALU_DEP_2)
	v_mov_b32_dpp v16, v14 row_shr:2 row_mask:0xf bank_mask:0xf
	s_mov_b32 s0, exec_lo
	v_cmpx_lt_u32_e32 1, v44
; %bb.97:
	s_delay_alu instid0(VALU_DEP_3) | instskip(SKIP_1) | instid1(VALU_DEP_2)
	v_add_co_u32 v15, vcc_lo, v21, v13
	v_add_co_ci_u32_e32 v14, vcc_lo, 0, v22, vcc_lo
	v_add_co_u32 v13, vcc_lo, 0, v15
	s_delay_alu instid0(VALU_DEP_2) | instskip(NEXT) | instid1(VALU_DEP_1)
	v_add_co_ci_u32_e32 v14, vcc_lo, v16, v14, vcc_lo
	v_dual_mov_b32 v22, v14 :: v_dual_mov_b32 v21, v13
; %bb.98:
	s_or_b32 exec_lo, exec_lo, s0
	v_mov_b32_dpp v13, v15 row_shr:4 row_mask:0xf bank_mask:0xf
	v_mov_b32_dpp v16, v14 row_shr:4 row_mask:0xf bank_mask:0xf
	s_mov_b32 s0, exec_lo
	v_cmpx_lt_u32_e32 3, v44
; %bb.99:
	s_delay_alu instid0(VALU_DEP_3) | instskip(SKIP_1) | instid1(VALU_DEP_2)
	v_add_co_u32 v15, vcc_lo, v21, v13
	v_add_co_ci_u32_e32 v14, vcc_lo, 0, v22, vcc_lo
	v_add_co_u32 v13, vcc_lo, 0, v15
	s_delay_alu instid0(VALU_DEP_2) | instskip(NEXT) | instid1(VALU_DEP_1)
	v_add_co_ci_u32_e32 v14, vcc_lo, v16, v14, vcc_lo
	v_dual_mov_b32 v22, v14 :: v_dual_mov_b32 v21, v13
; %bb.100:
	s_or_b32 exec_lo, exec_lo, s0
	v_mov_b32_dpp v16, v15 row_shr:8 row_mask:0xf bank_mask:0xf
	v_mov_b32_dpp v13, v14 row_shr:8 row_mask:0xf bank_mask:0xf
	s_mov_b32 s0, exec_lo
	v_cmpx_lt_u32_e32 7, v44
; %bb.101:
	s_delay_alu instid0(VALU_DEP_3) | instskip(SKIP_1) | instid1(VALU_DEP_2)
	v_add_co_u32 v15, vcc_lo, v21, v16
	v_add_co_ci_u32_e32 v14, vcc_lo, 0, v22, vcc_lo
	v_add_co_u32 v21, vcc_lo, 0, v15
	s_delay_alu instid0(VALU_DEP_2) | instskip(NEXT) | instid1(VALU_DEP_1)
	v_add_co_ci_u32_e32 v22, vcc_lo, v13, v14, vcc_lo
	v_mov_b32_e32 v14, v22
; %bb.102:
	s_or_b32 exec_lo, exec_lo, s0
	ds_swizzle_b32 v15, v15 offset:swizzle(BROADCAST,32,15)
	ds_swizzle_b32 v13, v14 offset:swizzle(BROADCAST,32,15)
	v_and_b32_e32 v14, 16, v42
	s_mov_b32 s0, exec_lo
	s_delay_alu instid0(VALU_DEP_1)
	v_cmpx_ne_u32_e32 0, v14
	s_cbranch_execz .LBB132_104
; %bb.103:
	s_waitcnt lgkmcnt(1)
	v_add_co_u32 v14, vcc_lo, v21, v15
	v_add_co_ci_u32_e32 v15, vcc_lo, 0, v22, vcc_lo
	s_delay_alu instid0(VALU_DEP_2) | instskip(SKIP_1) | instid1(VALU_DEP_2)
	v_add_co_u32 v21, vcc_lo, v14, 0
	s_waitcnt lgkmcnt(0)
	v_add_co_ci_u32_e32 v22, vcc_lo, v15, v13, vcc_lo
.LBB132_104:
	s_or_b32 exec_lo, exec_lo, s0
	s_waitcnt lgkmcnt(0)
	v_or_b32_e32 v13, 31, v0
	v_lshrrev_b32_e32 v15, 5, v0
	s_mov_b32 s0, exec_lo
	s_delay_alu instid0(VALU_DEP_2)
	v_cmpx_eq_u32_e64 v13, v0
	s_cbranch_execz .LBB132_106
; %bb.105:
	s_delay_alu instid0(VALU_DEP_2)
	v_lshlrev_b32_e32 v13, 3, v15
	ds_store_b64 v13, v[21:22]
.LBB132_106:
	s_or_b32 exec_lo, exec_lo, s0
	s_delay_alu instid0(SALU_CYCLE_1)
	s_mov_b32 s0, exec_lo
	s_waitcnt lgkmcnt(0)
	s_barrier
	buffer_gl0_inv
	v_cmpx_gt_u32_e32 4, v0
	s_cbranch_execz .LBB132_112
; %bb.107:
	v_lshlrev_b32_e32 v13, 1, v0
	s_mov_b32 s1, exec_lo
	s_delay_alu instid0(VALU_DEP_1)
	v_add_nc_u32_e32 v16, v43, v13
	ds_load_b64 v[13:14], v16
	s_waitcnt lgkmcnt(0)
	v_dual_mov_b32 v18, v13 :: v_dual_and_b32 v17, 3, v42
	v_mov_b32_dpp v20, v13 row_shr:1 row_mask:0xf bank_mask:0xf
	v_mov_b32_dpp v19, v14 row_shr:1 row_mask:0xf bank_mask:0xf
	s_delay_alu instid0(VALU_DEP_3)
	v_cmpx_ne_u32_e32 0, v17
; %bb.108:
	s_delay_alu instid0(VALU_DEP_3) | instskip(SKIP_1) | instid1(VALU_DEP_2)
	v_add_co_u32 v18, vcc_lo, v13, v20
	v_add_co_ci_u32_e32 v14, vcc_lo, 0, v14, vcc_lo
	v_add_co_u32 v13, vcc_lo, 0, v18
	s_delay_alu instid0(VALU_DEP_2)
	v_add_co_ci_u32_e32 v14, vcc_lo, v19, v14, vcc_lo
; %bb.109:
	s_or_b32 exec_lo, exec_lo, s1
	v_mov_b32_dpp v19, v18 row_shr:2 row_mask:0xf bank_mask:0xf
	s_delay_alu instid0(VALU_DEP_2)
	v_mov_b32_dpp v18, v14 row_shr:2 row_mask:0xf bank_mask:0xf
	s_mov_b32 s1, exec_lo
	v_cmpx_lt_u32_e32 1, v17
; %bb.110:
	s_delay_alu instid0(VALU_DEP_3) | instskip(SKIP_1) | instid1(VALU_DEP_2)
	v_add_co_u32 v13, vcc_lo, v13, v19
	v_add_co_ci_u32_e32 v14, vcc_lo, 0, v14, vcc_lo
	v_add_co_u32 v13, vcc_lo, v13, 0
	s_delay_alu instid0(VALU_DEP_2)
	v_add_co_ci_u32_e32 v14, vcc_lo, v14, v18, vcc_lo
; %bb.111:
	s_or_b32 exec_lo, exec_lo, s1
	ds_store_b64 v16, v[13:14]
.LBB132_112:
	s_or_b32 exec_lo, exec_lo, s0
	v_mov_b32_e32 v17, 0
	v_mov_b32_e32 v18, 0
	s_mov_b32 s0, exec_lo
	s_waitcnt lgkmcnt(0)
	s_barrier
	buffer_gl0_inv
	v_cmpx_lt_u32_e32 31, v0
	s_cbranch_execz .LBB132_114
; %bb.113:
	v_lshl_add_u32 v13, v15, 3, -8
	ds_load_b64 v[17:18], v13
.LBB132_114:
	s_or_b32 exec_lo, exec_lo, s0
	v_dual_mov_b32 v16, 0 :: v_dual_add_nc_u32 v13, -1, v42
	s_delay_alu instid0(VALU_DEP_1) | instskip(SKIP_4) | instid1(VALU_DEP_3)
	v_cmp_gt_i32_e32 vcc_lo, 0, v13
	v_cndmask_b32_e32 v13, v13, v42, vcc_lo
	s_waitcnt lgkmcnt(0)
	v_add_co_u32 v14, vcc_lo, v17, v21
	v_add_co_ci_u32_e32 v15, vcc_lo, v18, v22, vcc_lo
	v_lshlrev_b32_e32 v13, 2, v13
	ds_bpermute_b32 v19, v13, v14
	ds_bpermute_b32 v20, v13, v15
	ds_load_b64 v[13:14], v16 offset:24
	s_and_saveexec_b32 s0, s2
	s_cbranch_execz .LBB132_116
; %bb.115:
	s_add_u32 s10, s14, 0x200
	s_addc_u32 s11, s15, 0
	s_delay_alu instid0(SALU_CYCLE_1)
	v_dual_mov_b32 v15, 2 :: v_dual_mov_b32 v22, s11
	v_mov_b32_e32 v21, s10
	s_waitcnt lgkmcnt(0)
	;;#ASMSTART
	global_store_dwordx4 v[21:22], v[13:16] off	
s_waitcnt vmcnt(0)
	;;#ASMEND
.LBB132_116:
	s_or_b32 exec_lo, exec_lo, s0
	v_cmp_eq_u32_e32 vcc_lo, 0, v42
	s_waitcnt lgkmcnt(0)
	s_barrier
	buffer_gl0_inv
	v_dual_cndmask_b32 v15, v19, v17 :: v_dual_cndmask_b32 v16, v20, v18
	s_delay_alu instid0(VALU_DEP_1) | instskip(NEXT) | instid1(VALU_DEP_2)
	v_cndmask_b32_e64 v29, v15, 0, s2
	v_cndmask_b32_e64 v30, v16, 0, s2
	v_mov_b32_e32 v15, 0
	v_mov_b32_e32 v16, 0
	s_delay_alu instid0(VALU_DEP_4) | instskip(NEXT) | instid1(VALU_DEP_4)
	v_add_co_u32 v27, vcc_lo, v29, v41
	v_add_co_ci_u32_e32 v28, vcc_lo, 0, v30, vcc_lo
	s_delay_alu instid0(VALU_DEP_2) | instskip(NEXT) | instid1(VALU_DEP_2)
	v_add_co_u32 v25, vcc_lo, v27, v40
	v_add_co_ci_u32_e32 v26, vcc_lo, 0, v28, vcc_lo
	s_delay_alu instid0(VALU_DEP_2) | instskip(NEXT) | instid1(VALU_DEP_2)
	;; [unrolled: 3-line block ×4, first 2 shown]
	v_add_co_u32 v17, vcc_lo, v19, v37
	v_add_co_ci_u32_e32 v18, vcc_lo, 0, v20, vcc_lo
	v_cmp_gt_u64_e32 vcc_lo, 0x81, v[13:14]
	s_mov_b32 s0, -1
	s_cbranch_vccz .LBB132_90
.LBB132_117:
	v_add_co_u32 v21, vcc_lo, v15, v13
	v_add_co_ci_u32_e32 v22, vcc_lo, v16, v14, vcc_lo
	s_delay_alu instid0(VALU_DEP_1) | instskip(SKIP_1) | instid1(SALU_CYCLE_1)
	v_cmp_lt_u64_e32 vcc_lo, v[29:30], v[21:22]
	s_or_b32 s1, s8, vcc_lo
	s_and_saveexec_b32 s0, s1
	s_cbranch_execz .LBB132_120
; %bb.118:
	v_and_b32_e32 v37, 1, v36
	s_delay_alu instid0(VALU_DEP_1)
	v_cmp_eq_u32_e32 vcc_lo, 1, v37
	s_and_b32 exec_lo, exec_lo, vcc_lo
	s_cbranch_execz .LBB132_120
; %bb.119:
	v_lshlrev_b64 v[37:38], 3, v[29:30]
	s_lshl_b64 s[10:11], s[6:7], 3
	s_delay_alu instid0(SALU_CYCLE_1) | instskip(SKIP_1) | instid1(VALU_DEP_1)
	s_add_u32 s1, s12, s10
	s_addc_u32 s9, s13, s11
	v_add_co_u32 v37, vcc_lo, s1, v37
	s_delay_alu instid0(VALU_DEP_2)
	v_add_co_ci_u32_e32 v38, vcc_lo, s9, v38, vcc_lo
	global_store_b64 v[37:38], v[9:10], off
.LBB132_120:
	s_or_b32 exec_lo, exec_lo, s0
	v_cmp_lt_u64_e32 vcc_lo, v[27:28], v[21:22]
	s_or_b32 s1, s8, vcc_lo
	s_delay_alu instid0(SALU_CYCLE_1)
	s_and_saveexec_b32 s0, s1
	s_cbranch_execz .LBB132_123
; %bb.121:
	v_and_b32_e32 v30, 1, v34
	s_delay_alu instid0(VALU_DEP_1)
	v_cmp_eq_u32_e32 vcc_lo, 1, v30
	s_and_b32 exec_lo, exec_lo, vcc_lo
	s_cbranch_execz .LBB132_123
; %bb.122:
	v_lshlrev_b64 v[37:38], 3, v[27:28]
	s_lshl_b64 s[10:11], s[6:7], 3
	s_delay_alu instid0(SALU_CYCLE_1) | instskip(SKIP_1) | instid1(VALU_DEP_1)
	s_add_u32 s1, s12, s10
	s_addc_u32 s9, s13, s11
	v_add_co_u32 v37, vcc_lo, s1, v37
	s_delay_alu instid0(VALU_DEP_2)
	v_add_co_ci_u32_e32 v38, vcc_lo, s9, v38, vcc_lo
	global_store_b64 v[37:38], v[11:12], off
.LBB132_123:
	s_or_b32 exec_lo, exec_lo, s0
	v_cmp_lt_u64_e32 vcc_lo, v[25:26], v[21:22]
	s_or_b32 s1, s8, vcc_lo
	s_delay_alu instid0(SALU_CYCLE_1)
	;; [unrolled: 23-line block ×5, first 2 shown]
	s_and_saveexec_b32 s0, s1
	s_cbranch_execz .LBB132_135
; %bb.133:
	v_and_b32_e32 v20, 1, v32
	s_delay_alu instid0(VALU_DEP_1)
	v_cmp_eq_u32_e32 vcc_lo, 1, v20
	s_and_b32 exec_lo, exec_lo, vcc_lo
	s_cbranch_execz .LBB132_135
; %bb.134:
	v_lshlrev_b64 v[20:21], 3, v[17:18]
	s_lshl_b64 s[8:9], s[6:7], 3
	s_delay_alu instid0(SALU_CYCLE_1) | instskip(SKIP_1) | instid1(VALU_DEP_1)
	s_add_u32 s1, s12, s8
	s_addc_u32 s8, s13, s9
	v_add_co_u32 v20, vcc_lo, s1, v20
	s_delay_alu instid0(VALU_DEP_2)
	v_add_co_ci_u32_e32 v21, vcc_lo, s8, v21, vcc_lo
	global_store_b64 v[20:21], v[3:4], off
.LBB132_135:
	s_or_b32 exec_lo, exec_lo, s0
	s_branch .LBB132_91
.LBB132_136:
	v_and_b32_e32 v18, 1, v36
	s_mov_b32 s0, exec_lo
	s_delay_alu instid0(VALU_DEP_1)
	v_cmpx_eq_u32_e32 1, v18
	s_cbranch_execz .LBB132_138
; %bb.137:
	v_sub_nc_u32_e32 v18, v29, v15
	s_delay_alu instid0(VALU_DEP_1)
	v_lshlrev_b32_e32 v18, 3, v18
	ds_store_b64 v18, v[9:10]
.LBB132_138:
	s_or_b32 exec_lo, exec_lo, s0
	v_and_b32_e32 v9, 1, v34
	s_mov_b32 s0, exec_lo
	s_delay_alu instid0(VALU_DEP_1)
	v_cmpx_eq_u32_e32 1, v9
	s_cbranch_execz .LBB132_140
; %bb.139:
	v_sub_nc_u32_e32 v9, v27, v15
	s_delay_alu instid0(VALU_DEP_1)
	v_lshlrev_b32_e32 v9, 3, v9
	ds_store_b64 v9, v[11:12]
.LBB132_140:
	s_or_b32 exec_lo, exec_lo, s0
	;; [unrolled: 12-line block ×6, first 2 shown]
	v_mov_b32_e32 v1, 0
	s_mov_b32 s1, exec_lo
	s_waitcnt lgkmcnt(0)
	s_waitcnt_vscnt null, 0x0
	s_barrier
	buffer_gl0_inv
	v_cmpx_gt_u64_e64 v[13:14], v[0:1]
	s_cbranch_execz .LBB132_151
; %bb.149:
	v_lshlrev_b64 v[4:5], 3, v[15:16]
	s_lshl_b64 s[8:9], s[6:7], 3
	v_dual_mov_b32 v3, v1 :: v_dual_mov_b32 v2, v0
	v_or_b32_e32 v0, 0x80, v0
	s_delay_alu instid0(VALU_DEP_3) | instskip(NEXT) | instid1(VALU_DEP_4)
	v_add_co_u32 v4, vcc_lo, s12, v4
	v_add_co_ci_u32_e32 v5, vcc_lo, s13, v5, vcc_lo
	s_delay_alu instid0(VALU_DEP_2) | instskip(NEXT) | instid1(VALU_DEP_2)
	v_add_co_u32 v4, vcc_lo, v4, s8
	v_add_co_ci_u32_e32 v5, vcc_lo, s9, v5, vcc_lo
	s_mov_b32 s8, 0
	.p2align	6
.LBB132_150:                            ; =>This Inner Loop Header: Depth=1
	v_lshlrev_b32_e32 v6, 3, v2
	v_lshlrev_b64 v[8:9], 3, v[2:3]
	v_mov_b32_e32 v3, v1
	v_cmp_le_u64_e32 vcc_lo, v[13:14], v[0:1]
	v_mov_b32_e32 v2, v0
	ds_load_b64 v[6:7], v6
	v_add_nc_u32_e32 v0, 0x80, v0
	v_add_co_u32 v8, s0, v4, v8
	s_delay_alu instid0(VALU_DEP_1)
	v_add_co_ci_u32_e64 v9, s0, v5, v9, s0
	s_or_b32 s8, vcc_lo, s8
	s_waitcnt lgkmcnt(0)
	global_store_b64 v[8:9], v[6:7], off
	s_and_not1_b32 exec_lo, exec_lo, s8
	s_cbranch_execnz .LBB132_150
.LBB132_151:
	s_or_b32 exec_lo, exec_lo, s1
	s_and_b32 s0, s2, s3
	s_delay_alu instid0(SALU_CYCLE_1)
	s_and_saveexec_b32 s1, s0
	s_cbranch_execz .LBB132_92
.LBB132_152:
	v_add_co_u32 v0, vcc_lo, v15, v13
	v_add_co_ci_u32_e32 v1, vcc_lo, v16, v14, vcc_lo
	v_mov_b32_e32 v2, 0
	s_delay_alu instid0(VALU_DEP_3) | instskip(NEXT) | instid1(VALU_DEP_3)
	v_add_co_u32 v0, vcc_lo, v0, s6
	v_add_co_ci_u32_e32 v1, vcc_lo, s7, v1, vcc_lo
	global_store_b64 v2, v[0:1], s[4:5]
	s_nop 0
	s_sendmsg sendmsg(MSG_DEALLOC_VGPRS)
	s_endpgm
	.section	.rodata,"a",@progbits
	.p2align	6, 0x0
	.amdhsa_kernel _ZN7rocprim17ROCPRIM_400000_NS6detail17trampoline_kernelINS0_14default_configENS1_25partition_config_selectorILNS1_17partition_subalgoE5ElNS0_10empty_typeEbEEZZNS1_14partition_implILS5_5ELb0ES3_mN6hipcub16HIPCUB_304000_NS21CountingInputIteratorIllEEPS6_NSA_22TransformInputIteratorIbN2at6native12_GLOBAL__N_19NonZeroOpIaEEPKalEENS0_5tupleIJPlS6_EEENSN_IJSD_SD_EEES6_PiJS6_EEE10hipError_tPvRmT3_T4_T5_T6_T7_T9_mT8_P12ihipStream_tbDpT10_ENKUlT_T0_E_clISt17integral_constantIbLb1EES1B_EEDaS16_S17_EUlS16_E_NS1_11comp_targetILNS1_3genE9ELNS1_11target_archE1100ELNS1_3gpuE3ELNS1_3repE0EEENS1_30default_config_static_selectorELNS0_4arch9wavefront6targetE0EEEvT1_
		.amdhsa_group_segment_fixed_size 6160
		.amdhsa_private_segment_fixed_size 0
		.amdhsa_kernarg_size 136
		.amdhsa_user_sgpr_count 15
		.amdhsa_user_sgpr_dispatch_ptr 0
		.amdhsa_user_sgpr_queue_ptr 0
		.amdhsa_user_sgpr_kernarg_segment_ptr 1
		.amdhsa_user_sgpr_dispatch_id 0
		.amdhsa_user_sgpr_private_segment_size 0
		.amdhsa_wavefront_size32 1
		.amdhsa_uses_dynamic_stack 0
		.amdhsa_enable_private_segment 0
		.amdhsa_system_sgpr_workgroup_id_x 1
		.amdhsa_system_sgpr_workgroup_id_y 0
		.amdhsa_system_sgpr_workgroup_id_z 0
		.amdhsa_system_sgpr_workgroup_info 0
		.amdhsa_system_vgpr_workitem_id 0
		.amdhsa_next_free_vgpr 57
		.amdhsa_next_free_sgpr 23
		.amdhsa_reserve_vcc 1
		.amdhsa_float_round_mode_32 0
		.amdhsa_float_round_mode_16_64 0
		.amdhsa_float_denorm_mode_32 3
		.amdhsa_float_denorm_mode_16_64 3
		.amdhsa_dx10_clamp 1
		.amdhsa_ieee_mode 1
		.amdhsa_fp16_overflow 0
		.amdhsa_workgroup_processor_mode 1
		.amdhsa_memory_ordered 1
		.amdhsa_forward_progress 0
		.amdhsa_shared_vgpr_count 0
		.amdhsa_exception_fp_ieee_invalid_op 0
		.amdhsa_exception_fp_denorm_src 0
		.amdhsa_exception_fp_ieee_div_zero 0
		.amdhsa_exception_fp_ieee_overflow 0
		.amdhsa_exception_fp_ieee_underflow 0
		.amdhsa_exception_fp_ieee_inexact 0
		.amdhsa_exception_int_div_zero 0
	.end_amdhsa_kernel
	.section	.text._ZN7rocprim17ROCPRIM_400000_NS6detail17trampoline_kernelINS0_14default_configENS1_25partition_config_selectorILNS1_17partition_subalgoE5ElNS0_10empty_typeEbEEZZNS1_14partition_implILS5_5ELb0ES3_mN6hipcub16HIPCUB_304000_NS21CountingInputIteratorIllEEPS6_NSA_22TransformInputIteratorIbN2at6native12_GLOBAL__N_19NonZeroOpIaEEPKalEENS0_5tupleIJPlS6_EEENSN_IJSD_SD_EEES6_PiJS6_EEE10hipError_tPvRmT3_T4_T5_T6_T7_T9_mT8_P12ihipStream_tbDpT10_ENKUlT_T0_E_clISt17integral_constantIbLb1EES1B_EEDaS16_S17_EUlS16_E_NS1_11comp_targetILNS1_3genE9ELNS1_11target_archE1100ELNS1_3gpuE3ELNS1_3repE0EEENS1_30default_config_static_selectorELNS0_4arch9wavefront6targetE0EEEvT1_,"axG",@progbits,_ZN7rocprim17ROCPRIM_400000_NS6detail17trampoline_kernelINS0_14default_configENS1_25partition_config_selectorILNS1_17partition_subalgoE5ElNS0_10empty_typeEbEEZZNS1_14partition_implILS5_5ELb0ES3_mN6hipcub16HIPCUB_304000_NS21CountingInputIteratorIllEEPS6_NSA_22TransformInputIteratorIbN2at6native12_GLOBAL__N_19NonZeroOpIaEEPKalEENS0_5tupleIJPlS6_EEENSN_IJSD_SD_EEES6_PiJS6_EEE10hipError_tPvRmT3_T4_T5_T6_T7_T9_mT8_P12ihipStream_tbDpT10_ENKUlT_T0_E_clISt17integral_constantIbLb1EES1B_EEDaS16_S17_EUlS16_E_NS1_11comp_targetILNS1_3genE9ELNS1_11target_archE1100ELNS1_3gpuE3ELNS1_3repE0EEENS1_30default_config_static_selectorELNS0_4arch9wavefront6targetE0EEEvT1_,comdat
.Lfunc_end132:
	.size	_ZN7rocprim17ROCPRIM_400000_NS6detail17trampoline_kernelINS0_14default_configENS1_25partition_config_selectorILNS1_17partition_subalgoE5ElNS0_10empty_typeEbEEZZNS1_14partition_implILS5_5ELb0ES3_mN6hipcub16HIPCUB_304000_NS21CountingInputIteratorIllEEPS6_NSA_22TransformInputIteratorIbN2at6native12_GLOBAL__N_19NonZeroOpIaEEPKalEENS0_5tupleIJPlS6_EEENSN_IJSD_SD_EEES6_PiJS6_EEE10hipError_tPvRmT3_T4_T5_T6_T7_T9_mT8_P12ihipStream_tbDpT10_ENKUlT_T0_E_clISt17integral_constantIbLb1EES1B_EEDaS16_S17_EUlS16_E_NS1_11comp_targetILNS1_3genE9ELNS1_11target_archE1100ELNS1_3gpuE3ELNS1_3repE0EEENS1_30default_config_static_selectorELNS0_4arch9wavefront6targetE0EEEvT1_, .Lfunc_end132-_ZN7rocprim17ROCPRIM_400000_NS6detail17trampoline_kernelINS0_14default_configENS1_25partition_config_selectorILNS1_17partition_subalgoE5ElNS0_10empty_typeEbEEZZNS1_14partition_implILS5_5ELb0ES3_mN6hipcub16HIPCUB_304000_NS21CountingInputIteratorIllEEPS6_NSA_22TransformInputIteratorIbN2at6native12_GLOBAL__N_19NonZeroOpIaEEPKalEENS0_5tupleIJPlS6_EEENSN_IJSD_SD_EEES6_PiJS6_EEE10hipError_tPvRmT3_T4_T5_T6_T7_T9_mT8_P12ihipStream_tbDpT10_ENKUlT_T0_E_clISt17integral_constantIbLb1EES1B_EEDaS16_S17_EUlS16_E_NS1_11comp_targetILNS1_3genE9ELNS1_11target_archE1100ELNS1_3gpuE3ELNS1_3repE0EEENS1_30default_config_static_selectorELNS0_4arch9wavefront6targetE0EEEvT1_
                                        ; -- End function
	.section	.AMDGPU.csdata,"",@progbits
; Kernel info:
; codeLenInByte = 6568
; NumSgprs: 25
; NumVgprs: 57
; ScratchSize: 0
; MemoryBound: 0
; FloatMode: 240
; IeeeMode: 1
; LDSByteSize: 6160 bytes/workgroup (compile time only)
; SGPRBlocks: 3
; VGPRBlocks: 7
; NumSGPRsForWavesPerEU: 25
; NumVGPRsForWavesPerEU: 57
; Occupancy: 16
; WaveLimiterHint : 1
; COMPUTE_PGM_RSRC2:SCRATCH_EN: 0
; COMPUTE_PGM_RSRC2:USER_SGPR: 15
; COMPUTE_PGM_RSRC2:TRAP_HANDLER: 0
; COMPUTE_PGM_RSRC2:TGID_X_EN: 1
; COMPUTE_PGM_RSRC2:TGID_Y_EN: 0
; COMPUTE_PGM_RSRC2:TGID_Z_EN: 0
; COMPUTE_PGM_RSRC2:TIDIG_COMP_CNT: 0
	.section	.text._ZN7rocprim17ROCPRIM_400000_NS6detail17trampoline_kernelINS0_14default_configENS1_25partition_config_selectorILNS1_17partition_subalgoE5ElNS0_10empty_typeEbEEZZNS1_14partition_implILS5_5ELb0ES3_mN6hipcub16HIPCUB_304000_NS21CountingInputIteratorIllEEPS6_NSA_22TransformInputIteratorIbN2at6native12_GLOBAL__N_19NonZeroOpIaEEPKalEENS0_5tupleIJPlS6_EEENSN_IJSD_SD_EEES6_PiJS6_EEE10hipError_tPvRmT3_T4_T5_T6_T7_T9_mT8_P12ihipStream_tbDpT10_ENKUlT_T0_E_clISt17integral_constantIbLb1EES1B_EEDaS16_S17_EUlS16_E_NS1_11comp_targetILNS1_3genE8ELNS1_11target_archE1030ELNS1_3gpuE2ELNS1_3repE0EEENS1_30default_config_static_selectorELNS0_4arch9wavefront6targetE0EEEvT1_,"axG",@progbits,_ZN7rocprim17ROCPRIM_400000_NS6detail17trampoline_kernelINS0_14default_configENS1_25partition_config_selectorILNS1_17partition_subalgoE5ElNS0_10empty_typeEbEEZZNS1_14partition_implILS5_5ELb0ES3_mN6hipcub16HIPCUB_304000_NS21CountingInputIteratorIllEEPS6_NSA_22TransformInputIteratorIbN2at6native12_GLOBAL__N_19NonZeroOpIaEEPKalEENS0_5tupleIJPlS6_EEENSN_IJSD_SD_EEES6_PiJS6_EEE10hipError_tPvRmT3_T4_T5_T6_T7_T9_mT8_P12ihipStream_tbDpT10_ENKUlT_T0_E_clISt17integral_constantIbLb1EES1B_EEDaS16_S17_EUlS16_E_NS1_11comp_targetILNS1_3genE8ELNS1_11target_archE1030ELNS1_3gpuE2ELNS1_3repE0EEENS1_30default_config_static_selectorELNS0_4arch9wavefront6targetE0EEEvT1_,comdat
	.globl	_ZN7rocprim17ROCPRIM_400000_NS6detail17trampoline_kernelINS0_14default_configENS1_25partition_config_selectorILNS1_17partition_subalgoE5ElNS0_10empty_typeEbEEZZNS1_14partition_implILS5_5ELb0ES3_mN6hipcub16HIPCUB_304000_NS21CountingInputIteratorIllEEPS6_NSA_22TransformInputIteratorIbN2at6native12_GLOBAL__N_19NonZeroOpIaEEPKalEENS0_5tupleIJPlS6_EEENSN_IJSD_SD_EEES6_PiJS6_EEE10hipError_tPvRmT3_T4_T5_T6_T7_T9_mT8_P12ihipStream_tbDpT10_ENKUlT_T0_E_clISt17integral_constantIbLb1EES1B_EEDaS16_S17_EUlS16_E_NS1_11comp_targetILNS1_3genE8ELNS1_11target_archE1030ELNS1_3gpuE2ELNS1_3repE0EEENS1_30default_config_static_selectorELNS0_4arch9wavefront6targetE0EEEvT1_ ; -- Begin function _ZN7rocprim17ROCPRIM_400000_NS6detail17trampoline_kernelINS0_14default_configENS1_25partition_config_selectorILNS1_17partition_subalgoE5ElNS0_10empty_typeEbEEZZNS1_14partition_implILS5_5ELb0ES3_mN6hipcub16HIPCUB_304000_NS21CountingInputIteratorIllEEPS6_NSA_22TransformInputIteratorIbN2at6native12_GLOBAL__N_19NonZeroOpIaEEPKalEENS0_5tupleIJPlS6_EEENSN_IJSD_SD_EEES6_PiJS6_EEE10hipError_tPvRmT3_T4_T5_T6_T7_T9_mT8_P12ihipStream_tbDpT10_ENKUlT_T0_E_clISt17integral_constantIbLb1EES1B_EEDaS16_S17_EUlS16_E_NS1_11comp_targetILNS1_3genE8ELNS1_11target_archE1030ELNS1_3gpuE2ELNS1_3repE0EEENS1_30default_config_static_selectorELNS0_4arch9wavefront6targetE0EEEvT1_
	.p2align	8
	.type	_ZN7rocprim17ROCPRIM_400000_NS6detail17trampoline_kernelINS0_14default_configENS1_25partition_config_selectorILNS1_17partition_subalgoE5ElNS0_10empty_typeEbEEZZNS1_14partition_implILS5_5ELb0ES3_mN6hipcub16HIPCUB_304000_NS21CountingInputIteratorIllEEPS6_NSA_22TransformInputIteratorIbN2at6native12_GLOBAL__N_19NonZeroOpIaEEPKalEENS0_5tupleIJPlS6_EEENSN_IJSD_SD_EEES6_PiJS6_EEE10hipError_tPvRmT3_T4_T5_T6_T7_T9_mT8_P12ihipStream_tbDpT10_ENKUlT_T0_E_clISt17integral_constantIbLb1EES1B_EEDaS16_S17_EUlS16_E_NS1_11comp_targetILNS1_3genE8ELNS1_11target_archE1030ELNS1_3gpuE2ELNS1_3repE0EEENS1_30default_config_static_selectorELNS0_4arch9wavefront6targetE0EEEvT1_,@function
_ZN7rocprim17ROCPRIM_400000_NS6detail17trampoline_kernelINS0_14default_configENS1_25partition_config_selectorILNS1_17partition_subalgoE5ElNS0_10empty_typeEbEEZZNS1_14partition_implILS5_5ELb0ES3_mN6hipcub16HIPCUB_304000_NS21CountingInputIteratorIllEEPS6_NSA_22TransformInputIteratorIbN2at6native12_GLOBAL__N_19NonZeroOpIaEEPKalEENS0_5tupleIJPlS6_EEENSN_IJSD_SD_EEES6_PiJS6_EEE10hipError_tPvRmT3_T4_T5_T6_T7_T9_mT8_P12ihipStream_tbDpT10_ENKUlT_T0_E_clISt17integral_constantIbLb1EES1B_EEDaS16_S17_EUlS16_E_NS1_11comp_targetILNS1_3genE8ELNS1_11target_archE1030ELNS1_3gpuE2ELNS1_3repE0EEENS1_30default_config_static_selectorELNS0_4arch9wavefront6targetE0EEEvT1_: ; @_ZN7rocprim17ROCPRIM_400000_NS6detail17trampoline_kernelINS0_14default_configENS1_25partition_config_selectorILNS1_17partition_subalgoE5ElNS0_10empty_typeEbEEZZNS1_14partition_implILS5_5ELb0ES3_mN6hipcub16HIPCUB_304000_NS21CountingInputIteratorIllEEPS6_NSA_22TransformInputIteratorIbN2at6native12_GLOBAL__N_19NonZeroOpIaEEPKalEENS0_5tupleIJPlS6_EEENSN_IJSD_SD_EEES6_PiJS6_EEE10hipError_tPvRmT3_T4_T5_T6_T7_T9_mT8_P12ihipStream_tbDpT10_ENKUlT_T0_E_clISt17integral_constantIbLb1EES1B_EEDaS16_S17_EUlS16_E_NS1_11comp_targetILNS1_3genE8ELNS1_11target_archE1030ELNS1_3gpuE2ELNS1_3repE0EEENS1_30default_config_static_selectorELNS0_4arch9wavefront6targetE0EEEvT1_
; %bb.0:
	.section	.rodata,"a",@progbits
	.p2align	6, 0x0
	.amdhsa_kernel _ZN7rocprim17ROCPRIM_400000_NS6detail17trampoline_kernelINS0_14default_configENS1_25partition_config_selectorILNS1_17partition_subalgoE5ElNS0_10empty_typeEbEEZZNS1_14partition_implILS5_5ELb0ES3_mN6hipcub16HIPCUB_304000_NS21CountingInputIteratorIllEEPS6_NSA_22TransformInputIteratorIbN2at6native12_GLOBAL__N_19NonZeroOpIaEEPKalEENS0_5tupleIJPlS6_EEENSN_IJSD_SD_EEES6_PiJS6_EEE10hipError_tPvRmT3_T4_T5_T6_T7_T9_mT8_P12ihipStream_tbDpT10_ENKUlT_T0_E_clISt17integral_constantIbLb1EES1B_EEDaS16_S17_EUlS16_E_NS1_11comp_targetILNS1_3genE8ELNS1_11target_archE1030ELNS1_3gpuE2ELNS1_3repE0EEENS1_30default_config_static_selectorELNS0_4arch9wavefront6targetE0EEEvT1_
		.amdhsa_group_segment_fixed_size 0
		.amdhsa_private_segment_fixed_size 0
		.amdhsa_kernarg_size 136
		.amdhsa_user_sgpr_count 15
		.amdhsa_user_sgpr_dispatch_ptr 0
		.amdhsa_user_sgpr_queue_ptr 0
		.amdhsa_user_sgpr_kernarg_segment_ptr 1
		.amdhsa_user_sgpr_dispatch_id 0
		.amdhsa_user_sgpr_private_segment_size 0
		.amdhsa_wavefront_size32 1
		.amdhsa_uses_dynamic_stack 0
		.amdhsa_enable_private_segment 0
		.amdhsa_system_sgpr_workgroup_id_x 1
		.amdhsa_system_sgpr_workgroup_id_y 0
		.amdhsa_system_sgpr_workgroup_id_z 0
		.amdhsa_system_sgpr_workgroup_info 0
		.amdhsa_system_vgpr_workitem_id 0
		.amdhsa_next_free_vgpr 1
		.amdhsa_next_free_sgpr 1
		.amdhsa_reserve_vcc 0
		.amdhsa_float_round_mode_32 0
		.amdhsa_float_round_mode_16_64 0
		.amdhsa_float_denorm_mode_32 3
		.amdhsa_float_denorm_mode_16_64 3
		.amdhsa_dx10_clamp 1
		.amdhsa_ieee_mode 1
		.amdhsa_fp16_overflow 0
		.amdhsa_workgroup_processor_mode 1
		.amdhsa_memory_ordered 1
		.amdhsa_forward_progress 0
		.amdhsa_shared_vgpr_count 0
		.amdhsa_exception_fp_ieee_invalid_op 0
		.amdhsa_exception_fp_denorm_src 0
		.amdhsa_exception_fp_ieee_div_zero 0
		.amdhsa_exception_fp_ieee_overflow 0
		.amdhsa_exception_fp_ieee_underflow 0
		.amdhsa_exception_fp_ieee_inexact 0
		.amdhsa_exception_int_div_zero 0
	.end_amdhsa_kernel
	.section	.text._ZN7rocprim17ROCPRIM_400000_NS6detail17trampoline_kernelINS0_14default_configENS1_25partition_config_selectorILNS1_17partition_subalgoE5ElNS0_10empty_typeEbEEZZNS1_14partition_implILS5_5ELb0ES3_mN6hipcub16HIPCUB_304000_NS21CountingInputIteratorIllEEPS6_NSA_22TransformInputIteratorIbN2at6native12_GLOBAL__N_19NonZeroOpIaEEPKalEENS0_5tupleIJPlS6_EEENSN_IJSD_SD_EEES6_PiJS6_EEE10hipError_tPvRmT3_T4_T5_T6_T7_T9_mT8_P12ihipStream_tbDpT10_ENKUlT_T0_E_clISt17integral_constantIbLb1EES1B_EEDaS16_S17_EUlS16_E_NS1_11comp_targetILNS1_3genE8ELNS1_11target_archE1030ELNS1_3gpuE2ELNS1_3repE0EEENS1_30default_config_static_selectorELNS0_4arch9wavefront6targetE0EEEvT1_,"axG",@progbits,_ZN7rocprim17ROCPRIM_400000_NS6detail17trampoline_kernelINS0_14default_configENS1_25partition_config_selectorILNS1_17partition_subalgoE5ElNS0_10empty_typeEbEEZZNS1_14partition_implILS5_5ELb0ES3_mN6hipcub16HIPCUB_304000_NS21CountingInputIteratorIllEEPS6_NSA_22TransformInputIteratorIbN2at6native12_GLOBAL__N_19NonZeroOpIaEEPKalEENS0_5tupleIJPlS6_EEENSN_IJSD_SD_EEES6_PiJS6_EEE10hipError_tPvRmT3_T4_T5_T6_T7_T9_mT8_P12ihipStream_tbDpT10_ENKUlT_T0_E_clISt17integral_constantIbLb1EES1B_EEDaS16_S17_EUlS16_E_NS1_11comp_targetILNS1_3genE8ELNS1_11target_archE1030ELNS1_3gpuE2ELNS1_3repE0EEENS1_30default_config_static_selectorELNS0_4arch9wavefront6targetE0EEEvT1_,comdat
.Lfunc_end133:
	.size	_ZN7rocprim17ROCPRIM_400000_NS6detail17trampoline_kernelINS0_14default_configENS1_25partition_config_selectorILNS1_17partition_subalgoE5ElNS0_10empty_typeEbEEZZNS1_14partition_implILS5_5ELb0ES3_mN6hipcub16HIPCUB_304000_NS21CountingInputIteratorIllEEPS6_NSA_22TransformInputIteratorIbN2at6native12_GLOBAL__N_19NonZeroOpIaEEPKalEENS0_5tupleIJPlS6_EEENSN_IJSD_SD_EEES6_PiJS6_EEE10hipError_tPvRmT3_T4_T5_T6_T7_T9_mT8_P12ihipStream_tbDpT10_ENKUlT_T0_E_clISt17integral_constantIbLb1EES1B_EEDaS16_S17_EUlS16_E_NS1_11comp_targetILNS1_3genE8ELNS1_11target_archE1030ELNS1_3gpuE2ELNS1_3repE0EEENS1_30default_config_static_selectorELNS0_4arch9wavefront6targetE0EEEvT1_, .Lfunc_end133-_ZN7rocprim17ROCPRIM_400000_NS6detail17trampoline_kernelINS0_14default_configENS1_25partition_config_selectorILNS1_17partition_subalgoE5ElNS0_10empty_typeEbEEZZNS1_14partition_implILS5_5ELb0ES3_mN6hipcub16HIPCUB_304000_NS21CountingInputIteratorIllEEPS6_NSA_22TransformInputIteratorIbN2at6native12_GLOBAL__N_19NonZeroOpIaEEPKalEENS0_5tupleIJPlS6_EEENSN_IJSD_SD_EEES6_PiJS6_EEE10hipError_tPvRmT3_T4_T5_T6_T7_T9_mT8_P12ihipStream_tbDpT10_ENKUlT_T0_E_clISt17integral_constantIbLb1EES1B_EEDaS16_S17_EUlS16_E_NS1_11comp_targetILNS1_3genE8ELNS1_11target_archE1030ELNS1_3gpuE2ELNS1_3repE0EEENS1_30default_config_static_selectorELNS0_4arch9wavefront6targetE0EEEvT1_
                                        ; -- End function
	.section	.AMDGPU.csdata,"",@progbits
; Kernel info:
; codeLenInByte = 0
; NumSgprs: 0
; NumVgprs: 0
; ScratchSize: 0
; MemoryBound: 0
; FloatMode: 240
; IeeeMode: 1
; LDSByteSize: 0 bytes/workgroup (compile time only)
; SGPRBlocks: 0
; VGPRBlocks: 0
; NumSGPRsForWavesPerEU: 1
; NumVGPRsForWavesPerEU: 1
; Occupancy: 16
; WaveLimiterHint : 0
; COMPUTE_PGM_RSRC2:SCRATCH_EN: 0
; COMPUTE_PGM_RSRC2:USER_SGPR: 15
; COMPUTE_PGM_RSRC2:TRAP_HANDLER: 0
; COMPUTE_PGM_RSRC2:TGID_X_EN: 1
; COMPUTE_PGM_RSRC2:TGID_Y_EN: 0
; COMPUTE_PGM_RSRC2:TGID_Z_EN: 0
; COMPUTE_PGM_RSRC2:TIDIG_COMP_CNT: 0
	.section	.text._ZN7rocprim17ROCPRIM_400000_NS6detail17trampoline_kernelINS0_14default_configENS1_25partition_config_selectorILNS1_17partition_subalgoE5ElNS0_10empty_typeEbEEZZNS1_14partition_implILS5_5ELb0ES3_mN6hipcub16HIPCUB_304000_NS21CountingInputIteratorIllEEPS6_NSA_22TransformInputIteratorIbN2at6native12_GLOBAL__N_19NonZeroOpIaEEPKalEENS0_5tupleIJPlS6_EEENSN_IJSD_SD_EEES6_PiJS6_EEE10hipError_tPvRmT3_T4_T5_T6_T7_T9_mT8_P12ihipStream_tbDpT10_ENKUlT_T0_E_clISt17integral_constantIbLb1EES1A_IbLb0EEEEDaS16_S17_EUlS16_E_NS1_11comp_targetILNS1_3genE0ELNS1_11target_archE4294967295ELNS1_3gpuE0ELNS1_3repE0EEENS1_30default_config_static_selectorELNS0_4arch9wavefront6targetE0EEEvT1_,"axG",@progbits,_ZN7rocprim17ROCPRIM_400000_NS6detail17trampoline_kernelINS0_14default_configENS1_25partition_config_selectorILNS1_17partition_subalgoE5ElNS0_10empty_typeEbEEZZNS1_14partition_implILS5_5ELb0ES3_mN6hipcub16HIPCUB_304000_NS21CountingInputIteratorIllEEPS6_NSA_22TransformInputIteratorIbN2at6native12_GLOBAL__N_19NonZeroOpIaEEPKalEENS0_5tupleIJPlS6_EEENSN_IJSD_SD_EEES6_PiJS6_EEE10hipError_tPvRmT3_T4_T5_T6_T7_T9_mT8_P12ihipStream_tbDpT10_ENKUlT_T0_E_clISt17integral_constantIbLb1EES1A_IbLb0EEEEDaS16_S17_EUlS16_E_NS1_11comp_targetILNS1_3genE0ELNS1_11target_archE4294967295ELNS1_3gpuE0ELNS1_3repE0EEENS1_30default_config_static_selectorELNS0_4arch9wavefront6targetE0EEEvT1_,comdat
	.globl	_ZN7rocprim17ROCPRIM_400000_NS6detail17trampoline_kernelINS0_14default_configENS1_25partition_config_selectorILNS1_17partition_subalgoE5ElNS0_10empty_typeEbEEZZNS1_14partition_implILS5_5ELb0ES3_mN6hipcub16HIPCUB_304000_NS21CountingInputIteratorIllEEPS6_NSA_22TransformInputIteratorIbN2at6native12_GLOBAL__N_19NonZeroOpIaEEPKalEENS0_5tupleIJPlS6_EEENSN_IJSD_SD_EEES6_PiJS6_EEE10hipError_tPvRmT3_T4_T5_T6_T7_T9_mT8_P12ihipStream_tbDpT10_ENKUlT_T0_E_clISt17integral_constantIbLb1EES1A_IbLb0EEEEDaS16_S17_EUlS16_E_NS1_11comp_targetILNS1_3genE0ELNS1_11target_archE4294967295ELNS1_3gpuE0ELNS1_3repE0EEENS1_30default_config_static_selectorELNS0_4arch9wavefront6targetE0EEEvT1_ ; -- Begin function _ZN7rocprim17ROCPRIM_400000_NS6detail17trampoline_kernelINS0_14default_configENS1_25partition_config_selectorILNS1_17partition_subalgoE5ElNS0_10empty_typeEbEEZZNS1_14partition_implILS5_5ELb0ES3_mN6hipcub16HIPCUB_304000_NS21CountingInputIteratorIllEEPS6_NSA_22TransformInputIteratorIbN2at6native12_GLOBAL__N_19NonZeroOpIaEEPKalEENS0_5tupleIJPlS6_EEENSN_IJSD_SD_EEES6_PiJS6_EEE10hipError_tPvRmT3_T4_T5_T6_T7_T9_mT8_P12ihipStream_tbDpT10_ENKUlT_T0_E_clISt17integral_constantIbLb1EES1A_IbLb0EEEEDaS16_S17_EUlS16_E_NS1_11comp_targetILNS1_3genE0ELNS1_11target_archE4294967295ELNS1_3gpuE0ELNS1_3repE0EEENS1_30default_config_static_selectorELNS0_4arch9wavefront6targetE0EEEvT1_
	.p2align	8
	.type	_ZN7rocprim17ROCPRIM_400000_NS6detail17trampoline_kernelINS0_14default_configENS1_25partition_config_selectorILNS1_17partition_subalgoE5ElNS0_10empty_typeEbEEZZNS1_14partition_implILS5_5ELb0ES3_mN6hipcub16HIPCUB_304000_NS21CountingInputIteratorIllEEPS6_NSA_22TransformInputIteratorIbN2at6native12_GLOBAL__N_19NonZeroOpIaEEPKalEENS0_5tupleIJPlS6_EEENSN_IJSD_SD_EEES6_PiJS6_EEE10hipError_tPvRmT3_T4_T5_T6_T7_T9_mT8_P12ihipStream_tbDpT10_ENKUlT_T0_E_clISt17integral_constantIbLb1EES1A_IbLb0EEEEDaS16_S17_EUlS16_E_NS1_11comp_targetILNS1_3genE0ELNS1_11target_archE4294967295ELNS1_3gpuE0ELNS1_3repE0EEENS1_30default_config_static_selectorELNS0_4arch9wavefront6targetE0EEEvT1_,@function
_ZN7rocprim17ROCPRIM_400000_NS6detail17trampoline_kernelINS0_14default_configENS1_25partition_config_selectorILNS1_17partition_subalgoE5ElNS0_10empty_typeEbEEZZNS1_14partition_implILS5_5ELb0ES3_mN6hipcub16HIPCUB_304000_NS21CountingInputIteratorIllEEPS6_NSA_22TransformInputIteratorIbN2at6native12_GLOBAL__N_19NonZeroOpIaEEPKalEENS0_5tupleIJPlS6_EEENSN_IJSD_SD_EEES6_PiJS6_EEE10hipError_tPvRmT3_T4_T5_T6_T7_T9_mT8_P12ihipStream_tbDpT10_ENKUlT_T0_E_clISt17integral_constantIbLb1EES1A_IbLb0EEEEDaS16_S17_EUlS16_E_NS1_11comp_targetILNS1_3genE0ELNS1_11target_archE4294967295ELNS1_3gpuE0ELNS1_3repE0EEENS1_30default_config_static_selectorELNS0_4arch9wavefront6targetE0EEEvT1_: ; @_ZN7rocprim17ROCPRIM_400000_NS6detail17trampoline_kernelINS0_14default_configENS1_25partition_config_selectorILNS1_17partition_subalgoE5ElNS0_10empty_typeEbEEZZNS1_14partition_implILS5_5ELb0ES3_mN6hipcub16HIPCUB_304000_NS21CountingInputIteratorIllEEPS6_NSA_22TransformInputIteratorIbN2at6native12_GLOBAL__N_19NonZeroOpIaEEPKalEENS0_5tupleIJPlS6_EEENSN_IJSD_SD_EEES6_PiJS6_EEE10hipError_tPvRmT3_T4_T5_T6_T7_T9_mT8_P12ihipStream_tbDpT10_ENKUlT_T0_E_clISt17integral_constantIbLb1EES1A_IbLb0EEEEDaS16_S17_EUlS16_E_NS1_11comp_targetILNS1_3genE0ELNS1_11target_archE4294967295ELNS1_3gpuE0ELNS1_3repE0EEENS1_30default_config_static_selectorELNS0_4arch9wavefront6targetE0EEEvT1_
; %bb.0:
	.section	.rodata,"a",@progbits
	.p2align	6, 0x0
	.amdhsa_kernel _ZN7rocprim17ROCPRIM_400000_NS6detail17trampoline_kernelINS0_14default_configENS1_25partition_config_selectorILNS1_17partition_subalgoE5ElNS0_10empty_typeEbEEZZNS1_14partition_implILS5_5ELb0ES3_mN6hipcub16HIPCUB_304000_NS21CountingInputIteratorIllEEPS6_NSA_22TransformInputIteratorIbN2at6native12_GLOBAL__N_19NonZeroOpIaEEPKalEENS0_5tupleIJPlS6_EEENSN_IJSD_SD_EEES6_PiJS6_EEE10hipError_tPvRmT3_T4_T5_T6_T7_T9_mT8_P12ihipStream_tbDpT10_ENKUlT_T0_E_clISt17integral_constantIbLb1EES1A_IbLb0EEEEDaS16_S17_EUlS16_E_NS1_11comp_targetILNS1_3genE0ELNS1_11target_archE4294967295ELNS1_3gpuE0ELNS1_3repE0EEENS1_30default_config_static_selectorELNS0_4arch9wavefront6targetE0EEEvT1_
		.amdhsa_group_segment_fixed_size 0
		.amdhsa_private_segment_fixed_size 0
		.amdhsa_kernarg_size 120
		.amdhsa_user_sgpr_count 15
		.amdhsa_user_sgpr_dispatch_ptr 0
		.amdhsa_user_sgpr_queue_ptr 0
		.amdhsa_user_sgpr_kernarg_segment_ptr 1
		.amdhsa_user_sgpr_dispatch_id 0
		.amdhsa_user_sgpr_private_segment_size 0
		.amdhsa_wavefront_size32 1
		.amdhsa_uses_dynamic_stack 0
		.amdhsa_enable_private_segment 0
		.amdhsa_system_sgpr_workgroup_id_x 1
		.amdhsa_system_sgpr_workgroup_id_y 0
		.amdhsa_system_sgpr_workgroup_id_z 0
		.amdhsa_system_sgpr_workgroup_info 0
		.amdhsa_system_vgpr_workitem_id 0
		.amdhsa_next_free_vgpr 1
		.amdhsa_next_free_sgpr 1
		.amdhsa_reserve_vcc 0
		.amdhsa_float_round_mode_32 0
		.amdhsa_float_round_mode_16_64 0
		.amdhsa_float_denorm_mode_32 3
		.amdhsa_float_denorm_mode_16_64 3
		.amdhsa_dx10_clamp 1
		.amdhsa_ieee_mode 1
		.amdhsa_fp16_overflow 0
		.amdhsa_workgroup_processor_mode 1
		.amdhsa_memory_ordered 1
		.amdhsa_forward_progress 0
		.amdhsa_shared_vgpr_count 0
		.amdhsa_exception_fp_ieee_invalid_op 0
		.amdhsa_exception_fp_denorm_src 0
		.amdhsa_exception_fp_ieee_div_zero 0
		.amdhsa_exception_fp_ieee_overflow 0
		.amdhsa_exception_fp_ieee_underflow 0
		.amdhsa_exception_fp_ieee_inexact 0
		.amdhsa_exception_int_div_zero 0
	.end_amdhsa_kernel
	.section	.text._ZN7rocprim17ROCPRIM_400000_NS6detail17trampoline_kernelINS0_14default_configENS1_25partition_config_selectorILNS1_17partition_subalgoE5ElNS0_10empty_typeEbEEZZNS1_14partition_implILS5_5ELb0ES3_mN6hipcub16HIPCUB_304000_NS21CountingInputIteratorIllEEPS6_NSA_22TransformInputIteratorIbN2at6native12_GLOBAL__N_19NonZeroOpIaEEPKalEENS0_5tupleIJPlS6_EEENSN_IJSD_SD_EEES6_PiJS6_EEE10hipError_tPvRmT3_T4_T5_T6_T7_T9_mT8_P12ihipStream_tbDpT10_ENKUlT_T0_E_clISt17integral_constantIbLb1EES1A_IbLb0EEEEDaS16_S17_EUlS16_E_NS1_11comp_targetILNS1_3genE0ELNS1_11target_archE4294967295ELNS1_3gpuE0ELNS1_3repE0EEENS1_30default_config_static_selectorELNS0_4arch9wavefront6targetE0EEEvT1_,"axG",@progbits,_ZN7rocprim17ROCPRIM_400000_NS6detail17trampoline_kernelINS0_14default_configENS1_25partition_config_selectorILNS1_17partition_subalgoE5ElNS0_10empty_typeEbEEZZNS1_14partition_implILS5_5ELb0ES3_mN6hipcub16HIPCUB_304000_NS21CountingInputIteratorIllEEPS6_NSA_22TransformInputIteratorIbN2at6native12_GLOBAL__N_19NonZeroOpIaEEPKalEENS0_5tupleIJPlS6_EEENSN_IJSD_SD_EEES6_PiJS6_EEE10hipError_tPvRmT3_T4_T5_T6_T7_T9_mT8_P12ihipStream_tbDpT10_ENKUlT_T0_E_clISt17integral_constantIbLb1EES1A_IbLb0EEEEDaS16_S17_EUlS16_E_NS1_11comp_targetILNS1_3genE0ELNS1_11target_archE4294967295ELNS1_3gpuE0ELNS1_3repE0EEENS1_30default_config_static_selectorELNS0_4arch9wavefront6targetE0EEEvT1_,comdat
.Lfunc_end134:
	.size	_ZN7rocprim17ROCPRIM_400000_NS6detail17trampoline_kernelINS0_14default_configENS1_25partition_config_selectorILNS1_17partition_subalgoE5ElNS0_10empty_typeEbEEZZNS1_14partition_implILS5_5ELb0ES3_mN6hipcub16HIPCUB_304000_NS21CountingInputIteratorIllEEPS6_NSA_22TransformInputIteratorIbN2at6native12_GLOBAL__N_19NonZeroOpIaEEPKalEENS0_5tupleIJPlS6_EEENSN_IJSD_SD_EEES6_PiJS6_EEE10hipError_tPvRmT3_T4_T5_T6_T7_T9_mT8_P12ihipStream_tbDpT10_ENKUlT_T0_E_clISt17integral_constantIbLb1EES1A_IbLb0EEEEDaS16_S17_EUlS16_E_NS1_11comp_targetILNS1_3genE0ELNS1_11target_archE4294967295ELNS1_3gpuE0ELNS1_3repE0EEENS1_30default_config_static_selectorELNS0_4arch9wavefront6targetE0EEEvT1_, .Lfunc_end134-_ZN7rocprim17ROCPRIM_400000_NS6detail17trampoline_kernelINS0_14default_configENS1_25partition_config_selectorILNS1_17partition_subalgoE5ElNS0_10empty_typeEbEEZZNS1_14partition_implILS5_5ELb0ES3_mN6hipcub16HIPCUB_304000_NS21CountingInputIteratorIllEEPS6_NSA_22TransformInputIteratorIbN2at6native12_GLOBAL__N_19NonZeroOpIaEEPKalEENS0_5tupleIJPlS6_EEENSN_IJSD_SD_EEES6_PiJS6_EEE10hipError_tPvRmT3_T4_T5_T6_T7_T9_mT8_P12ihipStream_tbDpT10_ENKUlT_T0_E_clISt17integral_constantIbLb1EES1A_IbLb0EEEEDaS16_S17_EUlS16_E_NS1_11comp_targetILNS1_3genE0ELNS1_11target_archE4294967295ELNS1_3gpuE0ELNS1_3repE0EEENS1_30default_config_static_selectorELNS0_4arch9wavefront6targetE0EEEvT1_
                                        ; -- End function
	.section	.AMDGPU.csdata,"",@progbits
; Kernel info:
; codeLenInByte = 0
; NumSgprs: 0
; NumVgprs: 0
; ScratchSize: 0
; MemoryBound: 0
; FloatMode: 240
; IeeeMode: 1
; LDSByteSize: 0 bytes/workgroup (compile time only)
; SGPRBlocks: 0
; VGPRBlocks: 0
; NumSGPRsForWavesPerEU: 1
; NumVGPRsForWavesPerEU: 1
; Occupancy: 16
; WaveLimiterHint : 0
; COMPUTE_PGM_RSRC2:SCRATCH_EN: 0
; COMPUTE_PGM_RSRC2:USER_SGPR: 15
; COMPUTE_PGM_RSRC2:TRAP_HANDLER: 0
; COMPUTE_PGM_RSRC2:TGID_X_EN: 1
; COMPUTE_PGM_RSRC2:TGID_Y_EN: 0
; COMPUTE_PGM_RSRC2:TGID_Z_EN: 0
; COMPUTE_PGM_RSRC2:TIDIG_COMP_CNT: 0
	.section	.text._ZN7rocprim17ROCPRIM_400000_NS6detail17trampoline_kernelINS0_14default_configENS1_25partition_config_selectorILNS1_17partition_subalgoE5ElNS0_10empty_typeEbEEZZNS1_14partition_implILS5_5ELb0ES3_mN6hipcub16HIPCUB_304000_NS21CountingInputIteratorIllEEPS6_NSA_22TransformInputIteratorIbN2at6native12_GLOBAL__N_19NonZeroOpIaEEPKalEENS0_5tupleIJPlS6_EEENSN_IJSD_SD_EEES6_PiJS6_EEE10hipError_tPvRmT3_T4_T5_T6_T7_T9_mT8_P12ihipStream_tbDpT10_ENKUlT_T0_E_clISt17integral_constantIbLb1EES1A_IbLb0EEEEDaS16_S17_EUlS16_E_NS1_11comp_targetILNS1_3genE5ELNS1_11target_archE942ELNS1_3gpuE9ELNS1_3repE0EEENS1_30default_config_static_selectorELNS0_4arch9wavefront6targetE0EEEvT1_,"axG",@progbits,_ZN7rocprim17ROCPRIM_400000_NS6detail17trampoline_kernelINS0_14default_configENS1_25partition_config_selectorILNS1_17partition_subalgoE5ElNS0_10empty_typeEbEEZZNS1_14partition_implILS5_5ELb0ES3_mN6hipcub16HIPCUB_304000_NS21CountingInputIteratorIllEEPS6_NSA_22TransformInputIteratorIbN2at6native12_GLOBAL__N_19NonZeroOpIaEEPKalEENS0_5tupleIJPlS6_EEENSN_IJSD_SD_EEES6_PiJS6_EEE10hipError_tPvRmT3_T4_T5_T6_T7_T9_mT8_P12ihipStream_tbDpT10_ENKUlT_T0_E_clISt17integral_constantIbLb1EES1A_IbLb0EEEEDaS16_S17_EUlS16_E_NS1_11comp_targetILNS1_3genE5ELNS1_11target_archE942ELNS1_3gpuE9ELNS1_3repE0EEENS1_30default_config_static_selectorELNS0_4arch9wavefront6targetE0EEEvT1_,comdat
	.globl	_ZN7rocprim17ROCPRIM_400000_NS6detail17trampoline_kernelINS0_14default_configENS1_25partition_config_selectorILNS1_17partition_subalgoE5ElNS0_10empty_typeEbEEZZNS1_14partition_implILS5_5ELb0ES3_mN6hipcub16HIPCUB_304000_NS21CountingInputIteratorIllEEPS6_NSA_22TransformInputIteratorIbN2at6native12_GLOBAL__N_19NonZeroOpIaEEPKalEENS0_5tupleIJPlS6_EEENSN_IJSD_SD_EEES6_PiJS6_EEE10hipError_tPvRmT3_T4_T5_T6_T7_T9_mT8_P12ihipStream_tbDpT10_ENKUlT_T0_E_clISt17integral_constantIbLb1EES1A_IbLb0EEEEDaS16_S17_EUlS16_E_NS1_11comp_targetILNS1_3genE5ELNS1_11target_archE942ELNS1_3gpuE9ELNS1_3repE0EEENS1_30default_config_static_selectorELNS0_4arch9wavefront6targetE0EEEvT1_ ; -- Begin function _ZN7rocprim17ROCPRIM_400000_NS6detail17trampoline_kernelINS0_14default_configENS1_25partition_config_selectorILNS1_17partition_subalgoE5ElNS0_10empty_typeEbEEZZNS1_14partition_implILS5_5ELb0ES3_mN6hipcub16HIPCUB_304000_NS21CountingInputIteratorIllEEPS6_NSA_22TransformInputIteratorIbN2at6native12_GLOBAL__N_19NonZeroOpIaEEPKalEENS0_5tupleIJPlS6_EEENSN_IJSD_SD_EEES6_PiJS6_EEE10hipError_tPvRmT3_T4_T5_T6_T7_T9_mT8_P12ihipStream_tbDpT10_ENKUlT_T0_E_clISt17integral_constantIbLb1EES1A_IbLb0EEEEDaS16_S17_EUlS16_E_NS1_11comp_targetILNS1_3genE5ELNS1_11target_archE942ELNS1_3gpuE9ELNS1_3repE0EEENS1_30default_config_static_selectorELNS0_4arch9wavefront6targetE0EEEvT1_
	.p2align	8
	.type	_ZN7rocprim17ROCPRIM_400000_NS6detail17trampoline_kernelINS0_14default_configENS1_25partition_config_selectorILNS1_17partition_subalgoE5ElNS0_10empty_typeEbEEZZNS1_14partition_implILS5_5ELb0ES3_mN6hipcub16HIPCUB_304000_NS21CountingInputIteratorIllEEPS6_NSA_22TransformInputIteratorIbN2at6native12_GLOBAL__N_19NonZeroOpIaEEPKalEENS0_5tupleIJPlS6_EEENSN_IJSD_SD_EEES6_PiJS6_EEE10hipError_tPvRmT3_T4_T5_T6_T7_T9_mT8_P12ihipStream_tbDpT10_ENKUlT_T0_E_clISt17integral_constantIbLb1EES1A_IbLb0EEEEDaS16_S17_EUlS16_E_NS1_11comp_targetILNS1_3genE5ELNS1_11target_archE942ELNS1_3gpuE9ELNS1_3repE0EEENS1_30default_config_static_selectorELNS0_4arch9wavefront6targetE0EEEvT1_,@function
_ZN7rocprim17ROCPRIM_400000_NS6detail17trampoline_kernelINS0_14default_configENS1_25partition_config_selectorILNS1_17partition_subalgoE5ElNS0_10empty_typeEbEEZZNS1_14partition_implILS5_5ELb0ES3_mN6hipcub16HIPCUB_304000_NS21CountingInputIteratorIllEEPS6_NSA_22TransformInputIteratorIbN2at6native12_GLOBAL__N_19NonZeroOpIaEEPKalEENS0_5tupleIJPlS6_EEENSN_IJSD_SD_EEES6_PiJS6_EEE10hipError_tPvRmT3_T4_T5_T6_T7_T9_mT8_P12ihipStream_tbDpT10_ENKUlT_T0_E_clISt17integral_constantIbLb1EES1A_IbLb0EEEEDaS16_S17_EUlS16_E_NS1_11comp_targetILNS1_3genE5ELNS1_11target_archE942ELNS1_3gpuE9ELNS1_3repE0EEENS1_30default_config_static_selectorELNS0_4arch9wavefront6targetE0EEEvT1_: ; @_ZN7rocprim17ROCPRIM_400000_NS6detail17trampoline_kernelINS0_14default_configENS1_25partition_config_selectorILNS1_17partition_subalgoE5ElNS0_10empty_typeEbEEZZNS1_14partition_implILS5_5ELb0ES3_mN6hipcub16HIPCUB_304000_NS21CountingInputIteratorIllEEPS6_NSA_22TransformInputIteratorIbN2at6native12_GLOBAL__N_19NonZeroOpIaEEPKalEENS0_5tupleIJPlS6_EEENSN_IJSD_SD_EEES6_PiJS6_EEE10hipError_tPvRmT3_T4_T5_T6_T7_T9_mT8_P12ihipStream_tbDpT10_ENKUlT_T0_E_clISt17integral_constantIbLb1EES1A_IbLb0EEEEDaS16_S17_EUlS16_E_NS1_11comp_targetILNS1_3genE5ELNS1_11target_archE942ELNS1_3gpuE9ELNS1_3repE0EEENS1_30default_config_static_selectorELNS0_4arch9wavefront6targetE0EEEvT1_
; %bb.0:
	.section	.rodata,"a",@progbits
	.p2align	6, 0x0
	.amdhsa_kernel _ZN7rocprim17ROCPRIM_400000_NS6detail17trampoline_kernelINS0_14default_configENS1_25partition_config_selectorILNS1_17partition_subalgoE5ElNS0_10empty_typeEbEEZZNS1_14partition_implILS5_5ELb0ES3_mN6hipcub16HIPCUB_304000_NS21CountingInputIteratorIllEEPS6_NSA_22TransformInputIteratorIbN2at6native12_GLOBAL__N_19NonZeroOpIaEEPKalEENS0_5tupleIJPlS6_EEENSN_IJSD_SD_EEES6_PiJS6_EEE10hipError_tPvRmT3_T4_T5_T6_T7_T9_mT8_P12ihipStream_tbDpT10_ENKUlT_T0_E_clISt17integral_constantIbLb1EES1A_IbLb0EEEEDaS16_S17_EUlS16_E_NS1_11comp_targetILNS1_3genE5ELNS1_11target_archE942ELNS1_3gpuE9ELNS1_3repE0EEENS1_30default_config_static_selectorELNS0_4arch9wavefront6targetE0EEEvT1_
		.amdhsa_group_segment_fixed_size 0
		.amdhsa_private_segment_fixed_size 0
		.amdhsa_kernarg_size 120
		.amdhsa_user_sgpr_count 15
		.amdhsa_user_sgpr_dispatch_ptr 0
		.amdhsa_user_sgpr_queue_ptr 0
		.amdhsa_user_sgpr_kernarg_segment_ptr 1
		.amdhsa_user_sgpr_dispatch_id 0
		.amdhsa_user_sgpr_private_segment_size 0
		.amdhsa_wavefront_size32 1
		.amdhsa_uses_dynamic_stack 0
		.amdhsa_enable_private_segment 0
		.amdhsa_system_sgpr_workgroup_id_x 1
		.amdhsa_system_sgpr_workgroup_id_y 0
		.amdhsa_system_sgpr_workgroup_id_z 0
		.amdhsa_system_sgpr_workgroup_info 0
		.amdhsa_system_vgpr_workitem_id 0
		.amdhsa_next_free_vgpr 1
		.amdhsa_next_free_sgpr 1
		.amdhsa_reserve_vcc 0
		.amdhsa_float_round_mode_32 0
		.amdhsa_float_round_mode_16_64 0
		.amdhsa_float_denorm_mode_32 3
		.amdhsa_float_denorm_mode_16_64 3
		.amdhsa_dx10_clamp 1
		.amdhsa_ieee_mode 1
		.amdhsa_fp16_overflow 0
		.amdhsa_workgroup_processor_mode 1
		.amdhsa_memory_ordered 1
		.amdhsa_forward_progress 0
		.amdhsa_shared_vgpr_count 0
		.amdhsa_exception_fp_ieee_invalid_op 0
		.amdhsa_exception_fp_denorm_src 0
		.amdhsa_exception_fp_ieee_div_zero 0
		.amdhsa_exception_fp_ieee_overflow 0
		.amdhsa_exception_fp_ieee_underflow 0
		.amdhsa_exception_fp_ieee_inexact 0
		.amdhsa_exception_int_div_zero 0
	.end_amdhsa_kernel
	.section	.text._ZN7rocprim17ROCPRIM_400000_NS6detail17trampoline_kernelINS0_14default_configENS1_25partition_config_selectorILNS1_17partition_subalgoE5ElNS0_10empty_typeEbEEZZNS1_14partition_implILS5_5ELb0ES3_mN6hipcub16HIPCUB_304000_NS21CountingInputIteratorIllEEPS6_NSA_22TransformInputIteratorIbN2at6native12_GLOBAL__N_19NonZeroOpIaEEPKalEENS0_5tupleIJPlS6_EEENSN_IJSD_SD_EEES6_PiJS6_EEE10hipError_tPvRmT3_T4_T5_T6_T7_T9_mT8_P12ihipStream_tbDpT10_ENKUlT_T0_E_clISt17integral_constantIbLb1EES1A_IbLb0EEEEDaS16_S17_EUlS16_E_NS1_11comp_targetILNS1_3genE5ELNS1_11target_archE942ELNS1_3gpuE9ELNS1_3repE0EEENS1_30default_config_static_selectorELNS0_4arch9wavefront6targetE0EEEvT1_,"axG",@progbits,_ZN7rocprim17ROCPRIM_400000_NS6detail17trampoline_kernelINS0_14default_configENS1_25partition_config_selectorILNS1_17partition_subalgoE5ElNS0_10empty_typeEbEEZZNS1_14partition_implILS5_5ELb0ES3_mN6hipcub16HIPCUB_304000_NS21CountingInputIteratorIllEEPS6_NSA_22TransformInputIteratorIbN2at6native12_GLOBAL__N_19NonZeroOpIaEEPKalEENS0_5tupleIJPlS6_EEENSN_IJSD_SD_EEES6_PiJS6_EEE10hipError_tPvRmT3_T4_T5_T6_T7_T9_mT8_P12ihipStream_tbDpT10_ENKUlT_T0_E_clISt17integral_constantIbLb1EES1A_IbLb0EEEEDaS16_S17_EUlS16_E_NS1_11comp_targetILNS1_3genE5ELNS1_11target_archE942ELNS1_3gpuE9ELNS1_3repE0EEENS1_30default_config_static_selectorELNS0_4arch9wavefront6targetE0EEEvT1_,comdat
.Lfunc_end135:
	.size	_ZN7rocprim17ROCPRIM_400000_NS6detail17trampoline_kernelINS0_14default_configENS1_25partition_config_selectorILNS1_17partition_subalgoE5ElNS0_10empty_typeEbEEZZNS1_14partition_implILS5_5ELb0ES3_mN6hipcub16HIPCUB_304000_NS21CountingInputIteratorIllEEPS6_NSA_22TransformInputIteratorIbN2at6native12_GLOBAL__N_19NonZeroOpIaEEPKalEENS0_5tupleIJPlS6_EEENSN_IJSD_SD_EEES6_PiJS6_EEE10hipError_tPvRmT3_T4_T5_T6_T7_T9_mT8_P12ihipStream_tbDpT10_ENKUlT_T0_E_clISt17integral_constantIbLb1EES1A_IbLb0EEEEDaS16_S17_EUlS16_E_NS1_11comp_targetILNS1_3genE5ELNS1_11target_archE942ELNS1_3gpuE9ELNS1_3repE0EEENS1_30default_config_static_selectorELNS0_4arch9wavefront6targetE0EEEvT1_, .Lfunc_end135-_ZN7rocprim17ROCPRIM_400000_NS6detail17trampoline_kernelINS0_14default_configENS1_25partition_config_selectorILNS1_17partition_subalgoE5ElNS0_10empty_typeEbEEZZNS1_14partition_implILS5_5ELb0ES3_mN6hipcub16HIPCUB_304000_NS21CountingInputIteratorIllEEPS6_NSA_22TransformInputIteratorIbN2at6native12_GLOBAL__N_19NonZeroOpIaEEPKalEENS0_5tupleIJPlS6_EEENSN_IJSD_SD_EEES6_PiJS6_EEE10hipError_tPvRmT3_T4_T5_T6_T7_T9_mT8_P12ihipStream_tbDpT10_ENKUlT_T0_E_clISt17integral_constantIbLb1EES1A_IbLb0EEEEDaS16_S17_EUlS16_E_NS1_11comp_targetILNS1_3genE5ELNS1_11target_archE942ELNS1_3gpuE9ELNS1_3repE0EEENS1_30default_config_static_selectorELNS0_4arch9wavefront6targetE0EEEvT1_
                                        ; -- End function
	.section	.AMDGPU.csdata,"",@progbits
; Kernel info:
; codeLenInByte = 0
; NumSgprs: 0
; NumVgprs: 0
; ScratchSize: 0
; MemoryBound: 0
; FloatMode: 240
; IeeeMode: 1
; LDSByteSize: 0 bytes/workgroup (compile time only)
; SGPRBlocks: 0
; VGPRBlocks: 0
; NumSGPRsForWavesPerEU: 1
; NumVGPRsForWavesPerEU: 1
; Occupancy: 16
; WaveLimiterHint : 0
; COMPUTE_PGM_RSRC2:SCRATCH_EN: 0
; COMPUTE_PGM_RSRC2:USER_SGPR: 15
; COMPUTE_PGM_RSRC2:TRAP_HANDLER: 0
; COMPUTE_PGM_RSRC2:TGID_X_EN: 1
; COMPUTE_PGM_RSRC2:TGID_Y_EN: 0
; COMPUTE_PGM_RSRC2:TGID_Z_EN: 0
; COMPUTE_PGM_RSRC2:TIDIG_COMP_CNT: 0
	.section	.text._ZN7rocprim17ROCPRIM_400000_NS6detail17trampoline_kernelINS0_14default_configENS1_25partition_config_selectorILNS1_17partition_subalgoE5ElNS0_10empty_typeEbEEZZNS1_14partition_implILS5_5ELb0ES3_mN6hipcub16HIPCUB_304000_NS21CountingInputIteratorIllEEPS6_NSA_22TransformInputIteratorIbN2at6native12_GLOBAL__N_19NonZeroOpIaEEPKalEENS0_5tupleIJPlS6_EEENSN_IJSD_SD_EEES6_PiJS6_EEE10hipError_tPvRmT3_T4_T5_T6_T7_T9_mT8_P12ihipStream_tbDpT10_ENKUlT_T0_E_clISt17integral_constantIbLb1EES1A_IbLb0EEEEDaS16_S17_EUlS16_E_NS1_11comp_targetILNS1_3genE4ELNS1_11target_archE910ELNS1_3gpuE8ELNS1_3repE0EEENS1_30default_config_static_selectorELNS0_4arch9wavefront6targetE0EEEvT1_,"axG",@progbits,_ZN7rocprim17ROCPRIM_400000_NS6detail17trampoline_kernelINS0_14default_configENS1_25partition_config_selectorILNS1_17partition_subalgoE5ElNS0_10empty_typeEbEEZZNS1_14partition_implILS5_5ELb0ES3_mN6hipcub16HIPCUB_304000_NS21CountingInputIteratorIllEEPS6_NSA_22TransformInputIteratorIbN2at6native12_GLOBAL__N_19NonZeroOpIaEEPKalEENS0_5tupleIJPlS6_EEENSN_IJSD_SD_EEES6_PiJS6_EEE10hipError_tPvRmT3_T4_T5_T6_T7_T9_mT8_P12ihipStream_tbDpT10_ENKUlT_T0_E_clISt17integral_constantIbLb1EES1A_IbLb0EEEEDaS16_S17_EUlS16_E_NS1_11comp_targetILNS1_3genE4ELNS1_11target_archE910ELNS1_3gpuE8ELNS1_3repE0EEENS1_30default_config_static_selectorELNS0_4arch9wavefront6targetE0EEEvT1_,comdat
	.globl	_ZN7rocprim17ROCPRIM_400000_NS6detail17trampoline_kernelINS0_14default_configENS1_25partition_config_selectorILNS1_17partition_subalgoE5ElNS0_10empty_typeEbEEZZNS1_14partition_implILS5_5ELb0ES3_mN6hipcub16HIPCUB_304000_NS21CountingInputIteratorIllEEPS6_NSA_22TransformInputIteratorIbN2at6native12_GLOBAL__N_19NonZeroOpIaEEPKalEENS0_5tupleIJPlS6_EEENSN_IJSD_SD_EEES6_PiJS6_EEE10hipError_tPvRmT3_T4_T5_T6_T7_T9_mT8_P12ihipStream_tbDpT10_ENKUlT_T0_E_clISt17integral_constantIbLb1EES1A_IbLb0EEEEDaS16_S17_EUlS16_E_NS1_11comp_targetILNS1_3genE4ELNS1_11target_archE910ELNS1_3gpuE8ELNS1_3repE0EEENS1_30default_config_static_selectorELNS0_4arch9wavefront6targetE0EEEvT1_ ; -- Begin function _ZN7rocprim17ROCPRIM_400000_NS6detail17trampoline_kernelINS0_14default_configENS1_25partition_config_selectorILNS1_17partition_subalgoE5ElNS0_10empty_typeEbEEZZNS1_14partition_implILS5_5ELb0ES3_mN6hipcub16HIPCUB_304000_NS21CountingInputIteratorIllEEPS6_NSA_22TransformInputIteratorIbN2at6native12_GLOBAL__N_19NonZeroOpIaEEPKalEENS0_5tupleIJPlS6_EEENSN_IJSD_SD_EEES6_PiJS6_EEE10hipError_tPvRmT3_T4_T5_T6_T7_T9_mT8_P12ihipStream_tbDpT10_ENKUlT_T0_E_clISt17integral_constantIbLb1EES1A_IbLb0EEEEDaS16_S17_EUlS16_E_NS1_11comp_targetILNS1_3genE4ELNS1_11target_archE910ELNS1_3gpuE8ELNS1_3repE0EEENS1_30default_config_static_selectorELNS0_4arch9wavefront6targetE0EEEvT1_
	.p2align	8
	.type	_ZN7rocprim17ROCPRIM_400000_NS6detail17trampoline_kernelINS0_14default_configENS1_25partition_config_selectorILNS1_17partition_subalgoE5ElNS0_10empty_typeEbEEZZNS1_14partition_implILS5_5ELb0ES3_mN6hipcub16HIPCUB_304000_NS21CountingInputIteratorIllEEPS6_NSA_22TransformInputIteratorIbN2at6native12_GLOBAL__N_19NonZeroOpIaEEPKalEENS0_5tupleIJPlS6_EEENSN_IJSD_SD_EEES6_PiJS6_EEE10hipError_tPvRmT3_T4_T5_T6_T7_T9_mT8_P12ihipStream_tbDpT10_ENKUlT_T0_E_clISt17integral_constantIbLb1EES1A_IbLb0EEEEDaS16_S17_EUlS16_E_NS1_11comp_targetILNS1_3genE4ELNS1_11target_archE910ELNS1_3gpuE8ELNS1_3repE0EEENS1_30default_config_static_selectorELNS0_4arch9wavefront6targetE0EEEvT1_,@function
_ZN7rocprim17ROCPRIM_400000_NS6detail17trampoline_kernelINS0_14default_configENS1_25partition_config_selectorILNS1_17partition_subalgoE5ElNS0_10empty_typeEbEEZZNS1_14partition_implILS5_5ELb0ES3_mN6hipcub16HIPCUB_304000_NS21CountingInputIteratorIllEEPS6_NSA_22TransformInputIteratorIbN2at6native12_GLOBAL__N_19NonZeroOpIaEEPKalEENS0_5tupleIJPlS6_EEENSN_IJSD_SD_EEES6_PiJS6_EEE10hipError_tPvRmT3_T4_T5_T6_T7_T9_mT8_P12ihipStream_tbDpT10_ENKUlT_T0_E_clISt17integral_constantIbLb1EES1A_IbLb0EEEEDaS16_S17_EUlS16_E_NS1_11comp_targetILNS1_3genE4ELNS1_11target_archE910ELNS1_3gpuE8ELNS1_3repE0EEENS1_30default_config_static_selectorELNS0_4arch9wavefront6targetE0EEEvT1_: ; @_ZN7rocprim17ROCPRIM_400000_NS6detail17trampoline_kernelINS0_14default_configENS1_25partition_config_selectorILNS1_17partition_subalgoE5ElNS0_10empty_typeEbEEZZNS1_14partition_implILS5_5ELb0ES3_mN6hipcub16HIPCUB_304000_NS21CountingInputIteratorIllEEPS6_NSA_22TransformInputIteratorIbN2at6native12_GLOBAL__N_19NonZeroOpIaEEPKalEENS0_5tupleIJPlS6_EEENSN_IJSD_SD_EEES6_PiJS6_EEE10hipError_tPvRmT3_T4_T5_T6_T7_T9_mT8_P12ihipStream_tbDpT10_ENKUlT_T0_E_clISt17integral_constantIbLb1EES1A_IbLb0EEEEDaS16_S17_EUlS16_E_NS1_11comp_targetILNS1_3genE4ELNS1_11target_archE910ELNS1_3gpuE8ELNS1_3repE0EEENS1_30default_config_static_selectorELNS0_4arch9wavefront6targetE0EEEvT1_
; %bb.0:
	.section	.rodata,"a",@progbits
	.p2align	6, 0x0
	.amdhsa_kernel _ZN7rocprim17ROCPRIM_400000_NS6detail17trampoline_kernelINS0_14default_configENS1_25partition_config_selectorILNS1_17partition_subalgoE5ElNS0_10empty_typeEbEEZZNS1_14partition_implILS5_5ELb0ES3_mN6hipcub16HIPCUB_304000_NS21CountingInputIteratorIllEEPS6_NSA_22TransformInputIteratorIbN2at6native12_GLOBAL__N_19NonZeroOpIaEEPKalEENS0_5tupleIJPlS6_EEENSN_IJSD_SD_EEES6_PiJS6_EEE10hipError_tPvRmT3_T4_T5_T6_T7_T9_mT8_P12ihipStream_tbDpT10_ENKUlT_T0_E_clISt17integral_constantIbLb1EES1A_IbLb0EEEEDaS16_S17_EUlS16_E_NS1_11comp_targetILNS1_3genE4ELNS1_11target_archE910ELNS1_3gpuE8ELNS1_3repE0EEENS1_30default_config_static_selectorELNS0_4arch9wavefront6targetE0EEEvT1_
		.amdhsa_group_segment_fixed_size 0
		.amdhsa_private_segment_fixed_size 0
		.amdhsa_kernarg_size 120
		.amdhsa_user_sgpr_count 15
		.amdhsa_user_sgpr_dispatch_ptr 0
		.amdhsa_user_sgpr_queue_ptr 0
		.amdhsa_user_sgpr_kernarg_segment_ptr 1
		.amdhsa_user_sgpr_dispatch_id 0
		.amdhsa_user_sgpr_private_segment_size 0
		.amdhsa_wavefront_size32 1
		.amdhsa_uses_dynamic_stack 0
		.amdhsa_enable_private_segment 0
		.amdhsa_system_sgpr_workgroup_id_x 1
		.amdhsa_system_sgpr_workgroup_id_y 0
		.amdhsa_system_sgpr_workgroup_id_z 0
		.amdhsa_system_sgpr_workgroup_info 0
		.amdhsa_system_vgpr_workitem_id 0
		.amdhsa_next_free_vgpr 1
		.amdhsa_next_free_sgpr 1
		.amdhsa_reserve_vcc 0
		.amdhsa_float_round_mode_32 0
		.amdhsa_float_round_mode_16_64 0
		.amdhsa_float_denorm_mode_32 3
		.amdhsa_float_denorm_mode_16_64 3
		.amdhsa_dx10_clamp 1
		.amdhsa_ieee_mode 1
		.amdhsa_fp16_overflow 0
		.amdhsa_workgroup_processor_mode 1
		.amdhsa_memory_ordered 1
		.amdhsa_forward_progress 0
		.amdhsa_shared_vgpr_count 0
		.amdhsa_exception_fp_ieee_invalid_op 0
		.amdhsa_exception_fp_denorm_src 0
		.amdhsa_exception_fp_ieee_div_zero 0
		.amdhsa_exception_fp_ieee_overflow 0
		.amdhsa_exception_fp_ieee_underflow 0
		.amdhsa_exception_fp_ieee_inexact 0
		.amdhsa_exception_int_div_zero 0
	.end_amdhsa_kernel
	.section	.text._ZN7rocprim17ROCPRIM_400000_NS6detail17trampoline_kernelINS0_14default_configENS1_25partition_config_selectorILNS1_17partition_subalgoE5ElNS0_10empty_typeEbEEZZNS1_14partition_implILS5_5ELb0ES3_mN6hipcub16HIPCUB_304000_NS21CountingInputIteratorIllEEPS6_NSA_22TransformInputIteratorIbN2at6native12_GLOBAL__N_19NonZeroOpIaEEPKalEENS0_5tupleIJPlS6_EEENSN_IJSD_SD_EEES6_PiJS6_EEE10hipError_tPvRmT3_T4_T5_T6_T7_T9_mT8_P12ihipStream_tbDpT10_ENKUlT_T0_E_clISt17integral_constantIbLb1EES1A_IbLb0EEEEDaS16_S17_EUlS16_E_NS1_11comp_targetILNS1_3genE4ELNS1_11target_archE910ELNS1_3gpuE8ELNS1_3repE0EEENS1_30default_config_static_selectorELNS0_4arch9wavefront6targetE0EEEvT1_,"axG",@progbits,_ZN7rocprim17ROCPRIM_400000_NS6detail17trampoline_kernelINS0_14default_configENS1_25partition_config_selectorILNS1_17partition_subalgoE5ElNS0_10empty_typeEbEEZZNS1_14partition_implILS5_5ELb0ES3_mN6hipcub16HIPCUB_304000_NS21CountingInputIteratorIllEEPS6_NSA_22TransformInputIteratorIbN2at6native12_GLOBAL__N_19NonZeroOpIaEEPKalEENS0_5tupleIJPlS6_EEENSN_IJSD_SD_EEES6_PiJS6_EEE10hipError_tPvRmT3_T4_T5_T6_T7_T9_mT8_P12ihipStream_tbDpT10_ENKUlT_T0_E_clISt17integral_constantIbLb1EES1A_IbLb0EEEEDaS16_S17_EUlS16_E_NS1_11comp_targetILNS1_3genE4ELNS1_11target_archE910ELNS1_3gpuE8ELNS1_3repE0EEENS1_30default_config_static_selectorELNS0_4arch9wavefront6targetE0EEEvT1_,comdat
.Lfunc_end136:
	.size	_ZN7rocprim17ROCPRIM_400000_NS6detail17trampoline_kernelINS0_14default_configENS1_25partition_config_selectorILNS1_17partition_subalgoE5ElNS0_10empty_typeEbEEZZNS1_14partition_implILS5_5ELb0ES3_mN6hipcub16HIPCUB_304000_NS21CountingInputIteratorIllEEPS6_NSA_22TransformInputIteratorIbN2at6native12_GLOBAL__N_19NonZeroOpIaEEPKalEENS0_5tupleIJPlS6_EEENSN_IJSD_SD_EEES6_PiJS6_EEE10hipError_tPvRmT3_T4_T5_T6_T7_T9_mT8_P12ihipStream_tbDpT10_ENKUlT_T0_E_clISt17integral_constantIbLb1EES1A_IbLb0EEEEDaS16_S17_EUlS16_E_NS1_11comp_targetILNS1_3genE4ELNS1_11target_archE910ELNS1_3gpuE8ELNS1_3repE0EEENS1_30default_config_static_selectorELNS0_4arch9wavefront6targetE0EEEvT1_, .Lfunc_end136-_ZN7rocprim17ROCPRIM_400000_NS6detail17trampoline_kernelINS0_14default_configENS1_25partition_config_selectorILNS1_17partition_subalgoE5ElNS0_10empty_typeEbEEZZNS1_14partition_implILS5_5ELb0ES3_mN6hipcub16HIPCUB_304000_NS21CountingInputIteratorIllEEPS6_NSA_22TransformInputIteratorIbN2at6native12_GLOBAL__N_19NonZeroOpIaEEPKalEENS0_5tupleIJPlS6_EEENSN_IJSD_SD_EEES6_PiJS6_EEE10hipError_tPvRmT3_T4_T5_T6_T7_T9_mT8_P12ihipStream_tbDpT10_ENKUlT_T0_E_clISt17integral_constantIbLb1EES1A_IbLb0EEEEDaS16_S17_EUlS16_E_NS1_11comp_targetILNS1_3genE4ELNS1_11target_archE910ELNS1_3gpuE8ELNS1_3repE0EEENS1_30default_config_static_selectorELNS0_4arch9wavefront6targetE0EEEvT1_
                                        ; -- End function
	.section	.AMDGPU.csdata,"",@progbits
; Kernel info:
; codeLenInByte = 0
; NumSgprs: 0
; NumVgprs: 0
; ScratchSize: 0
; MemoryBound: 0
; FloatMode: 240
; IeeeMode: 1
; LDSByteSize: 0 bytes/workgroup (compile time only)
; SGPRBlocks: 0
; VGPRBlocks: 0
; NumSGPRsForWavesPerEU: 1
; NumVGPRsForWavesPerEU: 1
; Occupancy: 15
; WaveLimiterHint : 0
; COMPUTE_PGM_RSRC2:SCRATCH_EN: 0
; COMPUTE_PGM_RSRC2:USER_SGPR: 15
; COMPUTE_PGM_RSRC2:TRAP_HANDLER: 0
; COMPUTE_PGM_RSRC2:TGID_X_EN: 1
; COMPUTE_PGM_RSRC2:TGID_Y_EN: 0
; COMPUTE_PGM_RSRC2:TGID_Z_EN: 0
; COMPUTE_PGM_RSRC2:TIDIG_COMP_CNT: 0
	.section	.text._ZN7rocprim17ROCPRIM_400000_NS6detail17trampoline_kernelINS0_14default_configENS1_25partition_config_selectorILNS1_17partition_subalgoE5ElNS0_10empty_typeEbEEZZNS1_14partition_implILS5_5ELb0ES3_mN6hipcub16HIPCUB_304000_NS21CountingInputIteratorIllEEPS6_NSA_22TransformInputIteratorIbN2at6native12_GLOBAL__N_19NonZeroOpIaEEPKalEENS0_5tupleIJPlS6_EEENSN_IJSD_SD_EEES6_PiJS6_EEE10hipError_tPvRmT3_T4_T5_T6_T7_T9_mT8_P12ihipStream_tbDpT10_ENKUlT_T0_E_clISt17integral_constantIbLb1EES1A_IbLb0EEEEDaS16_S17_EUlS16_E_NS1_11comp_targetILNS1_3genE3ELNS1_11target_archE908ELNS1_3gpuE7ELNS1_3repE0EEENS1_30default_config_static_selectorELNS0_4arch9wavefront6targetE0EEEvT1_,"axG",@progbits,_ZN7rocprim17ROCPRIM_400000_NS6detail17trampoline_kernelINS0_14default_configENS1_25partition_config_selectorILNS1_17partition_subalgoE5ElNS0_10empty_typeEbEEZZNS1_14partition_implILS5_5ELb0ES3_mN6hipcub16HIPCUB_304000_NS21CountingInputIteratorIllEEPS6_NSA_22TransformInputIteratorIbN2at6native12_GLOBAL__N_19NonZeroOpIaEEPKalEENS0_5tupleIJPlS6_EEENSN_IJSD_SD_EEES6_PiJS6_EEE10hipError_tPvRmT3_T4_T5_T6_T7_T9_mT8_P12ihipStream_tbDpT10_ENKUlT_T0_E_clISt17integral_constantIbLb1EES1A_IbLb0EEEEDaS16_S17_EUlS16_E_NS1_11comp_targetILNS1_3genE3ELNS1_11target_archE908ELNS1_3gpuE7ELNS1_3repE0EEENS1_30default_config_static_selectorELNS0_4arch9wavefront6targetE0EEEvT1_,comdat
	.globl	_ZN7rocprim17ROCPRIM_400000_NS6detail17trampoline_kernelINS0_14default_configENS1_25partition_config_selectorILNS1_17partition_subalgoE5ElNS0_10empty_typeEbEEZZNS1_14partition_implILS5_5ELb0ES3_mN6hipcub16HIPCUB_304000_NS21CountingInputIteratorIllEEPS6_NSA_22TransformInputIteratorIbN2at6native12_GLOBAL__N_19NonZeroOpIaEEPKalEENS0_5tupleIJPlS6_EEENSN_IJSD_SD_EEES6_PiJS6_EEE10hipError_tPvRmT3_T4_T5_T6_T7_T9_mT8_P12ihipStream_tbDpT10_ENKUlT_T0_E_clISt17integral_constantIbLb1EES1A_IbLb0EEEEDaS16_S17_EUlS16_E_NS1_11comp_targetILNS1_3genE3ELNS1_11target_archE908ELNS1_3gpuE7ELNS1_3repE0EEENS1_30default_config_static_selectorELNS0_4arch9wavefront6targetE0EEEvT1_ ; -- Begin function _ZN7rocprim17ROCPRIM_400000_NS6detail17trampoline_kernelINS0_14default_configENS1_25partition_config_selectorILNS1_17partition_subalgoE5ElNS0_10empty_typeEbEEZZNS1_14partition_implILS5_5ELb0ES3_mN6hipcub16HIPCUB_304000_NS21CountingInputIteratorIllEEPS6_NSA_22TransformInputIteratorIbN2at6native12_GLOBAL__N_19NonZeroOpIaEEPKalEENS0_5tupleIJPlS6_EEENSN_IJSD_SD_EEES6_PiJS6_EEE10hipError_tPvRmT3_T4_T5_T6_T7_T9_mT8_P12ihipStream_tbDpT10_ENKUlT_T0_E_clISt17integral_constantIbLb1EES1A_IbLb0EEEEDaS16_S17_EUlS16_E_NS1_11comp_targetILNS1_3genE3ELNS1_11target_archE908ELNS1_3gpuE7ELNS1_3repE0EEENS1_30default_config_static_selectorELNS0_4arch9wavefront6targetE0EEEvT1_
	.p2align	8
	.type	_ZN7rocprim17ROCPRIM_400000_NS6detail17trampoline_kernelINS0_14default_configENS1_25partition_config_selectorILNS1_17partition_subalgoE5ElNS0_10empty_typeEbEEZZNS1_14partition_implILS5_5ELb0ES3_mN6hipcub16HIPCUB_304000_NS21CountingInputIteratorIllEEPS6_NSA_22TransformInputIteratorIbN2at6native12_GLOBAL__N_19NonZeroOpIaEEPKalEENS0_5tupleIJPlS6_EEENSN_IJSD_SD_EEES6_PiJS6_EEE10hipError_tPvRmT3_T4_T5_T6_T7_T9_mT8_P12ihipStream_tbDpT10_ENKUlT_T0_E_clISt17integral_constantIbLb1EES1A_IbLb0EEEEDaS16_S17_EUlS16_E_NS1_11comp_targetILNS1_3genE3ELNS1_11target_archE908ELNS1_3gpuE7ELNS1_3repE0EEENS1_30default_config_static_selectorELNS0_4arch9wavefront6targetE0EEEvT1_,@function
_ZN7rocprim17ROCPRIM_400000_NS6detail17trampoline_kernelINS0_14default_configENS1_25partition_config_selectorILNS1_17partition_subalgoE5ElNS0_10empty_typeEbEEZZNS1_14partition_implILS5_5ELb0ES3_mN6hipcub16HIPCUB_304000_NS21CountingInputIteratorIllEEPS6_NSA_22TransformInputIteratorIbN2at6native12_GLOBAL__N_19NonZeroOpIaEEPKalEENS0_5tupleIJPlS6_EEENSN_IJSD_SD_EEES6_PiJS6_EEE10hipError_tPvRmT3_T4_T5_T6_T7_T9_mT8_P12ihipStream_tbDpT10_ENKUlT_T0_E_clISt17integral_constantIbLb1EES1A_IbLb0EEEEDaS16_S17_EUlS16_E_NS1_11comp_targetILNS1_3genE3ELNS1_11target_archE908ELNS1_3gpuE7ELNS1_3repE0EEENS1_30default_config_static_selectorELNS0_4arch9wavefront6targetE0EEEvT1_: ; @_ZN7rocprim17ROCPRIM_400000_NS6detail17trampoline_kernelINS0_14default_configENS1_25partition_config_selectorILNS1_17partition_subalgoE5ElNS0_10empty_typeEbEEZZNS1_14partition_implILS5_5ELb0ES3_mN6hipcub16HIPCUB_304000_NS21CountingInputIteratorIllEEPS6_NSA_22TransformInputIteratorIbN2at6native12_GLOBAL__N_19NonZeroOpIaEEPKalEENS0_5tupleIJPlS6_EEENSN_IJSD_SD_EEES6_PiJS6_EEE10hipError_tPvRmT3_T4_T5_T6_T7_T9_mT8_P12ihipStream_tbDpT10_ENKUlT_T0_E_clISt17integral_constantIbLb1EES1A_IbLb0EEEEDaS16_S17_EUlS16_E_NS1_11comp_targetILNS1_3genE3ELNS1_11target_archE908ELNS1_3gpuE7ELNS1_3repE0EEENS1_30default_config_static_selectorELNS0_4arch9wavefront6targetE0EEEvT1_
; %bb.0:
	.section	.rodata,"a",@progbits
	.p2align	6, 0x0
	.amdhsa_kernel _ZN7rocprim17ROCPRIM_400000_NS6detail17trampoline_kernelINS0_14default_configENS1_25partition_config_selectorILNS1_17partition_subalgoE5ElNS0_10empty_typeEbEEZZNS1_14partition_implILS5_5ELb0ES3_mN6hipcub16HIPCUB_304000_NS21CountingInputIteratorIllEEPS6_NSA_22TransformInputIteratorIbN2at6native12_GLOBAL__N_19NonZeroOpIaEEPKalEENS0_5tupleIJPlS6_EEENSN_IJSD_SD_EEES6_PiJS6_EEE10hipError_tPvRmT3_T4_T5_T6_T7_T9_mT8_P12ihipStream_tbDpT10_ENKUlT_T0_E_clISt17integral_constantIbLb1EES1A_IbLb0EEEEDaS16_S17_EUlS16_E_NS1_11comp_targetILNS1_3genE3ELNS1_11target_archE908ELNS1_3gpuE7ELNS1_3repE0EEENS1_30default_config_static_selectorELNS0_4arch9wavefront6targetE0EEEvT1_
		.amdhsa_group_segment_fixed_size 0
		.amdhsa_private_segment_fixed_size 0
		.amdhsa_kernarg_size 120
		.amdhsa_user_sgpr_count 15
		.amdhsa_user_sgpr_dispatch_ptr 0
		.amdhsa_user_sgpr_queue_ptr 0
		.amdhsa_user_sgpr_kernarg_segment_ptr 1
		.amdhsa_user_sgpr_dispatch_id 0
		.amdhsa_user_sgpr_private_segment_size 0
		.amdhsa_wavefront_size32 1
		.amdhsa_uses_dynamic_stack 0
		.amdhsa_enable_private_segment 0
		.amdhsa_system_sgpr_workgroup_id_x 1
		.amdhsa_system_sgpr_workgroup_id_y 0
		.amdhsa_system_sgpr_workgroup_id_z 0
		.amdhsa_system_sgpr_workgroup_info 0
		.amdhsa_system_vgpr_workitem_id 0
		.amdhsa_next_free_vgpr 1
		.amdhsa_next_free_sgpr 1
		.amdhsa_reserve_vcc 0
		.amdhsa_float_round_mode_32 0
		.amdhsa_float_round_mode_16_64 0
		.amdhsa_float_denorm_mode_32 3
		.amdhsa_float_denorm_mode_16_64 3
		.amdhsa_dx10_clamp 1
		.amdhsa_ieee_mode 1
		.amdhsa_fp16_overflow 0
		.amdhsa_workgroup_processor_mode 1
		.amdhsa_memory_ordered 1
		.amdhsa_forward_progress 0
		.amdhsa_shared_vgpr_count 0
		.amdhsa_exception_fp_ieee_invalid_op 0
		.amdhsa_exception_fp_denorm_src 0
		.amdhsa_exception_fp_ieee_div_zero 0
		.amdhsa_exception_fp_ieee_overflow 0
		.amdhsa_exception_fp_ieee_underflow 0
		.amdhsa_exception_fp_ieee_inexact 0
		.amdhsa_exception_int_div_zero 0
	.end_amdhsa_kernel
	.section	.text._ZN7rocprim17ROCPRIM_400000_NS6detail17trampoline_kernelINS0_14default_configENS1_25partition_config_selectorILNS1_17partition_subalgoE5ElNS0_10empty_typeEbEEZZNS1_14partition_implILS5_5ELb0ES3_mN6hipcub16HIPCUB_304000_NS21CountingInputIteratorIllEEPS6_NSA_22TransformInputIteratorIbN2at6native12_GLOBAL__N_19NonZeroOpIaEEPKalEENS0_5tupleIJPlS6_EEENSN_IJSD_SD_EEES6_PiJS6_EEE10hipError_tPvRmT3_T4_T5_T6_T7_T9_mT8_P12ihipStream_tbDpT10_ENKUlT_T0_E_clISt17integral_constantIbLb1EES1A_IbLb0EEEEDaS16_S17_EUlS16_E_NS1_11comp_targetILNS1_3genE3ELNS1_11target_archE908ELNS1_3gpuE7ELNS1_3repE0EEENS1_30default_config_static_selectorELNS0_4arch9wavefront6targetE0EEEvT1_,"axG",@progbits,_ZN7rocprim17ROCPRIM_400000_NS6detail17trampoline_kernelINS0_14default_configENS1_25partition_config_selectorILNS1_17partition_subalgoE5ElNS0_10empty_typeEbEEZZNS1_14partition_implILS5_5ELb0ES3_mN6hipcub16HIPCUB_304000_NS21CountingInputIteratorIllEEPS6_NSA_22TransformInputIteratorIbN2at6native12_GLOBAL__N_19NonZeroOpIaEEPKalEENS0_5tupleIJPlS6_EEENSN_IJSD_SD_EEES6_PiJS6_EEE10hipError_tPvRmT3_T4_T5_T6_T7_T9_mT8_P12ihipStream_tbDpT10_ENKUlT_T0_E_clISt17integral_constantIbLb1EES1A_IbLb0EEEEDaS16_S17_EUlS16_E_NS1_11comp_targetILNS1_3genE3ELNS1_11target_archE908ELNS1_3gpuE7ELNS1_3repE0EEENS1_30default_config_static_selectorELNS0_4arch9wavefront6targetE0EEEvT1_,comdat
.Lfunc_end137:
	.size	_ZN7rocprim17ROCPRIM_400000_NS6detail17trampoline_kernelINS0_14default_configENS1_25partition_config_selectorILNS1_17partition_subalgoE5ElNS0_10empty_typeEbEEZZNS1_14partition_implILS5_5ELb0ES3_mN6hipcub16HIPCUB_304000_NS21CountingInputIteratorIllEEPS6_NSA_22TransformInputIteratorIbN2at6native12_GLOBAL__N_19NonZeroOpIaEEPKalEENS0_5tupleIJPlS6_EEENSN_IJSD_SD_EEES6_PiJS6_EEE10hipError_tPvRmT3_T4_T5_T6_T7_T9_mT8_P12ihipStream_tbDpT10_ENKUlT_T0_E_clISt17integral_constantIbLb1EES1A_IbLb0EEEEDaS16_S17_EUlS16_E_NS1_11comp_targetILNS1_3genE3ELNS1_11target_archE908ELNS1_3gpuE7ELNS1_3repE0EEENS1_30default_config_static_selectorELNS0_4arch9wavefront6targetE0EEEvT1_, .Lfunc_end137-_ZN7rocprim17ROCPRIM_400000_NS6detail17trampoline_kernelINS0_14default_configENS1_25partition_config_selectorILNS1_17partition_subalgoE5ElNS0_10empty_typeEbEEZZNS1_14partition_implILS5_5ELb0ES3_mN6hipcub16HIPCUB_304000_NS21CountingInputIteratorIllEEPS6_NSA_22TransformInputIteratorIbN2at6native12_GLOBAL__N_19NonZeroOpIaEEPKalEENS0_5tupleIJPlS6_EEENSN_IJSD_SD_EEES6_PiJS6_EEE10hipError_tPvRmT3_T4_T5_T6_T7_T9_mT8_P12ihipStream_tbDpT10_ENKUlT_T0_E_clISt17integral_constantIbLb1EES1A_IbLb0EEEEDaS16_S17_EUlS16_E_NS1_11comp_targetILNS1_3genE3ELNS1_11target_archE908ELNS1_3gpuE7ELNS1_3repE0EEENS1_30default_config_static_selectorELNS0_4arch9wavefront6targetE0EEEvT1_
                                        ; -- End function
	.section	.AMDGPU.csdata,"",@progbits
; Kernel info:
; codeLenInByte = 0
; NumSgprs: 0
; NumVgprs: 0
; ScratchSize: 0
; MemoryBound: 0
; FloatMode: 240
; IeeeMode: 1
; LDSByteSize: 0 bytes/workgroup (compile time only)
; SGPRBlocks: 0
; VGPRBlocks: 0
; NumSGPRsForWavesPerEU: 1
; NumVGPRsForWavesPerEU: 1
; Occupancy: 16
; WaveLimiterHint : 0
; COMPUTE_PGM_RSRC2:SCRATCH_EN: 0
; COMPUTE_PGM_RSRC2:USER_SGPR: 15
; COMPUTE_PGM_RSRC2:TRAP_HANDLER: 0
; COMPUTE_PGM_RSRC2:TGID_X_EN: 1
; COMPUTE_PGM_RSRC2:TGID_Y_EN: 0
; COMPUTE_PGM_RSRC2:TGID_Z_EN: 0
; COMPUTE_PGM_RSRC2:TIDIG_COMP_CNT: 0
	.section	.text._ZN7rocprim17ROCPRIM_400000_NS6detail17trampoline_kernelINS0_14default_configENS1_25partition_config_selectorILNS1_17partition_subalgoE5ElNS0_10empty_typeEbEEZZNS1_14partition_implILS5_5ELb0ES3_mN6hipcub16HIPCUB_304000_NS21CountingInputIteratorIllEEPS6_NSA_22TransformInputIteratorIbN2at6native12_GLOBAL__N_19NonZeroOpIaEEPKalEENS0_5tupleIJPlS6_EEENSN_IJSD_SD_EEES6_PiJS6_EEE10hipError_tPvRmT3_T4_T5_T6_T7_T9_mT8_P12ihipStream_tbDpT10_ENKUlT_T0_E_clISt17integral_constantIbLb1EES1A_IbLb0EEEEDaS16_S17_EUlS16_E_NS1_11comp_targetILNS1_3genE2ELNS1_11target_archE906ELNS1_3gpuE6ELNS1_3repE0EEENS1_30default_config_static_selectorELNS0_4arch9wavefront6targetE0EEEvT1_,"axG",@progbits,_ZN7rocprim17ROCPRIM_400000_NS6detail17trampoline_kernelINS0_14default_configENS1_25partition_config_selectorILNS1_17partition_subalgoE5ElNS0_10empty_typeEbEEZZNS1_14partition_implILS5_5ELb0ES3_mN6hipcub16HIPCUB_304000_NS21CountingInputIteratorIllEEPS6_NSA_22TransformInputIteratorIbN2at6native12_GLOBAL__N_19NonZeroOpIaEEPKalEENS0_5tupleIJPlS6_EEENSN_IJSD_SD_EEES6_PiJS6_EEE10hipError_tPvRmT3_T4_T5_T6_T7_T9_mT8_P12ihipStream_tbDpT10_ENKUlT_T0_E_clISt17integral_constantIbLb1EES1A_IbLb0EEEEDaS16_S17_EUlS16_E_NS1_11comp_targetILNS1_3genE2ELNS1_11target_archE906ELNS1_3gpuE6ELNS1_3repE0EEENS1_30default_config_static_selectorELNS0_4arch9wavefront6targetE0EEEvT1_,comdat
	.globl	_ZN7rocprim17ROCPRIM_400000_NS6detail17trampoline_kernelINS0_14default_configENS1_25partition_config_selectorILNS1_17partition_subalgoE5ElNS0_10empty_typeEbEEZZNS1_14partition_implILS5_5ELb0ES3_mN6hipcub16HIPCUB_304000_NS21CountingInputIteratorIllEEPS6_NSA_22TransformInputIteratorIbN2at6native12_GLOBAL__N_19NonZeroOpIaEEPKalEENS0_5tupleIJPlS6_EEENSN_IJSD_SD_EEES6_PiJS6_EEE10hipError_tPvRmT3_T4_T5_T6_T7_T9_mT8_P12ihipStream_tbDpT10_ENKUlT_T0_E_clISt17integral_constantIbLb1EES1A_IbLb0EEEEDaS16_S17_EUlS16_E_NS1_11comp_targetILNS1_3genE2ELNS1_11target_archE906ELNS1_3gpuE6ELNS1_3repE0EEENS1_30default_config_static_selectorELNS0_4arch9wavefront6targetE0EEEvT1_ ; -- Begin function _ZN7rocprim17ROCPRIM_400000_NS6detail17trampoline_kernelINS0_14default_configENS1_25partition_config_selectorILNS1_17partition_subalgoE5ElNS0_10empty_typeEbEEZZNS1_14partition_implILS5_5ELb0ES3_mN6hipcub16HIPCUB_304000_NS21CountingInputIteratorIllEEPS6_NSA_22TransformInputIteratorIbN2at6native12_GLOBAL__N_19NonZeroOpIaEEPKalEENS0_5tupleIJPlS6_EEENSN_IJSD_SD_EEES6_PiJS6_EEE10hipError_tPvRmT3_T4_T5_T6_T7_T9_mT8_P12ihipStream_tbDpT10_ENKUlT_T0_E_clISt17integral_constantIbLb1EES1A_IbLb0EEEEDaS16_S17_EUlS16_E_NS1_11comp_targetILNS1_3genE2ELNS1_11target_archE906ELNS1_3gpuE6ELNS1_3repE0EEENS1_30default_config_static_selectorELNS0_4arch9wavefront6targetE0EEEvT1_
	.p2align	8
	.type	_ZN7rocprim17ROCPRIM_400000_NS6detail17trampoline_kernelINS0_14default_configENS1_25partition_config_selectorILNS1_17partition_subalgoE5ElNS0_10empty_typeEbEEZZNS1_14partition_implILS5_5ELb0ES3_mN6hipcub16HIPCUB_304000_NS21CountingInputIteratorIllEEPS6_NSA_22TransformInputIteratorIbN2at6native12_GLOBAL__N_19NonZeroOpIaEEPKalEENS0_5tupleIJPlS6_EEENSN_IJSD_SD_EEES6_PiJS6_EEE10hipError_tPvRmT3_T4_T5_T6_T7_T9_mT8_P12ihipStream_tbDpT10_ENKUlT_T0_E_clISt17integral_constantIbLb1EES1A_IbLb0EEEEDaS16_S17_EUlS16_E_NS1_11comp_targetILNS1_3genE2ELNS1_11target_archE906ELNS1_3gpuE6ELNS1_3repE0EEENS1_30default_config_static_selectorELNS0_4arch9wavefront6targetE0EEEvT1_,@function
_ZN7rocprim17ROCPRIM_400000_NS6detail17trampoline_kernelINS0_14default_configENS1_25partition_config_selectorILNS1_17partition_subalgoE5ElNS0_10empty_typeEbEEZZNS1_14partition_implILS5_5ELb0ES3_mN6hipcub16HIPCUB_304000_NS21CountingInputIteratorIllEEPS6_NSA_22TransformInputIteratorIbN2at6native12_GLOBAL__N_19NonZeroOpIaEEPKalEENS0_5tupleIJPlS6_EEENSN_IJSD_SD_EEES6_PiJS6_EEE10hipError_tPvRmT3_T4_T5_T6_T7_T9_mT8_P12ihipStream_tbDpT10_ENKUlT_T0_E_clISt17integral_constantIbLb1EES1A_IbLb0EEEEDaS16_S17_EUlS16_E_NS1_11comp_targetILNS1_3genE2ELNS1_11target_archE906ELNS1_3gpuE6ELNS1_3repE0EEENS1_30default_config_static_selectorELNS0_4arch9wavefront6targetE0EEEvT1_: ; @_ZN7rocprim17ROCPRIM_400000_NS6detail17trampoline_kernelINS0_14default_configENS1_25partition_config_selectorILNS1_17partition_subalgoE5ElNS0_10empty_typeEbEEZZNS1_14partition_implILS5_5ELb0ES3_mN6hipcub16HIPCUB_304000_NS21CountingInputIteratorIllEEPS6_NSA_22TransformInputIteratorIbN2at6native12_GLOBAL__N_19NonZeroOpIaEEPKalEENS0_5tupleIJPlS6_EEENSN_IJSD_SD_EEES6_PiJS6_EEE10hipError_tPvRmT3_T4_T5_T6_T7_T9_mT8_P12ihipStream_tbDpT10_ENKUlT_T0_E_clISt17integral_constantIbLb1EES1A_IbLb0EEEEDaS16_S17_EUlS16_E_NS1_11comp_targetILNS1_3genE2ELNS1_11target_archE906ELNS1_3gpuE6ELNS1_3repE0EEENS1_30default_config_static_selectorELNS0_4arch9wavefront6targetE0EEEvT1_
; %bb.0:
	.section	.rodata,"a",@progbits
	.p2align	6, 0x0
	.amdhsa_kernel _ZN7rocprim17ROCPRIM_400000_NS6detail17trampoline_kernelINS0_14default_configENS1_25partition_config_selectorILNS1_17partition_subalgoE5ElNS0_10empty_typeEbEEZZNS1_14partition_implILS5_5ELb0ES3_mN6hipcub16HIPCUB_304000_NS21CountingInputIteratorIllEEPS6_NSA_22TransformInputIteratorIbN2at6native12_GLOBAL__N_19NonZeroOpIaEEPKalEENS0_5tupleIJPlS6_EEENSN_IJSD_SD_EEES6_PiJS6_EEE10hipError_tPvRmT3_T4_T5_T6_T7_T9_mT8_P12ihipStream_tbDpT10_ENKUlT_T0_E_clISt17integral_constantIbLb1EES1A_IbLb0EEEEDaS16_S17_EUlS16_E_NS1_11comp_targetILNS1_3genE2ELNS1_11target_archE906ELNS1_3gpuE6ELNS1_3repE0EEENS1_30default_config_static_selectorELNS0_4arch9wavefront6targetE0EEEvT1_
		.amdhsa_group_segment_fixed_size 0
		.amdhsa_private_segment_fixed_size 0
		.amdhsa_kernarg_size 120
		.amdhsa_user_sgpr_count 15
		.amdhsa_user_sgpr_dispatch_ptr 0
		.amdhsa_user_sgpr_queue_ptr 0
		.amdhsa_user_sgpr_kernarg_segment_ptr 1
		.amdhsa_user_sgpr_dispatch_id 0
		.amdhsa_user_sgpr_private_segment_size 0
		.amdhsa_wavefront_size32 1
		.amdhsa_uses_dynamic_stack 0
		.amdhsa_enable_private_segment 0
		.amdhsa_system_sgpr_workgroup_id_x 1
		.amdhsa_system_sgpr_workgroup_id_y 0
		.amdhsa_system_sgpr_workgroup_id_z 0
		.amdhsa_system_sgpr_workgroup_info 0
		.amdhsa_system_vgpr_workitem_id 0
		.amdhsa_next_free_vgpr 1
		.amdhsa_next_free_sgpr 1
		.amdhsa_reserve_vcc 0
		.amdhsa_float_round_mode_32 0
		.amdhsa_float_round_mode_16_64 0
		.amdhsa_float_denorm_mode_32 3
		.amdhsa_float_denorm_mode_16_64 3
		.amdhsa_dx10_clamp 1
		.amdhsa_ieee_mode 1
		.amdhsa_fp16_overflow 0
		.amdhsa_workgroup_processor_mode 1
		.amdhsa_memory_ordered 1
		.amdhsa_forward_progress 0
		.amdhsa_shared_vgpr_count 0
		.amdhsa_exception_fp_ieee_invalid_op 0
		.amdhsa_exception_fp_denorm_src 0
		.amdhsa_exception_fp_ieee_div_zero 0
		.amdhsa_exception_fp_ieee_overflow 0
		.amdhsa_exception_fp_ieee_underflow 0
		.amdhsa_exception_fp_ieee_inexact 0
		.amdhsa_exception_int_div_zero 0
	.end_amdhsa_kernel
	.section	.text._ZN7rocprim17ROCPRIM_400000_NS6detail17trampoline_kernelINS0_14default_configENS1_25partition_config_selectorILNS1_17partition_subalgoE5ElNS0_10empty_typeEbEEZZNS1_14partition_implILS5_5ELb0ES3_mN6hipcub16HIPCUB_304000_NS21CountingInputIteratorIllEEPS6_NSA_22TransformInputIteratorIbN2at6native12_GLOBAL__N_19NonZeroOpIaEEPKalEENS0_5tupleIJPlS6_EEENSN_IJSD_SD_EEES6_PiJS6_EEE10hipError_tPvRmT3_T4_T5_T6_T7_T9_mT8_P12ihipStream_tbDpT10_ENKUlT_T0_E_clISt17integral_constantIbLb1EES1A_IbLb0EEEEDaS16_S17_EUlS16_E_NS1_11comp_targetILNS1_3genE2ELNS1_11target_archE906ELNS1_3gpuE6ELNS1_3repE0EEENS1_30default_config_static_selectorELNS0_4arch9wavefront6targetE0EEEvT1_,"axG",@progbits,_ZN7rocprim17ROCPRIM_400000_NS6detail17trampoline_kernelINS0_14default_configENS1_25partition_config_selectorILNS1_17partition_subalgoE5ElNS0_10empty_typeEbEEZZNS1_14partition_implILS5_5ELb0ES3_mN6hipcub16HIPCUB_304000_NS21CountingInputIteratorIllEEPS6_NSA_22TransformInputIteratorIbN2at6native12_GLOBAL__N_19NonZeroOpIaEEPKalEENS0_5tupleIJPlS6_EEENSN_IJSD_SD_EEES6_PiJS6_EEE10hipError_tPvRmT3_T4_T5_T6_T7_T9_mT8_P12ihipStream_tbDpT10_ENKUlT_T0_E_clISt17integral_constantIbLb1EES1A_IbLb0EEEEDaS16_S17_EUlS16_E_NS1_11comp_targetILNS1_3genE2ELNS1_11target_archE906ELNS1_3gpuE6ELNS1_3repE0EEENS1_30default_config_static_selectorELNS0_4arch9wavefront6targetE0EEEvT1_,comdat
.Lfunc_end138:
	.size	_ZN7rocprim17ROCPRIM_400000_NS6detail17trampoline_kernelINS0_14default_configENS1_25partition_config_selectorILNS1_17partition_subalgoE5ElNS0_10empty_typeEbEEZZNS1_14partition_implILS5_5ELb0ES3_mN6hipcub16HIPCUB_304000_NS21CountingInputIteratorIllEEPS6_NSA_22TransformInputIteratorIbN2at6native12_GLOBAL__N_19NonZeroOpIaEEPKalEENS0_5tupleIJPlS6_EEENSN_IJSD_SD_EEES6_PiJS6_EEE10hipError_tPvRmT3_T4_T5_T6_T7_T9_mT8_P12ihipStream_tbDpT10_ENKUlT_T0_E_clISt17integral_constantIbLb1EES1A_IbLb0EEEEDaS16_S17_EUlS16_E_NS1_11comp_targetILNS1_3genE2ELNS1_11target_archE906ELNS1_3gpuE6ELNS1_3repE0EEENS1_30default_config_static_selectorELNS0_4arch9wavefront6targetE0EEEvT1_, .Lfunc_end138-_ZN7rocprim17ROCPRIM_400000_NS6detail17trampoline_kernelINS0_14default_configENS1_25partition_config_selectorILNS1_17partition_subalgoE5ElNS0_10empty_typeEbEEZZNS1_14partition_implILS5_5ELb0ES3_mN6hipcub16HIPCUB_304000_NS21CountingInputIteratorIllEEPS6_NSA_22TransformInputIteratorIbN2at6native12_GLOBAL__N_19NonZeroOpIaEEPKalEENS0_5tupleIJPlS6_EEENSN_IJSD_SD_EEES6_PiJS6_EEE10hipError_tPvRmT3_T4_T5_T6_T7_T9_mT8_P12ihipStream_tbDpT10_ENKUlT_T0_E_clISt17integral_constantIbLb1EES1A_IbLb0EEEEDaS16_S17_EUlS16_E_NS1_11comp_targetILNS1_3genE2ELNS1_11target_archE906ELNS1_3gpuE6ELNS1_3repE0EEENS1_30default_config_static_selectorELNS0_4arch9wavefront6targetE0EEEvT1_
                                        ; -- End function
	.section	.AMDGPU.csdata,"",@progbits
; Kernel info:
; codeLenInByte = 0
; NumSgprs: 0
; NumVgprs: 0
; ScratchSize: 0
; MemoryBound: 0
; FloatMode: 240
; IeeeMode: 1
; LDSByteSize: 0 bytes/workgroup (compile time only)
; SGPRBlocks: 0
; VGPRBlocks: 0
; NumSGPRsForWavesPerEU: 1
; NumVGPRsForWavesPerEU: 1
; Occupancy: 16
; WaveLimiterHint : 0
; COMPUTE_PGM_RSRC2:SCRATCH_EN: 0
; COMPUTE_PGM_RSRC2:USER_SGPR: 15
; COMPUTE_PGM_RSRC2:TRAP_HANDLER: 0
; COMPUTE_PGM_RSRC2:TGID_X_EN: 1
; COMPUTE_PGM_RSRC2:TGID_Y_EN: 0
; COMPUTE_PGM_RSRC2:TGID_Z_EN: 0
; COMPUTE_PGM_RSRC2:TIDIG_COMP_CNT: 0
	.section	.text._ZN7rocprim17ROCPRIM_400000_NS6detail17trampoline_kernelINS0_14default_configENS1_25partition_config_selectorILNS1_17partition_subalgoE5ElNS0_10empty_typeEbEEZZNS1_14partition_implILS5_5ELb0ES3_mN6hipcub16HIPCUB_304000_NS21CountingInputIteratorIllEEPS6_NSA_22TransformInputIteratorIbN2at6native12_GLOBAL__N_19NonZeroOpIaEEPKalEENS0_5tupleIJPlS6_EEENSN_IJSD_SD_EEES6_PiJS6_EEE10hipError_tPvRmT3_T4_T5_T6_T7_T9_mT8_P12ihipStream_tbDpT10_ENKUlT_T0_E_clISt17integral_constantIbLb1EES1A_IbLb0EEEEDaS16_S17_EUlS16_E_NS1_11comp_targetILNS1_3genE10ELNS1_11target_archE1200ELNS1_3gpuE4ELNS1_3repE0EEENS1_30default_config_static_selectorELNS0_4arch9wavefront6targetE0EEEvT1_,"axG",@progbits,_ZN7rocprim17ROCPRIM_400000_NS6detail17trampoline_kernelINS0_14default_configENS1_25partition_config_selectorILNS1_17partition_subalgoE5ElNS0_10empty_typeEbEEZZNS1_14partition_implILS5_5ELb0ES3_mN6hipcub16HIPCUB_304000_NS21CountingInputIteratorIllEEPS6_NSA_22TransformInputIteratorIbN2at6native12_GLOBAL__N_19NonZeroOpIaEEPKalEENS0_5tupleIJPlS6_EEENSN_IJSD_SD_EEES6_PiJS6_EEE10hipError_tPvRmT3_T4_T5_T6_T7_T9_mT8_P12ihipStream_tbDpT10_ENKUlT_T0_E_clISt17integral_constantIbLb1EES1A_IbLb0EEEEDaS16_S17_EUlS16_E_NS1_11comp_targetILNS1_3genE10ELNS1_11target_archE1200ELNS1_3gpuE4ELNS1_3repE0EEENS1_30default_config_static_selectorELNS0_4arch9wavefront6targetE0EEEvT1_,comdat
	.globl	_ZN7rocprim17ROCPRIM_400000_NS6detail17trampoline_kernelINS0_14default_configENS1_25partition_config_selectorILNS1_17partition_subalgoE5ElNS0_10empty_typeEbEEZZNS1_14partition_implILS5_5ELb0ES3_mN6hipcub16HIPCUB_304000_NS21CountingInputIteratorIllEEPS6_NSA_22TransformInputIteratorIbN2at6native12_GLOBAL__N_19NonZeroOpIaEEPKalEENS0_5tupleIJPlS6_EEENSN_IJSD_SD_EEES6_PiJS6_EEE10hipError_tPvRmT3_T4_T5_T6_T7_T9_mT8_P12ihipStream_tbDpT10_ENKUlT_T0_E_clISt17integral_constantIbLb1EES1A_IbLb0EEEEDaS16_S17_EUlS16_E_NS1_11comp_targetILNS1_3genE10ELNS1_11target_archE1200ELNS1_3gpuE4ELNS1_3repE0EEENS1_30default_config_static_selectorELNS0_4arch9wavefront6targetE0EEEvT1_ ; -- Begin function _ZN7rocprim17ROCPRIM_400000_NS6detail17trampoline_kernelINS0_14default_configENS1_25partition_config_selectorILNS1_17partition_subalgoE5ElNS0_10empty_typeEbEEZZNS1_14partition_implILS5_5ELb0ES3_mN6hipcub16HIPCUB_304000_NS21CountingInputIteratorIllEEPS6_NSA_22TransformInputIteratorIbN2at6native12_GLOBAL__N_19NonZeroOpIaEEPKalEENS0_5tupleIJPlS6_EEENSN_IJSD_SD_EEES6_PiJS6_EEE10hipError_tPvRmT3_T4_T5_T6_T7_T9_mT8_P12ihipStream_tbDpT10_ENKUlT_T0_E_clISt17integral_constantIbLb1EES1A_IbLb0EEEEDaS16_S17_EUlS16_E_NS1_11comp_targetILNS1_3genE10ELNS1_11target_archE1200ELNS1_3gpuE4ELNS1_3repE0EEENS1_30default_config_static_selectorELNS0_4arch9wavefront6targetE0EEEvT1_
	.p2align	8
	.type	_ZN7rocprim17ROCPRIM_400000_NS6detail17trampoline_kernelINS0_14default_configENS1_25partition_config_selectorILNS1_17partition_subalgoE5ElNS0_10empty_typeEbEEZZNS1_14partition_implILS5_5ELb0ES3_mN6hipcub16HIPCUB_304000_NS21CountingInputIteratorIllEEPS6_NSA_22TransformInputIteratorIbN2at6native12_GLOBAL__N_19NonZeroOpIaEEPKalEENS0_5tupleIJPlS6_EEENSN_IJSD_SD_EEES6_PiJS6_EEE10hipError_tPvRmT3_T4_T5_T6_T7_T9_mT8_P12ihipStream_tbDpT10_ENKUlT_T0_E_clISt17integral_constantIbLb1EES1A_IbLb0EEEEDaS16_S17_EUlS16_E_NS1_11comp_targetILNS1_3genE10ELNS1_11target_archE1200ELNS1_3gpuE4ELNS1_3repE0EEENS1_30default_config_static_selectorELNS0_4arch9wavefront6targetE0EEEvT1_,@function
_ZN7rocprim17ROCPRIM_400000_NS6detail17trampoline_kernelINS0_14default_configENS1_25partition_config_selectorILNS1_17partition_subalgoE5ElNS0_10empty_typeEbEEZZNS1_14partition_implILS5_5ELb0ES3_mN6hipcub16HIPCUB_304000_NS21CountingInputIteratorIllEEPS6_NSA_22TransformInputIteratorIbN2at6native12_GLOBAL__N_19NonZeroOpIaEEPKalEENS0_5tupleIJPlS6_EEENSN_IJSD_SD_EEES6_PiJS6_EEE10hipError_tPvRmT3_T4_T5_T6_T7_T9_mT8_P12ihipStream_tbDpT10_ENKUlT_T0_E_clISt17integral_constantIbLb1EES1A_IbLb0EEEEDaS16_S17_EUlS16_E_NS1_11comp_targetILNS1_3genE10ELNS1_11target_archE1200ELNS1_3gpuE4ELNS1_3repE0EEENS1_30default_config_static_selectorELNS0_4arch9wavefront6targetE0EEEvT1_: ; @_ZN7rocprim17ROCPRIM_400000_NS6detail17trampoline_kernelINS0_14default_configENS1_25partition_config_selectorILNS1_17partition_subalgoE5ElNS0_10empty_typeEbEEZZNS1_14partition_implILS5_5ELb0ES3_mN6hipcub16HIPCUB_304000_NS21CountingInputIteratorIllEEPS6_NSA_22TransformInputIteratorIbN2at6native12_GLOBAL__N_19NonZeroOpIaEEPKalEENS0_5tupleIJPlS6_EEENSN_IJSD_SD_EEES6_PiJS6_EEE10hipError_tPvRmT3_T4_T5_T6_T7_T9_mT8_P12ihipStream_tbDpT10_ENKUlT_T0_E_clISt17integral_constantIbLb1EES1A_IbLb0EEEEDaS16_S17_EUlS16_E_NS1_11comp_targetILNS1_3genE10ELNS1_11target_archE1200ELNS1_3gpuE4ELNS1_3repE0EEENS1_30default_config_static_selectorELNS0_4arch9wavefront6targetE0EEEvT1_
; %bb.0:
	.section	.rodata,"a",@progbits
	.p2align	6, 0x0
	.amdhsa_kernel _ZN7rocprim17ROCPRIM_400000_NS6detail17trampoline_kernelINS0_14default_configENS1_25partition_config_selectorILNS1_17partition_subalgoE5ElNS0_10empty_typeEbEEZZNS1_14partition_implILS5_5ELb0ES3_mN6hipcub16HIPCUB_304000_NS21CountingInputIteratorIllEEPS6_NSA_22TransformInputIteratorIbN2at6native12_GLOBAL__N_19NonZeroOpIaEEPKalEENS0_5tupleIJPlS6_EEENSN_IJSD_SD_EEES6_PiJS6_EEE10hipError_tPvRmT3_T4_T5_T6_T7_T9_mT8_P12ihipStream_tbDpT10_ENKUlT_T0_E_clISt17integral_constantIbLb1EES1A_IbLb0EEEEDaS16_S17_EUlS16_E_NS1_11comp_targetILNS1_3genE10ELNS1_11target_archE1200ELNS1_3gpuE4ELNS1_3repE0EEENS1_30default_config_static_selectorELNS0_4arch9wavefront6targetE0EEEvT1_
		.amdhsa_group_segment_fixed_size 0
		.amdhsa_private_segment_fixed_size 0
		.amdhsa_kernarg_size 120
		.amdhsa_user_sgpr_count 15
		.amdhsa_user_sgpr_dispatch_ptr 0
		.amdhsa_user_sgpr_queue_ptr 0
		.amdhsa_user_sgpr_kernarg_segment_ptr 1
		.amdhsa_user_sgpr_dispatch_id 0
		.amdhsa_user_sgpr_private_segment_size 0
		.amdhsa_wavefront_size32 1
		.amdhsa_uses_dynamic_stack 0
		.amdhsa_enable_private_segment 0
		.amdhsa_system_sgpr_workgroup_id_x 1
		.amdhsa_system_sgpr_workgroup_id_y 0
		.amdhsa_system_sgpr_workgroup_id_z 0
		.amdhsa_system_sgpr_workgroup_info 0
		.amdhsa_system_vgpr_workitem_id 0
		.amdhsa_next_free_vgpr 1
		.amdhsa_next_free_sgpr 1
		.amdhsa_reserve_vcc 0
		.amdhsa_float_round_mode_32 0
		.amdhsa_float_round_mode_16_64 0
		.amdhsa_float_denorm_mode_32 3
		.amdhsa_float_denorm_mode_16_64 3
		.amdhsa_dx10_clamp 1
		.amdhsa_ieee_mode 1
		.amdhsa_fp16_overflow 0
		.amdhsa_workgroup_processor_mode 1
		.amdhsa_memory_ordered 1
		.amdhsa_forward_progress 0
		.amdhsa_shared_vgpr_count 0
		.amdhsa_exception_fp_ieee_invalid_op 0
		.amdhsa_exception_fp_denorm_src 0
		.amdhsa_exception_fp_ieee_div_zero 0
		.amdhsa_exception_fp_ieee_overflow 0
		.amdhsa_exception_fp_ieee_underflow 0
		.amdhsa_exception_fp_ieee_inexact 0
		.amdhsa_exception_int_div_zero 0
	.end_amdhsa_kernel
	.section	.text._ZN7rocprim17ROCPRIM_400000_NS6detail17trampoline_kernelINS0_14default_configENS1_25partition_config_selectorILNS1_17partition_subalgoE5ElNS0_10empty_typeEbEEZZNS1_14partition_implILS5_5ELb0ES3_mN6hipcub16HIPCUB_304000_NS21CountingInputIteratorIllEEPS6_NSA_22TransformInputIteratorIbN2at6native12_GLOBAL__N_19NonZeroOpIaEEPKalEENS0_5tupleIJPlS6_EEENSN_IJSD_SD_EEES6_PiJS6_EEE10hipError_tPvRmT3_T4_T5_T6_T7_T9_mT8_P12ihipStream_tbDpT10_ENKUlT_T0_E_clISt17integral_constantIbLb1EES1A_IbLb0EEEEDaS16_S17_EUlS16_E_NS1_11comp_targetILNS1_3genE10ELNS1_11target_archE1200ELNS1_3gpuE4ELNS1_3repE0EEENS1_30default_config_static_selectorELNS0_4arch9wavefront6targetE0EEEvT1_,"axG",@progbits,_ZN7rocprim17ROCPRIM_400000_NS6detail17trampoline_kernelINS0_14default_configENS1_25partition_config_selectorILNS1_17partition_subalgoE5ElNS0_10empty_typeEbEEZZNS1_14partition_implILS5_5ELb0ES3_mN6hipcub16HIPCUB_304000_NS21CountingInputIteratorIllEEPS6_NSA_22TransformInputIteratorIbN2at6native12_GLOBAL__N_19NonZeroOpIaEEPKalEENS0_5tupleIJPlS6_EEENSN_IJSD_SD_EEES6_PiJS6_EEE10hipError_tPvRmT3_T4_T5_T6_T7_T9_mT8_P12ihipStream_tbDpT10_ENKUlT_T0_E_clISt17integral_constantIbLb1EES1A_IbLb0EEEEDaS16_S17_EUlS16_E_NS1_11comp_targetILNS1_3genE10ELNS1_11target_archE1200ELNS1_3gpuE4ELNS1_3repE0EEENS1_30default_config_static_selectorELNS0_4arch9wavefront6targetE0EEEvT1_,comdat
.Lfunc_end139:
	.size	_ZN7rocprim17ROCPRIM_400000_NS6detail17trampoline_kernelINS0_14default_configENS1_25partition_config_selectorILNS1_17partition_subalgoE5ElNS0_10empty_typeEbEEZZNS1_14partition_implILS5_5ELb0ES3_mN6hipcub16HIPCUB_304000_NS21CountingInputIteratorIllEEPS6_NSA_22TransformInputIteratorIbN2at6native12_GLOBAL__N_19NonZeroOpIaEEPKalEENS0_5tupleIJPlS6_EEENSN_IJSD_SD_EEES6_PiJS6_EEE10hipError_tPvRmT3_T4_T5_T6_T7_T9_mT8_P12ihipStream_tbDpT10_ENKUlT_T0_E_clISt17integral_constantIbLb1EES1A_IbLb0EEEEDaS16_S17_EUlS16_E_NS1_11comp_targetILNS1_3genE10ELNS1_11target_archE1200ELNS1_3gpuE4ELNS1_3repE0EEENS1_30default_config_static_selectorELNS0_4arch9wavefront6targetE0EEEvT1_, .Lfunc_end139-_ZN7rocprim17ROCPRIM_400000_NS6detail17trampoline_kernelINS0_14default_configENS1_25partition_config_selectorILNS1_17partition_subalgoE5ElNS0_10empty_typeEbEEZZNS1_14partition_implILS5_5ELb0ES3_mN6hipcub16HIPCUB_304000_NS21CountingInputIteratorIllEEPS6_NSA_22TransformInputIteratorIbN2at6native12_GLOBAL__N_19NonZeroOpIaEEPKalEENS0_5tupleIJPlS6_EEENSN_IJSD_SD_EEES6_PiJS6_EEE10hipError_tPvRmT3_T4_T5_T6_T7_T9_mT8_P12ihipStream_tbDpT10_ENKUlT_T0_E_clISt17integral_constantIbLb1EES1A_IbLb0EEEEDaS16_S17_EUlS16_E_NS1_11comp_targetILNS1_3genE10ELNS1_11target_archE1200ELNS1_3gpuE4ELNS1_3repE0EEENS1_30default_config_static_selectorELNS0_4arch9wavefront6targetE0EEEvT1_
                                        ; -- End function
	.section	.AMDGPU.csdata,"",@progbits
; Kernel info:
; codeLenInByte = 0
; NumSgprs: 0
; NumVgprs: 0
; ScratchSize: 0
; MemoryBound: 0
; FloatMode: 240
; IeeeMode: 1
; LDSByteSize: 0 bytes/workgroup (compile time only)
; SGPRBlocks: 0
; VGPRBlocks: 0
; NumSGPRsForWavesPerEU: 1
; NumVGPRsForWavesPerEU: 1
; Occupancy: 16
; WaveLimiterHint : 0
; COMPUTE_PGM_RSRC2:SCRATCH_EN: 0
; COMPUTE_PGM_RSRC2:USER_SGPR: 15
; COMPUTE_PGM_RSRC2:TRAP_HANDLER: 0
; COMPUTE_PGM_RSRC2:TGID_X_EN: 1
; COMPUTE_PGM_RSRC2:TGID_Y_EN: 0
; COMPUTE_PGM_RSRC2:TGID_Z_EN: 0
; COMPUTE_PGM_RSRC2:TIDIG_COMP_CNT: 0
	.section	.text._ZN7rocprim17ROCPRIM_400000_NS6detail17trampoline_kernelINS0_14default_configENS1_25partition_config_selectorILNS1_17partition_subalgoE5ElNS0_10empty_typeEbEEZZNS1_14partition_implILS5_5ELb0ES3_mN6hipcub16HIPCUB_304000_NS21CountingInputIteratorIllEEPS6_NSA_22TransformInputIteratorIbN2at6native12_GLOBAL__N_19NonZeroOpIaEEPKalEENS0_5tupleIJPlS6_EEENSN_IJSD_SD_EEES6_PiJS6_EEE10hipError_tPvRmT3_T4_T5_T6_T7_T9_mT8_P12ihipStream_tbDpT10_ENKUlT_T0_E_clISt17integral_constantIbLb1EES1A_IbLb0EEEEDaS16_S17_EUlS16_E_NS1_11comp_targetILNS1_3genE9ELNS1_11target_archE1100ELNS1_3gpuE3ELNS1_3repE0EEENS1_30default_config_static_selectorELNS0_4arch9wavefront6targetE0EEEvT1_,"axG",@progbits,_ZN7rocprim17ROCPRIM_400000_NS6detail17trampoline_kernelINS0_14default_configENS1_25partition_config_selectorILNS1_17partition_subalgoE5ElNS0_10empty_typeEbEEZZNS1_14partition_implILS5_5ELb0ES3_mN6hipcub16HIPCUB_304000_NS21CountingInputIteratorIllEEPS6_NSA_22TransformInputIteratorIbN2at6native12_GLOBAL__N_19NonZeroOpIaEEPKalEENS0_5tupleIJPlS6_EEENSN_IJSD_SD_EEES6_PiJS6_EEE10hipError_tPvRmT3_T4_T5_T6_T7_T9_mT8_P12ihipStream_tbDpT10_ENKUlT_T0_E_clISt17integral_constantIbLb1EES1A_IbLb0EEEEDaS16_S17_EUlS16_E_NS1_11comp_targetILNS1_3genE9ELNS1_11target_archE1100ELNS1_3gpuE3ELNS1_3repE0EEENS1_30default_config_static_selectorELNS0_4arch9wavefront6targetE0EEEvT1_,comdat
	.globl	_ZN7rocprim17ROCPRIM_400000_NS6detail17trampoline_kernelINS0_14default_configENS1_25partition_config_selectorILNS1_17partition_subalgoE5ElNS0_10empty_typeEbEEZZNS1_14partition_implILS5_5ELb0ES3_mN6hipcub16HIPCUB_304000_NS21CountingInputIteratorIllEEPS6_NSA_22TransformInputIteratorIbN2at6native12_GLOBAL__N_19NonZeroOpIaEEPKalEENS0_5tupleIJPlS6_EEENSN_IJSD_SD_EEES6_PiJS6_EEE10hipError_tPvRmT3_T4_T5_T6_T7_T9_mT8_P12ihipStream_tbDpT10_ENKUlT_T0_E_clISt17integral_constantIbLb1EES1A_IbLb0EEEEDaS16_S17_EUlS16_E_NS1_11comp_targetILNS1_3genE9ELNS1_11target_archE1100ELNS1_3gpuE3ELNS1_3repE0EEENS1_30default_config_static_selectorELNS0_4arch9wavefront6targetE0EEEvT1_ ; -- Begin function _ZN7rocprim17ROCPRIM_400000_NS6detail17trampoline_kernelINS0_14default_configENS1_25partition_config_selectorILNS1_17partition_subalgoE5ElNS0_10empty_typeEbEEZZNS1_14partition_implILS5_5ELb0ES3_mN6hipcub16HIPCUB_304000_NS21CountingInputIteratorIllEEPS6_NSA_22TransformInputIteratorIbN2at6native12_GLOBAL__N_19NonZeroOpIaEEPKalEENS0_5tupleIJPlS6_EEENSN_IJSD_SD_EEES6_PiJS6_EEE10hipError_tPvRmT3_T4_T5_T6_T7_T9_mT8_P12ihipStream_tbDpT10_ENKUlT_T0_E_clISt17integral_constantIbLb1EES1A_IbLb0EEEEDaS16_S17_EUlS16_E_NS1_11comp_targetILNS1_3genE9ELNS1_11target_archE1100ELNS1_3gpuE3ELNS1_3repE0EEENS1_30default_config_static_selectorELNS0_4arch9wavefront6targetE0EEEvT1_
	.p2align	8
	.type	_ZN7rocprim17ROCPRIM_400000_NS6detail17trampoline_kernelINS0_14default_configENS1_25partition_config_selectorILNS1_17partition_subalgoE5ElNS0_10empty_typeEbEEZZNS1_14partition_implILS5_5ELb0ES3_mN6hipcub16HIPCUB_304000_NS21CountingInputIteratorIllEEPS6_NSA_22TransformInputIteratorIbN2at6native12_GLOBAL__N_19NonZeroOpIaEEPKalEENS0_5tupleIJPlS6_EEENSN_IJSD_SD_EEES6_PiJS6_EEE10hipError_tPvRmT3_T4_T5_T6_T7_T9_mT8_P12ihipStream_tbDpT10_ENKUlT_T0_E_clISt17integral_constantIbLb1EES1A_IbLb0EEEEDaS16_S17_EUlS16_E_NS1_11comp_targetILNS1_3genE9ELNS1_11target_archE1100ELNS1_3gpuE3ELNS1_3repE0EEENS1_30default_config_static_selectorELNS0_4arch9wavefront6targetE0EEEvT1_,@function
_ZN7rocprim17ROCPRIM_400000_NS6detail17trampoline_kernelINS0_14default_configENS1_25partition_config_selectorILNS1_17partition_subalgoE5ElNS0_10empty_typeEbEEZZNS1_14partition_implILS5_5ELb0ES3_mN6hipcub16HIPCUB_304000_NS21CountingInputIteratorIllEEPS6_NSA_22TransformInputIteratorIbN2at6native12_GLOBAL__N_19NonZeroOpIaEEPKalEENS0_5tupleIJPlS6_EEENSN_IJSD_SD_EEES6_PiJS6_EEE10hipError_tPvRmT3_T4_T5_T6_T7_T9_mT8_P12ihipStream_tbDpT10_ENKUlT_T0_E_clISt17integral_constantIbLb1EES1A_IbLb0EEEEDaS16_S17_EUlS16_E_NS1_11comp_targetILNS1_3genE9ELNS1_11target_archE1100ELNS1_3gpuE3ELNS1_3repE0EEENS1_30default_config_static_selectorELNS0_4arch9wavefront6targetE0EEEvT1_: ; @_ZN7rocprim17ROCPRIM_400000_NS6detail17trampoline_kernelINS0_14default_configENS1_25partition_config_selectorILNS1_17partition_subalgoE5ElNS0_10empty_typeEbEEZZNS1_14partition_implILS5_5ELb0ES3_mN6hipcub16HIPCUB_304000_NS21CountingInputIteratorIllEEPS6_NSA_22TransformInputIteratorIbN2at6native12_GLOBAL__N_19NonZeroOpIaEEPKalEENS0_5tupleIJPlS6_EEENSN_IJSD_SD_EEES6_PiJS6_EEE10hipError_tPvRmT3_T4_T5_T6_T7_T9_mT8_P12ihipStream_tbDpT10_ENKUlT_T0_E_clISt17integral_constantIbLb1EES1A_IbLb0EEEEDaS16_S17_EUlS16_E_NS1_11comp_targetILNS1_3genE9ELNS1_11target_archE1100ELNS1_3gpuE3ELNS1_3repE0EEENS1_30default_config_static_selectorELNS0_4arch9wavefront6targetE0EEEvT1_
; %bb.0:
	s_clause 0x4
	s_load_b128 s[8:11], s[0:1], 0x8
	s_load_b128 s[4:7], s[0:1], 0x48
	s_load_b32 s14, s[0:1], 0x70
	s_load_b64 s[2:3], s[0:1], 0x58
	s_load_b64 s[12:13], s[0:1], 0x20
	s_waitcnt lgkmcnt(0)
	s_add_u32 s8, s10, s8
	s_load_b64 s[6:7], s[6:7], 0x0
	s_mul_i32 s17, s14, 0x300
	s_addc_u32 s9, s11, s9
	s_add_i32 s14, s14, -1
	s_add_u32 s18, s10, s17
	s_addc_u32 s19, s11, 0
	s_cmp_eq_u32 s15, s14
	v_cmp_ge_u64_e64 s3, s[18:19], s[2:3]
	s_cselect_b32 s14, -1, 0
	s_mov_b32 s18, -1
	s_delay_alu instid0(VALU_DEP_1) | instskip(NEXT) | instid1(SALU_CYCLE_1)
	s_and_b32 s3, s14, s3
	s_xor_b32 s16, s3, -1
	s_mul_i32 s3, s15, 0x300
	s_and_b32 vcc_lo, exec_lo, s16
	s_cbranch_vccz .LBB140_2
; %bb.1:
	s_add_u32 s18, s8, s3
	s_addc_u32 s19, s9, 0
	v_add_co_u32 v1, s18, s18, v0
	s_delay_alu instid0(VALU_DEP_1) | instskip(SKIP_1) | instid1(VALU_DEP_3)
	v_add_co_ci_u32_e64 v2, null, s19, 0, s18
	v_lshlrev_b32_e32 v13, 3, v0
	v_add_co_u32 v3, vcc_lo, 0x80, v1
	s_delay_alu instid0(VALU_DEP_3)
	v_add_co_ci_u32_e32 v4, vcc_lo, 0, v2, vcc_lo
	v_add_co_u32 v5, vcc_lo, 0x100, v1
	v_add_co_ci_u32_e32 v6, vcc_lo, 0, v2, vcc_lo
	v_add_co_u32 v7, vcc_lo, 0x180, v1
	;; [unrolled: 2-line block ×4, first 2 shown]
	v_add_co_ci_u32_e32 v12, vcc_lo, 0, v2, vcc_lo
	ds_store_2addr_stride64_b64 v13, v[1:2], v[3:4] offset1:2
	ds_store_2addr_stride64_b64 v13, v[5:6], v[7:8] offset0:4 offset1:6
	ds_store_2addr_stride64_b64 v13, v[9:10], v[11:12] offset0:8 offset1:10
	s_waitcnt lgkmcnt(0)
	s_mov_b32 s18, 0
	s_barrier
.LBB140_2:
	v_or_b32_e32 v17, 0x100, v0
	v_or_b32_e32 v16, 0x180, v0
	;; [unrolled: 1-line block ×4, first 2 shown]
	s_and_not1_b32 vcc_lo, exec_lo, s18
	s_cbranch_vccnz .LBB140_4
; %bb.3:
	v_or_b32_e32 v3, 0x80, v0
	s_add_u32 s8, s8, s3
	s_addc_u32 s9, s9, 0
	v_add_co_u32 v1, s18, s8, v0
	s_delay_alu instid0(VALU_DEP_1) | instskip(SKIP_1) | instid1(VALU_DEP_1)
	v_add_co_ci_u32_e64 v2, null, s9, 0, s18
	v_add_co_u32 v3, s18, s8, v3
	v_add_co_ci_u32_e64 v4, null, s9, 0, s18
	v_add_co_u32 v5, s18, s8, v17
	s_delay_alu instid0(VALU_DEP_1) | instskip(SKIP_1) | instid1(VALU_DEP_1)
	v_add_co_ci_u32_e64 v6, null, s9, 0, s18
	v_add_co_u32 v7, s18, s8, v16
	v_add_co_ci_u32_e64 v8, null, s9, 0, s18
	v_add_co_u32 v9, s18, s8, v14
	v_lshlrev_b32_e32 v15, 3, v0
	v_add_co_u32 v11, s8, s8, v13
	v_add_co_ci_u32_e64 v10, null, s9, 0, s18
	v_add_co_ci_u32_e64 v12, null, s9, 0, s8
	ds_store_2addr_stride64_b64 v15, v[1:2], v[3:4] offset1:2
	ds_store_2addr_stride64_b64 v15, v[5:6], v[7:8] offset0:4 offset1:6
	ds_store_2addr_stride64_b64 v15, v[9:10], v[11:12] offset0:8 offset1:10
	s_waitcnt lgkmcnt(0)
	s_barrier
.LBB140_4:
	v_mul_u32_u24_e32 v1, 6, v0
	s_waitcnt lgkmcnt(0)
	buffer_gl0_inv
	s_add_u32 s8, s12, s10
	s_addc_u32 s9, s13, s11
	s_add_u32 s12, s8, s3
	v_lshlrev_b32_e32 v15, 3, v1
	s_addc_u32 s13, s9, 0
	s_and_b32 vcc_lo, exec_lo, s16
	s_mov_b32 s3, -1
	ds_load_b128 v[9:12], v15
	ds_load_b128 v[5:8], v15 offset:16
	ds_load_b128 v[1:4], v15 offset:32
	s_waitcnt lgkmcnt(0)
	s_barrier
	buffer_gl0_inv
	s_cbranch_vccz .LBB140_6
; %bb.5:
	s_clause 0x5
	global_load_u8 v18, v0, s[12:13]
	global_load_u8 v19, v0, s[12:13] offset:128
	global_load_u8 v20, v0, s[12:13] offset:256
	;; [unrolled: 1-line block ×5, first 2 shown]
	s_mov_b32 s3, 0
	s_waitcnt vmcnt(5)
	v_cmp_ne_u16_e32 vcc_lo, 0, v18
	v_cndmask_b32_e64 v18, 0, 1, vcc_lo
	s_waitcnt vmcnt(4)
	v_cmp_ne_u16_e32 vcc_lo, 0, v19
	v_cndmask_b32_e64 v19, 0, 1, vcc_lo
	;; [unrolled: 3-line block ×6, first 2 shown]
	ds_store_b8 v0, v18
	ds_store_b8 v0, v19 offset:128
	ds_store_b8 v0, v20 offset:256
	;; [unrolled: 1-line block ×5, first 2 shown]
	s_waitcnt lgkmcnt(0)
	s_barrier
.LBB140_6:
	s_load_b64 s[8:9], s[0:1], 0x68
	s_and_not1_b32 vcc_lo, exec_lo, s3
	s_cbranch_vccnz .LBB140_20
; %bb.7:
	s_add_i32 s17, s17, s10
	v_dual_mov_b32 v18, 0 :: v_dual_mov_b32 v19, 0
	s_sub_i32 s2, s2, s17
	s_mov_b32 s3, exec_lo
	s_addk_i32 s2, 0x300
	s_delay_alu instid0(SALU_CYCLE_1)
	v_cmpx_gt_u32_e64 s2, v0
	s_cbranch_execz .LBB140_9
; %bb.8:
	global_load_u8 v19, v0, s[12:13]
	s_waitcnt vmcnt(0)
	v_cmp_ne_u16_e32 vcc_lo, 0, v19
	v_cndmask_b32_e64 v19, 0, 1, vcc_lo
.LBB140_9:
	s_or_b32 exec_lo, exec_lo, s3
	v_or_b32_e32 v20, 0x80, v0
	s_mov_b32 s3, exec_lo
	s_delay_alu instid0(VALU_DEP_1)
	v_cmpx_gt_u32_e64 s2, v20
	s_cbranch_execz .LBB140_11
; %bb.10:
	global_load_u8 v18, v0, s[12:13] offset:128
	s_waitcnt vmcnt(0)
	v_cmp_ne_u16_e32 vcc_lo, 0, v18
	v_cndmask_b32_e64 v18, 0, 1, vcc_lo
.LBB140_11:
	s_or_b32 exec_lo, exec_lo, s3
	v_cmp_gt_u32_e32 vcc_lo, s2, v17
	v_dual_mov_b32 v17, 0 :: v_dual_mov_b32 v20, 0
	s_and_saveexec_b32 s3, vcc_lo
	s_cbranch_execz .LBB140_13
; %bb.12:
	global_load_u8 v20, v0, s[12:13] offset:256
	s_waitcnt vmcnt(0)
	v_cmp_ne_u16_e32 vcc_lo, 0, v20
	v_cndmask_b32_e64 v20, 0, 1, vcc_lo
.LBB140_13:
	s_or_b32 exec_lo, exec_lo, s3
	s_delay_alu instid0(SALU_CYCLE_1)
	s_mov_b32 s3, exec_lo
	v_cmpx_gt_u32_e64 s2, v16
	s_cbranch_execz .LBB140_15
; %bb.14:
	global_load_u8 v16, v0, s[12:13] offset:384
	s_waitcnt vmcnt(0)
	v_cmp_ne_u16_e32 vcc_lo, 0, v16
	v_cndmask_b32_e64 v17, 0, 1, vcc_lo
.LBB140_15:
	s_or_b32 exec_lo, exec_lo, s3
	v_cmp_gt_u32_e32 vcc_lo, s2, v14
	v_mov_b32_e32 v14, 0
	v_mov_b32_e32 v16, 0
	s_and_saveexec_b32 s3, vcc_lo
	s_cbranch_execz .LBB140_17
; %bb.16:
	global_load_u8 v16, v0, s[12:13] offset:512
	s_waitcnt vmcnt(0)
	v_cmp_ne_u16_e32 vcc_lo, 0, v16
	v_cndmask_b32_e64 v16, 0, 1, vcc_lo
.LBB140_17:
	s_or_b32 exec_lo, exec_lo, s3
	v_cmp_gt_u32_e32 vcc_lo, s2, v13
	s_and_saveexec_b32 s2, vcc_lo
	s_cbranch_execz .LBB140_19
; %bb.18:
	global_load_u8 v13, v0, s[12:13] offset:640
	s_waitcnt vmcnt(0)
	v_cmp_ne_u16_e32 vcc_lo, 0, v13
	v_cndmask_b32_e64 v14, 0, 1, vcc_lo
.LBB140_19:
	s_or_b32 exec_lo, exec_lo, s2
	ds_store_b8 v0, v19
	ds_store_b8 v0, v18 offset:128
	ds_store_b8 v0, v20 offset:256
	;; [unrolled: 1-line block ×5, first 2 shown]
	s_waitcnt lgkmcnt(0)
	s_barrier
.LBB140_20:
	v_mad_i32_i24 v43, 0xffffffd6, v0, v15
	s_waitcnt lgkmcnt(0)
	buffer_gl0_inv
	v_mbcnt_lo_u32_b32 v42, -1, 0
	s_cmp_lg_u32 s15, 0
	s_mov_b32 s3, -1
	ds_load_u16 v36, v43
	ds_load_u16 v33, v43 offset:2
	ds_load_u16 v31, v43 offset:4
	v_mov_b32_e32 v14, 0
	v_and_b32_e32 v44, 15, v42
	s_waitcnt lgkmcnt(0)
	s_barrier
	buffer_gl0_inv
	v_and_b32_e32 v41, 0xff, v36
	v_lshrrev_b16 v34, 8, v36
	v_lshrrev_b16 v35, 8, v33
	v_and_b32_e32 v39, 0xff, v33
	v_lshrrev_b16 v32, 8, v31
	v_and_b32_e32 v37, 0xff, v31
	v_and_b32_e32 v40, 0xffff, v34
	;; [unrolled: 1-line block ×3, first 2 shown]
	s_delay_alu instid0(VALU_DEP_4) | instskip(NEXT) | instid1(VALU_DEP_3)
	v_and_b32_e32 v16, 0xffff, v32
	v_add_co_u32 v13, s2, v40, v41
	s_delay_alu instid0(VALU_DEP_1) | instskip(SKIP_1) | instid1(VALU_DEP_3)
	v_add_co_ci_u32_e64 v15, null, 0, 0, s2
	v_cmp_ne_u32_e64 s2, 0, v44
	v_add_co_u32 v13, vcc_lo, v13, v39
	s_delay_alu instid0(VALU_DEP_3) | instskip(NEXT) | instid1(VALU_DEP_2)
	v_add_co_ci_u32_e32 v15, vcc_lo, 0, v15, vcc_lo
	v_add_co_u32 v13, vcc_lo, v13, v38
	s_delay_alu instid0(VALU_DEP_2) | instskip(NEXT) | instid1(VALU_DEP_2)
	v_add_co_ci_u32_e32 v15, vcc_lo, 0, v15, vcc_lo
	v_add_co_u32 v13, vcc_lo, v13, v37
	s_delay_alu instid0(VALU_DEP_2) | instskip(NEXT) | instid1(VALU_DEP_2)
	v_add_co_ci_u32_e32 v15, vcc_lo, 0, v15, vcc_lo
	v_add_co_u32 v21, vcc_lo, v13, v16
	s_delay_alu instid0(VALU_DEP_2)
	v_add_co_ci_u32_e32 v22, vcc_lo, 0, v15, vcc_lo
	s_cbranch_scc0 .LBB140_89
; %bb.21:
	s_delay_alu instid0(VALU_DEP_2)
	v_mov_b32_e32 v15, v21
	v_mov_b32_dpp v13, v21 row_shr:1 row_mask:0xf bank_mask:0xf
	v_mov_b32_dpp v18, v14 row_shr:1 row_mask:0xf bank_mask:0xf
	v_dual_mov_b32 v17, v21 :: v_dual_mov_b32 v16, v22
	s_and_saveexec_b32 s3, s2
; %bb.22:
	s_delay_alu instid0(VALU_DEP_3) | instskip(SKIP_1) | instid1(VALU_DEP_2)
	v_add_co_u32 v17, vcc_lo, v21, v13
	v_add_co_ci_u32_e32 v14, vcc_lo, 0, v22, vcc_lo
	v_add_co_u32 v13, vcc_lo, 0, v17
	s_delay_alu instid0(VALU_DEP_2) | instskip(NEXT) | instid1(VALU_DEP_1)
	v_add_co_ci_u32_e32 v14, vcc_lo, v18, v14, vcc_lo
	v_dual_mov_b32 v16, v14 :: v_dual_mov_b32 v15, v13
; %bb.23:
	s_or_b32 exec_lo, exec_lo, s3
	v_mov_b32_dpp v13, v17 row_shr:2 row_mask:0xf bank_mask:0xf
	v_mov_b32_dpp v18, v14 row_shr:2 row_mask:0xf bank_mask:0xf
	s_mov_b32 s3, exec_lo
	v_cmpx_lt_u32_e32 1, v44
; %bb.24:
	s_delay_alu instid0(VALU_DEP_3) | instskip(SKIP_1) | instid1(VALU_DEP_2)
	v_add_co_u32 v17, vcc_lo, v15, v13
	v_add_co_ci_u32_e32 v14, vcc_lo, 0, v16, vcc_lo
	v_add_co_u32 v13, vcc_lo, 0, v17
	s_delay_alu instid0(VALU_DEP_2) | instskip(NEXT) | instid1(VALU_DEP_1)
	v_add_co_ci_u32_e32 v14, vcc_lo, v18, v14, vcc_lo
	v_dual_mov_b32 v16, v14 :: v_dual_mov_b32 v15, v13
; %bb.25:
	s_or_b32 exec_lo, exec_lo, s3
	v_mov_b32_dpp v13, v17 row_shr:4 row_mask:0xf bank_mask:0xf
	v_mov_b32_dpp v18, v14 row_shr:4 row_mask:0xf bank_mask:0xf
	s_mov_b32 s3, exec_lo
	v_cmpx_lt_u32_e32 3, v44
	;; [unrolled: 14-line block ×3, first 2 shown]
; %bb.28:
	s_delay_alu instid0(VALU_DEP_3) | instskip(SKIP_1) | instid1(VALU_DEP_2)
	v_add_co_u32 v17, vcc_lo, v15, v18
	v_add_co_ci_u32_e32 v14, vcc_lo, 0, v16, vcc_lo
	v_add_co_u32 v15, vcc_lo, 0, v17
	s_delay_alu instid0(VALU_DEP_2) | instskip(NEXT) | instid1(VALU_DEP_1)
	v_add_co_ci_u32_e32 v16, vcc_lo, v13, v14, vcc_lo
	v_mov_b32_e32 v14, v16
; %bb.29:
	s_or_b32 exec_lo, exec_lo, s3
	ds_swizzle_b32 v13, v17 offset:swizzle(BROADCAST,32,15)
	ds_swizzle_b32 v18, v14 offset:swizzle(BROADCAST,32,15)
	v_and_b32_e32 v19, 16, v42
	s_mov_b32 s3, exec_lo
	s_delay_alu instid0(VALU_DEP_1)
	v_cmpx_ne_u32_e32 0, v19
	s_cbranch_execz .LBB140_31
; %bb.30:
	s_waitcnt lgkmcnt(1)
	v_add_co_u32 v17, vcc_lo, v15, v13
	v_add_co_ci_u32_e32 v14, vcc_lo, 0, v16, vcc_lo
	s_delay_alu instid0(VALU_DEP_2) | instskip(SKIP_1) | instid1(VALU_DEP_2)
	v_add_co_u32 v13, vcc_lo, 0, v17
	s_waitcnt lgkmcnt(0)
	v_add_co_ci_u32_e32 v14, vcc_lo, v18, v14, vcc_lo
	s_delay_alu instid0(VALU_DEP_1)
	v_dual_mov_b32 v16, v14 :: v_dual_mov_b32 v15, v13
.LBB140_31:
	s_or_b32 exec_lo, exec_lo, s3
	s_waitcnt lgkmcnt(0)
	v_or_b32_e32 v18, 31, v0
	v_lshrrev_b32_e32 v13, 5, v0
	s_mov_b32 s3, exec_lo
	s_delay_alu instid0(VALU_DEP_2)
	v_cmpx_eq_u32_e64 v18, v0
	s_cbranch_execz .LBB140_33
; %bb.32:
	s_delay_alu instid0(VALU_DEP_2)
	v_lshlrev_b32_e32 v18, 3, v13
	ds_store_b64 v18, v[15:16]
.LBB140_33:
	s_or_b32 exec_lo, exec_lo, s3
	s_delay_alu instid0(SALU_CYCLE_1)
	s_mov_b32 s3, exec_lo
	s_waitcnt lgkmcnt(0)
	s_barrier
	buffer_gl0_inv
	v_cmpx_gt_u32_e32 4, v0
	s_cbranch_execz .LBB140_39
; %bb.34:
	v_lshlrev_b32_e32 v18, 3, v0
	s_mov_b32 s10, exec_lo
	ds_load_b64 v[15:16], v18
	s_waitcnt lgkmcnt(0)
	v_dual_mov_b32 v20, v15 :: v_dual_and_b32 v19, 3, v42
	v_mov_b32_dpp v24, v15 row_shr:1 row_mask:0xf bank_mask:0xf
	v_mov_b32_dpp v23, v16 row_shr:1 row_mask:0xf bank_mask:0xf
	s_delay_alu instid0(VALU_DEP_3)
	v_cmpx_ne_u32_e32 0, v19
; %bb.35:
	s_delay_alu instid0(VALU_DEP_3) | instskip(SKIP_1) | instid1(VALU_DEP_2)
	v_add_co_u32 v20, vcc_lo, v15, v24
	v_add_co_ci_u32_e32 v16, vcc_lo, 0, v16, vcc_lo
	v_add_co_u32 v15, vcc_lo, 0, v20
	s_delay_alu instid0(VALU_DEP_2)
	v_add_co_ci_u32_e32 v16, vcc_lo, v23, v16, vcc_lo
; %bb.36:
	s_or_b32 exec_lo, exec_lo, s10
	v_mov_b32_dpp v23, v20 row_shr:2 row_mask:0xf bank_mask:0xf
	s_delay_alu instid0(VALU_DEP_2)
	v_mov_b32_dpp v20, v16 row_shr:2 row_mask:0xf bank_mask:0xf
	s_mov_b32 s10, exec_lo
	v_cmpx_lt_u32_e32 1, v19
; %bb.37:
	s_delay_alu instid0(VALU_DEP_3) | instskip(SKIP_1) | instid1(VALU_DEP_2)
	v_add_co_u32 v15, vcc_lo, v15, v23
	v_add_co_ci_u32_e32 v16, vcc_lo, 0, v16, vcc_lo
	v_add_co_u32 v15, vcc_lo, v15, 0
	s_delay_alu instid0(VALU_DEP_2)
	v_add_co_ci_u32_e32 v16, vcc_lo, v16, v20, vcc_lo
; %bb.38:
	s_or_b32 exec_lo, exec_lo, s10
	ds_store_b64 v18, v[15:16]
.LBB140_39:
	s_or_b32 exec_lo, exec_lo, s3
	v_cmp_gt_u32_e32 vcc_lo, 32, v0
	s_mov_b32 s10, exec_lo
	s_waitcnt lgkmcnt(0)
	s_barrier
	buffer_gl0_inv
                                        ; implicit-def: $vgpr23_vgpr24
	v_cmpx_lt_u32_e32 31, v0
	s_cbranch_execz .LBB140_41
; %bb.40:
	v_lshl_add_u32 v13, v13, 3, -8
	ds_load_b64 v[23:24], v13
	s_waitcnt lgkmcnt(0)
	v_add_co_u32 v17, s3, v17, v23
	s_delay_alu instid0(VALU_DEP_1)
	v_add_co_ci_u32_e64 v14, s3, v14, v24, s3
.LBB140_41:
	s_or_b32 exec_lo, exec_lo, s10
	v_add_nc_u32_e32 v13, -1, v42
	s_delay_alu instid0(VALU_DEP_1) | instskip(NEXT) | instid1(VALU_DEP_1)
	v_cmp_gt_i32_e64 s3, 0, v13
	v_cndmask_b32_e64 v13, v13, v42, s3
	v_cmp_eq_u32_e64 s3, 0, v42
	s_delay_alu instid0(VALU_DEP_2)
	v_lshlrev_b32_e32 v13, 2, v13
	ds_bpermute_b32 v29, v13, v17
	ds_bpermute_b32 v30, v13, v14
	s_and_saveexec_b32 s10, vcc_lo
	s_cbranch_execz .LBB140_84
; %bb.42:
	v_mov_b32_e32 v16, 0
	ds_load_b64 v[13:14], v16 offset:24
	s_and_saveexec_b32 s11, s3
	s_cbranch_execz .LBB140_44
; %bb.43:
	s_add_i32 s12, s15, 32
	s_mov_b32 s13, 0
	s_delay_alu instid0(SALU_CYCLE_1) | instskip(NEXT) | instid1(SALU_CYCLE_1)
	s_lshl_b64 s[12:13], s[12:13], 4
	s_add_u32 s12, s8, s12
	s_addc_u32 s13, s9, s13
	s_delay_alu instid0(SALU_CYCLE_1)
	v_dual_mov_b32 v15, 1 :: v_dual_mov_b32 v18, s13
	v_mov_b32_e32 v17, s12
	s_waitcnt lgkmcnt(0)
	;;#ASMSTART
	global_store_dwordx4 v[17:18], v[13:16] off	
s_waitcnt vmcnt(0)
	;;#ASMEND
.LBB140_44:
	s_or_b32 exec_lo, exec_lo, s11
	v_xad_u32 v25, v42, -1, s15
	s_mov_b32 s12, 0
	s_mov_b32 s11, exec_lo
	s_delay_alu instid0(VALU_DEP_1) | instskip(NEXT) | instid1(VALU_DEP_1)
	v_add_nc_u32_e32 v15, 32, v25
	v_lshlrev_b64 v[15:16], 4, v[15:16]
	s_delay_alu instid0(VALU_DEP_1) | instskip(NEXT) | instid1(VALU_DEP_2)
	v_add_co_u32 v15, vcc_lo, s8, v15
	v_add_co_ci_u32_e32 v16, vcc_lo, s9, v16, vcc_lo
	;;#ASMSTART
	global_load_dwordx4 v[17:20], v[15:16] off glc	
s_waitcnt vmcnt(0)
	;;#ASMEND
	v_and_b32_e32 v20, 0xff, v18
	v_and_b32_e32 v26, 0xff00, v18
	v_or3_b32 v17, v17, 0, 0
	v_and_b32_e32 v27, 0xff000000, v18
	v_and_b32_e32 v18, 0xff0000, v18
	s_delay_alu instid0(VALU_DEP_4) | instskip(SKIP_2) | instid1(VALU_DEP_3)
	v_or3_b32 v20, 0, v20, v26
	v_and_b32_e32 v26, 0xff, v19
	v_or3_b32 v17, v17, 0, 0
	v_or3_b32 v18, v20, v18, v27
	s_delay_alu instid0(VALU_DEP_3)
	v_cmpx_eq_u16_e32 0, v26
	s_cbranch_execz .LBB140_50
; %bb.45:
	s_mov_b32 s13, 1
	.p2align	6
.LBB140_46:                             ; =>This Loop Header: Depth=1
                                        ;     Child Loop BB140_47 Depth 2
	s_delay_alu instid0(SALU_CYCLE_1)
	s_max_u32 s17, s13, 1
.LBB140_47:                             ;   Parent Loop BB140_46 Depth=1
                                        ; =>  This Inner Loop Header: Depth=2
	s_delay_alu instid0(SALU_CYCLE_1)
	s_add_i32 s17, s17, -1
	s_sleep 1
	s_cmp_eq_u32 s17, 0
	s_cbranch_scc0 .LBB140_47
; %bb.48:                               ;   in Loop: Header=BB140_46 Depth=1
	;;#ASMSTART
	global_load_dwordx4 v[17:20], v[15:16] off glc	
s_waitcnt vmcnt(0)
	;;#ASMEND
	v_and_b32_e32 v20, 0xff, v19
	s_cmp_lt_u32 s13, 32
	s_cselect_b32 s17, -1, 0
	s_delay_alu instid0(SALU_CYCLE_1) | instskip(NEXT) | instid1(VALU_DEP_1)
	s_cmp_lg_u32 s17, 0
	v_cmp_ne_u16_e32 vcc_lo, 0, v20
	s_addc_u32 s13, s13, 0
	s_or_b32 s12, vcc_lo, s12
	s_delay_alu instid0(SALU_CYCLE_1)
	s_and_not1_b32 exec_lo, exec_lo, s12
	s_cbranch_execnz .LBB140_46
; %bb.49:
	s_or_b32 exec_lo, exec_lo, s12
.LBB140_50:
	s_delay_alu instid0(SALU_CYCLE_1)
	s_or_b32 exec_lo, exec_lo, s11
	v_cmp_ne_u32_e32 vcc_lo, 31, v42
	v_and_b32_e32 v16, 0xff, v19
	v_lshlrev_b32_e64 v46, v42, -1
	s_mov_b32 s11, exec_lo
	v_add_co_ci_u32_e32 v15, vcc_lo, 0, v42, vcc_lo
	s_delay_alu instid0(VALU_DEP_3) | instskip(NEXT) | instid1(VALU_DEP_2)
	v_cmp_eq_u16_e32 vcc_lo, 2, v16
	v_dual_mov_b32 v16, v17 :: v_dual_lshlrev_b32 v45, 2, v15
	v_and_or_b32 v15, vcc_lo, v46, 0x80000000
	ds_bpermute_b32 v26, v45, v17
	ds_bpermute_b32 v20, v45, v18
	v_ctz_i32_b32_e32 v15, v15
	s_delay_alu instid0(VALU_DEP_1)
	v_cmpx_lt_u32_e64 v42, v15
	s_cbranch_execz .LBB140_52
; %bb.51:
	s_waitcnt lgkmcnt(1)
	v_add_co_u32 v16, vcc_lo, v17, v26
	v_add_co_ci_u32_e32 v18, vcc_lo, 0, v18, vcc_lo
	s_delay_alu instid0(VALU_DEP_2) | instskip(SKIP_1) | instid1(VALU_DEP_2)
	v_add_co_u32 v17, vcc_lo, 0, v16
	s_waitcnt lgkmcnt(0)
	v_add_co_ci_u32_e32 v18, vcc_lo, v20, v18, vcc_lo
.LBB140_52:
	s_or_b32 exec_lo, exec_lo, s11
	v_cmp_gt_u32_e32 vcc_lo, 30, v42
	v_add_nc_u32_e32 v48, 2, v42
	s_mov_b32 s11, exec_lo
	s_waitcnt lgkmcnt(0)
	v_cndmask_b32_e64 v20, 0, 1, vcc_lo
	s_delay_alu instid0(VALU_DEP_1) | instskip(NEXT) | instid1(VALU_DEP_1)
	v_lshlrev_b32_e32 v20, 1, v20
	v_add_lshl_u32 v47, v20, v42, 2
	ds_bpermute_b32 v26, v47, v16
	ds_bpermute_b32 v20, v47, v18
	v_cmpx_le_u32_e64 v48, v15
	s_cbranch_execz .LBB140_54
; %bb.53:
	s_waitcnt lgkmcnt(1)
	v_add_co_u32 v16, vcc_lo, v17, v26
	v_add_co_ci_u32_e32 v18, vcc_lo, 0, v18, vcc_lo
	s_delay_alu instid0(VALU_DEP_2) | instskip(SKIP_1) | instid1(VALU_DEP_2)
	v_add_co_u32 v17, vcc_lo, 0, v16
	s_waitcnt lgkmcnt(0)
	v_add_co_ci_u32_e32 v18, vcc_lo, v20, v18, vcc_lo
.LBB140_54:
	s_or_b32 exec_lo, exec_lo, s11
	v_cmp_gt_u32_e32 vcc_lo, 28, v42
	v_add_nc_u32_e32 v50, 4, v42
	s_mov_b32 s11, exec_lo
	s_waitcnt lgkmcnt(0)
	v_cndmask_b32_e64 v20, 0, 1, vcc_lo
	s_delay_alu instid0(VALU_DEP_1) | instskip(NEXT) | instid1(VALU_DEP_1)
	v_lshlrev_b32_e32 v20, 2, v20
	v_add_lshl_u32 v49, v20, v42, 2
	ds_bpermute_b32 v26, v49, v16
	ds_bpermute_b32 v20, v49, v18
	v_cmpx_le_u32_e64 v50, v15
	;; [unrolled: 22-line block ×4, first 2 shown]
	s_cbranch_execz .LBB140_60
; %bb.59:
	s_waitcnt lgkmcnt(1)
	v_add_co_u32 v15, vcc_lo, v17, v20
	v_add_co_ci_u32_e32 v18, vcc_lo, 0, v18, vcc_lo
	s_delay_alu instid0(VALU_DEP_2) | instskip(SKIP_1) | instid1(VALU_DEP_2)
	v_add_co_u32 v17, vcc_lo, v15, 0
	s_waitcnt lgkmcnt(0)
	v_add_co_ci_u32_e32 v18, vcc_lo, v18, v16, vcc_lo
.LBB140_60:
	s_or_b32 exec_lo, exec_lo, s11
	v_mov_b32_e32 v26, 0
	s_branch .LBB140_62
.LBB140_61:                             ;   in Loop: Header=BB140_62 Depth=1
	s_or_b32 exec_lo, exec_lo, s11
	v_add_co_u32 v17, vcc_lo, v17, v15
	v_subrev_nc_u32_e32 v25, 32, v25
	v_add_co_ci_u32_e32 v18, vcc_lo, v18, v16, vcc_lo
.LBB140_62:                             ; =>This Loop Header: Depth=1
                                        ;     Child Loop BB140_65 Depth 2
                                        ;       Child Loop BB140_66 Depth 3
	v_and_b32_e32 v15, 0xff, v19
	s_delay_alu instid0(VALU_DEP_1) | instskip(SKIP_2) | instid1(VALU_DEP_1)
	v_cmp_ne_u16_e32 vcc_lo, 2, v15
	v_cndmask_b32_e64 v15, 0, 1, vcc_lo
	;;#ASMSTART
	;;#ASMEND
	v_cmp_ne_u32_e32 vcc_lo, 0, v15
	s_waitcnt lgkmcnt(0)
	v_dual_mov_b32 v15, v17 :: v_dual_mov_b32 v16, v18
	s_cmp_lg_u32 vcc_lo, exec_lo
	s_cbranch_scc1 .LBB140_79
; %bb.63:                               ;   in Loop: Header=BB140_62 Depth=1
	v_lshlrev_b64 v[17:18], 4, v[25:26]
	s_mov_b32 s11, exec_lo
	s_delay_alu instid0(VALU_DEP_1) | instskip(NEXT) | instid1(VALU_DEP_2)
	v_add_co_u32 v27, vcc_lo, s8, v17
	v_add_co_ci_u32_e32 v28, vcc_lo, s9, v18, vcc_lo
	;;#ASMSTART
	global_load_dwordx4 v[17:20], v[27:28] off glc	
s_waitcnt vmcnt(0)
	;;#ASMEND
	v_and_b32_e32 v20, 0xff, v18
	v_and_b32_e32 v55, 0xff00, v18
	v_or3_b32 v17, v17, 0, 0
	v_and_b32_e32 v56, 0xff000000, v18
	v_and_b32_e32 v18, 0xff0000, v18
	s_delay_alu instid0(VALU_DEP_4) | instskip(SKIP_2) | instid1(VALU_DEP_3)
	v_or3_b32 v20, 0, v20, v55
	v_and_b32_e32 v55, 0xff, v19
	v_or3_b32 v17, v17, 0, 0
	v_or3_b32 v18, v20, v18, v56
	s_delay_alu instid0(VALU_DEP_3)
	v_cmpx_eq_u16_e32 0, v55
	s_cbranch_execz .LBB140_69
; %bb.64:                               ;   in Loop: Header=BB140_62 Depth=1
	s_mov_b32 s13, 1
	s_mov_b32 s12, 0
	.p2align	6
.LBB140_65:                             ;   Parent Loop BB140_62 Depth=1
                                        ; =>  This Loop Header: Depth=2
                                        ;       Child Loop BB140_66 Depth 3
	s_max_u32 s17, s13, 1
.LBB140_66:                             ;   Parent Loop BB140_62 Depth=1
                                        ;     Parent Loop BB140_65 Depth=2
                                        ; =>    This Inner Loop Header: Depth=3
	s_delay_alu instid0(SALU_CYCLE_1)
	s_add_i32 s17, s17, -1
	s_sleep 1
	s_cmp_eq_u32 s17, 0
	s_cbranch_scc0 .LBB140_66
; %bb.67:                               ;   in Loop: Header=BB140_65 Depth=2
	;;#ASMSTART
	global_load_dwordx4 v[17:20], v[27:28] off glc	
s_waitcnt vmcnt(0)
	;;#ASMEND
	v_and_b32_e32 v20, 0xff, v19
	s_cmp_lt_u32 s13, 32
	s_cselect_b32 s17, -1, 0
	s_delay_alu instid0(SALU_CYCLE_1) | instskip(NEXT) | instid1(VALU_DEP_1)
	s_cmp_lg_u32 s17, 0
	v_cmp_ne_u16_e32 vcc_lo, 0, v20
	s_addc_u32 s13, s13, 0
	s_or_b32 s12, vcc_lo, s12
	s_delay_alu instid0(SALU_CYCLE_1)
	s_and_not1_b32 exec_lo, exec_lo, s12
	s_cbranch_execnz .LBB140_65
; %bb.68:                               ;   in Loop: Header=BB140_62 Depth=1
	s_or_b32 exec_lo, exec_lo, s12
.LBB140_69:                             ;   in Loop: Header=BB140_62 Depth=1
	s_delay_alu instid0(SALU_CYCLE_1)
	s_or_b32 exec_lo, exec_lo, s11
	v_dual_mov_b32 v27, v17 :: v_dual_and_b32 v20, 0xff, v19
	ds_bpermute_b32 v55, v45, v17
	ds_bpermute_b32 v28, v45, v18
	s_mov_b32 s11, exec_lo
	v_cmp_eq_u16_e32 vcc_lo, 2, v20
	v_and_or_b32 v20, vcc_lo, v46, 0x80000000
	s_delay_alu instid0(VALU_DEP_1) | instskip(NEXT) | instid1(VALU_DEP_1)
	v_ctz_i32_b32_e32 v20, v20
	v_cmpx_lt_u32_e64 v42, v20
	s_cbranch_execz .LBB140_71
; %bb.70:                               ;   in Loop: Header=BB140_62 Depth=1
	s_waitcnt lgkmcnt(1)
	v_add_co_u32 v27, vcc_lo, v17, v55
	v_add_co_ci_u32_e32 v18, vcc_lo, 0, v18, vcc_lo
	s_delay_alu instid0(VALU_DEP_2) | instskip(SKIP_1) | instid1(VALU_DEP_2)
	v_add_co_u32 v17, vcc_lo, 0, v27
	s_waitcnt lgkmcnt(0)
	v_add_co_ci_u32_e32 v18, vcc_lo, v28, v18, vcc_lo
.LBB140_71:                             ;   in Loop: Header=BB140_62 Depth=1
	s_or_b32 exec_lo, exec_lo, s11
	s_waitcnt lgkmcnt(1)
	ds_bpermute_b32 v55, v47, v27
	s_waitcnt lgkmcnt(1)
	ds_bpermute_b32 v28, v47, v18
	s_mov_b32 s11, exec_lo
	v_cmpx_le_u32_e64 v48, v20
	s_cbranch_execz .LBB140_73
; %bb.72:                               ;   in Loop: Header=BB140_62 Depth=1
	s_waitcnt lgkmcnt(1)
	v_add_co_u32 v27, vcc_lo, v17, v55
	v_add_co_ci_u32_e32 v18, vcc_lo, 0, v18, vcc_lo
	s_delay_alu instid0(VALU_DEP_2) | instskip(SKIP_1) | instid1(VALU_DEP_2)
	v_add_co_u32 v17, vcc_lo, 0, v27
	s_waitcnt lgkmcnt(0)
	v_add_co_ci_u32_e32 v18, vcc_lo, v28, v18, vcc_lo
.LBB140_73:                             ;   in Loop: Header=BB140_62 Depth=1
	s_or_b32 exec_lo, exec_lo, s11
	s_waitcnt lgkmcnt(1)
	ds_bpermute_b32 v55, v49, v27
	s_waitcnt lgkmcnt(1)
	ds_bpermute_b32 v28, v49, v18
	s_mov_b32 s11, exec_lo
	v_cmpx_le_u32_e64 v50, v20
	s_cbranch_execz .LBB140_75
; %bb.74:                               ;   in Loop: Header=BB140_62 Depth=1
	s_waitcnt lgkmcnt(1)
	v_add_co_u32 v27, vcc_lo, v17, v55
	v_add_co_ci_u32_e32 v18, vcc_lo, 0, v18, vcc_lo
	s_delay_alu instid0(VALU_DEP_2) | instskip(SKIP_1) | instid1(VALU_DEP_2)
	v_add_co_u32 v17, vcc_lo, 0, v27
	s_waitcnt lgkmcnt(0)
	v_add_co_ci_u32_e32 v18, vcc_lo, v28, v18, vcc_lo
.LBB140_75:                             ;   in Loop: Header=BB140_62 Depth=1
	s_or_b32 exec_lo, exec_lo, s11
	s_waitcnt lgkmcnt(1)
	ds_bpermute_b32 v55, v51, v27
	s_waitcnt lgkmcnt(1)
	ds_bpermute_b32 v28, v51, v18
	s_mov_b32 s11, exec_lo
	v_cmpx_le_u32_e64 v52, v20
	s_cbranch_execz .LBB140_77
; %bb.76:                               ;   in Loop: Header=BB140_62 Depth=1
	s_waitcnt lgkmcnt(1)
	v_add_co_u32 v27, vcc_lo, v17, v55
	v_add_co_ci_u32_e32 v18, vcc_lo, 0, v18, vcc_lo
	s_delay_alu instid0(VALU_DEP_2) | instskip(SKIP_1) | instid1(VALU_DEP_2)
	v_add_co_u32 v17, vcc_lo, 0, v27
	s_waitcnt lgkmcnt(0)
	v_add_co_ci_u32_e32 v18, vcc_lo, v28, v18, vcc_lo
.LBB140_77:                             ;   in Loop: Header=BB140_62 Depth=1
	s_or_b32 exec_lo, exec_lo, s11
	s_waitcnt lgkmcnt(0)
	ds_bpermute_b32 v28, v53, v27
	ds_bpermute_b32 v27, v53, v18
	s_mov_b32 s11, exec_lo
	v_cmpx_le_u32_e64 v54, v20
	s_cbranch_execz .LBB140_61
; %bb.78:                               ;   in Loop: Header=BB140_62 Depth=1
	s_waitcnt lgkmcnt(1)
	v_add_co_u32 v17, vcc_lo, v17, v28
	v_add_co_ci_u32_e32 v18, vcc_lo, 0, v18, vcc_lo
	s_delay_alu instid0(VALU_DEP_2) | instskip(SKIP_1) | instid1(VALU_DEP_2)
	v_add_co_u32 v17, vcc_lo, v17, 0
	s_waitcnt lgkmcnt(0)
	v_add_co_ci_u32_e32 v18, vcc_lo, v18, v27, vcc_lo
	s_branch .LBB140_61
.LBB140_79:                             ;   in Loop: Header=BB140_62 Depth=1
                                        ; implicit-def: $vgpr17_vgpr18
	s_cbranch_execz .LBB140_62
; %bb.80:
	s_and_saveexec_b32 s11, s3
	s_cbranch_execz .LBB140_82
; %bb.81:
	s_add_i32 s12, s15, 32
	s_mov_b32 s13, 0
	v_add_co_u32 v17, vcc_lo, v15, v13
	s_lshl_b64 s[12:13], s[12:13], 4
	v_dual_mov_b32 v19, 2 :: v_dual_mov_b32 v20, 0
	s_add_u32 s12, s8, s12
	s_addc_u32 s13, s9, s13
	v_add_co_ci_u32_e32 v18, vcc_lo, v16, v14, vcc_lo
	v_dual_mov_b32 v26, s13 :: v_dual_mov_b32 v25, s12
	;;#ASMSTART
	global_store_dwordx4 v[25:26], v[17:20] off	
s_waitcnt vmcnt(0)
	;;#ASMEND
	ds_store_b128 v20, v[13:16] offset:6144
.LBB140_82:
	s_or_b32 exec_lo, exec_lo, s11
	v_cmp_eq_u32_e32 vcc_lo, 0, v0
	s_and_b32 exec_lo, exec_lo, vcc_lo
	s_cbranch_execz .LBB140_84
; %bb.83:
	v_mov_b32_e32 v13, 0
	ds_store_b64 v13, v[15:16] offset:24
.LBB140_84:
	s_or_b32 exec_lo, exec_lo, s10
	s_waitcnt lgkmcnt(1)
	v_cndmask_b32_e64 v16, v29, v23, s3
	v_cmp_ne_u32_e32 vcc_lo, 0, v0
	v_mov_b32_e32 v15, 0
	s_waitcnt lgkmcnt(0)
	s_barrier
	buffer_gl0_inv
	v_cndmask_b32_e32 v16, 0, v16, vcc_lo
	ds_load_b64 v[13:14], v15 offset:24
	v_cndmask_b32_e64 v17, v30, v24, s3
	s_waitcnt lgkmcnt(0)
	s_barrier
	buffer_gl0_inv
	v_cndmask_b32_e32 v17, 0, v17, vcc_lo
	v_add_co_u32 v29, vcc_lo, v13, v16
	s_delay_alu instid0(VALU_DEP_2) | instskip(SKIP_3) | instid1(VALU_DEP_2)
	v_add_co_ci_u32_e32 v30, vcc_lo, v14, v17, vcc_lo
	ds_load_b128 v[13:16], v15 offset:6144
	v_add_co_u32 v27, vcc_lo, v29, v41
	v_add_co_ci_u32_e32 v28, vcc_lo, 0, v30, vcc_lo
	v_add_co_u32 v25, vcc_lo, v27, v40
	s_delay_alu instid0(VALU_DEP_2) | instskip(NEXT) | instid1(VALU_DEP_2)
	v_add_co_ci_u32_e32 v26, vcc_lo, 0, v28, vcc_lo
	v_add_co_u32 v23, vcc_lo, v25, v39
	s_delay_alu instid0(VALU_DEP_2) | instskip(NEXT) | instid1(VALU_DEP_2)
	;; [unrolled: 3-line block ×3, first 2 shown]
	v_add_co_ci_u32_e32 v20, vcc_lo, 0, v24, vcc_lo
	v_add_co_u32 v17, vcc_lo, v19, v37
	s_delay_alu instid0(VALU_DEP_2)
	v_add_co_ci_u32_e32 v18, vcc_lo, 0, v20, vcc_lo
	s_load_b64 s[10:11], s[0:1], 0x30
.LBB140_85:
	s_waitcnt lgkmcnt(0)
	v_cmp_gt_u64_e32 vcc_lo, 0x81, v[13:14]
	s_mov_b32 s0, -1
	s_cbranch_vccnz .LBB140_113
.LBB140_86:
	s_and_b32 vcc_lo, exec_lo, s0
	s_cbranch_vccnz .LBB140_132
.LBB140_87:
	v_cmp_eq_u32_e32 vcc_lo, 0, v0
	s_and_b32 s0, vcc_lo, s14
	s_delay_alu instid0(SALU_CYCLE_1)
	s_and_saveexec_b32 s1, s0
	s_cbranch_execnz .LBB140_148
.LBB140_88:
	s_nop 0
	s_sendmsg sendmsg(MSG_DEALLOC_VGPRS)
	s_endpgm
.LBB140_89:
                                        ; kill: def $vgpr13_vgpr14 killed $sgpr0_sgpr1 killed $exec
                                        ; implicit-def: $vgpr17_vgpr18
                                        ; implicit-def: $vgpr19_vgpr20
                                        ; implicit-def: $vgpr23_vgpr24
                                        ; implicit-def: $vgpr25_vgpr26
                                        ; implicit-def: $vgpr27_vgpr28
                                        ; implicit-def: $vgpr29_vgpr30
                                        ; implicit-def: $vgpr15_vgpr16
	s_load_b64 s[10:11], s[0:1], 0x30
	s_and_b32 vcc_lo, exec_lo, s3
	s_cbranch_vccz .LBB140_85
; %bb.90:
	s_waitcnt lgkmcnt(0)
	v_dual_mov_b32 v14, 0 :: v_dual_mov_b32 v15, v21
	v_mov_b32_dpp v16, v21 row_shr:1 row_mask:0xf bank_mask:0xf
	s_delay_alu instid0(VALU_DEP_2)
	v_mov_b32_dpp v13, v14 row_shr:1 row_mask:0xf bank_mask:0xf
	s_and_saveexec_b32 s0, s2
; %bb.91:
	s_delay_alu instid0(VALU_DEP_2) | instskip(SKIP_1) | instid1(VALU_DEP_2)
	v_add_co_u32 v15, vcc_lo, v21, v16
	v_add_co_ci_u32_e32 v14, vcc_lo, 0, v22, vcc_lo
	v_add_co_u32 v21, vcc_lo, 0, v15
	s_delay_alu instid0(VALU_DEP_2) | instskip(NEXT) | instid1(VALU_DEP_1)
	v_add_co_ci_u32_e32 v22, vcc_lo, v13, v14, vcc_lo
	v_mov_b32_e32 v14, v22
; %bb.92:
	s_or_b32 exec_lo, exec_lo, s0
	v_mov_b32_dpp v13, v15 row_shr:2 row_mask:0xf bank_mask:0xf
	s_delay_alu instid0(VALU_DEP_2)
	v_mov_b32_dpp v16, v14 row_shr:2 row_mask:0xf bank_mask:0xf
	s_mov_b32 s0, exec_lo
	v_cmpx_lt_u32_e32 1, v44
; %bb.93:
	s_delay_alu instid0(VALU_DEP_3) | instskip(SKIP_1) | instid1(VALU_DEP_2)
	v_add_co_u32 v15, vcc_lo, v21, v13
	v_add_co_ci_u32_e32 v14, vcc_lo, 0, v22, vcc_lo
	v_add_co_u32 v13, vcc_lo, 0, v15
	s_delay_alu instid0(VALU_DEP_2) | instskip(NEXT) | instid1(VALU_DEP_1)
	v_add_co_ci_u32_e32 v14, vcc_lo, v16, v14, vcc_lo
	v_dual_mov_b32 v22, v14 :: v_dual_mov_b32 v21, v13
; %bb.94:
	s_or_b32 exec_lo, exec_lo, s0
	v_mov_b32_dpp v13, v15 row_shr:4 row_mask:0xf bank_mask:0xf
	v_mov_b32_dpp v16, v14 row_shr:4 row_mask:0xf bank_mask:0xf
	s_mov_b32 s0, exec_lo
	v_cmpx_lt_u32_e32 3, v44
; %bb.95:
	s_delay_alu instid0(VALU_DEP_3) | instskip(SKIP_1) | instid1(VALU_DEP_2)
	v_add_co_u32 v15, vcc_lo, v21, v13
	v_add_co_ci_u32_e32 v14, vcc_lo, 0, v22, vcc_lo
	v_add_co_u32 v13, vcc_lo, 0, v15
	s_delay_alu instid0(VALU_DEP_2) | instskip(NEXT) | instid1(VALU_DEP_1)
	v_add_co_ci_u32_e32 v14, vcc_lo, v16, v14, vcc_lo
	v_dual_mov_b32 v22, v14 :: v_dual_mov_b32 v21, v13
; %bb.96:
	s_or_b32 exec_lo, exec_lo, s0
	v_mov_b32_dpp v16, v15 row_shr:8 row_mask:0xf bank_mask:0xf
	v_mov_b32_dpp v13, v14 row_shr:8 row_mask:0xf bank_mask:0xf
	s_mov_b32 s0, exec_lo
	v_cmpx_lt_u32_e32 7, v44
; %bb.97:
	s_delay_alu instid0(VALU_DEP_3) | instskip(SKIP_1) | instid1(VALU_DEP_2)
	v_add_co_u32 v15, vcc_lo, v21, v16
	v_add_co_ci_u32_e32 v14, vcc_lo, 0, v22, vcc_lo
	v_add_co_u32 v21, vcc_lo, 0, v15
	s_delay_alu instid0(VALU_DEP_2) | instskip(NEXT) | instid1(VALU_DEP_1)
	v_add_co_ci_u32_e32 v22, vcc_lo, v13, v14, vcc_lo
	v_mov_b32_e32 v14, v22
; %bb.98:
	s_or_b32 exec_lo, exec_lo, s0
	ds_swizzle_b32 v15, v15 offset:swizzle(BROADCAST,32,15)
	ds_swizzle_b32 v13, v14 offset:swizzle(BROADCAST,32,15)
	v_and_b32_e32 v14, 16, v42
	s_mov_b32 s0, exec_lo
	s_delay_alu instid0(VALU_DEP_1)
	v_cmpx_ne_u32_e32 0, v14
	s_cbranch_execz .LBB140_100
; %bb.99:
	s_waitcnt lgkmcnt(1)
	v_add_co_u32 v14, vcc_lo, v21, v15
	v_add_co_ci_u32_e32 v15, vcc_lo, 0, v22, vcc_lo
	s_delay_alu instid0(VALU_DEP_2) | instskip(SKIP_1) | instid1(VALU_DEP_2)
	v_add_co_u32 v21, vcc_lo, v14, 0
	s_waitcnt lgkmcnt(0)
	v_add_co_ci_u32_e32 v22, vcc_lo, v15, v13, vcc_lo
.LBB140_100:
	s_or_b32 exec_lo, exec_lo, s0
	s_waitcnt lgkmcnt(0)
	v_or_b32_e32 v13, 31, v0
	v_lshrrev_b32_e32 v15, 5, v0
	s_mov_b32 s0, exec_lo
	s_delay_alu instid0(VALU_DEP_2)
	v_cmpx_eq_u32_e64 v13, v0
	s_cbranch_execz .LBB140_102
; %bb.101:
	s_delay_alu instid0(VALU_DEP_2)
	v_lshlrev_b32_e32 v13, 3, v15
	ds_store_b64 v13, v[21:22]
.LBB140_102:
	s_or_b32 exec_lo, exec_lo, s0
	s_delay_alu instid0(SALU_CYCLE_1)
	s_mov_b32 s0, exec_lo
	s_waitcnt lgkmcnt(0)
	s_barrier
	buffer_gl0_inv
	v_cmpx_gt_u32_e32 4, v0
	s_cbranch_execz .LBB140_108
; %bb.103:
	v_lshlrev_b32_e32 v13, 1, v0
	s_mov_b32 s1, exec_lo
	s_delay_alu instid0(VALU_DEP_1)
	v_add_nc_u32_e32 v16, v43, v13
	ds_load_b64 v[13:14], v16
	s_waitcnt lgkmcnt(0)
	v_dual_mov_b32 v18, v13 :: v_dual_and_b32 v17, 3, v42
	v_mov_b32_dpp v20, v13 row_shr:1 row_mask:0xf bank_mask:0xf
	v_mov_b32_dpp v19, v14 row_shr:1 row_mask:0xf bank_mask:0xf
	s_delay_alu instid0(VALU_DEP_3)
	v_cmpx_ne_u32_e32 0, v17
; %bb.104:
	s_delay_alu instid0(VALU_DEP_3) | instskip(SKIP_1) | instid1(VALU_DEP_2)
	v_add_co_u32 v18, vcc_lo, v13, v20
	v_add_co_ci_u32_e32 v14, vcc_lo, 0, v14, vcc_lo
	v_add_co_u32 v13, vcc_lo, 0, v18
	s_delay_alu instid0(VALU_DEP_2)
	v_add_co_ci_u32_e32 v14, vcc_lo, v19, v14, vcc_lo
; %bb.105:
	s_or_b32 exec_lo, exec_lo, s1
	v_mov_b32_dpp v19, v18 row_shr:2 row_mask:0xf bank_mask:0xf
	s_delay_alu instid0(VALU_DEP_2)
	v_mov_b32_dpp v18, v14 row_shr:2 row_mask:0xf bank_mask:0xf
	s_mov_b32 s1, exec_lo
	v_cmpx_lt_u32_e32 1, v17
; %bb.106:
	s_delay_alu instid0(VALU_DEP_3) | instskip(SKIP_1) | instid1(VALU_DEP_2)
	v_add_co_u32 v13, vcc_lo, v13, v19
	v_add_co_ci_u32_e32 v14, vcc_lo, 0, v14, vcc_lo
	v_add_co_u32 v13, vcc_lo, v13, 0
	s_delay_alu instid0(VALU_DEP_2)
	v_add_co_ci_u32_e32 v14, vcc_lo, v14, v18, vcc_lo
; %bb.107:
	s_or_b32 exec_lo, exec_lo, s1
	ds_store_b64 v16, v[13:14]
.LBB140_108:
	s_or_b32 exec_lo, exec_lo, s0
	v_mov_b32_e32 v17, 0
	v_mov_b32_e32 v18, 0
	s_mov_b32 s0, exec_lo
	s_waitcnt lgkmcnt(0)
	s_barrier
	buffer_gl0_inv
	v_cmpx_lt_u32_e32 31, v0
	s_cbranch_execz .LBB140_110
; %bb.109:
	v_lshl_add_u32 v13, v15, 3, -8
	ds_load_b64 v[17:18], v13
.LBB140_110:
	s_or_b32 exec_lo, exec_lo, s0
	v_dual_mov_b32 v16, 0 :: v_dual_add_nc_u32 v13, -1, v42
	s_delay_alu instid0(VALU_DEP_1) | instskip(SKIP_4) | instid1(VALU_DEP_3)
	v_cmp_gt_i32_e32 vcc_lo, 0, v13
	v_cndmask_b32_e32 v13, v13, v42, vcc_lo
	s_waitcnt lgkmcnt(0)
	v_add_co_u32 v14, vcc_lo, v17, v21
	v_add_co_ci_u32_e32 v15, vcc_lo, v18, v22, vcc_lo
	v_lshlrev_b32_e32 v13, 2, v13
	v_cmp_eq_u32_e32 vcc_lo, 0, v0
	ds_bpermute_b32 v19, v13, v14
	ds_bpermute_b32 v20, v13, v15
	ds_load_b64 v[13:14], v16 offset:24
	s_and_saveexec_b32 s0, vcc_lo
	s_cbranch_execz .LBB140_112
; %bb.111:
	s_add_u32 s2, s8, 0x200
	s_addc_u32 s3, s9, 0
	s_delay_alu instid0(SALU_CYCLE_1)
	v_dual_mov_b32 v15, 2 :: v_dual_mov_b32 v22, s3
	v_mov_b32_e32 v21, s2
	s_waitcnt lgkmcnt(0)
	;;#ASMSTART
	global_store_dwordx4 v[21:22], v[13:16] off	
s_waitcnt vmcnt(0)
	;;#ASMEND
.LBB140_112:
	s_or_b32 exec_lo, exec_lo, s0
	v_cmp_eq_u32_e64 s0, 0, v42
	s_waitcnt lgkmcnt(0)
	s_barrier
	buffer_gl0_inv
	v_cndmask_b32_e64 v15, v19, v17, s0
	v_cndmask_b32_e64 v16, v20, v18, s0
	s_delay_alu instid0(VALU_DEP_2) | instskip(NEXT) | instid1(VALU_DEP_2)
	v_cndmask_b32_e64 v29, v15, 0, vcc_lo
	v_cndmask_b32_e64 v30, v16, 0, vcc_lo
	v_mov_b32_e32 v15, 0
	v_mov_b32_e32 v16, 0
	s_delay_alu instid0(VALU_DEP_4) | instskip(NEXT) | instid1(VALU_DEP_4)
	v_add_co_u32 v27, vcc_lo, v29, v41
	v_add_co_ci_u32_e32 v28, vcc_lo, 0, v30, vcc_lo
	s_delay_alu instid0(VALU_DEP_2) | instskip(NEXT) | instid1(VALU_DEP_2)
	v_add_co_u32 v25, vcc_lo, v27, v40
	v_add_co_ci_u32_e32 v26, vcc_lo, 0, v28, vcc_lo
	s_delay_alu instid0(VALU_DEP_2) | instskip(NEXT) | instid1(VALU_DEP_2)
	;; [unrolled: 3-line block ×4, first 2 shown]
	v_add_co_u32 v17, vcc_lo, v19, v37
	v_add_co_ci_u32_e32 v18, vcc_lo, 0, v20, vcc_lo
	v_cmp_gt_u64_e32 vcc_lo, 0x81, v[13:14]
	s_mov_b32 s0, -1
	s_cbranch_vccz .LBB140_86
.LBB140_113:
	v_add_co_u32 v21, vcc_lo, v15, v13
	v_add_co_ci_u32_e32 v22, vcc_lo, v16, v14, vcc_lo
	s_delay_alu instid0(VALU_DEP_1) | instskip(SKIP_1) | instid1(SALU_CYCLE_1)
	v_cmp_lt_u64_e32 vcc_lo, v[29:30], v[21:22]
	s_or_b32 s1, s16, vcc_lo
	s_and_saveexec_b32 s0, s1
	s_cbranch_execz .LBB140_116
; %bb.114:
	v_and_b32_e32 v37, 1, v36
	s_delay_alu instid0(VALU_DEP_1)
	v_cmp_eq_u32_e32 vcc_lo, 1, v37
	s_and_b32 exec_lo, exec_lo, vcc_lo
	s_cbranch_execz .LBB140_116
; %bb.115:
	v_lshlrev_b64 v[37:38], 3, v[29:30]
	s_lshl_b64 s[2:3], s[6:7], 3
	s_delay_alu instid0(SALU_CYCLE_1) | instskip(SKIP_1) | instid1(VALU_DEP_1)
	s_add_u32 s1, s10, s2
	s_addc_u32 s2, s11, s3
	v_add_co_u32 v37, vcc_lo, s1, v37
	s_delay_alu instid0(VALU_DEP_2)
	v_add_co_ci_u32_e32 v38, vcc_lo, s2, v38, vcc_lo
	global_store_b64 v[37:38], v[9:10], off
.LBB140_116:
	s_or_b32 exec_lo, exec_lo, s0
	v_cmp_lt_u64_e32 vcc_lo, v[27:28], v[21:22]
	s_or_b32 s1, s16, vcc_lo
	s_delay_alu instid0(SALU_CYCLE_1)
	s_and_saveexec_b32 s0, s1
	s_cbranch_execz .LBB140_119
; %bb.117:
	v_and_b32_e32 v30, 1, v34
	s_delay_alu instid0(VALU_DEP_1)
	v_cmp_eq_u32_e32 vcc_lo, 1, v30
	s_and_b32 exec_lo, exec_lo, vcc_lo
	s_cbranch_execz .LBB140_119
; %bb.118:
	v_lshlrev_b64 v[37:38], 3, v[27:28]
	s_lshl_b64 s[2:3], s[6:7], 3
	s_delay_alu instid0(SALU_CYCLE_1) | instskip(SKIP_1) | instid1(VALU_DEP_1)
	s_add_u32 s1, s10, s2
	s_addc_u32 s2, s11, s3
	v_add_co_u32 v37, vcc_lo, s1, v37
	s_delay_alu instid0(VALU_DEP_2)
	v_add_co_ci_u32_e32 v38, vcc_lo, s2, v38, vcc_lo
	global_store_b64 v[37:38], v[11:12], off
.LBB140_119:
	s_or_b32 exec_lo, exec_lo, s0
	v_cmp_lt_u64_e32 vcc_lo, v[25:26], v[21:22]
	s_or_b32 s1, s16, vcc_lo
	s_delay_alu instid0(SALU_CYCLE_1)
	;; [unrolled: 23-line block ×5, first 2 shown]
	s_and_saveexec_b32 s0, s1
	s_cbranch_execz .LBB140_131
; %bb.129:
	v_and_b32_e32 v20, 1, v32
	s_delay_alu instid0(VALU_DEP_1)
	v_cmp_eq_u32_e32 vcc_lo, 1, v20
	s_and_b32 exec_lo, exec_lo, vcc_lo
	s_cbranch_execz .LBB140_131
; %bb.130:
	v_lshlrev_b64 v[20:21], 3, v[17:18]
	s_lshl_b64 s[2:3], s[6:7], 3
	s_delay_alu instid0(SALU_CYCLE_1) | instskip(SKIP_1) | instid1(VALU_DEP_1)
	s_add_u32 s1, s10, s2
	s_addc_u32 s2, s11, s3
	v_add_co_u32 v20, vcc_lo, s1, v20
	s_delay_alu instid0(VALU_DEP_2)
	v_add_co_ci_u32_e32 v21, vcc_lo, s2, v21, vcc_lo
	global_store_b64 v[20:21], v[3:4], off
.LBB140_131:
	s_or_b32 exec_lo, exec_lo, s0
	s_branch .LBB140_87
.LBB140_132:
	v_and_b32_e32 v18, 1, v36
	s_mov_b32 s0, exec_lo
	s_delay_alu instid0(VALU_DEP_1)
	v_cmpx_eq_u32_e32 1, v18
	s_cbranch_execz .LBB140_134
; %bb.133:
	v_sub_nc_u32_e32 v18, v29, v15
	s_delay_alu instid0(VALU_DEP_1)
	v_lshlrev_b32_e32 v18, 3, v18
	ds_store_b64 v18, v[9:10]
.LBB140_134:
	s_or_b32 exec_lo, exec_lo, s0
	v_and_b32_e32 v9, 1, v34
	s_mov_b32 s0, exec_lo
	s_delay_alu instid0(VALU_DEP_1)
	v_cmpx_eq_u32_e32 1, v9
	s_cbranch_execz .LBB140_136
; %bb.135:
	v_sub_nc_u32_e32 v9, v27, v15
	s_delay_alu instid0(VALU_DEP_1)
	v_lshlrev_b32_e32 v9, 3, v9
	ds_store_b64 v9, v[11:12]
.LBB140_136:
	s_or_b32 exec_lo, exec_lo, s0
	;; [unrolled: 12-line block ×6, first 2 shown]
	v_mov_b32_e32 v3, 0
	s_mov_b32 s1, exec_lo
	s_waitcnt lgkmcnt(0)
	s_waitcnt_vscnt null, 0x0
	s_barrier
	buffer_gl0_inv
	v_mov_b32_e32 v1, v3
	s_delay_alu instid0(VALU_DEP_1)
	v_cmpx_gt_u64_e64 v[13:14], v[0:1]
	s_cbranch_execz .LBB140_147
; %bb.145:
	v_lshlrev_b64 v[4:5], 3, v[15:16]
	s_lshl_b64 s[2:3], s[6:7], 3
	v_or_b32_e32 v2, 0x80, v0
	s_delay_alu instid0(VALU_DEP_2) | instskip(NEXT) | instid1(VALU_DEP_3)
	v_add_co_u32 v4, vcc_lo, s10, v4
	v_add_co_ci_u32_e32 v5, vcc_lo, s11, v5, vcc_lo
	s_delay_alu instid0(VALU_DEP_2) | instskip(NEXT) | instid1(VALU_DEP_2)
	v_add_co_u32 v6, vcc_lo, v4, s2
	v_add_co_ci_u32_e32 v7, vcc_lo, s3, v5, vcc_lo
	v_dual_mov_b32 v5, v1 :: v_dual_mov_b32 v4, v0
	s_mov_b32 s2, 0
	.p2align	6
.LBB140_146:                            ; =>This Inner Loop Header: Depth=1
	s_delay_alu instid0(VALU_DEP_1) | instskip(NEXT) | instid1(VALU_DEP_2)
	v_lshlrev_b32_e32 v1, 3, v4
	v_lshlrev_b64 v[10:11], 3, v[4:5]
	v_dual_mov_b32 v5, v3 :: v_dual_mov_b32 v4, v2
	v_cmp_le_u64_e32 vcc_lo, v[13:14], v[2:3]
	v_add_nc_u32_e32 v2, 0x80, v2
	ds_load_b64 v[8:9], v1
	v_add_co_u32 v10, s0, v6, v10
	s_delay_alu instid0(VALU_DEP_1)
	v_add_co_ci_u32_e64 v11, s0, v7, v11, s0
	s_or_b32 s2, vcc_lo, s2
	s_waitcnt lgkmcnt(0)
	global_store_b64 v[10:11], v[8:9], off
	s_and_not1_b32 exec_lo, exec_lo, s2
	s_cbranch_execnz .LBB140_146
.LBB140_147:
	s_or_b32 exec_lo, exec_lo, s1
	v_cmp_eq_u32_e32 vcc_lo, 0, v0
	s_and_b32 s0, vcc_lo, s14
	s_delay_alu instid0(SALU_CYCLE_1)
	s_and_saveexec_b32 s1, s0
	s_cbranch_execz .LBB140_88
.LBB140_148:
	v_add_co_u32 v0, vcc_lo, v15, v13
	v_add_co_ci_u32_e32 v1, vcc_lo, v16, v14, vcc_lo
	v_mov_b32_e32 v2, 0
	s_delay_alu instid0(VALU_DEP_3) | instskip(NEXT) | instid1(VALU_DEP_3)
	v_add_co_u32 v0, vcc_lo, v0, s6
	v_add_co_ci_u32_e32 v1, vcc_lo, s7, v1, vcc_lo
	global_store_b64 v2, v[0:1], s[4:5]
	s_nop 0
	s_sendmsg sendmsg(MSG_DEALLOC_VGPRS)
	s_endpgm
	.section	.rodata,"a",@progbits
	.p2align	6, 0x0
	.amdhsa_kernel _ZN7rocprim17ROCPRIM_400000_NS6detail17trampoline_kernelINS0_14default_configENS1_25partition_config_selectorILNS1_17partition_subalgoE5ElNS0_10empty_typeEbEEZZNS1_14partition_implILS5_5ELb0ES3_mN6hipcub16HIPCUB_304000_NS21CountingInputIteratorIllEEPS6_NSA_22TransformInputIteratorIbN2at6native12_GLOBAL__N_19NonZeroOpIaEEPKalEENS0_5tupleIJPlS6_EEENSN_IJSD_SD_EEES6_PiJS6_EEE10hipError_tPvRmT3_T4_T5_T6_T7_T9_mT8_P12ihipStream_tbDpT10_ENKUlT_T0_E_clISt17integral_constantIbLb1EES1A_IbLb0EEEEDaS16_S17_EUlS16_E_NS1_11comp_targetILNS1_3genE9ELNS1_11target_archE1100ELNS1_3gpuE3ELNS1_3repE0EEENS1_30default_config_static_selectorELNS0_4arch9wavefront6targetE0EEEvT1_
		.amdhsa_group_segment_fixed_size 6160
		.amdhsa_private_segment_fixed_size 0
		.amdhsa_kernarg_size 120
		.amdhsa_user_sgpr_count 15
		.amdhsa_user_sgpr_dispatch_ptr 0
		.amdhsa_user_sgpr_queue_ptr 0
		.amdhsa_user_sgpr_kernarg_segment_ptr 1
		.amdhsa_user_sgpr_dispatch_id 0
		.amdhsa_user_sgpr_private_segment_size 0
		.amdhsa_wavefront_size32 1
		.amdhsa_uses_dynamic_stack 0
		.amdhsa_enable_private_segment 0
		.amdhsa_system_sgpr_workgroup_id_x 1
		.amdhsa_system_sgpr_workgroup_id_y 0
		.amdhsa_system_sgpr_workgroup_id_z 0
		.amdhsa_system_sgpr_workgroup_info 0
		.amdhsa_system_vgpr_workitem_id 0
		.amdhsa_next_free_vgpr 57
		.amdhsa_next_free_sgpr 20
		.amdhsa_reserve_vcc 1
		.amdhsa_float_round_mode_32 0
		.amdhsa_float_round_mode_16_64 0
		.amdhsa_float_denorm_mode_32 3
		.amdhsa_float_denorm_mode_16_64 3
		.amdhsa_dx10_clamp 1
		.amdhsa_ieee_mode 1
		.amdhsa_fp16_overflow 0
		.amdhsa_workgroup_processor_mode 1
		.amdhsa_memory_ordered 1
		.amdhsa_forward_progress 0
		.amdhsa_shared_vgpr_count 0
		.amdhsa_exception_fp_ieee_invalid_op 0
		.amdhsa_exception_fp_denorm_src 0
		.amdhsa_exception_fp_ieee_div_zero 0
		.amdhsa_exception_fp_ieee_overflow 0
		.amdhsa_exception_fp_ieee_underflow 0
		.amdhsa_exception_fp_ieee_inexact 0
		.amdhsa_exception_int_div_zero 0
	.end_amdhsa_kernel
	.section	.text._ZN7rocprim17ROCPRIM_400000_NS6detail17trampoline_kernelINS0_14default_configENS1_25partition_config_selectorILNS1_17partition_subalgoE5ElNS0_10empty_typeEbEEZZNS1_14partition_implILS5_5ELb0ES3_mN6hipcub16HIPCUB_304000_NS21CountingInputIteratorIllEEPS6_NSA_22TransformInputIteratorIbN2at6native12_GLOBAL__N_19NonZeroOpIaEEPKalEENS0_5tupleIJPlS6_EEENSN_IJSD_SD_EEES6_PiJS6_EEE10hipError_tPvRmT3_T4_T5_T6_T7_T9_mT8_P12ihipStream_tbDpT10_ENKUlT_T0_E_clISt17integral_constantIbLb1EES1A_IbLb0EEEEDaS16_S17_EUlS16_E_NS1_11comp_targetILNS1_3genE9ELNS1_11target_archE1100ELNS1_3gpuE3ELNS1_3repE0EEENS1_30default_config_static_selectorELNS0_4arch9wavefront6targetE0EEEvT1_,"axG",@progbits,_ZN7rocprim17ROCPRIM_400000_NS6detail17trampoline_kernelINS0_14default_configENS1_25partition_config_selectorILNS1_17partition_subalgoE5ElNS0_10empty_typeEbEEZZNS1_14partition_implILS5_5ELb0ES3_mN6hipcub16HIPCUB_304000_NS21CountingInputIteratorIllEEPS6_NSA_22TransformInputIteratorIbN2at6native12_GLOBAL__N_19NonZeroOpIaEEPKalEENS0_5tupleIJPlS6_EEENSN_IJSD_SD_EEES6_PiJS6_EEE10hipError_tPvRmT3_T4_T5_T6_T7_T9_mT8_P12ihipStream_tbDpT10_ENKUlT_T0_E_clISt17integral_constantIbLb1EES1A_IbLb0EEEEDaS16_S17_EUlS16_E_NS1_11comp_targetILNS1_3genE9ELNS1_11target_archE1100ELNS1_3gpuE3ELNS1_3repE0EEENS1_30default_config_static_selectorELNS0_4arch9wavefront6targetE0EEEvT1_,comdat
.Lfunc_end140:
	.size	_ZN7rocprim17ROCPRIM_400000_NS6detail17trampoline_kernelINS0_14default_configENS1_25partition_config_selectorILNS1_17partition_subalgoE5ElNS0_10empty_typeEbEEZZNS1_14partition_implILS5_5ELb0ES3_mN6hipcub16HIPCUB_304000_NS21CountingInputIteratorIllEEPS6_NSA_22TransformInputIteratorIbN2at6native12_GLOBAL__N_19NonZeroOpIaEEPKalEENS0_5tupleIJPlS6_EEENSN_IJSD_SD_EEES6_PiJS6_EEE10hipError_tPvRmT3_T4_T5_T6_T7_T9_mT8_P12ihipStream_tbDpT10_ENKUlT_T0_E_clISt17integral_constantIbLb1EES1A_IbLb0EEEEDaS16_S17_EUlS16_E_NS1_11comp_targetILNS1_3genE9ELNS1_11target_archE1100ELNS1_3gpuE3ELNS1_3repE0EEENS1_30default_config_static_selectorELNS0_4arch9wavefront6targetE0EEEvT1_, .Lfunc_end140-_ZN7rocprim17ROCPRIM_400000_NS6detail17trampoline_kernelINS0_14default_configENS1_25partition_config_selectorILNS1_17partition_subalgoE5ElNS0_10empty_typeEbEEZZNS1_14partition_implILS5_5ELb0ES3_mN6hipcub16HIPCUB_304000_NS21CountingInputIteratorIllEEPS6_NSA_22TransformInputIteratorIbN2at6native12_GLOBAL__N_19NonZeroOpIaEEPKalEENS0_5tupleIJPlS6_EEENSN_IJSD_SD_EEES6_PiJS6_EEE10hipError_tPvRmT3_T4_T5_T6_T7_T9_mT8_P12ihipStream_tbDpT10_ENKUlT_T0_E_clISt17integral_constantIbLb1EES1A_IbLb0EEEEDaS16_S17_EUlS16_E_NS1_11comp_targetILNS1_3genE9ELNS1_11target_archE1100ELNS1_3gpuE3ELNS1_3repE0EEENS1_30default_config_static_selectorELNS0_4arch9wavefront6targetE0EEEvT1_
                                        ; -- End function
	.section	.AMDGPU.csdata,"",@progbits
; Kernel info:
; codeLenInByte = 6432
; NumSgprs: 22
; NumVgprs: 57
; ScratchSize: 0
; MemoryBound: 0
; FloatMode: 240
; IeeeMode: 1
; LDSByteSize: 6160 bytes/workgroup (compile time only)
; SGPRBlocks: 2
; VGPRBlocks: 7
; NumSGPRsForWavesPerEU: 22
; NumVGPRsForWavesPerEU: 57
; Occupancy: 16
; WaveLimiterHint : 1
; COMPUTE_PGM_RSRC2:SCRATCH_EN: 0
; COMPUTE_PGM_RSRC2:USER_SGPR: 15
; COMPUTE_PGM_RSRC2:TRAP_HANDLER: 0
; COMPUTE_PGM_RSRC2:TGID_X_EN: 1
; COMPUTE_PGM_RSRC2:TGID_Y_EN: 0
; COMPUTE_PGM_RSRC2:TGID_Z_EN: 0
; COMPUTE_PGM_RSRC2:TIDIG_COMP_CNT: 0
	.section	.text._ZN7rocprim17ROCPRIM_400000_NS6detail17trampoline_kernelINS0_14default_configENS1_25partition_config_selectorILNS1_17partition_subalgoE5ElNS0_10empty_typeEbEEZZNS1_14partition_implILS5_5ELb0ES3_mN6hipcub16HIPCUB_304000_NS21CountingInputIteratorIllEEPS6_NSA_22TransformInputIteratorIbN2at6native12_GLOBAL__N_19NonZeroOpIaEEPKalEENS0_5tupleIJPlS6_EEENSN_IJSD_SD_EEES6_PiJS6_EEE10hipError_tPvRmT3_T4_T5_T6_T7_T9_mT8_P12ihipStream_tbDpT10_ENKUlT_T0_E_clISt17integral_constantIbLb1EES1A_IbLb0EEEEDaS16_S17_EUlS16_E_NS1_11comp_targetILNS1_3genE8ELNS1_11target_archE1030ELNS1_3gpuE2ELNS1_3repE0EEENS1_30default_config_static_selectorELNS0_4arch9wavefront6targetE0EEEvT1_,"axG",@progbits,_ZN7rocprim17ROCPRIM_400000_NS6detail17trampoline_kernelINS0_14default_configENS1_25partition_config_selectorILNS1_17partition_subalgoE5ElNS0_10empty_typeEbEEZZNS1_14partition_implILS5_5ELb0ES3_mN6hipcub16HIPCUB_304000_NS21CountingInputIteratorIllEEPS6_NSA_22TransformInputIteratorIbN2at6native12_GLOBAL__N_19NonZeroOpIaEEPKalEENS0_5tupleIJPlS6_EEENSN_IJSD_SD_EEES6_PiJS6_EEE10hipError_tPvRmT3_T4_T5_T6_T7_T9_mT8_P12ihipStream_tbDpT10_ENKUlT_T0_E_clISt17integral_constantIbLb1EES1A_IbLb0EEEEDaS16_S17_EUlS16_E_NS1_11comp_targetILNS1_3genE8ELNS1_11target_archE1030ELNS1_3gpuE2ELNS1_3repE0EEENS1_30default_config_static_selectorELNS0_4arch9wavefront6targetE0EEEvT1_,comdat
	.globl	_ZN7rocprim17ROCPRIM_400000_NS6detail17trampoline_kernelINS0_14default_configENS1_25partition_config_selectorILNS1_17partition_subalgoE5ElNS0_10empty_typeEbEEZZNS1_14partition_implILS5_5ELb0ES3_mN6hipcub16HIPCUB_304000_NS21CountingInputIteratorIllEEPS6_NSA_22TransformInputIteratorIbN2at6native12_GLOBAL__N_19NonZeroOpIaEEPKalEENS0_5tupleIJPlS6_EEENSN_IJSD_SD_EEES6_PiJS6_EEE10hipError_tPvRmT3_T4_T5_T6_T7_T9_mT8_P12ihipStream_tbDpT10_ENKUlT_T0_E_clISt17integral_constantIbLb1EES1A_IbLb0EEEEDaS16_S17_EUlS16_E_NS1_11comp_targetILNS1_3genE8ELNS1_11target_archE1030ELNS1_3gpuE2ELNS1_3repE0EEENS1_30default_config_static_selectorELNS0_4arch9wavefront6targetE0EEEvT1_ ; -- Begin function _ZN7rocprim17ROCPRIM_400000_NS6detail17trampoline_kernelINS0_14default_configENS1_25partition_config_selectorILNS1_17partition_subalgoE5ElNS0_10empty_typeEbEEZZNS1_14partition_implILS5_5ELb0ES3_mN6hipcub16HIPCUB_304000_NS21CountingInputIteratorIllEEPS6_NSA_22TransformInputIteratorIbN2at6native12_GLOBAL__N_19NonZeroOpIaEEPKalEENS0_5tupleIJPlS6_EEENSN_IJSD_SD_EEES6_PiJS6_EEE10hipError_tPvRmT3_T4_T5_T6_T7_T9_mT8_P12ihipStream_tbDpT10_ENKUlT_T0_E_clISt17integral_constantIbLb1EES1A_IbLb0EEEEDaS16_S17_EUlS16_E_NS1_11comp_targetILNS1_3genE8ELNS1_11target_archE1030ELNS1_3gpuE2ELNS1_3repE0EEENS1_30default_config_static_selectorELNS0_4arch9wavefront6targetE0EEEvT1_
	.p2align	8
	.type	_ZN7rocprim17ROCPRIM_400000_NS6detail17trampoline_kernelINS0_14default_configENS1_25partition_config_selectorILNS1_17partition_subalgoE5ElNS0_10empty_typeEbEEZZNS1_14partition_implILS5_5ELb0ES3_mN6hipcub16HIPCUB_304000_NS21CountingInputIteratorIllEEPS6_NSA_22TransformInputIteratorIbN2at6native12_GLOBAL__N_19NonZeroOpIaEEPKalEENS0_5tupleIJPlS6_EEENSN_IJSD_SD_EEES6_PiJS6_EEE10hipError_tPvRmT3_T4_T5_T6_T7_T9_mT8_P12ihipStream_tbDpT10_ENKUlT_T0_E_clISt17integral_constantIbLb1EES1A_IbLb0EEEEDaS16_S17_EUlS16_E_NS1_11comp_targetILNS1_3genE8ELNS1_11target_archE1030ELNS1_3gpuE2ELNS1_3repE0EEENS1_30default_config_static_selectorELNS0_4arch9wavefront6targetE0EEEvT1_,@function
_ZN7rocprim17ROCPRIM_400000_NS6detail17trampoline_kernelINS0_14default_configENS1_25partition_config_selectorILNS1_17partition_subalgoE5ElNS0_10empty_typeEbEEZZNS1_14partition_implILS5_5ELb0ES3_mN6hipcub16HIPCUB_304000_NS21CountingInputIteratorIllEEPS6_NSA_22TransformInputIteratorIbN2at6native12_GLOBAL__N_19NonZeroOpIaEEPKalEENS0_5tupleIJPlS6_EEENSN_IJSD_SD_EEES6_PiJS6_EEE10hipError_tPvRmT3_T4_T5_T6_T7_T9_mT8_P12ihipStream_tbDpT10_ENKUlT_T0_E_clISt17integral_constantIbLb1EES1A_IbLb0EEEEDaS16_S17_EUlS16_E_NS1_11comp_targetILNS1_3genE8ELNS1_11target_archE1030ELNS1_3gpuE2ELNS1_3repE0EEENS1_30default_config_static_selectorELNS0_4arch9wavefront6targetE0EEEvT1_: ; @_ZN7rocprim17ROCPRIM_400000_NS6detail17trampoline_kernelINS0_14default_configENS1_25partition_config_selectorILNS1_17partition_subalgoE5ElNS0_10empty_typeEbEEZZNS1_14partition_implILS5_5ELb0ES3_mN6hipcub16HIPCUB_304000_NS21CountingInputIteratorIllEEPS6_NSA_22TransformInputIteratorIbN2at6native12_GLOBAL__N_19NonZeroOpIaEEPKalEENS0_5tupleIJPlS6_EEENSN_IJSD_SD_EEES6_PiJS6_EEE10hipError_tPvRmT3_T4_T5_T6_T7_T9_mT8_P12ihipStream_tbDpT10_ENKUlT_T0_E_clISt17integral_constantIbLb1EES1A_IbLb0EEEEDaS16_S17_EUlS16_E_NS1_11comp_targetILNS1_3genE8ELNS1_11target_archE1030ELNS1_3gpuE2ELNS1_3repE0EEENS1_30default_config_static_selectorELNS0_4arch9wavefront6targetE0EEEvT1_
; %bb.0:
	.section	.rodata,"a",@progbits
	.p2align	6, 0x0
	.amdhsa_kernel _ZN7rocprim17ROCPRIM_400000_NS6detail17trampoline_kernelINS0_14default_configENS1_25partition_config_selectorILNS1_17partition_subalgoE5ElNS0_10empty_typeEbEEZZNS1_14partition_implILS5_5ELb0ES3_mN6hipcub16HIPCUB_304000_NS21CountingInputIteratorIllEEPS6_NSA_22TransformInputIteratorIbN2at6native12_GLOBAL__N_19NonZeroOpIaEEPKalEENS0_5tupleIJPlS6_EEENSN_IJSD_SD_EEES6_PiJS6_EEE10hipError_tPvRmT3_T4_T5_T6_T7_T9_mT8_P12ihipStream_tbDpT10_ENKUlT_T0_E_clISt17integral_constantIbLb1EES1A_IbLb0EEEEDaS16_S17_EUlS16_E_NS1_11comp_targetILNS1_3genE8ELNS1_11target_archE1030ELNS1_3gpuE2ELNS1_3repE0EEENS1_30default_config_static_selectorELNS0_4arch9wavefront6targetE0EEEvT1_
		.amdhsa_group_segment_fixed_size 0
		.amdhsa_private_segment_fixed_size 0
		.amdhsa_kernarg_size 120
		.amdhsa_user_sgpr_count 15
		.amdhsa_user_sgpr_dispatch_ptr 0
		.amdhsa_user_sgpr_queue_ptr 0
		.amdhsa_user_sgpr_kernarg_segment_ptr 1
		.amdhsa_user_sgpr_dispatch_id 0
		.amdhsa_user_sgpr_private_segment_size 0
		.amdhsa_wavefront_size32 1
		.amdhsa_uses_dynamic_stack 0
		.amdhsa_enable_private_segment 0
		.amdhsa_system_sgpr_workgroup_id_x 1
		.amdhsa_system_sgpr_workgroup_id_y 0
		.amdhsa_system_sgpr_workgroup_id_z 0
		.amdhsa_system_sgpr_workgroup_info 0
		.amdhsa_system_vgpr_workitem_id 0
		.amdhsa_next_free_vgpr 1
		.amdhsa_next_free_sgpr 1
		.amdhsa_reserve_vcc 0
		.amdhsa_float_round_mode_32 0
		.amdhsa_float_round_mode_16_64 0
		.amdhsa_float_denorm_mode_32 3
		.amdhsa_float_denorm_mode_16_64 3
		.amdhsa_dx10_clamp 1
		.amdhsa_ieee_mode 1
		.amdhsa_fp16_overflow 0
		.amdhsa_workgroup_processor_mode 1
		.amdhsa_memory_ordered 1
		.amdhsa_forward_progress 0
		.amdhsa_shared_vgpr_count 0
		.amdhsa_exception_fp_ieee_invalid_op 0
		.amdhsa_exception_fp_denorm_src 0
		.amdhsa_exception_fp_ieee_div_zero 0
		.amdhsa_exception_fp_ieee_overflow 0
		.amdhsa_exception_fp_ieee_underflow 0
		.amdhsa_exception_fp_ieee_inexact 0
		.amdhsa_exception_int_div_zero 0
	.end_amdhsa_kernel
	.section	.text._ZN7rocprim17ROCPRIM_400000_NS6detail17trampoline_kernelINS0_14default_configENS1_25partition_config_selectorILNS1_17partition_subalgoE5ElNS0_10empty_typeEbEEZZNS1_14partition_implILS5_5ELb0ES3_mN6hipcub16HIPCUB_304000_NS21CountingInputIteratorIllEEPS6_NSA_22TransformInputIteratorIbN2at6native12_GLOBAL__N_19NonZeroOpIaEEPKalEENS0_5tupleIJPlS6_EEENSN_IJSD_SD_EEES6_PiJS6_EEE10hipError_tPvRmT3_T4_T5_T6_T7_T9_mT8_P12ihipStream_tbDpT10_ENKUlT_T0_E_clISt17integral_constantIbLb1EES1A_IbLb0EEEEDaS16_S17_EUlS16_E_NS1_11comp_targetILNS1_3genE8ELNS1_11target_archE1030ELNS1_3gpuE2ELNS1_3repE0EEENS1_30default_config_static_selectorELNS0_4arch9wavefront6targetE0EEEvT1_,"axG",@progbits,_ZN7rocprim17ROCPRIM_400000_NS6detail17trampoline_kernelINS0_14default_configENS1_25partition_config_selectorILNS1_17partition_subalgoE5ElNS0_10empty_typeEbEEZZNS1_14partition_implILS5_5ELb0ES3_mN6hipcub16HIPCUB_304000_NS21CountingInputIteratorIllEEPS6_NSA_22TransformInputIteratorIbN2at6native12_GLOBAL__N_19NonZeroOpIaEEPKalEENS0_5tupleIJPlS6_EEENSN_IJSD_SD_EEES6_PiJS6_EEE10hipError_tPvRmT3_T4_T5_T6_T7_T9_mT8_P12ihipStream_tbDpT10_ENKUlT_T0_E_clISt17integral_constantIbLb1EES1A_IbLb0EEEEDaS16_S17_EUlS16_E_NS1_11comp_targetILNS1_3genE8ELNS1_11target_archE1030ELNS1_3gpuE2ELNS1_3repE0EEENS1_30default_config_static_selectorELNS0_4arch9wavefront6targetE0EEEvT1_,comdat
.Lfunc_end141:
	.size	_ZN7rocprim17ROCPRIM_400000_NS6detail17trampoline_kernelINS0_14default_configENS1_25partition_config_selectorILNS1_17partition_subalgoE5ElNS0_10empty_typeEbEEZZNS1_14partition_implILS5_5ELb0ES3_mN6hipcub16HIPCUB_304000_NS21CountingInputIteratorIllEEPS6_NSA_22TransformInputIteratorIbN2at6native12_GLOBAL__N_19NonZeroOpIaEEPKalEENS0_5tupleIJPlS6_EEENSN_IJSD_SD_EEES6_PiJS6_EEE10hipError_tPvRmT3_T4_T5_T6_T7_T9_mT8_P12ihipStream_tbDpT10_ENKUlT_T0_E_clISt17integral_constantIbLb1EES1A_IbLb0EEEEDaS16_S17_EUlS16_E_NS1_11comp_targetILNS1_3genE8ELNS1_11target_archE1030ELNS1_3gpuE2ELNS1_3repE0EEENS1_30default_config_static_selectorELNS0_4arch9wavefront6targetE0EEEvT1_, .Lfunc_end141-_ZN7rocprim17ROCPRIM_400000_NS6detail17trampoline_kernelINS0_14default_configENS1_25partition_config_selectorILNS1_17partition_subalgoE5ElNS0_10empty_typeEbEEZZNS1_14partition_implILS5_5ELb0ES3_mN6hipcub16HIPCUB_304000_NS21CountingInputIteratorIllEEPS6_NSA_22TransformInputIteratorIbN2at6native12_GLOBAL__N_19NonZeroOpIaEEPKalEENS0_5tupleIJPlS6_EEENSN_IJSD_SD_EEES6_PiJS6_EEE10hipError_tPvRmT3_T4_T5_T6_T7_T9_mT8_P12ihipStream_tbDpT10_ENKUlT_T0_E_clISt17integral_constantIbLb1EES1A_IbLb0EEEEDaS16_S17_EUlS16_E_NS1_11comp_targetILNS1_3genE8ELNS1_11target_archE1030ELNS1_3gpuE2ELNS1_3repE0EEENS1_30default_config_static_selectorELNS0_4arch9wavefront6targetE0EEEvT1_
                                        ; -- End function
	.section	.AMDGPU.csdata,"",@progbits
; Kernel info:
; codeLenInByte = 0
; NumSgprs: 0
; NumVgprs: 0
; ScratchSize: 0
; MemoryBound: 0
; FloatMode: 240
; IeeeMode: 1
; LDSByteSize: 0 bytes/workgroup (compile time only)
; SGPRBlocks: 0
; VGPRBlocks: 0
; NumSGPRsForWavesPerEU: 1
; NumVGPRsForWavesPerEU: 1
; Occupancy: 16
; WaveLimiterHint : 0
; COMPUTE_PGM_RSRC2:SCRATCH_EN: 0
; COMPUTE_PGM_RSRC2:USER_SGPR: 15
; COMPUTE_PGM_RSRC2:TRAP_HANDLER: 0
; COMPUTE_PGM_RSRC2:TGID_X_EN: 1
; COMPUTE_PGM_RSRC2:TGID_Y_EN: 0
; COMPUTE_PGM_RSRC2:TGID_Z_EN: 0
; COMPUTE_PGM_RSRC2:TIDIG_COMP_CNT: 0
	.section	.text._ZN7rocprim17ROCPRIM_400000_NS6detail17trampoline_kernelINS0_14default_configENS1_25partition_config_selectorILNS1_17partition_subalgoE5ElNS0_10empty_typeEbEEZZNS1_14partition_implILS5_5ELb0ES3_mN6hipcub16HIPCUB_304000_NS21CountingInputIteratorIllEEPS6_NSA_22TransformInputIteratorIbN2at6native12_GLOBAL__N_19NonZeroOpIaEEPKalEENS0_5tupleIJPlS6_EEENSN_IJSD_SD_EEES6_PiJS6_EEE10hipError_tPvRmT3_T4_T5_T6_T7_T9_mT8_P12ihipStream_tbDpT10_ENKUlT_T0_E_clISt17integral_constantIbLb0EES1A_IbLb1EEEEDaS16_S17_EUlS16_E_NS1_11comp_targetILNS1_3genE0ELNS1_11target_archE4294967295ELNS1_3gpuE0ELNS1_3repE0EEENS1_30default_config_static_selectorELNS0_4arch9wavefront6targetE0EEEvT1_,"axG",@progbits,_ZN7rocprim17ROCPRIM_400000_NS6detail17trampoline_kernelINS0_14default_configENS1_25partition_config_selectorILNS1_17partition_subalgoE5ElNS0_10empty_typeEbEEZZNS1_14partition_implILS5_5ELb0ES3_mN6hipcub16HIPCUB_304000_NS21CountingInputIteratorIllEEPS6_NSA_22TransformInputIteratorIbN2at6native12_GLOBAL__N_19NonZeroOpIaEEPKalEENS0_5tupleIJPlS6_EEENSN_IJSD_SD_EEES6_PiJS6_EEE10hipError_tPvRmT3_T4_T5_T6_T7_T9_mT8_P12ihipStream_tbDpT10_ENKUlT_T0_E_clISt17integral_constantIbLb0EES1A_IbLb1EEEEDaS16_S17_EUlS16_E_NS1_11comp_targetILNS1_3genE0ELNS1_11target_archE4294967295ELNS1_3gpuE0ELNS1_3repE0EEENS1_30default_config_static_selectorELNS0_4arch9wavefront6targetE0EEEvT1_,comdat
	.globl	_ZN7rocprim17ROCPRIM_400000_NS6detail17trampoline_kernelINS0_14default_configENS1_25partition_config_selectorILNS1_17partition_subalgoE5ElNS0_10empty_typeEbEEZZNS1_14partition_implILS5_5ELb0ES3_mN6hipcub16HIPCUB_304000_NS21CountingInputIteratorIllEEPS6_NSA_22TransformInputIteratorIbN2at6native12_GLOBAL__N_19NonZeroOpIaEEPKalEENS0_5tupleIJPlS6_EEENSN_IJSD_SD_EEES6_PiJS6_EEE10hipError_tPvRmT3_T4_T5_T6_T7_T9_mT8_P12ihipStream_tbDpT10_ENKUlT_T0_E_clISt17integral_constantIbLb0EES1A_IbLb1EEEEDaS16_S17_EUlS16_E_NS1_11comp_targetILNS1_3genE0ELNS1_11target_archE4294967295ELNS1_3gpuE0ELNS1_3repE0EEENS1_30default_config_static_selectorELNS0_4arch9wavefront6targetE0EEEvT1_ ; -- Begin function _ZN7rocprim17ROCPRIM_400000_NS6detail17trampoline_kernelINS0_14default_configENS1_25partition_config_selectorILNS1_17partition_subalgoE5ElNS0_10empty_typeEbEEZZNS1_14partition_implILS5_5ELb0ES3_mN6hipcub16HIPCUB_304000_NS21CountingInputIteratorIllEEPS6_NSA_22TransformInputIteratorIbN2at6native12_GLOBAL__N_19NonZeroOpIaEEPKalEENS0_5tupleIJPlS6_EEENSN_IJSD_SD_EEES6_PiJS6_EEE10hipError_tPvRmT3_T4_T5_T6_T7_T9_mT8_P12ihipStream_tbDpT10_ENKUlT_T0_E_clISt17integral_constantIbLb0EES1A_IbLb1EEEEDaS16_S17_EUlS16_E_NS1_11comp_targetILNS1_3genE0ELNS1_11target_archE4294967295ELNS1_3gpuE0ELNS1_3repE0EEENS1_30default_config_static_selectorELNS0_4arch9wavefront6targetE0EEEvT1_
	.p2align	8
	.type	_ZN7rocprim17ROCPRIM_400000_NS6detail17trampoline_kernelINS0_14default_configENS1_25partition_config_selectorILNS1_17partition_subalgoE5ElNS0_10empty_typeEbEEZZNS1_14partition_implILS5_5ELb0ES3_mN6hipcub16HIPCUB_304000_NS21CountingInputIteratorIllEEPS6_NSA_22TransformInputIteratorIbN2at6native12_GLOBAL__N_19NonZeroOpIaEEPKalEENS0_5tupleIJPlS6_EEENSN_IJSD_SD_EEES6_PiJS6_EEE10hipError_tPvRmT3_T4_T5_T6_T7_T9_mT8_P12ihipStream_tbDpT10_ENKUlT_T0_E_clISt17integral_constantIbLb0EES1A_IbLb1EEEEDaS16_S17_EUlS16_E_NS1_11comp_targetILNS1_3genE0ELNS1_11target_archE4294967295ELNS1_3gpuE0ELNS1_3repE0EEENS1_30default_config_static_selectorELNS0_4arch9wavefront6targetE0EEEvT1_,@function
_ZN7rocprim17ROCPRIM_400000_NS6detail17trampoline_kernelINS0_14default_configENS1_25partition_config_selectorILNS1_17partition_subalgoE5ElNS0_10empty_typeEbEEZZNS1_14partition_implILS5_5ELb0ES3_mN6hipcub16HIPCUB_304000_NS21CountingInputIteratorIllEEPS6_NSA_22TransformInputIteratorIbN2at6native12_GLOBAL__N_19NonZeroOpIaEEPKalEENS0_5tupleIJPlS6_EEENSN_IJSD_SD_EEES6_PiJS6_EEE10hipError_tPvRmT3_T4_T5_T6_T7_T9_mT8_P12ihipStream_tbDpT10_ENKUlT_T0_E_clISt17integral_constantIbLb0EES1A_IbLb1EEEEDaS16_S17_EUlS16_E_NS1_11comp_targetILNS1_3genE0ELNS1_11target_archE4294967295ELNS1_3gpuE0ELNS1_3repE0EEENS1_30default_config_static_selectorELNS0_4arch9wavefront6targetE0EEEvT1_: ; @_ZN7rocprim17ROCPRIM_400000_NS6detail17trampoline_kernelINS0_14default_configENS1_25partition_config_selectorILNS1_17partition_subalgoE5ElNS0_10empty_typeEbEEZZNS1_14partition_implILS5_5ELb0ES3_mN6hipcub16HIPCUB_304000_NS21CountingInputIteratorIllEEPS6_NSA_22TransformInputIteratorIbN2at6native12_GLOBAL__N_19NonZeroOpIaEEPKalEENS0_5tupleIJPlS6_EEENSN_IJSD_SD_EEES6_PiJS6_EEE10hipError_tPvRmT3_T4_T5_T6_T7_T9_mT8_P12ihipStream_tbDpT10_ENKUlT_T0_E_clISt17integral_constantIbLb0EES1A_IbLb1EEEEDaS16_S17_EUlS16_E_NS1_11comp_targetILNS1_3genE0ELNS1_11target_archE4294967295ELNS1_3gpuE0ELNS1_3repE0EEENS1_30default_config_static_selectorELNS0_4arch9wavefront6targetE0EEEvT1_
; %bb.0:
	.section	.rodata,"a",@progbits
	.p2align	6, 0x0
	.amdhsa_kernel _ZN7rocprim17ROCPRIM_400000_NS6detail17trampoline_kernelINS0_14default_configENS1_25partition_config_selectorILNS1_17partition_subalgoE5ElNS0_10empty_typeEbEEZZNS1_14partition_implILS5_5ELb0ES3_mN6hipcub16HIPCUB_304000_NS21CountingInputIteratorIllEEPS6_NSA_22TransformInputIteratorIbN2at6native12_GLOBAL__N_19NonZeroOpIaEEPKalEENS0_5tupleIJPlS6_EEENSN_IJSD_SD_EEES6_PiJS6_EEE10hipError_tPvRmT3_T4_T5_T6_T7_T9_mT8_P12ihipStream_tbDpT10_ENKUlT_T0_E_clISt17integral_constantIbLb0EES1A_IbLb1EEEEDaS16_S17_EUlS16_E_NS1_11comp_targetILNS1_3genE0ELNS1_11target_archE4294967295ELNS1_3gpuE0ELNS1_3repE0EEENS1_30default_config_static_selectorELNS0_4arch9wavefront6targetE0EEEvT1_
		.amdhsa_group_segment_fixed_size 0
		.amdhsa_private_segment_fixed_size 0
		.amdhsa_kernarg_size 136
		.amdhsa_user_sgpr_count 15
		.amdhsa_user_sgpr_dispatch_ptr 0
		.amdhsa_user_sgpr_queue_ptr 0
		.amdhsa_user_sgpr_kernarg_segment_ptr 1
		.amdhsa_user_sgpr_dispatch_id 0
		.amdhsa_user_sgpr_private_segment_size 0
		.amdhsa_wavefront_size32 1
		.amdhsa_uses_dynamic_stack 0
		.amdhsa_enable_private_segment 0
		.amdhsa_system_sgpr_workgroup_id_x 1
		.amdhsa_system_sgpr_workgroup_id_y 0
		.amdhsa_system_sgpr_workgroup_id_z 0
		.amdhsa_system_sgpr_workgroup_info 0
		.amdhsa_system_vgpr_workitem_id 0
		.amdhsa_next_free_vgpr 1
		.amdhsa_next_free_sgpr 1
		.amdhsa_reserve_vcc 0
		.amdhsa_float_round_mode_32 0
		.amdhsa_float_round_mode_16_64 0
		.amdhsa_float_denorm_mode_32 3
		.amdhsa_float_denorm_mode_16_64 3
		.amdhsa_dx10_clamp 1
		.amdhsa_ieee_mode 1
		.amdhsa_fp16_overflow 0
		.amdhsa_workgroup_processor_mode 1
		.amdhsa_memory_ordered 1
		.amdhsa_forward_progress 0
		.amdhsa_shared_vgpr_count 0
		.amdhsa_exception_fp_ieee_invalid_op 0
		.amdhsa_exception_fp_denorm_src 0
		.amdhsa_exception_fp_ieee_div_zero 0
		.amdhsa_exception_fp_ieee_overflow 0
		.amdhsa_exception_fp_ieee_underflow 0
		.amdhsa_exception_fp_ieee_inexact 0
		.amdhsa_exception_int_div_zero 0
	.end_amdhsa_kernel
	.section	.text._ZN7rocprim17ROCPRIM_400000_NS6detail17trampoline_kernelINS0_14default_configENS1_25partition_config_selectorILNS1_17partition_subalgoE5ElNS0_10empty_typeEbEEZZNS1_14partition_implILS5_5ELb0ES3_mN6hipcub16HIPCUB_304000_NS21CountingInputIteratorIllEEPS6_NSA_22TransformInputIteratorIbN2at6native12_GLOBAL__N_19NonZeroOpIaEEPKalEENS0_5tupleIJPlS6_EEENSN_IJSD_SD_EEES6_PiJS6_EEE10hipError_tPvRmT3_T4_T5_T6_T7_T9_mT8_P12ihipStream_tbDpT10_ENKUlT_T0_E_clISt17integral_constantIbLb0EES1A_IbLb1EEEEDaS16_S17_EUlS16_E_NS1_11comp_targetILNS1_3genE0ELNS1_11target_archE4294967295ELNS1_3gpuE0ELNS1_3repE0EEENS1_30default_config_static_selectorELNS0_4arch9wavefront6targetE0EEEvT1_,"axG",@progbits,_ZN7rocprim17ROCPRIM_400000_NS6detail17trampoline_kernelINS0_14default_configENS1_25partition_config_selectorILNS1_17partition_subalgoE5ElNS0_10empty_typeEbEEZZNS1_14partition_implILS5_5ELb0ES3_mN6hipcub16HIPCUB_304000_NS21CountingInputIteratorIllEEPS6_NSA_22TransformInputIteratorIbN2at6native12_GLOBAL__N_19NonZeroOpIaEEPKalEENS0_5tupleIJPlS6_EEENSN_IJSD_SD_EEES6_PiJS6_EEE10hipError_tPvRmT3_T4_T5_T6_T7_T9_mT8_P12ihipStream_tbDpT10_ENKUlT_T0_E_clISt17integral_constantIbLb0EES1A_IbLb1EEEEDaS16_S17_EUlS16_E_NS1_11comp_targetILNS1_3genE0ELNS1_11target_archE4294967295ELNS1_3gpuE0ELNS1_3repE0EEENS1_30default_config_static_selectorELNS0_4arch9wavefront6targetE0EEEvT1_,comdat
.Lfunc_end142:
	.size	_ZN7rocprim17ROCPRIM_400000_NS6detail17trampoline_kernelINS0_14default_configENS1_25partition_config_selectorILNS1_17partition_subalgoE5ElNS0_10empty_typeEbEEZZNS1_14partition_implILS5_5ELb0ES3_mN6hipcub16HIPCUB_304000_NS21CountingInputIteratorIllEEPS6_NSA_22TransformInputIteratorIbN2at6native12_GLOBAL__N_19NonZeroOpIaEEPKalEENS0_5tupleIJPlS6_EEENSN_IJSD_SD_EEES6_PiJS6_EEE10hipError_tPvRmT3_T4_T5_T6_T7_T9_mT8_P12ihipStream_tbDpT10_ENKUlT_T0_E_clISt17integral_constantIbLb0EES1A_IbLb1EEEEDaS16_S17_EUlS16_E_NS1_11comp_targetILNS1_3genE0ELNS1_11target_archE4294967295ELNS1_3gpuE0ELNS1_3repE0EEENS1_30default_config_static_selectorELNS0_4arch9wavefront6targetE0EEEvT1_, .Lfunc_end142-_ZN7rocprim17ROCPRIM_400000_NS6detail17trampoline_kernelINS0_14default_configENS1_25partition_config_selectorILNS1_17partition_subalgoE5ElNS0_10empty_typeEbEEZZNS1_14partition_implILS5_5ELb0ES3_mN6hipcub16HIPCUB_304000_NS21CountingInputIteratorIllEEPS6_NSA_22TransformInputIteratorIbN2at6native12_GLOBAL__N_19NonZeroOpIaEEPKalEENS0_5tupleIJPlS6_EEENSN_IJSD_SD_EEES6_PiJS6_EEE10hipError_tPvRmT3_T4_T5_T6_T7_T9_mT8_P12ihipStream_tbDpT10_ENKUlT_T0_E_clISt17integral_constantIbLb0EES1A_IbLb1EEEEDaS16_S17_EUlS16_E_NS1_11comp_targetILNS1_3genE0ELNS1_11target_archE4294967295ELNS1_3gpuE0ELNS1_3repE0EEENS1_30default_config_static_selectorELNS0_4arch9wavefront6targetE0EEEvT1_
                                        ; -- End function
	.section	.AMDGPU.csdata,"",@progbits
; Kernel info:
; codeLenInByte = 0
; NumSgprs: 0
; NumVgprs: 0
; ScratchSize: 0
; MemoryBound: 0
; FloatMode: 240
; IeeeMode: 1
; LDSByteSize: 0 bytes/workgroup (compile time only)
; SGPRBlocks: 0
; VGPRBlocks: 0
; NumSGPRsForWavesPerEU: 1
; NumVGPRsForWavesPerEU: 1
; Occupancy: 16
; WaveLimiterHint : 0
; COMPUTE_PGM_RSRC2:SCRATCH_EN: 0
; COMPUTE_PGM_RSRC2:USER_SGPR: 15
; COMPUTE_PGM_RSRC2:TRAP_HANDLER: 0
; COMPUTE_PGM_RSRC2:TGID_X_EN: 1
; COMPUTE_PGM_RSRC2:TGID_Y_EN: 0
; COMPUTE_PGM_RSRC2:TGID_Z_EN: 0
; COMPUTE_PGM_RSRC2:TIDIG_COMP_CNT: 0
	.section	.text._ZN7rocprim17ROCPRIM_400000_NS6detail17trampoline_kernelINS0_14default_configENS1_25partition_config_selectorILNS1_17partition_subalgoE5ElNS0_10empty_typeEbEEZZNS1_14partition_implILS5_5ELb0ES3_mN6hipcub16HIPCUB_304000_NS21CountingInputIteratorIllEEPS6_NSA_22TransformInputIteratorIbN2at6native12_GLOBAL__N_19NonZeroOpIaEEPKalEENS0_5tupleIJPlS6_EEENSN_IJSD_SD_EEES6_PiJS6_EEE10hipError_tPvRmT3_T4_T5_T6_T7_T9_mT8_P12ihipStream_tbDpT10_ENKUlT_T0_E_clISt17integral_constantIbLb0EES1A_IbLb1EEEEDaS16_S17_EUlS16_E_NS1_11comp_targetILNS1_3genE5ELNS1_11target_archE942ELNS1_3gpuE9ELNS1_3repE0EEENS1_30default_config_static_selectorELNS0_4arch9wavefront6targetE0EEEvT1_,"axG",@progbits,_ZN7rocprim17ROCPRIM_400000_NS6detail17trampoline_kernelINS0_14default_configENS1_25partition_config_selectorILNS1_17partition_subalgoE5ElNS0_10empty_typeEbEEZZNS1_14partition_implILS5_5ELb0ES3_mN6hipcub16HIPCUB_304000_NS21CountingInputIteratorIllEEPS6_NSA_22TransformInputIteratorIbN2at6native12_GLOBAL__N_19NonZeroOpIaEEPKalEENS0_5tupleIJPlS6_EEENSN_IJSD_SD_EEES6_PiJS6_EEE10hipError_tPvRmT3_T4_T5_T6_T7_T9_mT8_P12ihipStream_tbDpT10_ENKUlT_T0_E_clISt17integral_constantIbLb0EES1A_IbLb1EEEEDaS16_S17_EUlS16_E_NS1_11comp_targetILNS1_3genE5ELNS1_11target_archE942ELNS1_3gpuE9ELNS1_3repE0EEENS1_30default_config_static_selectorELNS0_4arch9wavefront6targetE0EEEvT1_,comdat
	.globl	_ZN7rocprim17ROCPRIM_400000_NS6detail17trampoline_kernelINS0_14default_configENS1_25partition_config_selectorILNS1_17partition_subalgoE5ElNS0_10empty_typeEbEEZZNS1_14partition_implILS5_5ELb0ES3_mN6hipcub16HIPCUB_304000_NS21CountingInputIteratorIllEEPS6_NSA_22TransformInputIteratorIbN2at6native12_GLOBAL__N_19NonZeroOpIaEEPKalEENS0_5tupleIJPlS6_EEENSN_IJSD_SD_EEES6_PiJS6_EEE10hipError_tPvRmT3_T4_T5_T6_T7_T9_mT8_P12ihipStream_tbDpT10_ENKUlT_T0_E_clISt17integral_constantIbLb0EES1A_IbLb1EEEEDaS16_S17_EUlS16_E_NS1_11comp_targetILNS1_3genE5ELNS1_11target_archE942ELNS1_3gpuE9ELNS1_3repE0EEENS1_30default_config_static_selectorELNS0_4arch9wavefront6targetE0EEEvT1_ ; -- Begin function _ZN7rocprim17ROCPRIM_400000_NS6detail17trampoline_kernelINS0_14default_configENS1_25partition_config_selectorILNS1_17partition_subalgoE5ElNS0_10empty_typeEbEEZZNS1_14partition_implILS5_5ELb0ES3_mN6hipcub16HIPCUB_304000_NS21CountingInputIteratorIllEEPS6_NSA_22TransformInputIteratorIbN2at6native12_GLOBAL__N_19NonZeroOpIaEEPKalEENS0_5tupleIJPlS6_EEENSN_IJSD_SD_EEES6_PiJS6_EEE10hipError_tPvRmT3_T4_T5_T6_T7_T9_mT8_P12ihipStream_tbDpT10_ENKUlT_T0_E_clISt17integral_constantIbLb0EES1A_IbLb1EEEEDaS16_S17_EUlS16_E_NS1_11comp_targetILNS1_3genE5ELNS1_11target_archE942ELNS1_3gpuE9ELNS1_3repE0EEENS1_30default_config_static_selectorELNS0_4arch9wavefront6targetE0EEEvT1_
	.p2align	8
	.type	_ZN7rocprim17ROCPRIM_400000_NS6detail17trampoline_kernelINS0_14default_configENS1_25partition_config_selectorILNS1_17partition_subalgoE5ElNS0_10empty_typeEbEEZZNS1_14partition_implILS5_5ELb0ES3_mN6hipcub16HIPCUB_304000_NS21CountingInputIteratorIllEEPS6_NSA_22TransformInputIteratorIbN2at6native12_GLOBAL__N_19NonZeroOpIaEEPKalEENS0_5tupleIJPlS6_EEENSN_IJSD_SD_EEES6_PiJS6_EEE10hipError_tPvRmT3_T4_T5_T6_T7_T9_mT8_P12ihipStream_tbDpT10_ENKUlT_T0_E_clISt17integral_constantIbLb0EES1A_IbLb1EEEEDaS16_S17_EUlS16_E_NS1_11comp_targetILNS1_3genE5ELNS1_11target_archE942ELNS1_3gpuE9ELNS1_3repE0EEENS1_30default_config_static_selectorELNS0_4arch9wavefront6targetE0EEEvT1_,@function
_ZN7rocprim17ROCPRIM_400000_NS6detail17trampoline_kernelINS0_14default_configENS1_25partition_config_selectorILNS1_17partition_subalgoE5ElNS0_10empty_typeEbEEZZNS1_14partition_implILS5_5ELb0ES3_mN6hipcub16HIPCUB_304000_NS21CountingInputIteratorIllEEPS6_NSA_22TransformInputIteratorIbN2at6native12_GLOBAL__N_19NonZeroOpIaEEPKalEENS0_5tupleIJPlS6_EEENSN_IJSD_SD_EEES6_PiJS6_EEE10hipError_tPvRmT3_T4_T5_T6_T7_T9_mT8_P12ihipStream_tbDpT10_ENKUlT_T0_E_clISt17integral_constantIbLb0EES1A_IbLb1EEEEDaS16_S17_EUlS16_E_NS1_11comp_targetILNS1_3genE5ELNS1_11target_archE942ELNS1_3gpuE9ELNS1_3repE0EEENS1_30default_config_static_selectorELNS0_4arch9wavefront6targetE0EEEvT1_: ; @_ZN7rocprim17ROCPRIM_400000_NS6detail17trampoline_kernelINS0_14default_configENS1_25partition_config_selectorILNS1_17partition_subalgoE5ElNS0_10empty_typeEbEEZZNS1_14partition_implILS5_5ELb0ES3_mN6hipcub16HIPCUB_304000_NS21CountingInputIteratorIllEEPS6_NSA_22TransformInputIteratorIbN2at6native12_GLOBAL__N_19NonZeroOpIaEEPKalEENS0_5tupleIJPlS6_EEENSN_IJSD_SD_EEES6_PiJS6_EEE10hipError_tPvRmT3_T4_T5_T6_T7_T9_mT8_P12ihipStream_tbDpT10_ENKUlT_T0_E_clISt17integral_constantIbLb0EES1A_IbLb1EEEEDaS16_S17_EUlS16_E_NS1_11comp_targetILNS1_3genE5ELNS1_11target_archE942ELNS1_3gpuE9ELNS1_3repE0EEENS1_30default_config_static_selectorELNS0_4arch9wavefront6targetE0EEEvT1_
; %bb.0:
	.section	.rodata,"a",@progbits
	.p2align	6, 0x0
	.amdhsa_kernel _ZN7rocprim17ROCPRIM_400000_NS6detail17trampoline_kernelINS0_14default_configENS1_25partition_config_selectorILNS1_17partition_subalgoE5ElNS0_10empty_typeEbEEZZNS1_14partition_implILS5_5ELb0ES3_mN6hipcub16HIPCUB_304000_NS21CountingInputIteratorIllEEPS6_NSA_22TransformInputIteratorIbN2at6native12_GLOBAL__N_19NonZeroOpIaEEPKalEENS0_5tupleIJPlS6_EEENSN_IJSD_SD_EEES6_PiJS6_EEE10hipError_tPvRmT3_T4_T5_T6_T7_T9_mT8_P12ihipStream_tbDpT10_ENKUlT_T0_E_clISt17integral_constantIbLb0EES1A_IbLb1EEEEDaS16_S17_EUlS16_E_NS1_11comp_targetILNS1_3genE5ELNS1_11target_archE942ELNS1_3gpuE9ELNS1_3repE0EEENS1_30default_config_static_selectorELNS0_4arch9wavefront6targetE0EEEvT1_
		.amdhsa_group_segment_fixed_size 0
		.amdhsa_private_segment_fixed_size 0
		.amdhsa_kernarg_size 136
		.amdhsa_user_sgpr_count 15
		.amdhsa_user_sgpr_dispatch_ptr 0
		.amdhsa_user_sgpr_queue_ptr 0
		.amdhsa_user_sgpr_kernarg_segment_ptr 1
		.amdhsa_user_sgpr_dispatch_id 0
		.amdhsa_user_sgpr_private_segment_size 0
		.amdhsa_wavefront_size32 1
		.amdhsa_uses_dynamic_stack 0
		.amdhsa_enable_private_segment 0
		.amdhsa_system_sgpr_workgroup_id_x 1
		.amdhsa_system_sgpr_workgroup_id_y 0
		.amdhsa_system_sgpr_workgroup_id_z 0
		.amdhsa_system_sgpr_workgroup_info 0
		.amdhsa_system_vgpr_workitem_id 0
		.amdhsa_next_free_vgpr 1
		.amdhsa_next_free_sgpr 1
		.amdhsa_reserve_vcc 0
		.amdhsa_float_round_mode_32 0
		.amdhsa_float_round_mode_16_64 0
		.amdhsa_float_denorm_mode_32 3
		.amdhsa_float_denorm_mode_16_64 3
		.amdhsa_dx10_clamp 1
		.amdhsa_ieee_mode 1
		.amdhsa_fp16_overflow 0
		.amdhsa_workgroup_processor_mode 1
		.amdhsa_memory_ordered 1
		.amdhsa_forward_progress 0
		.amdhsa_shared_vgpr_count 0
		.amdhsa_exception_fp_ieee_invalid_op 0
		.amdhsa_exception_fp_denorm_src 0
		.amdhsa_exception_fp_ieee_div_zero 0
		.amdhsa_exception_fp_ieee_overflow 0
		.amdhsa_exception_fp_ieee_underflow 0
		.amdhsa_exception_fp_ieee_inexact 0
		.amdhsa_exception_int_div_zero 0
	.end_amdhsa_kernel
	.section	.text._ZN7rocprim17ROCPRIM_400000_NS6detail17trampoline_kernelINS0_14default_configENS1_25partition_config_selectorILNS1_17partition_subalgoE5ElNS0_10empty_typeEbEEZZNS1_14partition_implILS5_5ELb0ES3_mN6hipcub16HIPCUB_304000_NS21CountingInputIteratorIllEEPS6_NSA_22TransformInputIteratorIbN2at6native12_GLOBAL__N_19NonZeroOpIaEEPKalEENS0_5tupleIJPlS6_EEENSN_IJSD_SD_EEES6_PiJS6_EEE10hipError_tPvRmT3_T4_T5_T6_T7_T9_mT8_P12ihipStream_tbDpT10_ENKUlT_T0_E_clISt17integral_constantIbLb0EES1A_IbLb1EEEEDaS16_S17_EUlS16_E_NS1_11comp_targetILNS1_3genE5ELNS1_11target_archE942ELNS1_3gpuE9ELNS1_3repE0EEENS1_30default_config_static_selectorELNS0_4arch9wavefront6targetE0EEEvT1_,"axG",@progbits,_ZN7rocprim17ROCPRIM_400000_NS6detail17trampoline_kernelINS0_14default_configENS1_25partition_config_selectorILNS1_17partition_subalgoE5ElNS0_10empty_typeEbEEZZNS1_14partition_implILS5_5ELb0ES3_mN6hipcub16HIPCUB_304000_NS21CountingInputIteratorIllEEPS6_NSA_22TransformInputIteratorIbN2at6native12_GLOBAL__N_19NonZeroOpIaEEPKalEENS0_5tupleIJPlS6_EEENSN_IJSD_SD_EEES6_PiJS6_EEE10hipError_tPvRmT3_T4_T5_T6_T7_T9_mT8_P12ihipStream_tbDpT10_ENKUlT_T0_E_clISt17integral_constantIbLb0EES1A_IbLb1EEEEDaS16_S17_EUlS16_E_NS1_11comp_targetILNS1_3genE5ELNS1_11target_archE942ELNS1_3gpuE9ELNS1_3repE0EEENS1_30default_config_static_selectorELNS0_4arch9wavefront6targetE0EEEvT1_,comdat
.Lfunc_end143:
	.size	_ZN7rocprim17ROCPRIM_400000_NS6detail17trampoline_kernelINS0_14default_configENS1_25partition_config_selectorILNS1_17partition_subalgoE5ElNS0_10empty_typeEbEEZZNS1_14partition_implILS5_5ELb0ES3_mN6hipcub16HIPCUB_304000_NS21CountingInputIteratorIllEEPS6_NSA_22TransformInputIteratorIbN2at6native12_GLOBAL__N_19NonZeroOpIaEEPKalEENS0_5tupleIJPlS6_EEENSN_IJSD_SD_EEES6_PiJS6_EEE10hipError_tPvRmT3_T4_T5_T6_T7_T9_mT8_P12ihipStream_tbDpT10_ENKUlT_T0_E_clISt17integral_constantIbLb0EES1A_IbLb1EEEEDaS16_S17_EUlS16_E_NS1_11comp_targetILNS1_3genE5ELNS1_11target_archE942ELNS1_3gpuE9ELNS1_3repE0EEENS1_30default_config_static_selectorELNS0_4arch9wavefront6targetE0EEEvT1_, .Lfunc_end143-_ZN7rocprim17ROCPRIM_400000_NS6detail17trampoline_kernelINS0_14default_configENS1_25partition_config_selectorILNS1_17partition_subalgoE5ElNS0_10empty_typeEbEEZZNS1_14partition_implILS5_5ELb0ES3_mN6hipcub16HIPCUB_304000_NS21CountingInputIteratorIllEEPS6_NSA_22TransformInputIteratorIbN2at6native12_GLOBAL__N_19NonZeroOpIaEEPKalEENS0_5tupleIJPlS6_EEENSN_IJSD_SD_EEES6_PiJS6_EEE10hipError_tPvRmT3_T4_T5_T6_T7_T9_mT8_P12ihipStream_tbDpT10_ENKUlT_T0_E_clISt17integral_constantIbLb0EES1A_IbLb1EEEEDaS16_S17_EUlS16_E_NS1_11comp_targetILNS1_3genE5ELNS1_11target_archE942ELNS1_3gpuE9ELNS1_3repE0EEENS1_30default_config_static_selectorELNS0_4arch9wavefront6targetE0EEEvT1_
                                        ; -- End function
	.section	.AMDGPU.csdata,"",@progbits
; Kernel info:
; codeLenInByte = 0
; NumSgprs: 0
; NumVgprs: 0
; ScratchSize: 0
; MemoryBound: 0
; FloatMode: 240
; IeeeMode: 1
; LDSByteSize: 0 bytes/workgroup (compile time only)
; SGPRBlocks: 0
; VGPRBlocks: 0
; NumSGPRsForWavesPerEU: 1
; NumVGPRsForWavesPerEU: 1
; Occupancy: 16
; WaveLimiterHint : 0
; COMPUTE_PGM_RSRC2:SCRATCH_EN: 0
; COMPUTE_PGM_RSRC2:USER_SGPR: 15
; COMPUTE_PGM_RSRC2:TRAP_HANDLER: 0
; COMPUTE_PGM_RSRC2:TGID_X_EN: 1
; COMPUTE_PGM_RSRC2:TGID_Y_EN: 0
; COMPUTE_PGM_RSRC2:TGID_Z_EN: 0
; COMPUTE_PGM_RSRC2:TIDIG_COMP_CNT: 0
	.section	.text._ZN7rocprim17ROCPRIM_400000_NS6detail17trampoline_kernelINS0_14default_configENS1_25partition_config_selectorILNS1_17partition_subalgoE5ElNS0_10empty_typeEbEEZZNS1_14partition_implILS5_5ELb0ES3_mN6hipcub16HIPCUB_304000_NS21CountingInputIteratorIllEEPS6_NSA_22TransformInputIteratorIbN2at6native12_GLOBAL__N_19NonZeroOpIaEEPKalEENS0_5tupleIJPlS6_EEENSN_IJSD_SD_EEES6_PiJS6_EEE10hipError_tPvRmT3_T4_T5_T6_T7_T9_mT8_P12ihipStream_tbDpT10_ENKUlT_T0_E_clISt17integral_constantIbLb0EES1A_IbLb1EEEEDaS16_S17_EUlS16_E_NS1_11comp_targetILNS1_3genE4ELNS1_11target_archE910ELNS1_3gpuE8ELNS1_3repE0EEENS1_30default_config_static_selectorELNS0_4arch9wavefront6targetE0EEEvT1_,"axG",@progbits,_ZN7rocprim17ROCPRIM_400000_NS6detail17trampoline_kernelINS0_14default_configENS1_25partition_config_selectorILNS1_17partition_subalgoE5ElNS0_10empty_typeEbEEZZNS1_14partition_implILS5_5ELb0ES3_mN6hipcub16HIPCUB_304000_NS21CountingInputIteratorIllEEPS6_NSA_22TransformInputIteratorIbN2at6native12_GLOBAL__N_19NonZeroOpIaEEPKalEENS0_5tupleIJPlS6_EEENSN_IJSD_SD_EEES6_PiJS6_EEE10hipError_tPvRmT3_T4_T5_T6_T7_T9_mT8_P12ihipStream_tbDpT10_ENKUlT_T0_E_clISt17integral_constantIbLb0EES1A_IbLb1EEEEDaS16_S17_EUlS16_E_NS1_11comp_targetILNS1_3genE4ELNS1_11target_archE910ELNS1_3gpuE8ELNS1_3repE0EEENS1_30default_config_static_selectorELNS0_4arch9wavefront6targetE0EEEvT1_,comdat
	.globl	_ZN7rocprim17ROCPRIM_400000_NS6detail17trampoline_kernelINS0_14default_configENS1_25partition_config_selectorILNS1_17partition_subalgoE5ElNS0_10empty_typeEbEEZZNS1_14partition_implILS5_5ELb0ES3_mN6hipcub16HIPCUB_304000_NS21CountingInputIteratorIllEEPS6_NSA_22TransformInputIteratorIbN2at6native12_GLOBAL__N_19NonZeroOpIaEEPKalEENS0_5tupleIJPlS6_EEENSN_IJSD_SD_EEES6_PiJS6_EEE10hipError_tPvRmT3_T4_T5_T6_T7_T9_mT8_P12ihipStream_tbDpT10_ENKUlT_T0_E_clISt17integral_constantIbLb0EES1A_IbLb1EEEEDaS16_S17_EUlS16_E_NS1_11comp_targetILNS1_3genE4ELNS1_11target_archE910ELNS1_3gpuE8ELNS1_3repE0EEENS1_30default_config_static_selectorELNS0_4arch9wavefront6targetE0EEEvT1_ ; -- Begin function _ZN7rocprim17ROCPRIM_400000_NS6detail17trampoline_kernelINS0_14default_configENS1_25partition_config_selectorILNS1_17partition_subalgoE5ElNS0_10empty_typeEbEEZZNS1_14partition_implILS5_5ELb0ES3_mN6hipcub16HIPCUB_304000_NS21CountingInputIteratorIllEEPS6_NSA_22TransformInputIteratorIbN2at6native12_GLOBAL__N_19NonZeroOpIaEEPKalEENS0_5tupleIJPlS6_EEENSN_IJSD_SD_EEES6_PiJS6_EEE10hipError_tPvRmT3_T4_T5_T6_T7_T9_mT8_P12ihipStream_tbDpT10_ENKUlT_T0_E_clISt17integral_constantIbLb0EES1A_IbLb1EEEEDaS16_S17_EUlS16_E_NS1_11comp_targetILNS1_3genE4ELNS1_11target_archE910ELNS1_3gpuE8ELNS1_3repE0EEENS1_30default_config_static_selectorELNS0_4arch9wavefront6targetE0EEEvT1_
	.p2align	8
	.type	_ZN7rocprim17ROCPRIM_400000_NS6detail17trampoline_kernelINS0_14default_configENS1_25partition_config_selectorILNS1_17partition_subalgoE5ElNS0_10empty_typeEbEEZZNS1_14partition_implILS5_5ELb0ES3_mN6hipcub16HIPCUB_304000_NS21CountingInputIteratorIllEEPS6_NSA_22TransformInputIteratorIbN2at6native12_GLOBAL__N_19NonZeroOpIaEEPKalEENS0_5tupleIJPlS6_EEENSN_IJSD_SD_EEES6_PiJS6_EEE10hipError_tPvRmT3_T4_T5_T6_T7_T9_mT8_P12ihipStream_tbDpT10_ENKUlT_T0_E_clISt17integral_constantIbLb0EES1A_IbLb1EEEEDaS16_S17_EUlS16_E_NS1_11comp_targetILNS1_3genE4ELNS1_11target_archE910ELNS1_3gpuE8ELNS1_3repE0EEENS1_30default_config_static_selectorELNS0_4arch9wavefront6targetE0EEEvT1_,@function
_ZN7rocprim17ROCPRIM_400000_NS6detail17trampoline_kernelINS0_14default_configENS1_25partition_config_selectorILNS1_17partition_subalgoE5ElNS0_10empty_typeEbEEZZNS1_14partition_implILS5_5ELb0ES3_mN6hipcub16HIPCUB_304000_NS21CountingInputIteratorIllEEPS6_NSA_22TransformInputIteratorIbN2at6native12_GLOBAL__N_19NonZeroOpIaEEPKalEENS0_5tupleIJPlS6_EEENSN_IJSD_SD_EEES6_PiJS6_EEE10hipError_tPvRmT3_T4_T5_T6_T7_T9_mT8_P12ihipStream_tbDpT10_ENKUlT_T0_E_clISt17integral_constantIbLb0EES1A_IbLb1EEEEDaS16_S17_EUlS16_E_NS1_11comp_targetILNS1_3genE4ELNS1_11target_archE910ELNS1_3gpuE8ELNS1_3repE0EEENS1_30default_config_static_selectorELNS0_4arch9wavefront6targetE0EEEvT1_: ; @_ZN7rocprim17ROCPRIM_400000_NS6detail17trampoline_kernelINS0_14default_configENS1_25partition_config_selectorILNS1_17partition_subalgoE5ElNS0_10empty_typeEbEEZZNS1_14partition_implILS5_5ELb0ES3_mN6hipcub16HIPCUB_304000_NS21CountingInputIteratorIllEEPS6_NSA_22TransformInputIteratorIbN2at6native12_GLOBAL__N_19NonZeroOpIaEEPKalEENS0_5tupleIJPlS6_EEENSN_IJSD_SD_EEES6_PiJS6_EEE10hipError_tPvRmT3_T4_T5_T6_T7_T9_mT8_P12ihipStream_tbDpT10_ENKUlT_T0_E_clISt17integral_constantIbLb0EES1A_IbLb1EEEEDaS16_S17_EUlS16_E_NS1_11comp_targetILNS1_3genE4ELNS1_11target_archE910ELNS1_3gpuE8ELNS1_3repE0EEENS1_30default_config_static_selectorELNS0_4arch9wavefront6targetE0EEEvT1_
; %bb.0:
	.section	.rodata,"a",@progbits
	.p2align	6, 0x0
	.amdhsa_kernel _ZN7rocprim17ROCPRIM_400000_NS6detail17trampoline_kernelINS0_14default_configENS1_25partition_config_selectorILNS1_17partition_subalgoE5ElNS0_10empty_typeEbEEZZNS1_14partition_implILS5_5ELb0ES3_mN6hipcub16HIPCUB_304000_NS21CountingInputIteratorIllEEPS6_NSA_22TransformInputIteratorIbN2at6native12_GLOBAL__N_19NonZeroOpIaEEPKalEENS0_5tupleIJPlS6_EEENSN_IJSD_SD_EEES6_PiJS6_EEE10hipError_tPvRmT3_T4_T5_T6_T7_T9_mT8_P12ihipStream_tbDpT10_ENKUlT_T0_E_clISt17integral_constantIbLb0EES1A_IbLb1EEEEDaS16_S17_EUlS16_E_NS1_11comp_targetILNS1_3genE4ELNS1_11target_archE910ELNS1_3gpuE8ELNS1_3repE0EEENS1_30default_config_static_selectorELNS0_4arch9wavefront6targetE0EEEvT1_
		.amdhsa_group_segment_fixed_size 0
		.amdhsa_private_segment_fixed_size 0
		.amdhsa_kernarg_size 136
		.amdhsa_user_sgpr_count 15
		.amdhsa_user_sgpr_dispatch_ptr 0
		.amdhsa_user_sgpr_queue_ptr 0
		.amdhsa_user_sgpr_kernarg_segment_ptr 1
		.amdhsa_user_sgpr_dispatch_id 0
		.amdhsa_user_sgpr_private_segment_size 0
		.amdhsa_wavefront_size32 1
		.amdhsa_uses_dynamic_stack 0
		.amdhsa_enable_private_segment 0
		.amdhsa_system_sgpr_workgroup_id_x 1
		.amdhsa_system_sgpr_workgroup_id_y 0
		.amdhsa_system_sgpr_workgroup_id_z 0
		.amdhsa_system_sgpr_workgroup_info 0
		.amdhsa_system_vgpr_workitem_id 0
		.amdhsa_next_free_vgpr 1
		.amdhsa_next_free_sgpr 1
		.amdhsa_reserve_vcc 0
		.amdhsa_float_round_mode_32 0
		.amdhsa_float_round_mode_16_64 0
		.amdhsa_float_denorm_mode_32 3
		.amdhsa_float_denorm_mode_16_64 3
		.amdhsa_dx10_clamp 1
		.amdhsa_ieee_mode 1
		.amdhsa_fp16_overflow 0
		.amdhsa_workgroup_processor_mode 1
		.amdhsa_memory_ordered 1
		.amdhsa_forward_progress 0
		.amdhsa_shared_vgpr_count 0
		.amdhsa_exception_fp_ieee_invalid_op 0
		.amdhsa_exception_fp_denorm_src 0
		.amdhsa_exception_fp_ieee_div_zero 0
		.amdhsa_exception_fp_ieee_overflow 0
		.amdhsa_exception_fp_ieee_underflow 0
		.amdhsa_exception_fp_ieee_inexact 0
		.amdhsa_exception_int_div_zero 0
	.end_amdhsa_kernel
	.section	.text._ZN7rocprim17ROCPRIM_400000_NS6detail17trampoline_kernelINS0_14default_configENS1_25partition_config_selectorILNS1_17partition_subalgoE5ElNS0_10empty_typeEbEEZZNS1_14partition_implILS5_5ELb0ES3_mN6hipcub16HIPCUB_304000_NS21CountingInputIteratorIllEEPS6_NSA_22TransformInputIteratorIbN2at6native12_GLOBAL__N_19NonZeroOpIaEEPKalEENS0_5tupleIJPlS6_EEENSN_IJSD_SD_EEES6_PiJS6_EEE10hipError_tPvRmT3_T4_T5_T6_T7_T9_mT8_P12ihipStream_tbDpT10_ENKUlT_T0_E_clISt17integral_constantIbLb0EES1A_IbLb1EEEEDaS16_S17_EUlS16_E_NS1_11comp_targetILNS1_3genE4ELNS1_11target_archE910ELNS1_3gpuE8ELNS1_3repE0EEENS1_30default_config_static_selectorELNS0_4arch9wavefront6targetE0EEEvT1_,"axG",@progbits,_ZN7rocprim17ROCPRIM_400000_NS6detail17trampoline_kernelINS0_14default_configENS1_25partition_config_selectorILNS1_17partition_subalgoE5ElNS0_10empty_typeEbEEZZNS1_14partition_implILS5_5ELb0ES3_mN6hipcub16HIPCUB_304000_NS21CountingInputIteratorIllEEPS6_NSA_22TransformInputIteratorIbN2at6native12_GLOBAL__N_19NonZeroOpIaEEPKalEENS0_5tupleIJPlS6_EEENSN_IJSD_SD_EEES6_PiJS6_EEE10hipError_tPvRmT3_T4_T5_T6_T7_T9_mT8_P12ihipStream_tbDpT10_ENKUlT_T0_E_clISt17integral_constantIbLb0EES1A_IbLb1EEEEDaS16_S17_EUlS16_E_NS1_11comp_targetILNS1_3genE4ELNS1_11target_archE910ELNS1_3gpuE8ELNS1_3repE0EEENS1_30default_config_static_selectorELNS0_4arch9wavefront6targetE0EEEvT1_,comdat
.Lfunc_end144:
	.size	_ZN7rocprim17ROCPRIM_400000_NS6detail17trampoline_kernelINS0_14default_configENS1_25partition_config_selectorILNS1_17partition_subalgoE5ElNS0_10empty_typeEbEEZZNS1_14partition_implILS5_5ELb0ES3_mN6hipcub16HIPCUB_304000_NS21CountingInputIteratorIllEEPS6_NSA_22TransformInputIteratorIbN2at6native12_GLOBAL__N_19NonZeroOpIaEEPKalEENS0_5tupleIJPlS6_EEENSN_IJSD_SD_EEES6_PiJS6_EEE10hipError_tPvRmT3_T4_T5_T6_T7_T9_mT8_P12ihipStream_tbDpT10_ENKUlT_T0_E_clISt17integral_constantIbLb0EES1A_IbLb1EEEEDaS16_S17_EUlS16_E_NS1_11comp_targetILNS1_3genE4ELNS1_11target_archE910ELNS1_3gpuE8ELNS1_3repE0EEENS1_30default_config_static_selectorELNS0_4arch9wavefront6targetE0EEEvT1_, .Lfunc_end144-_ZN7rocprim17ROCPRIM_400000_NS6detail17trampoline_kernelINS0_14default_configENS1_25partition_config_selectorILNS1_17partition_subalgoE5ElNS0_10empty_typeEbEEZZNS1_14partition_implILS5_5ELb0ES3_mN6hipcub16HIPCUB_304000_NS21CountingInputIteratorIllEEPS6_NSA_22TransformInputIteratorIbN2at6native12_GLOBAL__N_19NonZeroOpIaEEPKalEENS0_5tupleIJPlS6_EEENSN_IJSD_SD_EEES6_PiJS6_EEE10hipError_tPvRmT3_T4_T5_T6_T7_T9_mT8_P12ihipStream_tbDpT10_ENKUlT_T0_E_clISt17integral_constantIbLb0EES1A_IbLb1EEEEDaS16_S17_EUlS16_E_NS1_11comp_targetILNS1_3genE4ELNS1_11target_archE910ELNS1_3gpuE8ELNS1_3repE0EEENS1_30default_config_static_selectorELNS0_4arch9wavefront6targetE0EEEvT1_
                                        ; -- End function
	.section	.AMDGPU.csdata,"",@progbits
; Kernel info:
; codeLenInByte = 0
; NumSgprs: 0
; NumVgprs: 0
; ScratchSize: 0
; MemoryBound: 0
; FloatMode: 240
; IeeeMode: 1
; LDSByteSize: 0 bytes/workgroup (compile time only)
; SGPRBlocks: 0
; VGPRBlocks: 0
; NumSGPRsForWavesPerEU: 1
; NumVGPRsForWavesPerEU: 1
; Occupancy: 15
; WaveLimiterHint : 0
; COMPUTE_PGM_RSRC2:SCRATCH_EN: 0
; COMPUTE_PGM_RSRC2:USER_SGPR: 15
; COMPUTE_PGM_RSRC2:TRAP_HANDLER: 0
; COMPUTE_PGM_RSRC2:TGID_X_EN: 1
; COMPUTE_PGM_RSRC2:TGID_Y_EN: 0
; COMPUTE_PGM_RSRC2:TGID_Z_EN: 0
; COMPUTE_PGM_RSRC2:TIDIG_COMP_CNT: 0
	.section	.text._ZN7rocprim17ROCPRIM_400000_NS6detail17trampoline_kernelINS0_14default_configENS1_25partition_config_selectorILNS1_17partition_subalgoE5ElNS0_10empty_typeEbEEZZNS1_14partition_implILS5_5ELb0ES3_mN6hipcub16HIPCUB_304000_NS21CountingInputIteratorIllEEPS6_NSA_22TransformInputIteratorIbN2at6native12_GLOBAL__N_19NonZeroOpIaEEPKalEENS0_5tupleIJPlS6_EEENSN_IJSD_SD_EEES6_PiJS6_EEE10hipError_tPvRmT3_T4_T5_T6_T7_T9_mT8_P12ihipStream_tbDpT10_ENKUlT_T0_E_clISt17integral_constantIbLb0EES1A_IbLb1EEEEDaS16_S17_EUlS16_E_NS1_11comp_targetILNS1_3genE3ELNS1_11target_archE908ELNS1_3gpuE7ELNS1_3repE0EEENS1_30default_config_static_selectorELNS0_4arch9wavefront6targetE0EEEvT1_,"axG",@progbits,_ZN7rocprim17ROCPRIM_400000_NS6detail17trampoline_kernelINS0_14default_configENS1_25partition_config_selectorILNS1_17partition_subalgoE5ElNS0_10empty_typeEbEEZZNS1_14partition_implILS5_5ELb0ES3_mN6hipcub16HIPCUB_304000_NS21CountingInputIteratorIllEEPS6_NSA_22TransformInputIteratorIbN2at6native12_GLOBAL__N_19NonZeroOpIaEEPKalEENS0_5tupleIJPlS6_EEENSN_IJSD_SD_EEES6_PiJS6_EEE10hipError_tPvRmT3_T4_T5_T6_T7_T9_mT8_P12ihipStream_tbDpT10_ENKUlT_T0_E_clISt17integral_constantIbLb0EES1A_IbLb1EEEEDaS16_S17_EUlS16_E_NS1_11comp_targetILNS1_3genE3ELNS1_11target_archE908ELNS1_3gpuE7ELNS1_3repE0EEENS1_30default_config_static_selectorELNS0_4arch9wavefront6targetE0EEEvT1_,comdat
	.globl	_ZN7rocprim17ROCPRIM_400000_NS6detail17trampoline_kernelINS0_14default_configENS1_25partition_config_selectorILNS1_17partition_subalgoE5ElNS0_10empty_typeEbEEZZNS1_14partition_implILS5_5ELb0ES3_mN6hipcub16HIPCUB_304000_NS21CountingInputIteratorIllEEPS6_NSA_22TransformInputIteratorIbN2at6native12_GLOBAL__N_19NonZeroOpIaEEPKalEENS0_5tupleIJPlS6_EEENSN_IJSD_SD_EEES6_PiJS6_EEE10hipError_tPvRmT3_T4_T5_T6_T7_T9_mT8_P12ihipStream_tbDpT10_ENKUlT_T0_E_clISt17integral_constantIbLb0EES1A_IbLb1EEEEDaS16_S17_EUlS16_E_NS1_11comp_targetILNS1_3genE3ELNS1_11target_archE908ELNS1_3gpuE7ELNS1_3repE0EEENS1_30default_config_static_selectorELNS0_4arch9wavefront6targetE0EEEvT1_ ; -- Begin function _ZN7rocprim17ROCPRIM_400000_NS6detail17trampoline_kernelINS0_14default_configENS1_25partition_config_selectorILNS1_17partition_subalgoE5ElNS0_10empty_typeEbEEZZNS1_14partition_implILS5_5ELb0ES3_mN6hipcub16HIPCUB_304000_NS21CountingInputIteratorIllEEPS6_NSA_22TransformInputIteratorIbN2at6native12_GLOBAL__N_19NonZeroOpIaEEPKalEENS0_5tupleIJPlS6_EEENSN_IJSD_SD_EEES6_PiJS6_EEE10hipError_tPvRmT3_T4_T5_T6_T7_T9_mT8_P12ihipStream_tbDpT10_ENKUlT_T0_E_clISt17integral_constantIbLb0EES1A_IbLb1EEEEDaS16_S17_EUlS16_E_NS1_11comp_targetILNS1_3genE3ELNS1_11target_archE908ELNS1_3gpuE7ELNS1_3repE0EEENS1_30default_config_static_selectorELNS0_4arch9wavefront6targetE0EEEvT1_
	.p2align	8
	.type	_ZN7rocprim17ROCPRIM_400000_NS6detail17trampoline_kernelINS0_14default_configENS1_25partition_config_selectorILNS1_17partition_subalgoE5ElNS0_10empty_typeEbEEZZNS1_14partition_implILS5_5ELb0ES3_mN6hipcub16HIPCUB_304000_NS21CountingInputIteratorIllEEPS6_NSA_22TransformInputIteratorIbN2at6native12_GLOBAL__N_19NonZeroOpIaEEPKalEENS0_5tupleIJPlS6_EEENSN_IJSD_SD_EEES6_PiJS6_EEE10hipError_tPvRmT3_T4_T5_T6_T7_T9_mT8_P12ihipStream_tbDpT10_ENKUlT_T0_E_clISt17integral_constantIbLb0EES1A_IbLb1EEEEDaS16_S17_EUlS16_E_NS1_11comp_targetILNS1_3genE3ELNS1_11target_archE908ELNS1_3gpuE7ELNS1_3repE0EEENS1_30default_config_static_selectorELNS0_4arch9wavefront6targetE0EEEvT1_,@function
_ZN7rocprim17ROCPRIM_400000_NS6detail17trampoline_kernelINS0_14default_configENS1_25partition_config_selectorILNS1_17partition_subalgoE5ElNS0_10empty_typeEbEEZZNS1_14partition_implILS5_5ELb0ES3_mN6hipcub16HIPCUB_304000_NS21CountingInputIteratorIllEEPS6_NSA_22TransformInputIteratorIbN2at6native12_GLOBAL__N_19NonZeroOpIaEEPKalEENS0_5tupleIJPlS6_EEENSN_IJSD_SD_EEES6_PiJS6_EEE10hipError_tPvRmT3_T4_T5_T6_T7_T9_mT8_P12ihipStream_tbDpT10_ENKUlT_T0_E_clISt17integral_constantIbLb0EES1A_IbLb1EEEEDaS16_S17_EUlS16_E_NS1_11comp_targetILNS1_3genE3ELNS1_11target_archE908ELNS1_3gpuE7ELNS1_3repE0EEENS1_30default_config_static_selectorELNS0_4arch9wavefront6targetE0EEEvT1_: ; @_ZN7rocprim17ROCPRIM_400000_NS6detail17trampoline_kernelINS0_14default_configENS1_25partition_config_selectorILNS1_17partition_subalgoE5ElNS0_10empty_typeEbEEZZNS1_14partition_implILS5_5ELb0ES3_mN6hipcub16HIPCUB_304000_NS21CountingInputIteratorIllEEPS6_NSA_22TransformInputIteratorIbN2at6native12_GLOBAL__N_19NonZeroOpIaEEPKalEENS0_5tupleIJPlS6_EEENSN_IJSD_SD_EEES6_PiJS6_EEE10hipError_tPvRmT3_T4_T5_T6_T7_T9_mT8_P12ihipStream_tbDpT10_ENKUlT_T0_E_clISt17integral_constantIbLb0EES1A_IbLb1EEEEDaS16_S17_EUlS16_E_NS1_11comp_targetILNS1_3genE3ELNS1_11target_archE908ELNS1_3gpuE7ELNS1_3repE0EEENS1_30default_config_static_selectorELNS0_4arch9wavefront6targetE0EEEvT1_
; %bb.0:
	.section	.rodata,"a",@progbits
	.p2align	6, 0x0
	.amdhsa_kernel _ZN7rocprim17ROCPRIM_400000_NS6detail17trampoline_kernelINS0_14default_configENS1_25partition_config_selectorILNS1_17partition_subalgoE5ElNS0_10empty_typeEbEEZZNS1_14partition_implILS5_5ELb0ES3_mN6hipcub16HIPCUB_304000_NS21CountingInputIteratorIllEEPS6_NSA_22TransformInputIteratorIbN2at6native12_GLOBAL__N_19NonZeroOpIaEEPKalEENS0_5tupleIJPlS6_EEENSN_IJSD_SD_EEES6_PiJS6_EEE10hipError_tPvRmT3_T4_T5_T6_T7_T9_mT8_P12ihipStream_tbDpT10_ENKUlT_T0_E_clISt17integral_constantIbLb0EES1A_IbLb1EEEEDaS16_S17_EUlS16_E_NS1_11comp_targetILNS1_3genE3ELNS1_11target_archE908ELNS1_3gpuE7ELNS1_3repE0EEENS1_30default_config_static_selectorELNS0_4arch9wavefront6targetE0EEEvT1_
		.amdhsa_group_segment_fixed_size 0
		.amdhsa_private_segment_fixed_size 0
		.amdhsa_kernarg_size 136
		.amdhsa_user_sgpr_count 15
		.amdhsa_user_sgpr_dispatch_ptr 0
		.amdhsa_user_sgpr_queue_ptr 0
		.amdhsa_user_sgpr_kernarg_segment_ptr 1
		.amdhsa_user_sgpr_dispatch_id 0
		.amdhsa_user_sgpr_private_segment_size 0
		.amdhsa_wavefront_size32 1
		.amdhsa_uses_dynamic_stack 0
		.amdhsa_enable_private_segment 0
		.amdhsa_system_sgpr_workgroup_id_x 1
		.amdhsa_system_sgpr_workgroup_id_y 0
		.amdhsa_system_sgpr_workgroup_id_z 0
		.amdhsa_system_sgpr_workgroup_info 0
		.amdhsa_system_vgpr_workitem_id 0
		.amdhsa_next_free_vgpr 1
		.amdhsa_next_free_sgpr 1
		.amdhsa_reserve_vcc 0
		.amdhsa_float_round_mode_32 0
		.amdhsa_float_round_mode_16_64 0
		.amdhsa_float_denorm_mode_32 3
		.amdhsa_float_denorm_mode_16_64 3
		.amdhsa_dx10_clamp 1
		.amdhsa_ieee_mode 1
		.amdhsa_fp16_overflow 0
		.amdhsa_workgroup_processor_mode 1
		.amdhsa_memory_ordered 1
		.amdhsa_forward_progress 0
		.amdhsa_shared_vgpr_count 0
		.amdhsa_exception_fp_ieee_invalid_op 0
		.amdhsa_exception_fp_denorm_src 0
		.amdhsa_exception_fp_ieee_div_zero 0
		.amdhsa_exception_fp_ieee_overflow 0
		.amdhsa_exception_fp_ieee_underflow 0
		.amdhsa_exception_fp_ieee_inexact 0
		.amdhsa_exception_int_div_zero 0
	.end_amdhsa_kernel
	.section	.text._ZN7rocprim17ROCPRIM_400000_NS6detail17trampoline_kernelINS0_14default_configENS1_25partition_config_selectorILNS1_17partition_subalgoE5ElNS0_10empty_typeEbEEZZNS1_14partition_implILS5_5ELb0ES3_mN6hipcub16HIPCUB_304000_NS21CountingInputIteratorIllEEPS6_NSA_22TransformInputIteratorIbN2at6native12_GLOBAL__N_19NonZeroOpIaEEPKalEENS0_5tupleIJPlS6_EEENSN_IJSD_SD_EEES6_PiJS6_EEE10hipError_tPvRmT3_T4_T5_T6_T7_T9_mT8_P12ihipStream_tbDpT10_ENKUlT_T0_E_clISt17integral_constantIbLb0EES1A_IbLb1EEEEDaS16_S17_EUlS16_E_NS1_11comp_targetILNS1_3genE3ELNS1_11target_archE908ELNS1_3gpuE7ELNS1_3repE0EEENS1_30default_config_static_selectorELNS0_4arch9wavefront6targetE0EEEvT1_,"axG",@progbits,_ZN7rocprim17ROCPRIM_400000_NS6detail17trampoline_kernelINS0_14default_configENS1_25partition_config_selectorILNS1_17partition_subalgoE5ElNS0_10empty_typeEbEEZZNS1_14partition_implILS5_5ELb0ES3_mN6hipcub16HIPCUB_304000_NS21CountingInputIteratorIllEEPS6_NSA_22TransformInputIteratorIbN2at6native12_GLOBAL__N_19NonZeroOpIaEEPKalEENS0_5tupleIJPlS6_EEENSN_IJSD_SD_EEES6_PiJS6_EEE10hipError_tPvRmT3_T4_T5_T6_T7_T9_mT8_P12ihipStream_tbDpT10_ENKUlT_T0_E_clISt17integral_constantIbLb0EES1A_IbLb1EEEEDaS16_S17_EUlS16_E_NS1_11comp_targetILNS1_3genE3ELNS1_11target_archE908ELNS1_3gpuE7ELNS1_3repE0EEENS1_30default_config_static_selectorELNS0_4arch9wavefront6targetE0EEEvT1_,comdat
.Lfunc_end145:
	.size	_ZN7rocprim17ROCPRIM_400000_NS6detail17trampoline_kernelINS0_14default_configENS1_25partition_config_selectorILNS1_17partition_subalgoE5ElNS0_10empty_typeEbEEZZNS1_14partition_implILS5_5ELb0ES3_mN6hipcub16HIPCUB_304000_NS21CountingInputIteratorIllEEPS6_NSA_22TransformInputIteratorIbN2at6native12_GLOBAL__N_19NonZeroOpIaEEPKalEENS0_5tupleIJPlS6_EEENSN_IJSD_SD_EEES6_PiJS6_EEE10hipError_tPvRmT3_T4_T5_T6_T7_T9_mT8_P12ihipStream_tbDpT10_ENKUlT_T0_E_clISt17integral_constantIbLb0EES1A_IbLb1EEEEDaS16_S17_EUlS16_E_NS1_11comp_targetILNS1_3genE3ELNS1_11target_archE908ELNS1_3gpuE7ELNS1_3repE0EEENS1_30default_config_static_selectorELNS0_4arch9wavefront6targetE0EEEvT1_, .Lfunc_end145-_ZN7rocprim17ROCPRIM_400000_NS6detail17trampoline_kernelINS0_14default_configENS1_25partition_config_selectorILNS1_17partition_subalgoE5ElNS0_10empty_typeEbEEZZNS1_14partition_implILS5_5ELb0ES3_mN6hipcub16HIPCUB_304000_NS21CountingInputIteratorIllEEPS6_NSA_22TransformInputIteratorIbN2at6native12_GLOBAL__N_19NonZeroOpIaEEPKalEENS0_5tupleIJPlS6_EEENSN_IJSD_SD_EEES6_PiJS6_EEE10hipError_tPvRmT3_T4_T5_T6_T7_T9_mT8_P12ihipStream_tbDpT10_ENKUlT_T0_E_clISt17integral_constantIbLb0EES1A_IbLb1EEEEDaS16_S17_EUlS16_E_NS1_11comp_targetILNS1_3genE3ELNS1_11target_archE908ELNS1_3gpuE7ELNS1_3repE0EEENS1_30default_config_static_selectorELNS0_4arch9wavefront6targetE0EEEvT1_
                                        ; -- End function
	.section	.AMDGPU.csdata,"",@progbits
; Kernel info:
; codeLenInByte = 0
; NumSgprs: 0
; NumVgprs: 0
; ScratchSize: 0
; MemoryBound: 0
; FloatMode: 240
; IeeeMode: 1
; LDSByteSize: 0 bytes/workgroup (compile time only)
; SGPRBlocks: 0
; VGPRBlocks: 0
; NumSGPRsForWavesPerEU: 1
; NumVGPRsForWavesPerEU: 1
; Occupancy: 16
; WaveLimiterHint : 0
; COMPUTE_PGM_RSRC2:SCRATCH_EN: 0
; COMPUTE_PGM_RSRC2:USER_SGPR: 15
; COMPUTE_PGM_RSRC2:TRAP_HANDLER: 0
; COMPUTE_PGM_RSRC2:TGID_X_EN: 1
; COMPUTE_PGM_RSRC2:TGID_Y_EN: 0
; COMPUTE_PGM_RSRC2:TGID_Z_EN: 0
; COMPUTE_PGM_RSRC2:TIDIG_COMP_CNT: 0
	.section	.text._ZN7rocprim17ROCPRIM_400000_NS6detail17trampoline_kernelINS0_14default_configENS1_25partition_config_selectorILNS1_17partition_subalgoE5ElNS0_10empty_typeEbEEZZNS1_14partition_implILS5_5ELb0ES3_mN6hipcub16HIPCUB_304000_NS21CountingInputIteratorIllEEPS6_NSA_22TransformInputIteratorIbN2at6native12_GLOBAL__N_19NonZeroOpIaEEPKalEENS0_5tupleIJPlS6_EEENSN_IJSD_SD_EEES6_PiJS6_EEE10hipError_tPvRmT3_T4_T5_T6_T7_T9_mT8_P12ihipStream_tbDpT10_ENKUlT_T0_E_clISt17integral_constantIbLb0EES1A_IbLb1EEEEDaS16_S17_EUlS16_E_NS1_11comp_targetILNS1_3genE2ELNS1_11target_archE906ELNS1_3gpuE6ELNS1_3repE0EEENS1_30default_config_static_selectorELNS0_4arch9wavefront6targetE0EEEvT1_,"axG",@progbits,_ZN7rocprim17ROCPRIM_400000_NS6detail17trampoline_kernelINS0_14default_configENS1_25partition_config_selectorILNS1_17partition_subalgoE5ElNS0_10empty_typeEbEEZZNS1_14partition_implILS5_5ELb0ES3_mN6hipcub16HIPCUB_304000_NS21CountingInputIteratorIllEEPS6_NSA_22TransformInputIteratorIbN2at6native12_GLOBAL__N_19NonZeroOpIaEEPKalEENS0_5tupleIJPlS6_EEENSN_IJSD_SD_EEES6_PiJS6_EEE10hipError_tPvRmT3_T4_T5_T6_T7_T9_mT8_P12ihipStream_tbDpT10_ENKUlT_T0_E_clISt17integral_constantIbLb0EES1A_IbLb1EEEEDaS16_S17_EUlS16_E_NS1_11comp_targetILNS1_3genE2ELNS1_11target_archE906ELNS1_3gpuE6ELNS1_3repE0EEENS1_30default_config_static_selectorELNS0_4arch9wavefront6targetE0EEEvT1_,comdat
	.globl	_ZN7rocprim17ROCPRIM_400000_NS6detail17trampoline_kernelINS0_14default_configENS1_25partition_config_selectorILNS1_17partition_subalgoE5ElNS0_10empty_typeEbEEZZNS1_14partition_implILS5_5ELb0ES3_mN6hipcub16HIPCUB_304000_NS21CountingInputIteratorIllEEPS6_NSA_22TransformInputIteratorIbN2at6native12_GLOBAL__N_19NonZeroOpIaEEPKalEENS0_5tupleIJPlS6_EEENSN_IJSD_SD_EEES6_PiJS6_EEE10hipError_tPvRmT3_T4_T5_T6_T7_T9_mT8_P12ihipStream_tbDpT10_ENKUlT_T0_E_clISt17integral_constantIbLb0EES1A_IbLb1EEEEDaS16_S17_EUlS16_E_NS1_11comp_targetILNS1_3genE2ELNS1_11target_archE906ELNS1_3gpuE6ELNS1_3repE0EEENS1_30default_config_static_selectorELNS0_4arch9wavefront6targetE0EEEvT1_ ; -- Begin function _ZN7rocprim17ROCPRIM_400000_NS6detail17trampoline_kernelINS0_14default_configENS1_25partition_config_selectorILNS1_17partition_subalgoE5ElNS0_10empty_typeEbEEZZNS1_14partition_implILS5_5ELb0ES3_mN6hipcub16HIPCUB_304000_NS21CountingInputIteratorIllEEPS6_NSA_22TransformInputIteratorIbN2at6native12_GLOBAL__N_19NonZeroOpIaEEPKalEENS0_5tupleIJPlS6_EEENSN_IJSD_SD_EEES6_PiJS6_EEE10hipError_tPvRmT3_T4_T5_T6_T7_T9_mT8_P12ihipStream_tbDpT10_ENKUlT_T0_E_clISt17integral_constantIbLb0EES1A_IbLb1EEEEDaS16_S17_EUlS16_E_NS1_11comp_targetILNS1_3genE2ELNS1_11target_archE906ELNS1_3gpuE6ELNS1_3repE0EEENS1_30default_config_static_selectorELNS0_4arch9wavefront6targetE0EEEvT1_
	.p2align	8
	.type	_ZN7rocprim17ROCPRIM_400000_NS6detail17trampoline_kernelINS0_14default_configENS1_25partition_config_selectorILNS1_17partition_subalgoE5ElNS0_10empty_typeEbEEZZNS1_14partition_implILS5_5ELb0ES3_mN6hipcub16HIPCUB_304000_NS21CountingInputIteratorIllEEPS6_NSA_22TransformInputIteratorIbN2at6native12_GLOBAL__N_19NonZeroOpIaEEPKalEENS0_5tupleIJPlS6_EEENSN_IJSD_SD_EEES6_PiJS6_EEE10hipError_tPvRmT3_T4_T5_T6_T7_T9_mT8_P12ihipStream_tbDpT10_ENKUlT_T0_E_clISt17integral_constantIbLb0EES1A_IbLb1EEEEDaS16_S17_EUlS16_E_NS1_11comp_targetILNS1_3genE2ELNS1_11target_archE906ELNS1_3gpuE6ELNS1_3repE0EEENS1_30default_config_static_selectorELNS0_4arch9wavefront6targetE0EEEvT1_,@function
_ZN7rocprim17ROCPRIM_400000_NS6detail17trampoline_kernelINS0_14default_configENS1_25partition_config_selectorILNS1_17partition_subalgoE5ElNS0_10empty_typeEbEEZZNS1_14partition_implILS5_5ELb0ES3_mN6hipcub16HIPCUB_304000_NS21CountingInputIteratorIllEEPS6_NSA_22TransformInputIteratorIbN2at6native12_GLOBAL__N_19NonZeroOpIaEEPKalEENS0_5tupleIJPlS6_EEENSN_IJSD_SD_EEES6_PiJS6_EEE10hipError_tPvRmT3_T4_T5_T6_T7_T9_mT8_P12ihipStream_tbDpT10_ENKUlT_T0_E_clISt17integral_constantIbLb0EES1A_IbLb1EEEEDaS16_S17_EUlS16_E_NS1_11comp_targetILNS1_3genE2ELNS1_11target_archE906ELNS1_3gpuE6ELNS1_3repE0EEENS1_30default_config_static_selectorELNS0_4arch9wavefront6targetE0EEEvT1_: ; @_ZN7rocprim17ROCPRIM_400000_NS6detail17trampoline_kernelINS0_14default_configENS1_25partition_config_selectorILNS1_17partition_subalgoE5ElNS0_10empty_typeEbEEZZNS1_14partition_implILS5_5ELb0ES3_mN6hipcub16HIPCUB_304000_NS21CountingInputIteratorIllEEPS6_NSA_22TransformInputIteratorIbN2at6native12_GLOBAL__N_19NonZeroOpIaEEPKalEENS0_5tupleIJPlS6_EEENSN_IJSD_SD_EEES6_PiJS6_EEE10hipError_tPvRmT3_T4_T5_T6_T7_T9_mT8_P12ihipStream_tbDpT10_ENKUlT_T0_E_clISt17integral_constantIbLb0EES1A_IbLb1EEEEDaS16_S17_EUlS16_E_NS1_11comp_targetILNS1_3genE2ELNS1_11target_archE906ELNS1_3gpuE6ELNS1_3repE0EEENS1_30default_config_static_selectorELNS0_4arch9wavefront6targetE0EEEvT1_
; %bb.0:
	.section	.rodata,"a",@progbits
	.p2align	6, 0x0
	.amdhsa_kernel _ZN7rocprim17ROCPRIM_400000_NS6detail17trampoline_kernelINS0_14default_configENS1_25partition_config_selectorILNS1_17partition_subalgoE5ElNS0_10empty_typeEbEEZZNS1_14partition_implILS5_5ELb0ES3_mN6hipcub16HIPCUB_304000_NS21CountingInputIteratorIllEEPS6_NSA_22TransformInputIteratorIbN2at6native12_GLOBAL__N_19NonZeroOpIaEEPKalEENS0_5tupleIJPlS6_EEENSN_IJSD_SD_EEES6_PiJS6_EEE10hipError_tPvRmT3_T4_T5_T6_T7_T9_mT8_P12ihipStream_tbDpT10_ENKUlT_T0_E_clISt17integral_constantIbLb0EES1A_IbLb1EEEEDaS16_S17_EUlS16_E_NS1_11comp_targetILNS1_3genE2ELNS1_11target_archE906ELNS1_3gpuE6ELNS1_3repE0EEENS1_30default_config_static_selectorELNS0_4arch9wavefront6targetE0EEEvT1_
		.amdhsa_group_segment_fixed_size 0
		.amdhsa_private_segment_fixed_size 0
		.amdhsa_kernarg_size 136
		.amdhsa_user_sgpr_count 15
		.amdhsa_user_sgpr_dispatch_ptr 0
		.amdhsa_user_sgpr_queue_ptr 0
		.amdhsa_user_sgpr_kernarg_segment_ptr 1
		.amdhsa_user_sgpr_dispatch_id 0
		.amdhsa_user_sgpr_private_segment_size 0
		.amdhsa_wavefront_size32 1
		.amdhsa_uses_dynamic_stack 0
		.amdhsa_enable_private_segment 0
		.amdhsa_system_sgpr_workgroup_id_x 1
		.amdhsa_system_sgpr_workgroup_id_y 0
		.amdhsa_system_sgpr_workgroup_id_z 0
		.amdhsa_system_sgpr_workgroup_info 0
		.amdhsa_system_vgpr_workitem_id 0
		.amdhsa_next_free_vgpr 1
		.amdhsa_next_free_sgpr 1
		.amdhsa_reserve_vcc 0
		.amdhsa_float_round_mode_32 0
		.amdhsa_float_round_mode_16_64 0
		.amdhsa_float_denorm_mode_32 3
		.amdhsa_float_denorm_mode_16_64 3
		.amdhsa_dx10_clamp 1
		.amdhsa_ieee_mode 1
		.amdhsa_fp16_overflow 0
		.amdhsa_workgroup_processor_mode 1
		.amdhsa_memory_ordered 1
		.amdhsa_forward_progress 0
		.amdhsa_shared_vgpr_count 0
		.amdhsa_exception_fp_ieee_invalid_op 0
		.amdhsa_exception_fp_denorm_src 0
		.amdhsa_exception_fp_ieee_div_zero 0
		.amdhsa_exception_fp_ieee_overflow 0
		.amdhsa_exception_fp_ieee_underflow 0
		.amdhsa_exception_fp_ieee_inexact 0
		.amdhsa_exception_int_div_zero 0
	.end_amdhsa_kernel
	.section	.text._ZN7rocprim17ROCPRIM_400000_NS6detail17trampoline_kernelINS0_14default_configENS1_25partition_config_selectorILNS1_17partition_subalgoE5ElNS0_10empty_typeEbEEZZNS1_14partition_implILS5_5ELb0ES3_mN6hipcub16HIPCUB_304000_NS21CountingInputIteratorIllEEPS6_NSA_22TransformInputIteratorIbN2at6native12_GLOBAL__N_19NonZeroOpIaEEPKalEENS0_5tupleIJPlS6_EEENSN_IJSD_SD_EEES6_PiJS6_EEE10hipError_tPvRmT3_T4_T5_T6_T7_T9_mT8_P12ihipStream_tbDpT10_ENKUlT_T0_E_clISt17integral_constantIbLb0EES1A_IbLb1EEEEDaS16_S17_EUlS16_E_NS1_11comp_targetILNS1_3genE2ELNS1_11target_archE906ELNS1_3gpuE6ELNS1_3repE0EEENS1_30default_config_static_selectorELNS0_4arch9wavefront6targetE0EEEvT1_,"axG",@progbits,_ZN7rocprim17ROCPRIM_400000_NS6detail17trampoline_kernelINS0_14default_configENS1_25partition_config_selectorILNS1_17partition_subalgoE5ElNS0_10empty_typeEbEEZZNS1_14partition_implILS5_5ELb0ES3_mN6hipcub16HIPCUB_304000_NS21CountingInputIteratorIllEEPS6_NSA_22TransformInputIteratorIbN2at6native12_GLOBAL__N_19NonZeroOpIaEEPKalEENS0_5tupleIJPlS6_EEENSN_IJSD_SD_EEES6_PiJS6_EEE10hipError_tPvRmT3_T4_T5_T6_T7_T9_mT8_P12ihipStream_tbDpT10_ENKUlT_T0_E_clISt17integral_constantIbLb0EES1A_IbLb1EEEEDaS16_S17_EUlS16_E_NS1_11comp_targetILNS1_3genE2ELNS1_11target_archE906ELNS1_3gpuE6ELNS1_3repE0EEENS1_30default_config_static_selectorELNS0_4arch9wavefront6targetE0EEEvT1_,comdat
.Lfunc_end146:
	.size	_ZN7rocprim17ROCPRIM_400000_NS6detail17trampoline_kernelINS0_14default_configENS1_25partition_config_selectorILNS1_17partition_subalgoE5ElNS0_10empty_typeEbEEZZNS1_14partition_implILS5_5ELb0ES3_mN6hipcub16HIPCUB_304000_NS21CountingInputIteratorIllEEPS6_NSA_22TransformInputIteratorIbN2at6native12_GLOBAL__N_19NonZeroOpIaEEPKalEENS0_5tupleIJPlS6_EEENSN_IJSD_SD_EEES6_PiJS6_EEE10hipError_tPvRmT3_T4_T5_T6_T7_T9_mT8_P12ihipStream_tbDpT10_ENKUlT_T0_E_clISt17integral_constantIbLb0EES1A_IbLb1EEEEDaS16_S17_EUlS16_E_NS1_11comp_targetILNS1_3genE2ELNS1_11target_archE906ELNS1_3gpuE6ELNS1_3repE0EEENS1_30default_config_static_selectorELNS0_4arch9wavefront6targetE0EEEvT1_, .Lfunc_end146-_ZN7rocprim17ROCPRIM_400000_NS6detail17trampoline_kernelINS0_14default_configENS1_25partition_config_selectorILNS1_17partition_subalgoE5ElNS0_10empty_typeEbEEZZNS1_14partition_implILS5_5ELb0ES3_mN6hipcub16HIPCUB_304000_NS21CountingInputIteratorIllEEPS6_NSA_22TransformInputIteratorIbN2at6native12_GLOBAL__N_19NonZeroOpIaEEPKalEENS0_5tupleIJPlS6_EEENSN_IJSD_SD_EEES6_PiJS6_EEE10hipError_tPvRmT3_T4_T5_T6_T7_T9_mT8_P12ihipStream_tbDpT10_ENKUlT_T0_E_clISt17integral_constantIbLb0EES1A_IbLb1EEEEDaS16_S17_EUlS16_E_NS1_11comp_targetILNS1_3genE2ELNS1_11target_archE906ELNS1_3gpuE6ELNS1_3repE0EEENS1_30default_config_static_selectorELNS0_4arch9wavefront6targetE0EEEvT1_
                                        ; -- End function
	.section	.AMDGPU.csdata,"",@progbits
; Kernel info:
; codeLenInByte = 0
; NumSgprs: 0
; NumVgprs: 0
; ScratchSize: 0
; MemoryBound: 0
; FloatMode: 240
; IeeeMode: 1
; LDSByteSize: 0 bytes/workgroup (compile time only)
; SGPRBlocks: 0
; VGPRBlocks: 0
; NumSGPRsForWavesPerEU: 1
; NumVGPRsForWavesPerEU: 1
; Occupancy: 16
; WaveLimiterHint : 0
; COMPUTE_PGM_RSRC2:SCRATCH_EN: 0
; COMPUTE_PGM_RSRC2:USER_SGPR: 15
; COMPUTE_PGM_RSRC2:TRAP_HANDLER: 0
; COMPUTE_PGM_RSRC2:TGID_X_EN: 1
; COMPUTE_PGM_RSRC2:TGID_Y_EN: 0
; COMPUTE_PGM_RSRC2:TGID_Z_EN: 0
; COMPUTE_PGM_RSRC2:TIDIG_COMP_CNT: 0
	.section	.text._ZN7rocprim17ROCPRIM_400000_NS6detail17trampoline_kernelINS0_14default_configENS1_25partition_config_selectorILNS1_17partition_subalgoE5ElNS0_10empty_typeEbEEZZNS1_14partition_implILS5_5ELb0ES3_mN6hipcub16HIPCUB_304000_NS21CountingInputIteratorIllEEPS6_NSA_22TransformInputIteratorIbN2at6native12_GLOBAL__N_19NonZeroOpIaEEPKalEENS0_5tupleIJPlS6_EEENSN_IJSD_SD_EEES6_PiJS6_EEE10hipError_tPvRmT3_T4_T5_T6_T7_T9_mT8_P12ihipStream_tbDpT10_ENKUlT_T0_E_clISt17integral_constantIbLb0EES1A_IbLb1EEEEDaS16_S17_EUlS16_E_NS1_11comp_targetILNS1_3genE10ELNS1_11target_archE1200ELNS1_3gpuE4ELNS1_3repE0EEENS1_30default_config_static_selectorELNS0_4arch9wavefront6targetE0EEEvT1_,"axG",@progbits,_ZN7rocprim17ROCPRIM_400000_NS6detail17trampoline_kernelINS0_14default_configENS1_25partition_config_selectorILNS1_17partition_subalgoE5ElNS0_10empty_typeEbEEZZNS1_14partition_implILS5_5ELb0ES3_mN6hipcub16HIPCUB_304000_NS21CountingInputIteratorIllEEPS6_NSA_22TransformInputIteratorIbN2at6native12_GLOBAL__N_19NonZeroOpIaEEPKalEENS0_5tupleIJPlS6_EEENSN_IJSD_SD_EEES6_PiJS6_EEE10hipError_tPvRmT3_T4_T5_T6_T7_T9_mT8_P12ihipStream_tbDpT10_ENKUlT_T0_E_clISt17integral_constantIbLb0EES1A_IbLb1EEEEDaS16_S17_EUlS16_E_NS1_11comp_targetILNS1_3genE10ELNS1_11target_archE1200ELNS1_3gpuE4ELNS1_3repE0EEENS1_30default_config_static_selectorELNS0_4arch9wavefront6targetE0EEEvT1_,comdat
	.globl	_ZN7rocprim17ROCPRIM_400000_NS6detail17trampoline_kernelINS0_14default_configENS1_25partition_config_selectorILNS1_17partition_subalgoE5ElNS0_10empty_typeEbEEZZNS1_14partition_implILS5_5ELb0ES3_mN6hipcub16HIPCUB_304000_NS21CountingInputIteratorIllEEPS6_NSA_22TransformInputIteratorIbN2at6native12_GLOBAL__N_19NonZeroOpIaEEPKalEENS0_5tupleIJPlS6_EEENSN_IJSD_SD_EEES6_PiJS6_EEE10hipError_tPvRmT3_T4_T5_T6_T7_T9_mT8_P12ihipStream_tbDpT10_ENKUlT_T0_E_clISt17integral_constantIbLb0EES1A_IbLb1EEEEDaS16_S17_EUlS16_E_NS1_11comp_targetILNS1_3genE10ELNS1_11target_archE1200ELNS1_3gpuE4ELNS1_3repE0EEENS1_30default_config_static_selectorELNS0_4arch9wavefront6targetE0EEEvT1_ ; -- Begin function _ZN7rocprim17ROCPRIM_400000_NS6detail17trampoline_kernelINS0_14default_configENS1_25partition_config_selectorILNS1_17partition_subalgoE5ElNS0_10empty_typeEbEEZZNS1_14partition_implILS5_5ELb0ES3_mN6hipcub16HIPCUB_304000_NS21CountingInputIteratorIllEEPS6_NSA_22TransformInputIteratorIbN2at6native12_GLOBAL__N_19NonZeroOpIaEEPKalEENS0_5tupleIJPlS6_EEENSN_IJSD_SD_EEES6_PiJS6_EEE10hipError_tPvRmT3_T4_T5_T6_T7_T9_mT8_P12ihipStream_tbDpT10_ENKUlT_T0_E_clISt17integral_constantIbLb0EES1A_IbLb1EEEEDaS16_S17_EUlS16_E_NS1_11comp_targetILNS1_3genE10ELNS1_11target_archE1200ELNS1_3gpuE4ELNS1_3repE0EEENS1_30default_config_static_selectorELNS0_4arch9wavefront6targetE0EEEvT1_
	.p2align	8
	.type	_ZN7rocprim17ROCPRIM_400000_NS6detail17trampoline_kernelINS0_14default_configENS1_25partition_config_selectorILNS1_17partition_subalgoE5ElNS0_10empty_typeEbEEZZNS1_14partition_implILS5_5ELb0ES3_mN6hipcub16HIPCUB_304000_NS21CountingInputIteratorIllEEPS6_NSA_22TransformInputIteratorIbN2at6native12_GLOBAL__N_19NonZeroOpIaEEPKalEENS0_5tupleIJPlS6_EEENSN_IJSD_SD_EEES6_PiJS6_EEE10hipError_tPvRmT3_T4_T5_T6_T7_T9_mT8_P12ihipStream_tbDpT10_ENKUlT_T0_E_clISt17integral_constantIbLb0EES1A_IbLb1EEEEDaS16_S17_EUlS16_E_NS1_11comp_targetILNS1_3genE10ELNS1_11target_archE1200ELNS1_3gpuE4ELNS1_3repE0EEENS1_30default_config_static_selectorELNS0_4arch9wavefront6targetE0EEEvT1_,@function
_ZN7rocprim17ROCPRIM_400000_NS6detail17trampoline_kernelINS0_14default_configENS1_25partition_config_selectorILNS1_17partition_subalgoE5ElNS0_10empty_typeEbEEZZNS1_14partition_implILS5_5ELb0ES3_mN6hipcub16HIPCUB_304000_NS21CountingInputIteratorIllEEPS6_NSA_22TransformInputIteratorIbN2at6native12_GLOBAL__N_19NonZeroOpIaEEPKalEENS0_5tupleIJPlS6_EEENSN_IJSD_SD_EEES6_PiJS6_EEE10hipError_tPvRmT3_T4_T5_T6_T7_T9_mT8_P12ihipStream_tbDpT10_ENKUlT_T0_E_clISt17integral_constantIbLb0EES1A_IbLb1EEEEDaS16_S17_EUlS16_E_NS1_11comp_targetILNS1_3genE10ELNS1_11target_archE1200ELNS1_3gpuE4ELNS1_3repE0EEENS1_30default_config_static_selectorELNS0_4arch9wavefront6targetE0EEEvT1_: ; @_ZN7rocprim17ROCPRIM_400000_NS6detail17trampoline_kernelINS0_14default_configENS1_25partition_config_selectorILNS1_17partition_subalgoE5ElNS0_10empty_typeEbEEZZNS1_14partition_implILS5_5ELb0ES3_mN6hipcub16HIPCUB_304000_NS21CountingInputIteratorIllEEPS6_NSA_22TransformInputIteratorIbN2at6native12_GLOBAL__N_19NonZeroOpIaEEPKalEENS0_5tupleIJPlS6_EEENSN_IJSD_SD_EEES6_PiJS6_EEE10hipError_tPvRmT3_T4_T5_T6_T7_T9_mT8_P12ihipStream_tbDpT10_ENKUlT_T0_E_clISt17integral_constantIbLb0EES1A_IbLb1EEEEDaS16_S17_EUlS16_E_NS1_11comp_targetILNS1_3genE10ELNS1_11target_archE1200ELNS1_3gpuE4ELNS1_3repE0EEENS1_30default_config_static_selectorELNS0_4arch9wavefront6targetE0EEEvT1_
; %bb.0:
	.section	.rodata,"a",@progbits
	.p2align	6, 0x0
	.amdhsa_kernel _ZN7rocprim17ROCPRIM_400000_NS6detail17trampoline_kernelINS0_14default_configENS1_25partition_config_selectorILNS1_17partition_subalgoE5ElNS0_10empty_typeEbEEZZNS1_14partition_implILS5_5ELb0ES3_mN6hipcub16HIPCUB_304000_NS21CountingInputIteratorIllEEPS6_NSA_22TransformInputIteratorIbN2at6native12_GLOBAL__N_19NonZeroOpIaEEPKalEENS0_5tupleIJPlS6_EEENSN_IJSD_SD_EEES6_PiJS6_EEE10hipError_tPvRmT3_T4_T5_T6_T7_T9_mT8_P12ihipStream_tbDpT10_ENKUlT_T0_E_clISt17integral_constantIbLb0EES1A_IbLb1EEEEDaS16_S17_EUlS16_E_NS1_11comp_targetILNS1_3genE10ELNS1_11target_archE1200ELNS1_3gpuE4ELNS1_3repE0EEENS1_30default_config_static_selectorELNS0_4arch9wavefront6targetE0EEEvT1_
		.amdhsa_group_segment_fixed_size 0
		.amdhsa_private_segment_fixed_size 0
		.amdhsa_kernarg_size 136
		.amdhsa_user_sgpr_count 15
		.amdhsa_user_sgpr_dispatch_ptr 0
		.amdhsa_user_sgpr_queue_ptr 0
		.amdhsa_user_sgpr_kernarg_segment_ptr 1
		.amdhsa_user_sgpr_dispatch_id 0
		.amdhsa_user_sgpr_private_segment_size 0
		.amdhsa_wavefront_size32 1
		.amdhsa_uses_dynamic_stack 0
		.amdhsa_enable_private_segment 0
		.amdhsa_system_sgpr_workgroup_id_x 1
		.amdhsa_system_sgpr_workgroup_id_y 0
		.amdhsa_system_sgpr_workgroup_id_z 0
		.amdhsa_system_sgpr_workgroup_info 0
		.amdhsa_system_vgpr_workitem_id 0
		.amdhsa_next_free_vgpr 1
		.amdhsa_next_free_sgpr 1
		.amdhsa_reserve_vcc 0
		.amdhsa_float_round_mode_32 0
		.amdhsa_float_round_mode_16_64 0
		.amdhsa_float_denorm_mode_32 3
		.amdhsa_float_denorm_mode_16_64 3
		.amdhsa_dx10_clamp 1
		.amdhsa_ieee_mode 1
		.amdhsa_fp16_overflow 0
		.amdhsa_workgroup_processor_mode 1
		.amdhsa_memory_ordered 1
		.amdhsa_forward_progress 0
		.amdhsa_shared_vgpr_count 0
		.amdhsa_exception_fp_ieee_invalid_op 0
		.amdhsa_exception_fp_denorm_src 0
		.amdhsa_exception_fp_ieee_div_zero 0
		.amdhsa_exception_fp_ieee_overflow 0
		.amdhsa_exception_fp_ieee_underflow 0
		.amdhsa_exception_fp_ieee_inexact 0
		.amdhsa_exception_int_div_zero 0
	.end_amdhsa_kernel
	.section	.text._ZN7rocprim17ROCPRIM_400000_NS6detail17trampoline_kernelINS0_14default_configENS1_25partition_config_selectorILNS1_17partition_subalgoE5ElNS0_10empty_typeEbEEZZNS1_14partition_implILS5_5ELb0ES3_mN6hipcub16HIPCUB_304000_NS21CountingInputIteratorIllEEPS6_NSA_22TransformInputIteratorIbN2at6native12_GLOBAL__N_19NonZeroOpIaEEPKalEENS0_5tupleIJPlS6_EEENSN_IJSD_SD_EEES6_PiJS6_EEE10hipError_tPvRmT3_T4_T5_T6_T7_T9_mT8_P12ihipStream_tbDpT10_ENKUlT_T0_E_clISt17integral_constantIbLb0EES1A_IbLb1EEEEDaS16_S17_EUlS16_E_NS1_11comp_targetILNS1_3genE10ELNS1_11target_archE1200ELNS1_3gpuE4ELNS1_3repE0EEENS1_30default_config_static_selectorELNS0_4arch9wavefront6targetE0EEEvT1_,"axG",@progbits,_ZN7rocprim17ROCPRIM_400000_NS6detail17trampoline_kernelINS0_14default_configENS1_25partition_config_selectorILNS1_17partition_subalgoE5ElNS0_10empty_typeEbEEZZNS1_14partition_implILS5_5ELb0ES3_mN6hipcub16HIPCUB_304000_NS21CountingInputIteratorIllEEPS6_NSA_22TransformInputIteratorIbN2at6native12_GLOBAL__N_19NonZeroOpIaEEPKalEENS0_5tupleIJPlS6_EEENSN_IJSD_SD_EEES6_PiJS6_EEE10hipError_tPvRmT3_T4_T5_T6_T7_T9_mT8_P12ihipStream_tbDpT10_ENKUlT_T0_E_clISt17integral_constantIbLb0EES1A_IbLb1EEEEDaS16_S17_EUlS16_E_NS1_11comp_targetILNS1_3genE10ELNS1_11target_archE1200ELNS1_3gpuE4ELNS1_3repE0EEENS1_30default_config_static_selectorELNS0_4arch9wavefront6targetE0EEEvT1_,comdat
.Lfunc_end147:
	.size	_ZN7rocprim17ROCPRIM_400000_NS6detail17trampoline_kernelINS0_14default_configENS1_25partition_config_selectorILNS1_17partition_subalgoE5ElNS0_10empty_typeEbEEZZNS1_14partition_implILS5_5ELb0ES3_mN6hipcub16HIPCUB_304000_NS21CountingInputIteratorIllEEPS6_NSA_22TransformInputIteratorIbN2at6native12_GLOBAL__N_19NonZeroOpIaEEPKalEENS0_5tupleIJPlS6_EEENSN_IJSD_SD_EEES6_PiJS6_EEE10hipError_tPvRmT3_T4_T5_T6_T7_T9_mT8_P12ihipStream_tbDpT10_ENKUlT_T0_E_clISt17integral_constantIbLb0EES1A_IbLb1EEEEDaS16_S17_EUlS16_E_NS1_11comp_targetILNS1_3genE10ELNS1_11target_archE1200ELNS1_3gpuE4ELNS1_3repE0EEENS1_30default_config_static_selectorELNS0_4arch9wavefront6targetE0EEEvT1_, .Lfunc_end147-_ZN7rocprim17ROCPRIM_400000_NS6detail17trampoline_kernelINS0_14default_configENS1_25partition_config_selectorILNS1_17partition_subalgoE5ElNS0_10empty_typeEbEEZZNS1_14partition_implILS5_5ELb0ES3_mN6hipcub16HIPCUB_304000_NS21CountingInputIteratorIllEEPS6_NSA_22TransformInputIteratorIbN2at6native12_GLOBAL__N_19NonZeroOpIaEEPKalEENS0_5tupleIJPlS6_EEENSN_IJSD_SD_EEES6_PiJS6_EEE10hipError_tPvRmT3_T4_T5_T6_T7_T9_mT8_P12ihipStream_tbDpT10_ENKUlT_T0_E_clISt17integral_constantIbLb0EES1A_IbLb1EEEEDaS16_S17_EUlS16_E_NS1_11comp_targetILNS1_3genE10ELNS1_11target_archE1200ELNS1_3gpuE4ELNS1_3repE0EEENS1_30default_config_static_selectorELNS0_4arch9wavefront6targetE0EEEvT1_
                                        ; -- End function
	.section	.AMDGPU.csdata,"",@progbits
; Kernel info:
; codeLenInByte = 0
; NumSgprs: 0
; NumVgprs: 0
; ScratchSize: 0
; MemoryBound: 0
; FloatMode: 240
; IeeeMode: 1
; LDSByteSize: 0 bytes/workgroup (compile time only)
; SGPRBlocks: 0
; VGPRBlocks: 0
; NumSGPRsForWavesPerEU: 1
; NumVGPRsForWavesPerEU: 1
; Occupancy: 16
; WaveLimiterHint : 0
; COMPUTE_PGM_RSRC2:SCRATCH_EN: 0
; COMPUTE_PGM_RSRC2:USER_SGPR: 15
; COMPUTE_PGM_RSRC2:TRAP_HANDLER: 0
; COMPUTE_PGM_RSRC2:TGID_X_EN: 1
; COMPUTE_PGM_RSRC2:TGID_Y_EN: 0
; COMPUTE_PGM_RSRC2:TGID_Z_EN: 0
; COMPUTE_PGM_RSRC2:TIDIG_COMP_CNT: 0
	.section	.text._ZN7rocprim17ROCPRIM_400000_NS6detail17trampoline_kernelINS0_14default_configENS1_25partition_config_selectorILNS1_17partition_subalgoE5ElNS0_10empty_typeEbEEZZNS1_14partition_implILS5_5ELb0ES3_mN6hipcub16HIPCUB_304000_NS21CountingInputIteratorIllEEPS6_NSA_22TransformInputIteratorIbN2at6native12_GLOBAL__N_19NonZeroOpIaEEPKalEENS0_5tupleIJPlS6_EEENSN_IJSD_SD_EEES6_PiJS6_EEE10hipError_tPvRmT3_T4_T5_T6_T7_T9_mT8_P12ihipStream_tbDpT10_ENKUlT_T0_E_clISt17integral_constantIbLb0EES1A_IbLb1EEEEDaS16_S17_EUlS16_E_NS1_11comp_targetILNS1_3genE9ELNS1_11target_archE1100ELNS1_3gpuE3ELNS1_3repE0EEENS1_30default_config_static_selectorELNS0_4arch9wavefront6targetE0EEEvT1_,"axG",@progbits,_ZN7rocprim17ROCPRIM_400000_NS6detail17trampoline_kernelINS0_14default_configENS1_25partition_config_selectorILNS1_17partition_subalgoE5ElNS0_10empty_typeEbEEZZNS1_14partition_implILS5_5ELb0ES3_mN6hipcub16HIPCUB_304000_NS21CountingInputIteratorIllEEPS6_NSA_22TransformInputIteratorIbN2at6native12_GLOBAL__N_19NonZeroOpIaEEPKalEENS0_5tupleIJPlS6_EEENSN_IJSD_SD_EEES6_PiJS6_EEE10hipError_tPvRmT3_T4_T5_T6_T7_T9_mT8_P12ihipStream_tbDpT10_ENKUlT_T0_E_clISt17integral_constantIbLb0EES1A_IbLb1EEEEDaS16_S17_EUlS16_E_NS1_11comp_targetILNS1_3genE9ELNS1_11target_archE1100ELNS1_3gpuE3ELNS1_3repE0EEENS1_30default_config_static_selectorELNS0_4arch9wavefront6targetE0EEEvT1_,comdat
	.globl	_ZN7rocprim17ROCPRIM_400000_NS6detail17trampoline_kernelINS0_14default_configENS1_25partition_config_selectorILNS1_17partition_subalgoE5ElNS0_10empty_typeEbEEZZNS1_14partition_implILS5_5ELb0ES3_mN6hipcub16HIPCUB_304000_NS21CountingInputIteratorIllEEPS6_NSA_22TransformInputIteratorIbN2at6native12_GLOBAL__N_19NonZeroOpIaEEPKalEENS0_5tupleIJPlS6_EEENSN_IJSD_SD_EEES6_PiJS6_EEE10hipError_tPvRmT3_T4_T5_T6_T7_T9_mT8_P12ihipStream_tbDpT10_ENKUlT_T0_E_clISt17integral_constantIbLb0EES1A_IbLb1EEEEDaS16_S17_EUlS16_E_NS1_11comp_targetILNS1_3genE9ELNS1_11target_archE1100ELNS1_3gpuE3ELNS1_3repE0EEENS1_30default_config_static_selectorELNS0_4arch9wavefront6targetE0EEEvT1_ ; -- Begin function _ZN7rocprim17ROCPRIM_400000_NS6detail17trampoline_kernelINS0_14default_configENS1_25partition_config_selectorILNS1_17partition_subalgoE5ElNS0_10empty_typeEbEEZZNS1_14partition_implILS5_5ELb0ES3_mN6hipcub16HIPCUB_304000_NS21CountingInputIteratorIllEEPS6_NSA_22TransformInputIteratorIbN2at6native12_GLOBAL__N_19NonZeroOpIaEEPKalEENS0_5tupleIJPlS6_EEENSN_IJSD_SD_EEES6_PiJS6_EEE10hipError_tPvRmT3_T4_T5_T6_T7_T9_mT8_P12ihipStream_tbDpT10_ENKUlT_T0_E_clISt17integral_constantIbLb0EES1A_IbLb1EEEEDaS16_S17_EUlS16_E_NS1_11comp_targetILNS1_3genE9ELNS1_11target_archE1100ELNS1_3gpuE3ELNS1_3repE0EEENS1_30default_config_static_selectorELNS0_4arch9wavefront6targetE0EEEvT1_
	.p2align	8
	.type	_ZN7rocprim17ROCPRIM_400000_NS6detail17trampoline_kernelINS0_14default_configENS1_25partition_config_selectorILNS1_17partition_subalgoE5ElNS0_10empty_typeEbEEZZNS1_14partition_implILS5_5ELb0ES3_mN6hipcub16HIPCUB_304000_NS21CountingInputIteratorIllEEPS6_NSA_22TransformInputIteratorIbN2at6native12_GLOBAL__N_19NonZeroOpIaEEPKalEENS0_5tupleIJPlS6_EEENSN_IJSD_SD_EEES6_PiJS6_EEE10hipError_tPvRmT3_T4_T5_T6_T7_T9_mT8_P12ihipStream_tbDpT10_ENKUlT_T0_E_clISt17integral_constantIbLb0EES1A_IbLb1EEEEDaS16_S17_EUlS16_E_NS1_11comp_targetILNS1_3genE9ELNS1_11target_archE1100ELNS1_3gpuE3ELNS1_3repE0EEENS1_30default_config_static_selectorELNS0_4arch9wavefront6targetE0EEEvT1_,@function
_ZN7rocprim17ROCPRIM_400000_NS6detail17trampoline_kernelINS0_14default_configENS1_25partition_config_selectorILNS1_17partition_subalgoE5ElNS0_10empty_typeEbEEZZNS1_14partition_implILS5_5ELb0ES3_mN6hipcub16HIPCUB_304000_NS21CountingInputIteratorIllEEPS6_NSA_22TransformInputIteratorIbN2at6native12_GLOBAL__N_19NonZeroOpIaEEPKalEENS0_5tupleIJPlS6_EEENSN_IJSD_SD_EEES6_PiJS6_EEE10hipError_tPvRmT3_T4_T5_T6_T7_T9_mT8_P12ihipStream_tbDpT10_ENKUlT_T0_E_clISt17integral_constantIbLb0EES1A_IbLb1EEEEDaS16_S17_EUlS16_E_NS1_11comp_targetILNS1_3genE9ELNS1_11target_archE1100ELNS1_3gpuE3ELNS1_3repE0EEENS1_30default_config_static_selectorELNS0_4arch9wavefront6targetE0EEEvT1_: ; @_ZN7rocprim17ROCPRIM_400000_NS6detail17trampoline_kernelINS0_14default_configENS1_25partition_config_selectorILNS1_17partition_subalgoE5ElNS0_10empty_typeEbEEZZNS1_14partition_implILS5_5ELb0ES3_mN6hipcub16HIPCUB_304000_NS21CountingInputIteratorIllEEPS6_NSA_22TransformInputIteratorIbN2at6native12_GLOBAL__N_19NonZeroOpIaEEPKalEENS0_5tupleIJPlS6_EEENSN_IJSD_SD_EEES6_PiJS6_EEE10hipError_tPvRmT3_T4_T5_T6_T7_T9_mT8_P12ihipStream_tbDpT10_ENKUlT_T0_E_clISt17integral_constantIbLb0EES1A_IbLb1EEEEDaS16_S17_EUlS16_E_NS1_11comp_targetILNS1_3genE9ELNS1_11target_archE1100ELNS1_3gpuE3ELNS1_3repE0EEENS1_30default_config_static_selectorELNS0_4arch9wavefront6targetE0EEEvT1_
; %bb.0:
	s_clause 0x4
	s_load_b64 s[18:19], s[0:1], 0x20
	s_load_b64 s[12:13], s[0:1], 0x30
	;; [unrolled: 1-line block ×3, first 2 shown]
	s_load_b128 s[4:7], s[0:1], 0x48
	s_load_b64 s[14:15], s[0:1], 0x68
	v_cmp_eq_u32_e64 s2, 0, v0
	s_delay_alu instid0(VALU_DEP_1)
	s_and_saveexec_b32 s3, s2
	s_cbranch_execz .LBB148_4
; %bb.1:
	s_mov_b32 s9, exec_lo
	s_mov_b32 s8, exec_lo
	v_mbcnt_lo_u32_b32 v1, s9, 0
                                        ; implicit-def: $vgpr2
	s_delay_alu instid0(VALU_DEP_1)
	v_cmpx_eq_u32_e32 0, v1
	s_cbranch_execz .LBB148_3
; %bb.2:
	s_load_b64 s[10:11], s[0:1], 0x78
	s_bcnt1_i32_b32 s9, s9
	s_delay_alu instid0(SALU_CYCLE_1)
	v_dual_mov_b32 v2, 0 :: v_dual_mov_b32 v3, s9
	s_waitcnt lgkmcnt(0)
	global_atomic_add_u32 v2, v2, v3, s[10:11] glc
.LBB148_3:
	s_or_b32 exec_lo, exec_lo, s8
	s_waitcnt vmcnt(0)
	v_readfirstlane_b32 s8, v2
	s_delay_alu instid0(VALU_DEP_1)
	v_dual_mov_b32 v2, 0 :: v_dual_add_nc_u32 v1, s8, v1
	ds_store_b32 v2, v1
.LBB148_4:
	s_or_b32 exec_lo, exec_lo, s3
	v_mov_b32_e32 v1, 0
	s_clause 0x1
	s_load_b128 s[8:11], s[0:1], 0x8
	s_load_b32 s0, s[0:1], 0x70
	s_waitcnt lgkmcnt(0)
	s_barrier
	buffer_gl0_inv
	ds_load_b32 v3, v1
	s_waitcnt lgkmcnt(0)
	s_barrier
	buffer_gl0_inv
	global_load_b64 v[1:2], v1, s[6:7]
	s_add_u32 s1, s10, s8
	s_mul_i32 s20, s0, 0x300
	s_addc_u32 s21, s11, s9
	s_add_i32 s0, s0, -1
	s_add_u32 s6, s10, s20
	v_readfirstlane_b32 s9, v3
	s_addc_u32 s7, s11, 0
	s_delay_alu instid0(SALU_CYCLE_1) | instskip(SKIP_1) | instid1(VALU_DEP_2)
	v_cmp_ge_u64_e64 s6, s[6:7], s[16:17]
	s_mov_b32 s17, -1
	s_cmp_eq_u32 s9, s0
	s_mul_i32 s0, s9, 0x300
	s_cselect_b32 s3, -1, 0
	s_delay_alu instid0(VALU_DEP_1) | instid1(SALU_CYCLE_1)
	s_and_b32 s6, s6, s3
	s_delay_alu instid0(SALU_CYCLE_1) | instskip(NEXT) | instid1(SALU_CYCLE_1)
	s_xor_b32 s8, s6, -1
	s_and_b32 vcc_lo, exec_lo, s8
	s_waitcnt vmcnt(0)
	v_readfirstlane_b32 s6, v1
	v_readfirstlane_b32 s7, v2
	s_cbranch_vccz .LBB148_6
; %bb.5:
	s_add_u32 s17, s0, s1
	s_addc_u32 s22, 0, s21
	v_add_co_u32 v1, s17, s17, v0
	s_delay_alu instid0(VALU_DEP_1) | instskip(SKIP_1) | instid1(VALU_DEP_3)
	v_add_co_ci_u32_e64 v2, null, s22, 0, s17
	v_lshlrev_b32_e32 v13, 3, v0
	v_add_co_u32 v3, vcc_lo, 0x80, v1
	s_delay_alu instid0(VALU_DEP_3)
	v_add_co_ci_u32_e32 v4, vcc_lo, 0, v2, vcc_lo
	v_add_co_u32 v5, vcc_lo, 0x100, v1
	v_add_co_ci_u32_e32 v6, vcc_lo, 0, v2, vcc_lo
	v_add_co_u32 v7, vcc_lo, 0x180, v1
	;; [unrolled: 2-line block ×4, first 2 shown]
	v_add_co_ci_u32_e32 v12, vcc_lo, 0, v2, vcc_lo
	ds_store_2addr_stride64_b64 v13, v[1:2], v[3:4] offset1:2
	ds_store_2addr_stride64_b64 v13, v[5:6], v[7:8] offset0:4 offset1:6
	ds_store_2addr_stride64_b64 v13, v[9:10], v[11:12] offset0:8 offset1:10
	s_waitcnt lgkmcnt(0)
	s_mov_b32 s17, 0
	s_barrier
.LBB148_6:
	v_or_b32_e32 v17, 0x100, v0
	v_or_b32_e32 v16, 0x180, v0
	;; [unrolled: 1-line block ×4, first 2 shown]
	s_and_not1_b32 vcc_lo, exec_lo, s17
	s_cbranch_vccnz .LBB148_8
; %bb.7:
	v_or_b32_e32 v3, 0x80, v0
	s_add_u32 s1, s1, s0
	s_addc_u32 s17, s21, 0
	v_add_co_u32 v1, s21, s1, v0
	s_delay_alu instid0(VALU_DEP_1) | instskip(SKIP_1) | instid1(VALU_DEP_1)
	v_add_co_ci_u32_e64 v2, null, s17, 0, s21
	v_add_co_u32 v3, s21, s1, v3
	v_add_co_ci_u32_e64 v4, null, s17, 0, s21
	v_add_co_u32 v5, s21, s1, v17
	s_delay_alu instid0(VALU_DEP_1) | instskip(SKIP_1) | instid1(VALU_DEP_1)
	v_add_co_ci_u32_e64 v6, null, s17, 0, s21
	v_add_co_u32 v7, s21, s1, v16
	v_add_co_ci_u32_e64 v8, null, s17, 0, s21
	v_add_co_u32 v9, s21, s1, v14
	v_lshlrev_b32_e32 v15, 3, v0
	v_add_co_u32 v11, s1, s1, v13
	v_add_co_ci_u32_e64 v10, null, s17, 0, s21
	v_add_co_ci_u32_e64 v12, null, s17, 0, s1
	ds_store_2addr_stride64_b64 v15, v[1:2], v[3:4] offset1:2
	ds_store_2addr_stride64_b64 v15, v[5:6], v[7:8] offset0:4 offset1:6
	ds_store_2addr_stride64_b64 v15, v[9:10], v[11:12] offset0:8 offset1:10
	s_waitcnt lgkmcnt(0)
	s_barrier
.LBB148_8:
	v_mul_u32_u24_e32 v1, 6, v0
	buffer_gl0_inv
	s_add_u32 s1, s18, s10
	s_addc_u32 s11, s19, s11
	s_add_u32 s0, s1, s0
	v_lshlrev_b32_e32 v15, 3, v1
	s_addc_u32 s1, s11, 0
	s_and_b32 vcc_lo, exec_lo, s8
	s_mov_b32 s11, -1
	ds_load_b128 v[9:12], v15
	ds_load_b128 v[5:8], v15 offset:16
	ds_load_b128 v[1:4], v15 offset:32
	s_waitcnt lgkmcnt(0)
	s_barrier
	buffer_gl0_inv
	s_cbranch_vccz .LBB148_10
; %bb.9:
	s_clause 0x5
	global_load_u8 v18, v0, s[0:1]
	global_load_u8 v19, v0, s[0:1] offset:128
	global_load_u8 v20, v0, s[0:1] offset:256
	;; [unrolled: 1-line block ×5, first 2 shown]
	s_mov_b32 s11, 0
	s_waitcnt vmcnt(5)
	v_cmp_ne_u16_e32 vcc_lo, 0, v18
	v_cndmask_b32_e64 v18, 0, 1, vcc_lo
	s_waitcnt vmcnt(4)
	v_cmp_ne_u16_e32 vcc_lo, 0, v19
	v_cndmask_b32_e64 v19, 0, 1, vcc_lo
	;; [unrolled: 3-line block ×6, first 2 shown]
	ds_store_b8 v0, v18
	ds_store_b8 v0, v19 offset:128
	ds_store_b8 v0, v20 offset:256
	;; [unrolled: 1-line block ×5, first 2 shown]
	s_waitcnt lgkmcnt(0)
	s_barrier
.LBB148_10:
	s_and_not1_b32 vcc_lo, exec_lo, s11
	s_cbranch_vccnz .LBB148_24
; %bb.11:
	s_add_i32 s20, s20, s10
	v_dual_mov_b32 v18, 0 :: v_dual_mov_b32 v19, 0
	s_sub_i32 s10, s16, s20
	s_mov_b32 s11, exec_lo
	s_addk_i32 s10, 0x300
	s_delay_alu instid0(SALU_CYCLE_1)
	v_cmpx_gt_u32_e64 s10, v0
	s_cbranch_execz .LBB148_13
; %bb.12:
	global_load_u8 v19, v0, s[0:1]
	s_waitcnt vmcnt(0)
	v_cmp_ne_u16_e32 vcc_lo, 0, v19
	v_cndmask_b32_e64 v19, 0, 1, vcc_lo
.LBB148_13:
	s_or_b32 exec_lo, exec_lo, s11
	v_or_b32_e32 v20, 0x80, v0
	s_mov_b32 s11, exec_lo
	s_delay_alu instid0(VALU_DEP_1)
	v_cmpx_gt_u32_e64 s10, v20
	s_cbranch_execz .LBB148_15
; %bb.14:
	global_load_u8 v18, v0, s[0:1] offset:128
	s_waitcnt vmcnt(0)
	v_cmp_ne_u16_e32 vcc_lo, 0, v18
	v_cndmask_b32_e64 v18, 0, 1, vcc_lo
.LBB148_15:
	s_or_b32 exec_lo, exec_lo, s11
	v_cmp_gt_u32_e32 vcc_lo, s10, v17
	v_dual_mov_b32 v17, 0 :: v_dual_mov_b32 v20, 0
	s_and_saveexec_b32 s11, vcc_lo
	s_cbranch_execz .LBB148_17
; %bb.16:
	global_load_u8 v20, v0, s[0:1] offset:256
	s_waitcnt vmcnt(0)
	v_cmp_ne_u16_e32 vcc_lo, 0, v20
	v_cndmask_b32_e64 v20, 0, 1, vcc_lo
.LBB148_17:
	s_or_b32 exec_lo, exec_lo, s11
	s_delay_alu instid0(SALU_CYCLE_1)
	s_mov_b32 s11, exec_lo
	v_cmpx_gt_u32_e64 s10, v16
	s_cbranch_execz .LBB148_19
; %bb.18:
	global_load_u8 v16, v0, s[0:1] offset:384
	s_waitcnt vmcnt(0)
	v_cmp_ne_u16_e32 vcc_lo, 0, v16
	v_cndmask_b32_e64 v17, 0, 1, vcc_lo
.LBB148_19:
	s_or_b32 exec_lo, exec_lo, s11
	v_cmp_gt_u32_e32 vcc_lo, s10, v14
	v_mov_b32_e32 v14, 0
	v_mov_b32_e32 v16, 0
	s_and_saveexec_b32 s11, vcc_lo
	s_cbranch_execz .LBB148_21
; %bb.20:
	global_load_u8 v16, v0, s[0:1] offset:512
	s_waitcnt vmcnt(0)
	v_cmp_ne_u16_e32 vcc_lo, 0, v16
	v_cndmask_b32_e64 v16, 0, 1, vcc_lo
.LBB148_21:
	s_or_b32 exec_lo, exec_lo, s11
	v_cmp_gt_u32_e32 vcc_lo, s10, v13
	s_and_saveexec_b32 s10, vcc_lo
	s_cbranch_execz .LBB148_23
; %bb.22:
	global_load_u8 v13, v0, s[0:1] offset:640
	s_waitcnt vmcnt(0)
	v_cmp_ne_u16_e32 vcc_lo, 0, v13
	v_cndmask_b32_e64 v14, 0, 1, vcc_lo
.LBB148_23:
	s_or_b32 exec_lo, exec_lo, s10
	ds_store_b8 v0, v19
	ds_store_b8 v0, v18 offset:128
	ds_store_b8 v0, v20 offset:256
	;; [unrolled: 1-line block ×5, first 2 shown]
	s_waitcnt lgkmcnt(0)
	s_barrier
.LBB148_24:
	v_mad_i32_i24 v43, 0xffffffd6, v0, v15
	buffer_gl0_inv
	v_mbcnt_lo_u32_b32 v42, -1, 0
	s_cmp_lg_u32 s9, 0
	s_mov_b32 s1, -1
	ds_load_u16 v36, v43
	ds_load_u16 v33, v43 offset:2
	ds_load_u16 v31, v43 offset:4
	v_mov_b32_e32 v14, 0
	v_and_b32_e32 v44, 15, v42
	s_waitcnt lgkmcnt(0)
	s_barrier
	buffer_gl0_inv
	v_and_b32_e32 v41, 0xff, v36
	v_lshrrev_b16 v34, 8, v36
	v_lshrrev_b16 v35, 8, v33
	v_and_b32_e32 v39, 0xff, v33
	v_lshrrev_b16 v32, 8, v31
	v_and_b32_e32 v37, 0xff, v31
	v_and_b32_e32 v40, 0xffff, v34
	;; [unrolled: 1-line block ×3, first 2 shown]
	s_delay_alu instid0(VALU_DEP_4) | instskip(NEXT) | instid1(VALU_DEP_3)
	v_and_b32_e32 v16, 0xffff, v32
	v_add_co_u32 v13, s0, v40, v41
	s_delay_alu instid0(VALU_DEP_1) | instskip(SKIP_1) | instid1(VALU_DEP_3)
	v_add_co_ci_u32_e64 v15, null, 0, 0, s0
	v_cmp_ne_u32_e64 s0, 0, v44
	v_add_co_u32 v13, vcc_lo, v13, v39
	s_delay_alu instid0(VALU_DEP_3) | instskip(NEXT) | instid1(VALU_DEP_2)
	v_add_co_ci_u32_e32 v15, vcc_lo, 0, v15, vcc_lo
	v_add_co_u32 v13, vcc_lo, v13, v38
	s_delay_alu instid0(VALU_DEP_2) | instskip(NEXT) | instid1(VALU_DEP_2)
	v_add_co_ci_u32_e32 v15, vcc_lo, 0, v15, vcc_lo
	v_add_co_u32 v13, vcc_lo, v13, v37
	s_delay_alu instid0(VALU_DEP_2) | instskip(NEXT) | instid1(VALU_DEP_2)
	v_add_co_ci_u32_e32 v15, vcc_lo, 0, v15, vcc_lo
	v_add_co_u32 v21, vcc_lo, v13, v16
	s_delay_alu instid0(VALU_DEP_2)
	v_add_co_ci_u32_e32 v22, vcc_lo, 0, v15, vcc_lo
	s_cbranch_scc0 .LBB148_88
; %bb.25:
	s_delay_alu instid0(VALU_DEP_2)
	v_mov_b32_e32 v15, v21
	v_mov_b32_dpp v13, v21 row_shr:1 row_mask:0xf bank_mask:0xf
	v_mov_b32_dpp v18, v14 row_shr:1 row_mask:0xf bank_mask:0xf
	v_dual_mov_b32 v17, v21 :: v_dual_mov_b32 v16, v22
	s_and_saveexec_b32 s1, s0
; %bb.26:
	s_delay_alu instid0(VALU_DEP_3) | instskip(SKIP_1) | instid1(VALU_DEP_2)
	v_add_co_u32 v17, vcc_lo, v21, v13
	v_add_co_ci_u32_e32 v14, vcc_lo, 0, v22, vcc_lo
	v_add_co_u32 v13, vcc_lo, 0, v17
	s_delay_alu instid0(VALU_DEP_2) | instskip(NEXT) | instid1(VALU_DEP_1)
	v_add_co_ci_u32_e32 v14, vcc_lo, v18, v14, vcc_lo
	v_dual_mov_b32 v16, v14 :: v_dual_mov_b32 v15, v13
; %bb.27:
	s_or_b32 exec_lo, exec_lo, s1
	v_mov_b32_dpp v13, v17 row_shr:2 row_mask:0xf bank_mask:0xf
	v_mov_b32_dpp v18, v14 row_shr:2 row_mask:0xf bank_mask:0xf
	s_mov_b32 s1, exec_lo
	v_cmpx_lt_u32_e32 1, v44
; %bb.28:
	s_delay_alu instid0(VALU_DEP_3) | instskip(SKIP_1) | instid1(VALU_DEP_2)
	v_add_co_u32 v17, vcc_lo, v15, v13
	v_add_co_ci_u32_e32 v14, vcc_lo, 0, v16, vcc_lo
	v_add_co_u32 v13, vcc_lo, 0, v17
	s_delay_alu instid0(VALU_DEP_2) | instskip(NEXT) | instid1(VALU_DEP_1)
	v_add_co_ci_u32_e32 v14, vcc_lo, v18, v14, vcc_lo
	v_dual_mov_b32 v16, v14 :: v_dual_mov_b32 v15, v13
; %bb.29:
	s_or_b32 exec_lo, exec_lo, s1
	v_mov_b32_dpp v13, v17 row_shr:4 row_mask:0xf bank_mask:0xf
	v_mov_b32_dpp v18, v14 row_shr:4 row_mask:0xf bank_mask:0xf
	s_mov_b32 s1, exec_lo
	v_cmpx_lt_u32_e32 3, v44
	;; [unrolled: 14-line block ×3, first 2 shown]
; %bb.32:
	s_delay_alu instid0(VALU_DEP_3) | instskip(SKIP_1) | instid1(VALU_DEP_2)
	v_add_co_u32 v17, vcc_lo, v15, v18
	v_add_co_ci_u32_e32 v14, vcc_lo, 0, v16, vcc_lo
	v_add_co_u32 v15, vcc_lo, 0, v17
	s_delay_alu instid0(VALU_DEP_2) | instskip(NEXT) | instid1(VALU_DEP_1)
	v_add_co_ci_u32_e32 v16, vcc_lo, v13, v14, vcc_lo
	v_mov_b32_e32 v14, v16
; %bb.33:
	s_or_b32 exec_lo, exec_lo, s1
	ds_swizzle_b32 v13, v17 offset:swizzle(BROADCAST,32,15)
	ds_swizzle_b32 v18, v14 offset:swizzle(BROADCAST,32,15)
	v_and_b32_e32 v19, 16, v42
	s_mov_b32 s1, exec_lo
	s_delay_alu instid0(VALU_DEP_1)
	v_cmpx_ne_u32_e32 0, v19
	s_cbranch_execz .LBB148_35
; %bb.34:
	s_waitcnt lgkmcnt(1)
	v_add_co_u32 v17, vcc_lo, v15, v13
	v_add_co_ci_u32_e32 v14, vcc_lo, 0, v16, vcc_lo
	s_delay_alu instid0(VALU_DEP_2) | instskip(SKIP_1) | instid1(VALU_DEP_2)
	v_add_co_u32 v13, vcc_lo, 0, v17
	s_waitcnt lgkmcnt(0)
	v_add_co_ci_u32_e32 v14, vcc_lo, v18, v14, vcc_lo
	s_delay_alu instid0(VALU_DEP_1)
	v_dual_mov_b32 v16, v14 :: v_dual_mov_b32 v15, v13
.LBB148_35:
	s_or_b32 exec_lo, exec_lo, s1
	s_waitcnt lgkmcnt(0)
	v_or_b32_e32 v18, 31, v0
	v_lshrrev_b32_e32 v13, 5, v0
	s_mov_b32 s1, exec_lo
	s_delay_alu instid0(VALU_DEP_2)
	v_cmpx_eq_u32_e64 v18, v0
	s_cbranch_execz .LBB148_37
; %bb.36:
	s_delay_alu instid0(VALU_DEP_2)
	v_lshlrev_b32_e32 v18, 3, v13
	ds_store_b64 v18, v[15:16]
.LBB148_37:
	s_or_b32 exec_lo, exec_lo, s1
	s_delay_alu instid0(SALU_CYCLE_1)
	s_mov_b32 s1, exec_lo
	s_waitcnt lgkmcnt(0)
	s_barrier
	buffer_gl0_inv
	v_cmpx_gt_u32_e32 4, v0
	s_cbranch_execz .LBB148_43
; %bb.38:
	v_lshlrev_b32_e32 v18, 3, v0
	s_mov_b32 s10, exec_lo
	ds_load_b64 v[15:16], v18
	s_waitcnt lgkmcnt(0)
	v_dual_mov_b32 v20, v15 :: v_dual_and_b32 v19, 3, v42
	v_mov_b32_dpp v24, v15 row_shr:1 row_mask:0xf bank_mask:0xf
	v_mov_b32_dpp v23, v16 row_shr:1 row_mask:0xf bank_mask:0xf
	s_delay_alu instid0(VALU_DEP_3)
	v_cmpx_ne_u32_e32 0, v19
; %bb.39:
	s_delay_alu instid0(VALU_DEP_3) | instskip(SKIP_1) | instid1(VALU_DEP_2)
	v_add_co_u32 v20, vcc_lo, v15, v24
	v_add_co_ci_u32_e32 v16, vcc_lo, 0, v16, vcc_lo
	v_add_co_u32 v15, vcc_lo, 0, v20
	s_delay_alu instid0(VALU_DEP_2)
	v_add_co_ci_u32_e32 v16, vcc_lo, v23, v16, vcc_lo
; %bb.40:
	s_or_b32 exec_lo, exec_lo, s10
	v_mov_b32_dpp v23, v20 row_shr:2 row_mask:0xf bank_mask:0xf
	s_delay_alu instid0(VALU_DEP_2)
	v_mov_b32_dpp v20, v16 row_shr:2 row_mask:0xf bank_mask:0xf
	s_mov_b32 s10, exec_lo
	v_cmpx_lt_u32_e32 1, v19
; %bb.41:
	s_delay_alu instid0(VALU_DEP_3) | instskip(SKIP_1) | instid1(VALU_DEP_2)
	v_add_co_u32 v15, vcc_lo, v15, v23
	v_add_co_ci_u32_e32 v16, vcc_lo, 0, v16, vcc_lo
	v_add_co_u32 v15, vcc_lo, v15, 0
	s_delay_alu instid0(VALU_DEP_2)
	v_add_co_ci_u32_e32 v16, vcc_lo, v16, v20, vcc_lo
; %bb.42:
	s_or_b32 exec_lo, exec_lo, s10
	ds_store_b64 v18, v[15:16]
.LBB148_43:
	s_or_b32 exec_lo, exec_lo, s1
	v_cmp_gt_u32_e32 vcc_lo, 32, v0
	s_mov_b32 s10, exec_lo
	s_waitcnt lgkmcnt(0)
	s_barrier
	buffer_gl0_inv
                                        ; implicit-def: $vgpr23_vgpr24
	v_cmpx_lt_u32_e32 31, v0
	s_cbranch_execz .LBB148_45
; %bb.44:
	v_lshl_add_u32 v13, v13, 3, -8
	ds_load_b64 v[23:24], v13
	s_waitcnt lgkmcnt(0)
	v_add_co_u32 v17, s1, v17, v23
	s_delay_alu instid0(VALU_DEP_1)
	v_add_co_ci_u32_e64 v14, s1, v14, v24, s1
.LBB148_45:
	s_or_b32 exec_lo, exec_lo, s10
	v_add_nc_u32_e32 v13, -1, v42
	s_delay_alu instid0(VALU_DEP_1) | instskip(NEXT) | instid1(VALU_DEP_1)
	v_cmp_gt_i32_e64 s1, 0, v13
	v_cndmask_b32_e64 v13, v13, v42, s1
	v_cmp_eq_u32_e64 s1, 0, v42
	s_delay_alu instid0(VALU_DEP_2)
	v_lshlrev_b32_e32 v13, 2, v13
	ds_bpermute_b32 v29, v13, v17
	ds_bpermute_b32 v30, v13, v14
	s_and_saveexec_b32 s10, vcc_lo
	s_cbranch_execz .LBB148_83
; %bb.46:
	v_mov_b32_e32 v16, 0
	ds_load_b64 v[13:14], v16 offset:24
	s_and_saveexec_b32 s11, s1
	s_cbranch_execz .LBB148_48
; %bb.47:
	s_add_i32 s16, s9, 32
	s_mov_b32 s17, 0
	s_delay_alu instid0(SALU_CYCLE_1) | instskip(NEXT) | instid1(SALU_CYCLE_1)
	s_lshl_b64 s[16:17], s[16:17], 4
	s_add_u32 s16, s14, s16
	s_addc_u32 s17, s15, s17
	s_delay_alu instid0(SALU_CYCLE_1)
	v_dual_mov_b32 v15, 1 :: v_dual_mov_b32 v18, s17
	v_mov_b32_e32 v17, s16
	s_waitcnt lgkmcnt(0)
	;;#ASMSTART
	global_store_dwordx4 v[17:18], v[13:16] off	
s_waitcnt vmcnt(0)
	;;#ASMEND
.LBB148_48:
	s_or_b32 exec_lo, exec_lo, s11
	v_xad_u32 v25, v42, -1, s9
	s_mov_b32 s16, 0
	s_mov_b32 s11, exec_lo
	s_delay_alu instid0(VALU_DEP_1) | instskip(NEXT) | instid1(VALU_DEP_1)
	v_add_nc_u32_e32 v15, 32, v25
	v_lshlrev_b64 v[15:16], 4, v[15:16]
	s_delay_alu instid0(VALU_DEP_1) | instskip(NEXT) | instid1(VALU_DEP_2)
	v_add_co_u32 v15, vcc_lo, s14, v15
	v_add_co_ci_u32_e32 v16, vcc_lo, s15, v16, vcc_lo
	;;#ASMSTART
	global_load_dwordx4 v[17:20], v[15:16] off glc	
s_waitcnt vmcnt(0)
	;;#ASMEND
	v_and_b32_e32 v20, 0xff, v18
	v_and_b32_e32 v26, 0xff00, v18
	v_or3_b32 v17, v17, 0, 0
	v_and_b32_e32 v27, 0xff000000, v18
	v_and_b32_e32 v18, 0xff0000, v18
	s_delay_alu instid0(VALU_DEP_4) | instskip(SKIP_2) | instid1(VALU_DEP_3)
	v_or3_b32 v20, 0, v20, v26
	v_and_b32_e32 v26, 0xff, v19
	v_or3_b32 v17, v17, 0, 0
	v_or3_b32 v18, v20, v18, v27
	s_delay_alu instid0(VALU_DEP_3)
	v_cmpx_eq_u16_e32 0, v26
	s_cbranch_execz .LBB148_51
.LBB148_49:                             ; =>This Inner Loop Header: Depth=1
	;;#ASMSTART
	global_load_dwordx4 v[17:20], v[15:16] off glc	
s_waitcnt vmcnt(0)
	;;#ASMEND
	v_and_b32_e32 v20, 0xff, v19
	s_delay_alu instid0(VALU_DEP_1) | instskip(SKIP_1) | instid1(SALU_CYCLE_1)
	v_cmp_ne_u16_e32 vcc_lo, 0, v20
	s_or_b32 s16, vcc_lo, s16
	s_and_not1_b32 exec_lo, exec_lo, s16
	s_cbranch_execnz .LBB148_49
; %bb.50:
	s_or_b32 exec_lo, exec_lo, s16
.LBB148_51:
	s_delay_alu instid0(SALU_CYCLE_1)
	s_or_b32 exec_lo, exec_lo, s11
	v_cmp_ne_u32_e32 vcc_lo, 31, v42
	v_and_b32_e32 v16, 0xff, v19
	v_lshlrev_b32_e64 v46, v42, -1
	s_mov_b32 s11, exec_lo
	v_add_co_ci_u32_e32 v15, vcc_lo, 0, v42, vcc_lo
	s_delay_alu instid0(VALU_DEP_3) | instskip(NEXT) | instid1(VALU_DEP_2)
	v_cmp_eq_u16_e32 vcc_lo, 2, v16
	v_dual_mov_b32 v16, v17 :: v_dual_lshlrev_b32 v45, 2, v15
	v_and_or_b32 v15, vcc_lo, v46, 0x80000000
	ds_bpermute_b32 v26, v45, v17
	ds_bpermute_b32 v20, v45, v18
	v_ctz_i32_b32_e32 v15, v15
	s_delay_alu instid0(VALU_DEP_1)
	v_cmpx_lt_u32_e64 v42, v15
	s_cbranch_execz .LBB148_53
; %bb.52:
	s_waitcnt lgkmcnt(1)
	v_add_co_u32 v16, vcc_lo, v17, v26
	v_add_co_ci_u32_e32 v18, vcc_lo, 0, v18, vcc_lo
	s_delay_alu instid0(VALU_DEP_2) | instskip(SKIP_1) | instid1(VALU_DEP_2)
	v_add_co_u32 v17, vcc_lo, 0, v16
	s_waitcnt lgkmcnt(0)
	v_add_co_ci_u32_e32 v18, vcc_lo, v20, v18, vcc_lo
.LBB148_53:
	s_or_b32 exec_lo, exec_lo, s11
	v_cmp_gt_u32_e32 vcc_lo, 30, v42
	v_add_nc_u32_e32 v48, 2, v42
	s_mov_b32 s11, exec_lo
	s_waitcnt lgkmcnt(0)
	v_cndmask_b32_e64 v20, 0, 1, vcc_lo
	s_delay_alu instid0(VALU_DEP_1) | instskip(NEXT) | instid1(VALU_DEP_1)
	v_lshlrev_b32_e32 v20, 1, v20
	v_add_lshl_u32 v47, v20, v42, 2
	ds_bpermute_b32 v26, v47, v16
	ds_bpermute_b32 v20, v47, v18
	v_cmpx_le_u32_e64 v48, v15
	s_cbranch_execz .LBB148_55
; %bb.54:
	s_waitcnt lgkmcnt(1)
	v_add_co_u32 v16, vcc_lo, v17, v26
	v_add_co_ci_u32_e32 v18, vcc_lo, 0, v18, vcc_lo
	s_delay_alu instid0(VALU_DEP_2) | instskip(SKIP_1) | instid1(VALU_DEP_2)
	v_add_co_u32 v17, vcc_lo, 0, v16
	s_waitcnt lgkmcnt(0)
	v_add_co_ci_u32_e32 v18, vcc_lo, v20, v18, vcc_lo
.LBB148_55:
	s_or_b32 exec_lo, exec_lo, s11
	v_cmp_gt_u32_e32 vcc_lo, 28, v42
	v_add_nc_u32_e32 v50, 4, v42
	s_mov_b32 s11, exec_lo
	s_waitcnt lgkmcnt(0)
	v_cndmask_b32_e64 v20, 0, 1, vcc_lo
	s_delay_alu instid0(VALU_DEP_1) | instskip(NEXT) | instid1(VALU_DEP_1)
	v_lshlrev_b32_e32 v20, 2, v20
	v_add_lshl_u32 v49, v20, v42, 2
	ds_bpermute_b32 v26, v49, v16
	ds_bpermute_b32 v20, v49, v18
	v_cmpx_le_u32_e64 v50, v15
	;; [unrolled: 22-line block ×4, first 2 shown]
	s_cbranch_execz .LBB148_61
; %bb.60:
	s_waitcnt lgkmcnt(1)
	v_add_co_u32 v15, vcc_lo, v17, v20
	v_add_co_ci_u32_e32 v18, vcc_lo, 0, v18, vcc_lo
	s_delay_alu instid0(VALU_DEP_2) | instskip(SKIP_1) | instid1(VALU_DEP_2)
	v_add_co_u32 v17, vcc_lo, v15, 0
	s_waitcnt lgkmcnt(0)
	v_add_co_ci_u32_e32 v18, vcc_lo, v18, v16, vcc_lo
.LBB148_61:
	s_or_b32 exec_lo, exec_lo, s11
	v_mov_b32_e32 v26, 0
	s_branch .LBB148_63
.LBB148_62:                             ;   in Loop: Header=BB148_63 Depth=1
	s_or_b32 exec_lo, exec_lo, s11
	v_add_co_u32 v17, vcc_lo, v17, v15
	v_subrev_nc_u32_e32 v25, 32, v25
	v_add_co_ci_u32_e32 v18, vcc_lo, v18, v16, vcc_lo
.LBB148_63:                             ; =>This Loop Header: Depth=1
                                        ;     Child Loop BB148_66 Depth 2
	v_and_b32_e32 v15, 0xff, v19
	s_delay_alu instid0(VALU_DEP_1) | instskip(SKIP_2) | instid1(VALU_DEP_1)
	v_cmp_ne_u16_e32 vcc_lo, 2, v15
	v_cndmask_b32_e64 v15, 0, 1, vcc_lo
	;;#ASMSTART
	;;#ASMEND
	v_cmp_ne_u32_e32 vcc_lo, 0, v15
	s_waitcnt lgkmcnt(0)
	v_dual_mov_b32 v15, v17 :: v_dual_mov_b32 v16, v18
	s_cmp_lg_u32 vcc_lo, exec_lo
	s_cbranch_scc1 .LBB148_78
; %bb.64:                               ;   in Loop: Header=BB148_63 Depth=1
	v_lshlrev_b64 v[17:18], 4, v[25:26]
	s_mov_b32 s11, exec_lo
	s_delay_alu instid0(VALU_DEP_1) | instskip(NEXT) | instid1(VALU_DEP_2)
	v_add_co_u32 v27, vcc_lo, s14, v17
	v_add_co_ci_u32_e32 v28, vcc_lo, s15, v18, vcc_lo
	;;#ASMSTART
	global_load_dwordx4 v[17:20], v[27:28] off glc	
s_waitcnt vmcnt(0)
	;;#ASMEND
	v_and_b32_e32 v20, 0xff, v18
	v_and_b32_e32 v55, 0xff00, v18
	v_or3_b32 v17, v17, 0, 0
	v_and_b32_e32 v56, 0xff000000, v18
	v_and_b32_e32 v18, 0xff0000, v18
	s_delay_alu instid0(VALU_DEP_4) | instskip(SKIP_2) | instid1(VALU_DEP_3)
	v_or3_b32 v20, 0, v20, v55
	v_and_b32_e32 v55, 0xff, v19
	v_or3_b32 v17, v17, 0, 0
	v_or3_b32 v18, v20, v18, v56
	s_delay_alu instid0(VALU_DEP_3)
	v_cmpx_eq_u16_e32 0, v55
	s_cbranch_execz .LBB148_68
; %bb.65:                               ;   in Loop: Header=BB148_63 Depth=1
	s_mov_b32 s16, 0
.LBB148_66:                             ;   Parent Loop BB148_63 Depth=1
                                        ; =>  This Inner Loop Header: Depth=2
	;;#ASMSTART
	global_load_dwordx4 v[17:20], v[27:28] off glc	
s_waitcnt vmcnt(0)
	;;#ASMEND
	v_and_b32_e32 v20, 0xff, v19
	s_delay_alu instid0(VALU_DEP_1) | instskip(SKIP_1) | instid1(SALU_CYCLE_1)
	v_cmp_ne_u16_e32 vcc_lo, 0, v20
	s_or_b32 s16, vcc_lo, s16
	s_and_not1_b32 exec_lo, exec_lo, s16
	s_cbranch_execnz .LBB148_66
; %bb.67:                               ;   in Loop: Header=BB148_63 Depth=1
	s_or_b32 exec_lo, exec_lo, s16
.LBB148_68:                             ;   in Loop: Header=BB148_63 Depth=1
	s_delay_alu instid0(SALU_CYCLE_1)
	s_or_b32 exec_lo, exec_lo, s11
	v_dual_mov_b32 v27, v17 :: v_dual_and_b32 v20, 0xff, v19
	ds_bpermute_b32 v55, v45, v17
	ds_bpermute_b32 v28, v45, v18
	s_mov_b32 s11, exec_lo
	v_cmp_eq_u16_e32 vcc_lo, 2, v20
	v_and_or_b32 v20, vcc_lo, v46, 0x80000000
	s_delay_alu instid0(VALU_DEP_1) | instskip(NEXT) | instid1(VALU_DEP_1)
	v_ctz_i32_b32_e32 v20, v20
	v_cmpx_lt_u32_e64 v42, v20
	s_cbranch_execz .LBB148_70
; %bb.69:                               ;   in Loop: Header=BB148_63 Depth=1
	s_waitcnt lgkmcnt(1)
	v_add_co_u32 v27, vcc_lo, v17, v55
	v_add_co_ci_u32_e32 v18, vcc_lo, 0, v18, vcc_lo
	s_delay_alu instid0(VALU_DEP_2) | instskip(SKIP_1) | instid1(VALU_DEP_2)
	v_add_co_u32 v17, vcc_lo, 0, v27
	s_waitcnt lgkmcnt(0)
	v_add_co_ci_u32_e32 v18, vcc_lo, v28, v18, vcc_lo
.LBB148_70:                             ;   in Loop: Header=BB148_63 Depth=1
	s_or_b32 exec_lo, exec_lo, s11
	s_waitcnt lgkmcnt(1)
	ds_bpermute_b32 v55, v47, v27
	s_waitcnt lgkmcnt(1)
	ds_bpermute_b32 v28, v47, v18
	s_mov_b32 s11, exec_lo
	v_cmpx_le_u32_e64 v48, v20
	s_cbranch_execz .LBB148_72
; %bb.71:                               ;   in Loop: Header=BB148_63 Depth=1
	s_waitcnt lgkmcnt(1)
	v_add_co_u32 v27, vcc_lo, v17, v55
	v_add_co_ci_u32_e32 v18, vcc_lo, 0, v18, vcc_lo
	s_delay_alu instid0(VALU_DEP_2) | instskip(SKIP_1) | instid1(VALU_DEP_2)
	v_add_co_u32 v17, vcc_lo, 0, v27
	s_waitcnt lgkmcnt(0)
	v_add_co_ci_u32_e32 v18, vcc_lo, v28, v18, vcc_lo
.LBB148_72:                             ;   in Loop: Header=BB148_63 Depth=1
	s_or_b32 exec_lo, exec_lo, s11
	s_waitcnt lgkmcnt(1)
	ds_bpermute_b32 v55, v49, v27
	s_waitcnt lgkmcnt(1)
	ds_bpermute_b32 v28, v49, v18
	s_mov_b32 s11, exec_lo
	v_cmpx_le_u32_e64 v50, v20
	s_cbranch_execz .LBB148_74
; %bb.73:                               ;   in Loop: Header=BB148_63 Depth=1
	s_waitcnt lgkmcnt(1)
	v_add_co_u32 v27, vcc_lo, v17, v55
	v_add_co_ci_u32_e32 v18, vcc_lo, 0, v18, vcc_lo
	s_delay_alu instid0(VALU_DEP_2) | instskip(SKIP_1) | instid1(VALU_DEP_2)
	v_add_co_u32 v17, vcc_lo, 0, v27
	s_waitcnt lgkmcnt(0)
	v_add_co_ci_u32_e32 v18, vcc_lo, v28, v18, vcc_lo
.LBB148_74:                             ;   in Loop: Header=BB148_63 Depth=1
	s_or_b32 exec_lo, exec_lo, s11
	s_waitcnt lgkmcnt(1)
	ds_bpermute_b32 v55, v51, v27
	s_waitcnt lgkmcnt(1)
	ds_bpermute_b32 v28, v51, v18
	s_mov_b32 s11, exec_lo
	v_cmpx_le_u32_e64 v52, v20
	s_cbranch_execz .LBB148_76
; %bb.75:                               ;   in Loop: Header=BB148_63 Depth=1
	s_waitcnt lgkmcnt(1)
	v_add_co_u32 v27, vcc_lo, v17, v55
	v_add_co_ci_u32_e32 v18, vcc_lo, 0, v18, vcc_lo
	s_delay_alu instid0(VALU_DEP_2) | instskip(SKIP_1) | instid1(VALU_DEP_2)
	v_add_co_u32 v17, vcc_lo, 0, v27
	s_waitcnt lgkmcnt(0)
	v_add_co_ci_u32_e32 v18, vcc_lo, v28, v18, vcc_lo
.LBB148_76:                             ;   in Loop: Header=BB148_63 Depth=1
	s_or_b32 exec_lo, exec_lo, s11
	s_waitcnt lgkmcnt(0)
	ds_bpermute_b32 v28, v53, v27
	ds_bpermute_b32 v27, v53, v18
	s_mov_b32 s11, exec_lo
	v_cmpx_le_u32_e64 v54, v20
	s_cbranch_execz .LBB148_62
; %bb.77:                               ;   in Loop: Header=BB148_63 Depth=1
	s_waitcnt lgkmcnt(1)
	v_add_co_u32 v17, vcc_lo, v17, v28
	v_add_co_ci_u32_e32 v18, vcc_lo, 0, v18, vcc_lo
	s_delay_alu instid0(VALU_DEP_2) | instskip(SKIP_1) | instid1(VALU_DEP_2)
	v_add_co_u32 v17, vcc_lo, v17, 0
	s_waitcnt lgkmcnt(0)
	v_add_co_ci_u32_e32 v18, vcc_lo, v18, v27, vcc_lo
	s_branch .LBB148_62
.LBB148_78:                             ;   in Loop: Header=BB148_63 Depth=1
                                        ; implicit-def: $vgpr17_vgpr18
	s_cbranch_execz .LBB148_63
; %bb.79:
	s_and_saveexec_b32 s11, s1
	s_cbranch_execz .LBB148_81
; %bb.80:
	s_add_i32 s16, s9, 32
	s_mov_b32 s17, 0
	v_add_co_u32 v17, vcc_lo, v15, v13
	s_lshl_b64 s[16:17], s[16:17], 4
	v_dual_mov_b32 v19, 2 :: v_dual_mov_b32 v20, 0
	s_add_u32 s16, s14, s16
	s_addc_u32 s17, s15, s17
	v_add_co_ci_u32_e32 v18, vcc_lo, v16, v14, vcc_lo
	v_dual_mov_b32 v26, s17 :: v_dual_mov_b32 v25, s16
	;;#ASMSTART
	global_store_dwordx4 v[25:26], v[17:20] off	
s_waitcnt vmcnt(0)
	;;#ASMEND
	ds_store_b128 v20, v[13:16] offset:6144
.LBB148_81:
	s_or_b32 exec_lo, exec_lo, s11
	s_delay_alu instid0(SALU_CYCLE_1)
	s_and_b32 exec_lo, exec_lo, s2
	s_cbranch_execz .LBB148_83
; %bb.82:
	v_mov_b32_e32 v13, 0
	ds_store_b64 v13, v[15:16] offset:24
.LBB148_83:
	s_or_b32 exec_lo, exec_lo, s10
	v_mov_b32_e32 v15, 0
	s_waitcnt lgkmcnt(0)
	s_barrier
	buffer_gl0_inv
	v_cndmask_b32_e64 v16, v29, v23, s1
	ds_load_b64 v[13:14], v15 offset:24
	v_cndmask_b32_e64 v17, v30, v24, s1
	s_waitcnt lgkmcnt(0)
	s_barrier
	v_cndmask_b32_e64 v16, v16, 0, s2
	buffer_gl0_inv
	v_cndmask_b32_e64 v17, v17, 0, s2
	v_add_co_u32 v29, vcc_lo, v13, v16
	s_delay_alu instid0(VALU_DEP_2) | instskip(SKIP_3) | instid1(VALU_DEP_2)
	v_add_co_ci_u32_e32 v30, vcc_lo, v14, v17, vcc_lo
	ds_load_b128 v[13:16], v15 offset:6144
	v_add_co_u32 v27, vcc_lo, v29, v41
	v_add_co_ci_u32_e32 v28, vcc_lo, 0, v30, vcc_lo
	v_add_co_u32 v25, vcc_lo, v27, v40
	s_delay_alu instid0(VALU_DEP_2) | instskip(NEXT) | instid1(VALU_DEP_2)
	v_add_co_ci_u32_e32 v26, vcc_lo, 0, v28, vcc_lo
	v_add_co_u32 v23, vcc_lo, v25, v39
	s_delay_alu instid0(VALU_DEP_2) | instskip(NEXT) | instid1(VALU_DEP_2)
	;; [unrolled: 3-line block ×3, first 2 shown]
	v_add_co_ci_u32_e32 v20, vcc_lo, 0, v24, vcc_lo
	v_add_co_u32 v17, vcc_lo, v19, v37
	s_delay_alu instid0(VALU_DEP_2)
	v_add_co_ci_u32_e32 v18, vcc_lo, 0, v20, vcc_lo
.LBB148_84:
	s_waitcnt lgkmcnt(0)
	v_cmp_gt_u64_e32 vcc_lo, 0x81, v[13:14]
	s_mov_b32 s0, -1
	s_cbranch_vccnz .LBB148_112
.LBB148_85:
	s_and_b32 vcc_lo, exec_lo, s0
	s_cbranch_vccnz .LBB148_131
.LBB148_86:
	s_and_b32 s0, s2, s3
	s_delay_alu instid0(SALU_CYCLE_1)
	s_and_saveexec_b32 s1, s0
	s_cbranch_execnz .LBB148_147
.LBB148_87:
	s_nop 0
	s_sendmsg sendmsg(MSG_DEALLOC_VGPRS)
	s_endpgm
.LBB148_88:
                                        ; kill: def $vgpr13_vgpr14 killed $sgpr0_sgpr1 killed $exec
                                        ; implicit-def: $vgpr17_vgpr18
                                        ; implicit-def: $vgpr19_vgpr20
                                        ; implicit-def: $vgpr23_vgpr24
                                        ; implicit-def: $vgpr25_vgpr26
                                        ; implicit-def: $vgpr27_vgpr28
                                        ; implicit-def: $vgpr29_vgpr30
                                        ; implicit-def: $vgpr15_vgpr16
	s_and_b32 vcc_lo, exec_lo, s1
	s_cbranch_vccz .LBB148_84
; %bb.89:
	s_waitcnt lgkmcnt(0)
	v_dual_mov_b32 v14, 0 :: v_dual_mov_b32 v15, v21
	v_mov_b32_dpp v16, v21 row_shr:1 row_mask:0xf bank_mask:0xf
	s_delay_alu instid0(VALU_DEP_2)
	v_mov_b32_dpp v13, v14 row_shr:1 row_mask:0xf bank_mask:0xf
	s_and_saveexec_b32 s1, s0
; %bb.90:
	s_delay_alu instid0(VALU_DEP_2) | instskip(SKIP_1) | instid1(VALU_DEP_2)
	v_add_co_u32 v15, vcc_lo, v21, v16
	v_add_co_ci_u32_e32 v14, vcc_lo, 0, v22, vcc_lo
	v_add_co_u32 v21, vcc_lo, 0, v15
	s_delay_alu instid0(VALU_DEP_2) | instskip(NEXT) | instid1(VALU_DEP_1)
	v_add_co_ci_u32_e32 v22, vcc_lo, v13, v14, vcc_lo
	v_mov_b32_e32 v14, v22
; %bb.91:
	s_or_b32 exec_lo, exec_lo, s1
	v_mov_b32_dpp v13, v15 row_shr:2 row_mask:0xf bank_mask:0xf
	s_delay_alu instid0(VALU_DEP_2)
	v_mov_b32_dpp v16, v14 row_shr:2 row_mask:0xf bank_mask:0xf
	s_mov_b32 s0, exec_lo
	v_cmpx_lt_u32_e32 1, v44
; %bb.92:
	s_delay_alu instid0(VALU_DEP_3) | instskip(SKIP_1) | instid1(VALU_DEP_2)
	v_add_co_u32 v15, vcc_lo, v21, v13
	v_add_co_ci_u32_e32 v14, vcc_lo, 0, v22, vcc_lo
	v_add_co_u32 v13, vcc_lo, 0, v15
	s_delay_alu instid0(VALU_DEP_2) | instskip(NEXT) | instid1(VALU_DEP_1)
	v_add_co_ci_u32_e32 v14, vcc_lo, v16, v14, vcc_lo
	v_dual_mov_b32 v22, v14 :: v_dual_mov_b32 v21, v13
; %bb.93:
	s_or_b32 exec_lo, exec_lo, s0
	v_mov_b32_dpp v13, v15 row_shr:4 row_mask:0xf bank_mask:0xf
	v_mov_b32_dpp v16, v14 row_shr:4 row_mask:0xf bank_mask:0xf
	s_mov_b32 s0, exec_lo
	v_cmpx_lt_u32_e32 3, v44
; %bb.94:
	s_delay_alu instid0(VALU_DEP_3) | instskip(SKIP_1) | instid1(VALU_DEP_2)
	v_add_co_u32 v15, vcc_lo, v21, v13
	v_add_co_ci_u32_e32 v14, vcc_lo, 0, v22, vcc_lo
	v_add_co_u32 v13, vcc_lo, 0, v15
	s_delay_alu instid0(VALU_DEP_2) | instskip(NEXT) | instid1(VALU_DEP_1)
	v_add_co_ci_u32_e32 v14, vcc_lo, v16, v14, vcc_lo
	v_dual_mov_b32 v22, v14 :: v_dual_mov_b32 v21, v13
; %bb.95:
	s_or_b32 exec_lo, exec_lo, s0
	v_mov_b32_dpp v16, v15 row_shr:8 row_mask:0xf bank_mask:0xf
	v_mov_b32_dpp v13, v14 row_shr:8 row_mask:0xf bank_mask:0xf
	s_mov_b32 s0, exec_lo
	v_cmpx_lt_u32_e32 7, v44
; %bb.96:
	s_delay_alu instid0(VALU_DEP_3) | instskip(SKIP_1) | instid1(VALU_DEP_2)
	v_add_co_u32 v15, vcc_lo, v21, v16
	v_add_co_ci_u32_e32 v14, vcc_lo, 0, v22, vcc_lo
	v_add_co_u32 v21, vcc_lo, 0, v15
	s_delay_alu instid0(VALU_DEP_2) | instskip(NEXT) | instid1(VALU_DEP_1)
	v_add_co_ci_u32_e32 v22, vcc_lo, v13, v14, vcc_lo
	v_mov_b32_e32 v14, v22
; %bb.97:
	s_or_b32 exec_lo, exec_lo, s0
	ds_swizzle_b32 v15, v15 offset:swizzle(BROADCAST,32,15)
	ds_swizzle_b32 v13, v14 offset:swizzle(BROADCAST,32,15)
	v_and_b32_e32 v14, 16, v42
	s_mov_b32 s0, exec_lo
	s_delay_alu instid0(VALU_DEP_1)
	v_cmpx_ne_u32_e32 0, v14
	s_cbranch_execz .LBB148_99
; %bb.98:
	s_waitcnt lgkmcnt(1)
	v_add_co_u32 v14, vcc_lo, v21, v15
	v_add_co_ci_u32_e32 v15, vcc_lo, 0, v22, vcc_lo
	s_delay_alu instid0(VALU_DEP_2) | instskip(SKIP_1) | instid1(VALU_DEP_2)
	v_add_co_u32 v21, vcc_lo, v14, 0
	s_waitcnt lgkmcnt(0)
	v_add_co_ci_u32_e32 v22, vcc_lo, v15, v13, vcc_lo
.LBB148_99:
	s_or_b32 exec_lo, exec_lo, s0
	s_waitcnt lgkmcnt(0)
	v_or_b32_e32 v13, 31, v0
	v_lshrrev_b32_e32 v15, 5, v0
	s_mov_b32 s0, exec_lo
	s_delay_alu instid0(VALU_DEP_2)
	v_cmpx_eq_u32_e64 v13, v0
	s_cbranch_execz .LBB148_101
; %bb.100:
	s_delay_alu instid0(VALU_DEP_2)
	v_lshlrev_b32_e32 v13, 3, v15
	ds_store_b64 v13, v[21:22]
.LBB148_101:
	s_or_b32 exec_lo, exec_lo, s0
	s_delay_alu instid0(SALU_CYCLE_1)
	s_mov_b32 s0, exec_lo
	s_waitcnt lgkmcnt(0)
	s_barrier
	buffer_gl0_inv
	v_cmpx_gt_u32_e32 4, v0
	s_cbranch_execz .LBB148_107
; %bb.102:
	v_lshlrev_b32_e32 v13, 1, v0
	s_mov_b32 s1, exec_lo
	s_delay_alu instid0(VALU_DEP_1)
	v_add_nc_u32_e32 v16, v43, v13
	ds_load_b64 v[13:14], v16
	s_waitcnt lgkmcnt(0)
	v_dual_mov_b32 v18, v13 :: v_dual_and_b32 v17, 3, v42
	v_mov_b32_dpp v20, v13 row_shr:1 row_mask:0xf bank_mask:0xf
	v_mov_b32_dpp v19, v14 row_shr:1 row_mask:0xf bank_mask:0xf
	s_delay_alu instid0(VALU_DEP_3)
	v_cmpx_ne_u32_e32 0, v17
; %bb.103:
	s_delay_alu instid0(VALU_DEP_3) | instskip(SKIP_1) | instid1(VALU_DEP_2)
	v_add_co_u32 v18, vcc_lo, v13, v20
	v_add_co_ci_u32_e32 v14, vcc_lo, 0, v14, vcc_lo
	v_add_co_u32 v13, vcc_lo, 0, v18
	s_delay_alu instid0(VALU_DEP_2)
	v_add_co_ci_u32_e32 v14, vcc_lo, v19, v14, vcc_lo
; %bb.104:
	s_or_b32 exec_lo, exec_lo, s1
	v_mov_b32_dpp v19, v18 row_shr:2 row_mask:0xf bank_mask:0xf
	s_delay_alu instid0(VALU_DEP_2)
	v_mov_b32_dpp v18, v14 row_shr:2 row_mask:0xf bank_mask:0xf
	s_mov_b32 s1, exec_lo
	v_cmpx_lt_u32_e32 1, v17
; %bb.105:
	s_delay_alu instid0(VALU_DEP_3) | instskip(SKIP_1) | instid1(VALU_DEP_2)
	v_add_co_u32 v13, vcc_lo, v13, v19
	v_add_co_ci_u32_e32 v14, vcc_lo, 0, v14, vcc_lo
	v_add_co_u32 v13, vcc_lo, v13, 0
	s_delay_alu instid0(VALU_DEP_2)
	v_add_co_ci_u32_e32 v14, vcc_lo, v14, v18, vcc_lo
; %bb.106:
	s_or_b32 exec_lo, exec_lo, s1
	ds_store_b64 v16, v[13:14]
.LBB148_107:
	s_or_b32 exec_lo, exec_lo, s0
	v_mov_b32_e32 v17, 0
	v_mov_b32_e32 v18, 0
	s_mov_b32 s0, exec_lo
	s_waitcnt lgkmcnt(0)
	s_barrier
	buffer_gl0_inv
	v_cmpx_lt_u32_e32 31, v0
	s_cbranch_execz .LBB148_109
; %bb.108:
	v_lshl_add_u32 v13, v15, 3, -8
	ds_load_b64 v[17:18], v13
.LBB148_109:
	s_or_b32 exec_lo, exec_lo, s0
	v_dual_mov_b32 v16, 0 :: v_dual_add_nc_u32 v13, -1, v42
	s_delay_alu instid0(VALU_DEP_1) | instskip(SKIP_4) | instid1(VALU_DEP_3)
	v_cmp_gt_i32_e32 vcc_lo, 0, v13
	v_cndmask_b32_e32 v13, v13, v42, vcc_lo
	s_waitcnt lgkmcnt(0)
	v_add_co_u32 v14, vcc_lo, v17, v21
	v_add_co_ci_u32_e32 v15, vcc_lo, v18, v22, vcc_lo
	v_lshlrev_b32_e32 v13, 2, v13
	ds_bpermute_b32 v19, v13, v14
	ds_bpermute_b32 v20, v13, v15
	ds_load_b64 v[13:14], v16 offset:24
	s_and_saveexec_b32 s0, s2
	s_cbranch_execz .LBB148_111
; %bb.110:
	s_add_u32 s10, s14, 0x200
	s_addc_u32 s11, s15, 0
	s_delay_alu instid0(SALU_CYCLE_1)
	v_dual_mov_b32 v15, 2 :: v_dual_mov_b32 v22, s11
	v_mov_b32_e32 v21, s10
	s_waitcnt lgkmcnt(0)
	;;#ASMSTART
	global_store_dwordx4 v[21:22], v[13:16] off	
s_waitcnt vmcnt(0)
	;;#ASMEND
.LBB148_111:
	s_or_b32 exec_lo, exec_lo, s0
	v_cmp_eq_u32_e32 vcc_lo, 0, v42
	s_waitcnt lgkmcnt(0)
	s_barrier
	buffer_gl0_inv
	v_dual_cndmask_b32 v15, v19, v17 :: v_dual_cndmask_b32 v16, v20, v18
	s_delay_alu instid0(VALU_DEP_1) | instskip(NEXT) | instid1(VALU_DEP_2)
	v_cndmask_b32_e64 v29, v15, 0, s2
	v_cndmask_b32_e64 v30, v16, 0, s2
	v_mov_b32_e32 v15, 0
	v_mov_b32_e32 v16, 0
	s_delay_alu instid0(VALU_DEP_4) | instskip(NEXT) | instid1(VALU_DEP_4)
	v_add_co_u32 v27, vcc_lo, v29, v41
	v_add_co_ci_u32_e32 v28, vcc_lo, 0, v30, vcc_lo
	s_delay_alu instid0(VALU_DEP_2) | instskip(NEXT) | instid1(VALU_DEP_2)
	v_add_co_u32 v25, vcc_lo, v27, v40
	v_add_co_ci_u32_e32 v26, vcc_lo, 0, v28, vcc_lo
	s_delay_alu instid0(VALU_DEP_2) | instskip(NEXT) | instid1(VALU_DEP_2)
	;; [unrolled: 3-line block ×4, first 2 shown]
	v_add_co_u32 v17, vcc_lo, v19, v37
	v_add_co_ci_u32_e32 v18, vcc_lo, 0, v20, vcc_lo
	v_cmp_gt_u64_e32 vcc_lo, 0x81, v[13:14]
	s_mov_b32 s0, -1
	s_cbranch_vccz .LBB148_85
.LBB148_112:
	v_add_co_u32 v21, vcc_lo, v15, v13
	v_add_co_ci_u32_e32 v22, vcc_lo, v16, v14, vcc_lo
	s_delay_alu instid0(VALU_DEP_1) | instskip(SKIP_1) | instid1(SALU_CYCLE_1)
	v_cmp_lt_u64_e32 vcc_lo, v[29:30], v[21:22]
	s_or_b32 s1, s8, vcc_lo
	s_and_saveexec_b32 s0, s1
	s_cbranch_execz .LBB148_115
; %bb.113:
	v_and_b32_e32 v37, 1, v36
	s_delay_alu instid0(VALU_DEP_1)
	v_cmp_eq_u32_e32 vcc_lo, 1, v37
	s_and_b32 exec_lo, exec_lo, vcc_lo
	s_cbranch_execz .LBB148_115
; %bb.114:
	v_lshlrev_b64 v[37:38], 3, v[29:30]
	s_lshl_b64 s[10:11], s[6:7], 3
	s_delay_alu instid0(SALU_CYCLE_1) | instskip(SKIP_1) | instid1(VALU_DEP_1)
	s_add_u32 s1, s12, s10
	s_addc_u32 s9, s13, s11
	v_add_co_u32 v37, vcc_lo, s1, v37
	s_delay_alu instid0(VALU_DEP_2)
	v_add_co_ci_u32_e32 v38, vcc_lo, s9, v38, vcc_lo
	global_store_b64 v[37:38], v[9:10], off
.LBB148_115:
	s_or_b32 exec_lo, exec_lo, s0
	v_cmp_lt_u64_e32 vcc_lo, v[27:28], v[21:22]
	s_or_b32 s1, s8, vcc_lo
	s_delay_alu instid0(SALU_CYCLE_1)
	s_and_saveexec_b32 s0, s1
	s_cbranch_execz .LBB148_118
; %bb.116:
	v_and_b32_e32 v30, 1, v34
	s_delay_alu instid0(VALU_DEP_1)
	v_cmp_eq_u32_e32 vcc_lo, 1, v30
	s_and_b32 exec_lo, exec_lo, vcc_lo
	s_cbranch_execz .LBB148_118
; %bb.117:
	v_lshlrev_b64 v[37:38], 3, v[27:28]
	s_lshl_b64 s[10:11], s[6:7], 3
	s_delay_alu instid0(SALU_CYCLE_1) | instskip(SKIP_1) | instid1(VALU_DEP_1)
	s_add_u32 s1, s12, s10
	s_addc_u32 s9, s13, s11
	v_add_co_u32 v37, vcc_lo, s1, v37
	s_delay_alu instid0(VALU_DEP_2)
	v_add_co_ci_u32_e32 v38, vcc_lo, s9, v38, vcc_lo
	global_store_b64 v[37:38], v[11:12], off
.LBB148_118:
	s_or_b32 exec_lo, exec_lo, s0
	v_cmp_lt_u64_e32 vcc_lo, v[25:26], v[21:22]
	s_or_b32 s1, s8, vcc_lo
	s_delay_alu instid0(SALU_CYCLE_1)
	;; [unrolled: 23-line block ×5, first 2 shown]
	s_and_saveexec_b32 s0, s1
	s_cbranch_execz .LBB148_130
; %bb.128:
	v_and_b32_e32 v20, 1, v32
	s_delay_alu instid0(VALU_DEP_1)
	v_cmp_eq_u32_e32 vcc_lo, 1, v20
	s_and_b32 exec_lo, exec_lo, vcc_lo
	s_cbranch_execz .LBB148_130
; %bb.129:
	v_lshlrev_b64 v[20:21], 3, v[17:18]
	s_lshl_b64 s[8:9], s[6:7], 3
	s_delay_alu instid0(SALU_CYCLE_1) | instskip(SKIP_1) | instid1(VALU_DEP_1)
	s_add_u32 s1, s12, s8
	s_addc_u32 s8, s13, s9
	v_add_co_u32 v20, vcc_lo, s1, v20
	s_delay_alu instid0(VALU_DEP_2)
	v_add_co_ci_u32_e32 v21, vcc_lo, s8, v21, vcc_lo
	global_store_b64 v[20:21], v[3:4], off
.LBB148_130:
	s_or_b32 exec_lo, exec_lo, s0
	s_branch .LBB148_86
.LBB148_131:
	v_and_b32_e32 v18, 1, v36
	s_mov_b32 s0, exec_lo
	s_delay_alu instid0(VALU_DEP_1)
	v_cmpx_eq_u32_e32 1, v18
	s_cbranch_execz .LBB148_133
; %bb.132:
	v_sub_nc_u32_e32 v18, v29, v15
	s_delay_alu instid0(VALU_DEP_1)
	v_lshlrev_b32_e32 v18, 3, v18
	ds_store_b64 v18, v[9:10]
.LBB148_133:
	s_or_b32 exec_lo, exec_lo, s0
	v_and_b32_e32 v9, 1, v34
	s_mov_b32 s0, exec_lo
	s_delay_alu instid0(VALU_DEP_1)
	v_cmpx_eq_u32_e32 1, v9
	s_cbranch_execz .LBB148_135
; %bb.134:
	v_sub_nc_u32_e32 v9, v27, v15
	s_delay_alu instid0(VALU_DEP_1)
	v_lshlrev_b32_e32 v9, 3, v9
	ds_store_b64 v9, v[11:12]
.LBB148_135:
	s_or_b32 exec_lo, exec_lo, s0
	;; [unrolled: 12-line block ×6, first 2 shown]
	v_mov_b32_e32 v1, 0
	s_mov_b32 s1, exec_lo
	s_waitcnt lgkmcnt(0)
	s_waitcnt_vscnt null, 0x0
	s_barrier
	buffer_gl0_inv
	v_cmpx_gt_u64_e64 v[13:14], v[0:1]
	s_cbranch_execz .LBB148_146
; %bb.144:
	v_lshlrev_b64 v[4:5], 3, v[15:16]
	s_lshl_b64 s[8:9], s[6:7], 3
	v_dual_mov_b32 v3, v1 :: v_dual_mov_b32 v2, v0
	v_or_b32_e32 v0, 0x80, v0
	s_delay_alu instid0(VALU_DEP_3) | instskip(NEXT) | instid1(VALU_DEP_4)
	v_add_co_u32 v4, vcc_lo, s12, v4
	v_add_co_ci_u32_e32 v5, vcc_lo, s13, v5, vcc_lo
	s_delay_alu instid0(VALU_DEP_2) | instskip(NEXT) | instid1(VALU_DEP_2)
	v_add_co_u32 v4, vcc_lo, v4, s8
	v_add_co_ci_u32_e32 v5, vcc_lo, s9, v5, vcc_lo
	s_mov_b32 s8, 0
	.p2align	6
.LBB148_145:                            ; =>This Inner Loop Header: Depth=1
	v_lshlrev_b32_e32 v6, 3, v2
	v_lshlrev_b64 v[8:9], 3, v[2:3]
	v_mov_b32_e32 v3, v1
	v_cmp_le_u64_e32 vcc_lo, v[13:14], v[0:1]
	v_mov_b32_e32 v2, v0
	ds_load_b64 v[6:7], v6
	v_add_nc_u32_e32 v0, 0x80, v0
	v_add_co_u32 v8, s0, v4, v8
	s_delay_alu instid0(VALU_DEP_1)
	v_add_co_ci_u32_e64 v9, s0, v5, v9, s0
	s_or_b32 s8, vcc_lo, s8
	s_waitcnt lgkmcnt(0)
	global_store_b64 v[8:9], v[6:7], off
	s_and_not1_b32 exec_lo, exec_lo, s8
	s_cbranch_execnz .LBB148_145
.LBB148_146:
	s_or_b32 exec_lo, exec_lo, s1
	s_and_b32 s0, s2, s3
	s_delay_alu instid0(SALU_CYCLE_1)
	s_and_saveexec_b32 s1, s0
	s_cbranch_execz .LBB148_87
.LBB148_147:
	v_add_co_u32 v0, vcc_lo, v15, v13
	v_add_co_ci_u32_e32 v1, vcc_lo, v16, v14, vcc_lo
	v_mov_b32_e32 v2, 0
	s_delay_alu instid0(VALU_DEP_3) | instskip(NEXT) | instid1(VALU_DEP_3)
	v_add_co_u32 v0, vcc_lo, v0, s6
	v_add_co_ci_u32_e32 v1, vcc_lo, s7, v1, vcc_lo
	global_store_b64 v2, v[0:1], s[4:5]
	s_nop 0
	s_sendmsg sendmsg(MSG_DEALLOC_VGPRS)
	s_endpgm
	.section	.rodata,"a",@progbits
	.p2align	6, 0x0
	.amdhsa_kernel _ZN7rocprim17ROCPRIM_400000_NS6detail17trampoline_kernelINS0_14default_configENS1_25partition_config_selectorILNS1_17partition_subalgoE5ElNS0_10empty_typeEbEEZZNS1_14partition_implILS5_5ELb0ES3_mN6hipcub16HIPCUB_304000_NS21CountingInputIteratorIllEEPS6_NSA_22TransformInputIteratorIbN2at6native12_GLOBAL__N_19NonZeroOpIaEEPKalEENS0_5tupleIJPlS6_EEENSN_IJSD_SD_EEES6_PiJS6_EEE10hipError_tPvRmT3_T4_T5_T6_T7_T9_mT8_P12ihipStream_tbDpT10_ENKUlT_T0_E_clISt17integral_constantIbLb0EES1A_IbLb1EEEEDaS16_S17_EUlS16_E_NS1_11comp_targetILNS1_3genE9ELNS1_11target_archE1100ELNS1_3gpuE3ELNS1_3repE0EEENS1_30default_config_static_selectorELNS0_4arch9wavefront6targetE0EEEvT1_
		.amdhsa_group_segment_fixed_size 6160
		.amdhsa_private_segment_fixed_size 0
		.amdhsa_kernarg_size 136
		.amdhsa_user_sgpr_count 15
		.amdhsa_user_sgpr_dispatch_ptr 0
		.amdhsa_user_sgpr_queue_ptr 0
		.amdhsa_user_sgpr_kernarg_segment_ptr 1
		.amdhsa_user_sgpr_dispatch_id 0
		.amdhsa_user_sgpr_private_segment_size 0
		.amdhsa_wavefront_size32 1
		.amdhsa_uses_dynamic_stack 0
		.amdhsa_enable_private_segment 0
		.amdhsa_system_sgpr_workgroup_id_x 1
		.amdhsa_system_sgpr_workgroup_id_y 0
		.amdhsa_system_sgpr_workgroup_id_z 0
		.amdhsa_system_sgpr_workgroup_info 0
		.amdhsa_system_vgpr_workitem_id 0
		.amdhsa_next_free_vgpr 57
		.amdhsa_next_free_sgpr 23
		.amdhsa_reserve_vcc 1
		.amdhsa_float_round_mode_32 0
		.amdhsa_float_round_mode_16_64 0
		.amdhsa_float_denorm_mode_32 3
		.amdhsa_float_denorm_mode_16_64 3
		.amdhsa_dx10_clamp 1
		.amdhsa_ieee_mode 1
		.amdhsa_fp16_overflow 0
		.amdhsa_workgroup_processor_mode 1
		.amdhsa_memory_ordered 1
		.amdhsa_forward_progress 0
		.amdhsa_shared_vgpr_count 0
		.amdhsa_exception_fp_ieee_invalid_op 0
		.amdhsa_exception_fp_denorm_src 0
		.amdhsa_exception_fp_ieee_div_zero 0
		.amdhsa_exception_fp_ieee_overflow 0
		.amdhsa_exception_fp_ieee_underflow 0
		.amdhsa_exception_fp_ieee_inexact 0
		.amdhsa_exception_int_div_zero 0
	.end_amdhsa_kernel
	.section	.text._ZN7rocprim17ROCPRIM_400000_NS6detail17trampoline_kernelINS0_14default_configENS1_25partition_config_selectorILNS1_17partition_subalgoE5ElNS0_10empty_typeEbEEZZNS1_14partition_implILS5_5ELb0ES3_mN6hipcub16HIPCUB_304000_NS21CountingInputIteratorIllEEPS6_NSA_22TransformInputIteratorIbN2at6native12_GLOBAL__N_19NonZeroOpIaEEPKalEENS0_5tupleIJPlS6_EEENSN_IJSD_SD_EEES6_PiJS6_EEE10hipError_tPvRmT3_T4_T5_T6_T7_T9_mT8_P12ihipStream_tbDpT10_ENKUlT_T0_E_clISt17integral_constantIbLb0EES1A_IbLb1EEEEDaS16_S17_EUlS16_E_NS1_11comp_targetILNS1_3genE9ELNS1_11target_archE1100ELNS1_3gpuE3ELNS1_3repE0EEENS1_30default_config_static_selectorELNS0_4arch9wavefront6targetE0EEEvT1_,"axG",@progbits,_ZN7rocprim17ROCPRIM_400000_NS6detail17trampoline_kernelINS0_14default_configENS1_25partition_config_selectorILNS1_17partition_subalgoE5ElNS0_10empty_typeEbEEZZNS1_14partition_implILS5_5ELb0ES3_mN6hipcub16HIPCUB_304000_NS21CountingInputIteratorIllEEPS6_NSA_22TransformInputIteratorIbN2at6native12_GLOBAL__N_19NonZeroOpIaEEPKalEENS0_5tupleIJPlS6_EEENSN_IJSD_SD_EEES6_PiJS6_EEE10hipError_tPvRmT3_T4_T5_T6_T7_T9_mT8_P12ihipStream_tbDpT10_ENKUlT_T0_E_clISt17integral_constantIbLb0EES1A_IbLb1EEEEDaS16_S17_EUlS16_E_NS1_11comp_targetILNS1_3genE9ELNS1_11target_archE1100ELNS1_3gpuE3ELNS1_3repE0EEENS1_30default_config_static_selectorELNS0_4arch9wavefront6targetE0EEEvT1_,comdat
.Lfunc_end148:
	.size	_ZN7rocprim17ROCPRIM_400000_NS6detail17trampoline_kernelINS0_14default_configENS1_25partition_config_selectorILNS1_17partition_subalgoE5ElNS0_10empty_typeEbEEZZNS1_14partition_implILS5_5ELb0ES3_mN6hipcub16HIPCUB_304000_NS21CountingInputIteratorIllEEPS6_NSA_22TransformInputIteratorIbN2at6native12_GLOBAL__N_19NonZeroOpIaEEPKalEENS0_5tupleIJPlS6_EEENSN_IJSD_SD_EEES6_PiJS6_EEE10hipError_tPvRmT3_T4_T5_T6_T7_T9_mT8_P12ihipStream_tbDpT10_ENKUlT_T0_E_clISt17integral_constantIbLb0EES1A_IbLb1EEEEDaS16_S17_EUlS16_E_NS1_11comp_targetILNS1_3genE9ELNS1_11target_archE1100ELNS1_3gpuE3ELNS1_3repE0EEENS1_30default_config_static_selectorELNS0_4arch9wavefront6targetE0EEEvT1_, .Lfunc_end148-_ZN7rocprim17ROCPRIM_400000_NS6detail17trampoline_kernelINS0_14default_configENS1_25partition_config_selectorILNS1_17partition_subalgoE5ElNS0_10empty_typeEbEEZZNS1_14partition_implILS5_5ELb0ES3_mN6hipcub16HIPCUB_304000_NS21CountingInputIteratorIllEEPS6_NSA_22TransformInputIteratorIbN2at6native12_GLOBAL__N_19NonZeroOpIaEEPKalEENS0_5tupleIJPlS6_EEENSN_IJSD_SD_EEES6_PiJS6_EEE10hipError_tPvRmT3_T4_T5_T6_T7_T9_mT8_P12ihipStream_tbDpT10_ENKUlT_T0_E_clISt17integral_constantIbLb0EES1A_IbLb1EEEEDaS16_S17_EUlS16_E_NS1_11comp_targetILNS1_3genE9ELNS1_11target_archE1100ELNS1_3gpuE3ELNS1_3repE0EEENS1_30default_config_static_selectorELNS0_4arch9wavefront6targetE0EEEvT1_
                                        ; -- End function
	.section	.AMDGPU.csdata,"",@progbits
; Kernel info:
; codeLenInByte = 6468
; NumSgprs: 25
; NumVgprs: 57
; ScratchSize: 0
; MemoryBound: 0
; FloatMode: 240
; IeeeMode: 1
; LDSByteSize: 6160 bytes/workgroup (compile time only)
; SGPRBlocks: 3
; VGPRBlocks: 7
; NumSGPRsForWavesPerEU: 25
; NumVGPRsForWavesPerEU: 57
; Occupancy: 16
; WaveLimiterHint : 1
; COMPUTE_PGM_RSRC2:SCRATCH_EN: 0
; COMPUTE_PGM_RSRC2:USER_SGPR: 15
; COMPUTE_PGM_RSRC2:TRAP_HANDLER: 0
; COMPUTE_PGM_RSRC2:TGID_X_EN: 1
; COMPUTE_PGM_RSRC2:TGID_Y_EN: 0
; COMPUTE_PGM_RSRC2:TGID_Z_EN: 0
; COMPUTE_PGM_RSRC2:TIDIG_COMP_CNT: 0
	.section	.text._ZN7rocprim17ROCPRIM_400000_NS6detail17trampoline_kernelINS0_14default_configENS1_25partition_config_selectorILNS1_17partition_subalgoE5ElNS0_10empty_typeEbEEZZNS1_14partition_implILS5_5ELb0ES3_mN6hipcub16HIPCUB_304000_NS21CountingInputIteratorIllEEPS6_NSA_22TransformInputIteratorIbN2at6native12_GLOBAL__N_19NonZeroOpIaEEPKalEENS0_5tupleIJPlS6_EEENSN_IJSD_SD_EEES6_PiJS6_EEE10hipError_tPvRmT3_T4_T5_T6_T7_T9_mT8_P12ihipStream_tbDpT10_ENKUlT_T0_E_clISt17integral_constantIbLb0EES1A_IbLb1EEEEDaS16_S17_EUlS16_E_NS1_11comp_targetILNS1_3genE8ELNS1_11target_archE1030ELNS1_3gpuE2ELNS1_3repE0EEENS1_30default_config_static_selectorELNS0_4arch9wavefront6targetE0EEEvT1_,"axG",@progbits,_ZN7rocprim17ROCPRIM_400000_NS6detail17trampoline_kernelINS0_14default_configENS1_25partition_config_selectorILNS1_17partition_subalgoE5ElNS0_10empty_typeEbEEZZNS1_14partition_implILS5_5ELb0ES3_mN6hipcub16HIPCUB_304000_NS21CountingInputIteratorIllEEPS6_NSA_22TransformInputIteratorIbN2at6native12_GLOBAL__N_19NonZeroOpIaEEPKalEENS0_5tupleIJPlS6_EEENSN_IJSD_SD_EEES6_PiJS6_EEE10hipError_tPvRmT3_T4_T5_T6_T7_T9_mT8_P12ihipStream_tbDpT10_ENKUlT_T0_E_clISt17integral_constantIbLb0EES1A_IbLb1EEEEDaS16_S17_EUlS16_E_NS1_11comp_targetILNS1_3genE8ELNS1_11target_archE1030ELNS1_3gpuE2ELNS1_3repE0EEENS1_30default_config_static_selectorELNS0_4arch9wavefront6targetE0EEEvT1_,comdat
	.globl	_ZN7rocprim17ROCPRIM_400000_NS6detail17trampoline_kernelINS0_14default_configENS1_25partition_config_selectorILNS1_17partition_subalgoE5ElNS0_10empty_typeEbEEZZNS1_14partition_implILS5_5ELb0ES3_mN6hipcub16HIPCUB_304000_NS21CountingInputIteratorIllEEPS6_NSA_22TransformInputIteratorIbN2at6native12_GLOBAL__N_19NonZeroOpIaEEPKalEENS0_5tupleIJPlS6_EEENSN_IJSD_SD_EEES6_PiJS6_EEE10hipError_tPvRmT3_T4_T5_T6_T7_T9_mT8_P12ihipStream_tbDpT10_ENKUlT_T0_E_clISt17integral_constantIbLb0EES1A_IbLb1EEEEDaS16_S17_EUlS16_E_NS1_11comp_targetILNS1_3genE8ELNS1_11target_archE1030ELNS1_3gpuE2ELNS1_3repE0EEENS1_30default_config_static_selectorELNS0_4arch9wavefront6targetE0EEEvT1_ ; -- Begin function _ZN7rocprim17ROCPRIM_400000_NS6detail17trampoline_kernelINS0_14default_configENS1_25partition_config_selectorILNS1_17partition_subalgoE5ElNS0_10empty_typeEbEEZZNS1_14partition_implILS5_5ELb0ES3_mN6hipcub16HIPCUB_304000_NS21CountingInputIteratorIllEEPS6_NSA_22TransformInputIteratorIbN2at6native12_GLOBAL__N_19NonZeroOpIaEEPKalEENS0_5tupleIJPlS6_EEENSN_IJSD_SD_EEES6_PiJS6_EEE10hipError_tPvRmT3_T4_T5_T6_T7_T9_mT8_P12ihipStream_tbDpT10_ENKUlT_T0_E_clISt17integral_constantIbLb0EES1A_IbLb1EEEEDaS16_S17_EUlS16_E_NS1_11comp_targetILNS1_3genE8ELNS1_11target_archE1030ELNS1_3gpuE2ELNS1_3repE0EEENS1_30default_config_static_selectorELNS0_4arch9wavefront6targetE0EEEvT1_
	.p2align	8
	.type	_ZN7rocprim17ROCPRIM_400000_NS6detail17trampoline_kernelINS0_14default_configENS1_25partition_config_selectorILNS1_17partition_subalgoE5ElNS0_10empty_typeEbEEZZNS1_14partition_implILS5_5ELb0ES3_mN6hipcub16HIPCUB_304000_NS21CountingInputIteratorIllEEPS6_NSA_22TransformInputIteratorIbN2at6native12_GLOBAL__N_19NonZeroOpIaEEPKalEENS0_5tupleIJPlS6_EEENSN_IJSD_SD_EEES6_PiJS6_EEE10hipError_tPvRmT3_T4_T5_T6_T7_T9_mT8_P12ihipStream_tbDpT10_ENKUlT_T0_E_clISt17integral_constantIbLb0EES1A_IbLb1EEEEDaS16_S17_EUlS16_E_NS1_11comp_targetILNS1_3genE8ELNS1_11target_archE1030ELNS1_3gpuE2ELNS1_3repE0EEENS1_30default_config_static_selectorELNS0_4arch9wavefront6targetE0EEEvT1_,@function
_ZN7rocprim17ROCPRIM_400000_NS6detail17trampoline_kernelINS0_14default_configENS1_25partition_config_selectorILNS1_17partition_subalgoE5ElNS0_10empty_typeEbEEZZNS1_14partition_implILS5_5ELb0ES3_mN6hipcub16HIPCUB_304000_NS21CountingInputIteratorIllEEPS6_NSA_22TransformInputIteratorIbN2at6native12_GLOBAL__N_19NonZeroOpIaEEPKalEENS0_5tupleIJPlS6_EEENSN_IJSD_SD_EEES6_PiJS6_EEE10hipError_tPvRmT3_T4_T5_T6_T7_T9_mT8_P12ihipStream_tbDpT10_ENKUlT_T0_E_clISt17integral_constantIbLb0EES1A_IbLb1EEEEDaS16_S17_EUlS16_E_NS1_11comp_targetILNS1_3genE8ELNS1_11target_archE1030ELNS1_3gpuE2ELNS1_3repE0EEENS1_30default_config_static_selectorELNS0_4arch9wavefront6targetE0EEEvT1_: ; @_ZN7rocprim17ROCPRIM_400000_NS6detail17trampoline_kernelINS0_14default_configENS1_25partition_config_selectorILNS1_17partition_subalgoE5ElNS0_10empty_typeEbEEZZNS1_14partition_implILS5_5ELb0ES3_mN6hipcub16HIPCUB_304000_NS21CountingInputIteratorIllEEPS6_NSA_22TransformInputIteratorIbN2at6native12_GLOBAL__N_19NonZeroOpIaEEPKalEENS0_5tupleIJPlS6_EEENSN_IJSD_SD_EEES6_PiJS6_EEE10hipError_tPvRmT3_T4_T5_T6_T7_T9_mT8_P12ihipStream_tbDpT10_ENKUlT_T0_E_clISt17integral_constantIbLb0EES1A_IbLb1EEEEDaS16_S17_EUlS16_E_NS1_11comp_targetILNS1_3genE8ELNS1_11target_archE1030ELNS1_3gpuE2ELNS1_3repE0EEENS1_30default_config_static_selectorELNS0_4arch9wavefront6targetE0EEEvT1_
; %bb.0:
	.section	.rodata,"a",@progbits
	.p2align	6, 0x0
	.amdhsa_kernel _ZN7rocprim17ROCPRIM_400000_NS6detail17trampoline_kernelINS0_14default_configENS1_25partition_config_selectorILNS1_17partition_subalgoE5ElNS0_10empty_typeEbEEZZNS1_14partition_implILS5_5ELb0ES3_mN6hipcub16HIPCUB_304000_NS21CountingInputIteratorIllEEPS6_NSA_22TransformInputIteratorIbN2at6native12_GLOBAL__N_19NonZeroOpIaEEPKalEENS0_5tupleIJPlS6_EEENSN_IJSD_SD_EEES6_PiJS6_EEE10hipError_tPvRmT3_T4_T5_T6_T7_T9_mT8_P12ihipStream_tbDpT10_ENKUlT_T0_E_clISt17integral_constantIbLb0EES1A_IbLb1EEEEDaS16_S17_EUlS16_E_NS1_11comp_targetILNS1_3genE8ELNS1_11target_archE1030ELNS1_3gpuE2ELNS1_3repE0EEENS1_30default_config_static_selectorELNS0_4arch9wavefront6targetE0EEEvT1_
		.amdhsa_group_segment_fixed_size 0
		.amdhsa_private_segment_fixed_size 0
		.amdhsa_kernarg_size 136
		.amdhsa_user_sgpr_count 15
		.amdhsa_user_sgpr_dispatch_ptr 0
		.amdhsa_user_sgpr_queue_ptr 0
		.amdhsa_user_sgpr_kernarg_segment_ptr 1
		.amdhsa_user_sgpr_dispatch_id 0
		.amdhsa_user_sgpr_private_segment_size 0
		.amdhsa_wavefront_size32 1
		.amdhsa_uses_dynamic_stack 0
		.amdhsa_enable_private_segment 0
		.amdhsa_system_sgpr_workgroup_id_x 1
		.amdhsa_system_sgpr_workgroup_id_y 0
		.amdhsa_system_sgpr_workgroup_id_z 0
		.amdhsa_system_sgpr_workgroup_info 0
		.amdhsa_system_vgpr_workitem_id 0
		.amdhsa_next_free_vgpr 1
		.amdhsa_next_free_sgpr 1
		.amdhsa_reserve_vcc 0
		.amdhsa_float_round_mode_32 0
		.amdhsa_float_round_mode_16_64 0
		.amdhsa_float_denorm_mode_32 3
		.amdhsa_float_denorm_mode_16_64 3
		.amdhsa_dx10_clamp 1
		.amdhsa_ieee_mode 1
		.amdhsa_fp16_overflow 0
		.amdhsa_workgroup_processor_mode 1
		.amdhsa_memory_ordered 1
		.amdhsa_forward_progress 0
		.amdhsa_shared_vgpr_count 0
		.amdhsa_exception_fp_ieee_invalid_op 0
		.amdhsa_exception_fp_denorm_src 0
		.amdhsa_exception_fp_ieee_div_zero 0
		.amdhsa_exception_fp_ieee_overflow 0
		.amdhsa_exception_fp_ieee_underflow 0
		.amdhsa_exception_fp_ieee_inexact 0
		.amdhsa_exception_int_div_zero 0
	.end_amdhsa_kernel
	.section	.text._ZN7rocprim17ROCPRIM_400000_NS6detail17trampoline_kernelINS0_14default_configENS1_25partition_config_selectorILNS1_17partition_subalgoE5ElNS0_10empty_typeEbEEZZNS1_14partition_implILS5_5ELb0ES3_mN6hipcub16HIPCUB_304000_NS21CountingInputIteratorIllEEPS6_NSA_22TransformInputIteratorIbN2at6native12_GLOBAL__N_19NonZeroOpIaEEPKalEENS0_5tupleIJPlS6_EEENSN_IJSD_SD_EEES6_PiJS6_EEE10hipError_tPvRmT3_T4_T5_T6_T7_T9_mT8_P12ihipStream_tbDpT10_ENKUlT_T0_E_clISt17integral_constantIbLb0EES1A_IbLb1EEEEDaS16_S17_EUlS16_E_NS1_11comp_targetILNS1_3genE8ELNS1_11target_archE1030ELNS1_3gpuE2ELNS1_3repE0EEENS1_30default_config_static_selectorELNS0_4arch9wavefront6targetE0EEEvT1_,"axG",@progbits,_ZN7rocprim17ROCPRIM_400000_NS6detail17trampoline_kernelINS0_14default_configENS1_25partition_config_selectorILNS1_17partition_subalgoE5ElNS0_10empty_typeEbEEZZNS1_14partition_implILS5_5ELb0ES3_mN6hipcub16HIPCUB_304000_NS21CountingInputIteratorIllEEPS6_NSA_22TransformInputIteratorIbN2at6native12_GLOBAL__N_19NonZeroOpIaEEPKalEENS0_5tupleIJPlS6_EEENSN_IJSD_SD_EEES6_PiJS6_EEE10hipError_tPvRmT3_T4_T5_T6_T7_T9_mT8_P12ihipStream_tbDpT10_ENKUlT_T0_E_clISt17integral_constantIbLb0EES1A_IbLb1EEEEDaS16_S17_EUlS16_E_NS1_11comp_targetILNS1_3genE8ELNS1_11target_archE1030ELNS1_3gpuE2ELNS1_3repE0EEENS1_30default_config_static_selectorELNS0_4arch9wavefront6targetE0EEEvT1_,comdat
.Lfunc_end149:
	.size	_ZN7rocprim17ROCPRIM_400000_NS6detail17trampoline_kernelINS0_14default_configENS1_25partition_config_selectorILNS1_17partition_subalgoE5ElNS0_10empty_typeEbEEZZNS1_14partition_implILS5_5ELb0ES3_mN6hipcub16HIPCUB_304000_NS21CountingInputIteratorIllEEPS6_NSA_22TransformInputIteratorIbN2at6native12_GLOBAL__N_19NonZeroOpIaEEPKalEENS0_5tupleIJPlS6_EEENSN_IJSD_SD_EEES6_PiJS6_EEE10hipError_tPvRmT3_T4_T5_T6_T7_T9_mT8_P12ihipStream_tbDpT10_ENKUlT_T0_E_clISt17integral_constantIbLb0EES1A_IbLb1EEEEDaS16_S17_EUlS16_E_NS1_11comp_targetILNS1_3genE8ELNS1_11target_archE1030ELNS1_3gpuE2ELNS1_3repE0EEENS1_30default_config_static_selectorELNS0_4arch9wavefront6targetE0EEEvT1_, .Lfunc_end149-_ZN7rocprim17ROCPRIM_400000_NS6detail17trampoline_kernelINS0_14default_configENS1_25partition_config_selectorILNS1_17partition_subalgoE5ElNS0_10empty_typeEbEEZZNS1_14partition_implILS5_5ELb0ES3_mN6hipcub16HIPCUB_304000_NS21CountingInputIteratorIllEEPS6_NSA_22TransformInputIteratorIbN2at6native12_GLOBAL__N_19NonZeroOpIaEEPKalEENS0_5tupleIJPlS6_EEENSN_IJSD_SD_EEES6_PiJS6_EEE10hipError_tPvRmT3_T4_T5_T6_T7_T9_mT8_P12ihipStream_tbDpT10_ENKUlT_T0_E_clISt17integral_constantIbLb0EES1A_IbLb1EEEEDaS16_S17_EUlS16_E_NS1_11comp_targetILNS1_3genE8ELNS1_11target_archE1030ELNS1_3gpuE2ELNS1_3repE0EEENS1_30default_config_static_selectorELNS0_4arch9wavefront6targetE0EEEvT1_
                                        ; -- End function
	.section	.AMDGPU.csdata,"",@progbits
; Kernel info:
; codeLenInByte = 0
; NumSgprs: 0
; NumVgprs: 0
; ScratchSize: 0
; MemoryBound: 0
; FloatMode: 240
; IeeeMode: 1
; LDSByteSize: 0 bytes/workgroup (compile time only)
; SGPRBlocks: 0
; VGPRBlocks: 0
; NumSGPRsForWavesPerEU: 1
; NumVGPRsForWavesPerEU: 1
; Occupancy: 16
; WaveLimiterHint : 0
; COMPUTE_PGM_RSRC2:SCRATCH_EN: 0
; COMPUTE_PGM_RSRC2:USER_SGPR: 15
; COMPUTE_PGM_RSRC2:TRAP_HANDLER: 0
; COMPUTE_PGM_RSRC2:TGID_X_EN: 1
; COMPUTE_PGM_RSRC2:TGID_Y_EN: 0
; COMPUTE_PGM_RSRC2:TGID_Z_EN: 0
; COMPUTE_PGM_RSRC2:TIDIG_COMP_CNT: 0
	.section	.text._ZN7rocprim17ROCPRIM_400000_NS6detail17trampoline_kernelINS0_14default_configENS1_22reduce_config_selectorIiEEZNS1_11reduce_implILb1ES3_PiS7_iN6hipcub16HIPCUB_304000_NS6detail34convert_binary_result_type_wrapperINS9_3SumENS9_22TransformInputIteratorIbN2at6native12_GLOBAL__N_19NonZeroOpIiEEPKilEEiEEEE10hipError_tPvRmT1_T2_T3_mT4_P12ihipStream_tbEUlT_E0_NS1_11comp_targetILNS1_3genE0ELNS1_11target_archE4294967295ELNS1_3gpuE0ELNS1_3repE0EEENS1_30default_config_static_selectorELNS0_4arch9wavefront6targetE0EEEvSQ_,"axG",@progbits,_ZN7rocprim17ROCPRIM_400000_NS6detail17trampoline_kernelINS0_14default_configENS1_22reduce_config_selectorIiEEZNS1_11reduce_implILb1ES3_PiS7_iN6hipcub16HIPCUB_304000_NS6detail34convert_binary_result_type_wrapperINS9_3SumENS9_22TransformInputIteratorIbN2at6native12_GLOBAL__N_19NonZeroOpIiEEPKilEEiEEEE10hipError_tPvRmT1_T2_T3_mT4_P12ihipStream_tbEUlT_E0_NS1_11comp_targetILNS1_3genE0ELNS1_11target_archE4294967295ELNS1_3gpuE0ELNS1_3repE0EEENS1_30default_config_static_selectorELNS0_4arch9wavefront6targetE0EEEvSQ_,comdat
	.globl	_ZN7rocprim17ROCPRIM_400000_NS6detail17trampoline_kernelINS0_14default_configENS1_22reduce_config_selectorIiEEZNS1_11reduce_implILb1ES3_PiS7_iN6hipcub16HIPCUB_304000_NS6detail34convert_binary_result_type_wrapperINS9_3SumENS9_22TransformInputIteratorIbN2at6native12_GLOBAL__N_19NonZeroOpIiEEPKilEEiEEEE10hipError_tPvRmT1_T2_T3_mT4_P12ihipStream_tbEUlT_E0_NS1_11comp_targetILNS1_3genE0ELNS1_11target_archE4294967295ELNS1_3gpuE0ELNS1_3repE0EEENS1_30default_config_static_selectorELNS0_4arch9wavefront6targetE0EEEvSQ_ ; -- Begin function _ZN7rocprim17ROCPRIM_400000_NS6detail17trampoline_kernelINS0_14default_configENS1_22reduce_config_selectorIiEEZNS1_11reduce_implILb1ES3_PiS7_iN6hipcub16HIPCUB_304000_NS6detail34convert_binary_result_type_wrapperINS9_3SumENS9_22TransformInputIteratorIbN2at6native12_GLOBAL__N_19NonZeroOpIiEEPKilEEiEEEE10hipError_tPvRmT1_T2_T3_mT4_P12ihipStream_tbEUlT_E0_NS1_11comp_targetILNS1_3genE0ELNS1_11target_archE4294967295ELNS1_3gpuE0ELNS1_3repE0EEENS1_30default_config_static_selectorELNS0_4arch9wavefront6targetE0EEEvSQ_
	.p2align	8
	.type	_ZN7rocprim17ROCPRIM_400000_NS6detail17trampoline_kernelINS0_14default_configENS1_22reduce_config_selectorIiEEZNS1_11reduce_implILb1ES3_PiS7_iN6hipcub16HIPCUB_304000_NS6detail34convert_binary_result_type_wrapperINS9_3SumENS9_22TransformInputIteratorIbN2at6native12_GLOBAL__N_19NonZeroOpIiEEPKilEEiEEEE10hipError_tPvRmT1_T2_T3_mT4_P12ihipStream_tbEUlT_E0_NS1_11comp_targetILNS1_3genE0ELNS1_11target_archE4294967295ELNS1_3gpuE0ELNS1_3repE0EEENS1_30default_config_static_selectorELNS0_4arch9wavefront6targetE0EEEvSQ_,@function
_ZN7rocprim17ROCPRIM_400000_NS6detail17trampoline_kernelINS0_14default_configENS1_22reduce_config_selectorIiEEZNS1_11reduce_implILb1ES3_PiS7_iN6hipcub16HIPCUB_304000_NS6detail34convert_binary_result_type_wrapperINS9_3SumENS9_22TransformInputIteratorIbN2at6native12_GLOBAL__N_19NonZeroOpIiEEPKilEEiEEEE10hipError_tPvRmT1_T2_T3_mT4_P12ihipStream_tbEUlT_E0_NS1_11comp_targetILNS1_3genE0ELNS1_11target_archE4294967295ELNS1_3gpuE0ELNS1_3repE0EEENS1_30default_config_static_selectorELNS0_4arch9wavefront6targetE0EEEvSQ_: ; @_ZN7rocprim17ROCPRIM_400000_NS6detail17trampoline_kernelINS0_14default_configENS1_22reduce_config_selectorIiEEZNS1_11reduce_implILb1ES3_PiS7_iN6hipcub16HIPCUB_304000_NS6detail34convert_binary_result_type_wrapperINS9_3SumENS9_22TransformInputIteratorIbN2at6native12_GLOBAL__N_19NonZeroOpIiEEPKilEEiEEEE10hipError_tPvRmT1_T2_T3_mT4_P12ihipStream_tbEUlT_E0_NS1_11comp_targetILNS1_3genE0ELNS1_11target_archE4294967295ELNS1_3gpuE0ELNS1_3repE0EEENS1_30default_config_static_selectorELNS0_4arch9wavefront6targetE0EEEvSQ_
; %bb.0:
	.section	.rodata,"a",@progbits
	.p2align	6, 0x0
	.amdhsa_kernel _ZN7rocprim17ROCPRIM_400000_NS6detail17trampoline_kernelINS0_14default_configENS1_22reduce_config_selectorIiEEZNS1_11reduce_implILb1ES3_PiS7_iN6hipcub16HIPCUB_304000_NS6detail34convert_binary_result_type_wrapperINS9_3SumENS9_22TransformInputIteratorIbN2at6native12_GLOBAL__N_19NonZeroOpIiEEPKilEEiEEEE10hipError_tPvRmT1_T2_T3_mT4_P12ihipStream_tbEUlT_E0_NS1_11comp_targetILNS1_3genE0ELNS1_11target_archE4294967295ELNS1_3gpuE0ELNS1_3repE0EEENS1_30default_config_static_selectorELNS0_4arch9wavefront6targetE0EEEvSQ_
		.amdhsa_group_segment_fixed_size 0
		.amdhsa_private_segment_fixed_size 0
		.amdhsa_kernarg_size 56
		.amdhsa_user_sgpr_count 15
		.amdhsa_user_sgpr_dispatch_ptr 0
		.amdhsa_user_sgpr_queue_ptr 0
		.amdhsa_user_sgpr_kernarg_segment_ptr 1
		.amdhsa_user_sgpr_dispatch_id 0
		.amdhsa_user_sgpr_private_segment_size 0
		.amdhsa_wavefront_size32 1
		.amdhsa_uses_dynamic_stack 0
		.amdhsa_enable_private_segment 0
		.amdhsa_system_sgpr_workgroup_id_x 1
		.amdhsa_system_sgpr_workgroup_id_y 0
		.amdhsa_system_sgpr_workgroup_id_z 0
		.amdhsa_system_sgpr_workgroup_info 0
		.amdhsa_system_vgpr_workitem_id 0
		.amdhsa_next_free_vgpr 1
		.amdhsa_next_free_sgpr 1
		.amdhsa_reserve_vcc 0
		.amdhsa_float_round_mode_32 0
		.amdhsa_float_round_mode_16_64 0
		.amdhsa_float_denorm_mode_32 3
		.amdhsa_float_denorm_mode_16_64 3
		.amdhsa_dx10_clamp 1
		.amdhsa_ieee_mode 1
		.amdhsa_fp16_overflow 0
		.amdhsa_workgroup_processor_mode 1
		.amdhsa_memory_ordered 1
		.amdhsa_forward_progress 0
		.amdhsa_shared_vgpr_count 0
		.amdhsa_exception_fp_ieee_invalid_op 0
		.amdhsa_exception_fp_denorm_src 0
		.amdhsa_exception_fp_ieee_div_zero 0
		.amdhsa_exception_fp_ieee_overflow 0
		.amdhsa_exception_fp_ieee_underflow 0
		.amdhsa_exception_fp_ieee_inexact 0
		.amdhsa_exception_int_div_zero 0
	.end_amdhsa_kernel
	.section	.text._ZN7rocprim17ROCPRIM_400000_NS6detail17trampoline_kernelINS0_14default_configENS1_22reduce_config_selectorIiEEZNS1_11reduce_implILb1ES3_PiS7_iN6hipcub16HIPCUB_304000_NS6detail34convert_binary_result_type_wrapperINS9_3SumENS9_22TransformInputIteratorIbN2at6native12_GLOBAL__N_19NonZeroOpIiEEPKilEEiEEEE10hipError_tPvRmT1_T2_T3_mT4_P12ihipStream_tbEUlT_E0_NS1_11comp_targetILNS1_3genE0ELNS1_11target_archE4294967295ELNS1_3gpuE0ELNS1_3repE0EEENS1_30default_config_static_selectorELNS0_4arch9wavefront6targetE0EEEvSQ_,"axG",@progbits,_ZN7rocprim17ROCPRIM_400000_NS6detail17trampoline_kernelINS0_14default_configENS1_22reduce_config_selectorIiEEZNS1_11reduce_implILb1ES3_PiS7_iN6hipcub16HIPCUB_304000_NS6detail34convert_binary_result_type_wrapperINS9_3SumENS9_22TransformInputIteratorIbN2at6native12_GLOBAL__N_19NonZeroOpIiEEPKilEEiEEEE10hipError_tPvRmT1_T2_T3_mT4_P12ihipStream_tbEUlT_E0_NS1_11comp_targetILNS1_3genE0ELNS1_11target_archE4294967295ELNS1_3gpuE0ELNS1_3repE0EEENS1_30default_config_static_selectorELNS0_4arch9wavefront6targetE0EEEvSQ_,comdat
.Lfunc_end150:
	.size	_ZN7rocprim17ROCPRIM_400000_NS6detail17trampoline_kernelINS0_14default_configENS1_22reduce_config_selectorIiEEZNS1_11reduce_implILb1ES3_PiS7_iN6hipcub16HIPCUB_304000_NS6detail34convert_binary_result_type_wrapperINS9_3SumENS9_22TransformInputIteratorIbN2at6native12_GLOBAL__N_19NonZeroOpIiEEPKilEEiEEEE10hipError_tPvRmT1_T2_T3_mT4_P12ihipStream_tbEUlT_E0_NS1_11comp_targetILNS1_3genE0ELNS1_11target_archE4294967295ELNS1_3gpuE0ELNS1_3repE0EEENS1_30default_config_static_selectorELNS0_4arch9wavefront6targetE0EEEvSQ_, .Lfunc_end150-_ZN7rocprim17ROCPRIM_400000_NS6detail17trampoline_kernelINS0_14default_configENS1_22reduce_config_selectorIiEEZNS1_11reduce_implILb1ES3_PiS7_iN6hipcub16HIPCUB_304000_NS6detail34convert_binary_result_type_wrapperINS9_3SumENS9_22TransformInputIteratorIbN2at6native12_GLOBAL__N_19NonZeroOpIiEEPKilEEiEEEE10hipError_tPvRmT1_T2_T3_mT4_P12ihipStream_tbEUlT_E0_NS1_11comp_targetILNS1_3genE0ELNS1_11target_archE4294967295ELNS1_3gpuE0ELNS1_3repE0EEENS1_30default_config_static_selectorELNS0_4arch9wavefront6targetE0EEEvSQ_
                                        ; -- End function
	.section	.AMDGPU.csdata,"",@progbits
; Kernel info:
; codeLenInByte = 0
; NumSgprs: 0
; NumVgprs: 0
; ScratchSize: 0
; MemoryBound: 0
; FloatMode: 240
; IeeeMode: 1
; LDSByteSize: 0 bytes/workgroup (compile time only)
; SGPRBlocks: 0
; VGPRBlocks: 0
; NumSGPRsForWavesPerEU: 1
; NumVGPRsForWavesPerEU: 1
; Occupancy: 16
; WaveLimiterHint : 0
; COMPUTE_PGM_RSRC2:SCRATCH_EN: 0
; COMPUTE_PGM_RSRC2:USER_SGPR: 15
; COMPUTE_PGM_RSRC2:TRAP_HANDLER: 0
; COMPUTE_PGM_RSRC2:TGID_X_EN: 1
; COMPUTE_PGM_RSRC2:TGID_Y_EN: 0
; COMPUTE_PGM_RSRC2:TGID_Z_EN: 0
; COMPUTE_PGM_RSRC2:TIDIG_COMP_CNT: 0
	.section	.text._ZN7rocprim17ROCPRIM_400000_NS6detail17trampoline_kernelINS0_14default_configENS1_22reduce_config_selectorIiEEZNS1_11reduce_implILb1ES3_PiS7_iN6hipcub16HIPCUB_304000_NS6detail34convert_binary_result_type_wrapperINS9_3SumENS9_22TransformInputIteratorIbN2at6native12_GLOBAL__N_19NonZeroOpIiEEPKilEEiEEEE10hipError_tPvRmT1_T2_T3_mT4_P12ihipStream_tbEUlT_E0_NS1_11comp_targetILNS1_3genE5ELNS1_11target_archE942ELNS1_3gpuE9ELNS1_3repE0EEENS1_30default_config_static_selectorELNS0_4arch9wavefront6targetE0EEEvSQ_,"axG",@progbits,_ZN7rocprim17ROCPRIM_400000_NS6detail17trampoline_kernelINS0_14default_configENS1_22reduce_config_selectorIiEEZNS1_11reduce_implILb1ES3_PiS7_iN6hipcub16HIPCUB_304000_NS6detail34convert_binary_result_type_wrapperINS9_3SumENS9_22TransformInputIteratorIbN2at6native12_GLOBAL__N_19NonZeroOpIiEEPKilEEiEEEE10hipError_tPvRmT1_T2_T3_mT4_P12ihipStream_tbEUlT_E0_NS1_11comp_targetILNS1_3genE5ELNS1_11target_archE942ELNS1_3gpuE9ELNS1_3repE0EEENS1_30default_config_static_selectorELNS0_4arch9wavefront6targetE0EEEvSQ_,comdat
	.globl	_ZN7rocprim17ROCPRIM_400000_NS6detail17trampoline_kernelINS0_14default_configENS1_22reduce_config_selectorIiEEZNS1_11reduce_implILb1ES3_PiS7_iN6hipcub16HIPCUB_304000_NS6detail34convert_binary_result_type_wrapperINS9_3SumENS9_22TransformInputIteratorIbN2at6native12_GLOBAL__N_19NonZeroOpIiEEPKilEEiEEEE10hipError_tPvRmT1_T2_T3_mT4_P12ihipStream_tbEUlT_E0_NS1_11comp_targetILNS1_3genE5ELNS1_11target_archE942ELNS1_3gpuE9ELNS1_3repE0EEENS1_30default_config_static_selectorELNS0_4arch9wavefront6targetE0EEEvSQ_ ; -- Begin function _ZN7rocprim17ROCPRIM_400000_NS6detail17trampoline_kernelINS0_14default_configENS1_22reduce_config_selectorIiEEZNS1_11reduce_implILb1ES3_PiS7_iN6hipcub16HIPCUB_304000_NS6detail34convert_binary_result_type_wrapperINS9_3SumENS9_22TransformInputIteratorIbN2at6native12_GLOBAL__N_19NonZeroOpIiEEPKilEEiEEEE10hipError_tPvRmT1_T2_T3_mT4_P12ihipStream_tbEUlT_E0_NS1_11comp_targetILNS1_3genE5ELNS1_11target_archE942ELNS1_3gpuE9ELNS1_3repE0EEENS1_30default_config_static_selectorELNS0_4arch9wavefront6targetE0EEEvSQ_
	.p2align	8
	.type	_ZN7rocprim17ROCPRIM_400000_NS6detail17trampoline_kernelINS0_14default_configENS1_22reduce_config_selectorIiEEZNS1_11reduce_implILb1ES3_PiS7_iN6hipcub16HIPCUB_304000_NS6detail34convert_binary_result_type_wrapperINS9_3SumENS9_22TransformInputIteratorIbN2at6native12_GLOBAL__N_19NonZeroOpIiEEPKilEEiEEEE10hipError_tPvRmT1_T2_T3_mT4_P12ihipStream_tbEUlT_E0_NS1_11comp_targetILNS1_3genE5ELNS1_11target_archE942ELNS1_3gpuE9ELNS1_3repE0EEENS1_30default_config_static_selectorELNS0_4arch9wavefront6targetE0EEEvSQ_,@function
_ZN7rocprim17ROCPRIM_400000_NS6detail17trampoline_kernelINS0_14default_configENS1_22reduce_config_selectorIiEEZNS1_11reduce_implILb1ES3_PiS7_iN6hipcub16HIPCUB_304000_NS6detail34convert_binary_result_type_wrapperINS9_3SumENS9_22TransformInputIteratorIbN2at6native12_GLOBAL__N_19NonZeroOpIiEEPKilEEiEEEE10hipError_tPvRmT1_T2_T3_mT4_P12ihipStream_tbEUlT_E0_NS1_11comp_targetILNS1_3genE5ELNS1_11target_archE942ELNS1_3gpuE9ELNS1_3repE0EEENS1_30default_config_static_selectorELNS0_4arch9wavefront6targetE0EEEvSQ_: ; @_ZN7rocprim17ROCPRIM_400000_NS6detail17trampoline_kernelINS0_14default_configENS1_22reduce_config_selectorIiEEZNS1_11reduce_implILb1ES3_PiS7_iN6hipcub16HIPCUB_304000_NS6detail34convert_binary_result_type_wrapperINS9_3SumENS9_22TransformInputIteratorIbN2at6native12_GLOBAL__N_19NonZeroOpIiEEPKilEEiEEEE10hipError_tPvRmT1_T2_T3_mT4_P12ihipStream_tbEUlT_E0_NS1_11comp_targetILNS1_3genE5ELNS1_11target_archE942ELNS1_3gpuE9ELNS1_3repE0EEENS1_30default_config_static_selectorELNS0_4arch9wavefront6targetE0EEEvSQ_
; %bb.0:
	.section	.rodata,"a",@progbits
	.p2align	6, 0x0
	.amdhsa_kernel _ZN7rocprim17ROCPRIM_400000_NS6detail17trampoline_kernelINS0_14default_configENS1_22reduce_config_selectorIiEEZNS1_11reduce_implILb1ES3_PiS7_iN6hipcub16HIPCUB_304000_NS6detail34convert_binary_result_type_wrapperINS9_3SumENS9_22TransformInputIteratorIbN2at6native12_GLOBAL__N_19NonZeroOpIiEEPKilEEiEEEE10hipError_tPvRmT1_T2_T3_mT4_P12ihipStream_tbEUlT_E0_NS1_11comp_targetILNS1_3genE5ELNS1_11target_archE942ELNS1_3gpuE9ELNS1_3repE0EEENS1_30default_config_static_selectorELNS0_4arch9wavefront6targetE0EEEvSQ_
		.amdhsa_group_segment_fixed_size 0
		.amdhsa_private_segment_fixed_size 0
		.amdhsa_kernarg_size 56
		.amdhsa_user_sgpr_count 15
		.amdhsa_user_sgpr_dispatch_ptr 0
		.amdhsa_user_sgpr_queue_ptr 0
		.amdhsa_user_sgpr_kernarg_segment_ptr 1
		.amdhsa_user_sgpr_dispatch_id 0
		.amdhsa_user_sgpr_private_segment_size 0
		.amdhsa_wavefront_size32 1
		.amdhsa_uses_dynamic_stack 0
		.amdhsa_enable_private_segment 0
		.amdhsa_system_sgpr_workgroup_id_x 1
		.amdhsa_system_sgpr_workgroup_id_y 0
		.amdhsa_system_sgpr_workgroup_id_z 0
		.amdhsa_system_sgpr_workgroup_info 0
		.amdhsa_system_vgpr_workitem_id 0
		.amdhsa_next_free_vgpr 1
		.amdhsa_next_free_sgpr 1
		.amdhsa_reserve_vcc 0
		.amdhsa_float_round_mode_32 0
		.amdhsa_float_round_mode_16_64 0
		.amdhsa_float_denorm_mode_32 3
		.amdhsa_float_denorm_mode_16_64 3
		.amdhsa_dx10_clamp 1
		.amdhsa_ieee_mode 1
		.amdhsa_fp16_overflow 0
		.amdhsa_workgroup_processor_mode 1
		.amdhsa_memory_ordered 1
		.amdhsa_forward_progress 0
		.amdhsa_shared_vgpr_count 0
		.amdhsa_exception_fp_ieee_invalid_op 0
		.amdhsa_exception_fp_denorm_src 0
		.amdhsa_exception_fp_ieee_div_zero 0
		.amdhsa_exception_fp_ieee_overflow 0
		.amdhsa_exception_fp_ieee_underflow 0
		.amdhsa_exception_fp_ieee_inexact 0
		.amdhsa_exception_int_div_zero 0
	.end_amdhsa_kernel
	.section	.text._ZN7rocprim17ROCPRIM_400000_NS6detail17trampoline_kernelINS0_14default_configENS1_22reduce_config_selectorIiEEZNS1_11reduce_implILb1ES3_PiS7_iN6hipcub16HIPCUB_304000_NS6detail34convert_binary_result_type_wrapperINS9_3SumENS9_22TransformInputIteratorIbN2at6native12_GLOBAL__N_19NonZeroOpIiEEPKilEEiEEEE10hipError_tPvRmT1_T2_T3_mT4_P12ihipStream_tbEUlT_E0_NS1_11comp_targetILNS1_3genE5ELNS1_11target_archE942ELNS1_3gpuE9ELNS1_3repE0EEENS1_30default_config_static_selectorELNS0_4arch9wavefront6targetE0EEEvSQ_,"axG",@progbits,_ZN7rocprim17ROCPRIM_400000_NS6detail17trampoline_kernelINS0_14default_configENS1_22reduce_config_selectorIiEEZNS1_11reduce_implILb1ES3_PiS7_iN6hipcub16HIPCUB_304000_NS6detail34convert_binary_result_type_wrapperINS9_3SumENS9_22TransformInputIteratorIbN2at6native12_GLOBAL__N_19NonZeroOpIiEEPKilEEiEEEE10hipError_tPvRmT1_T2_T3_mT4_P12ihipStream_tbEUlT_E0_NS1_11comp_targetILNS1_3genE5ELNS1_11target_archE942ELNS1_3gpuE9ELNS1_3repE0EEENS1_30default_config_static_selectorELNS0_4arch9wavefront6targetE0EEEvSQ_,comdat
.Lfunc_end151:
	.size	_ZN7rocprim17ROCPRIM_400000_NS6detail17trampoline_kernelINS0_14default_configENS1_22reduce_config_selectorIiEEZNS1_11reduce_implILb1ES3_PiS7_iN6hipcub16HIPCUB_304000_NS6detail34convert_binary_result_type_wrapperINS9_3SumENS9_22TransformInputIteratorIbN2at6native12_GLOBAL__N_19NonZeroOpIiEEPKilEEiEEEE10hipError_tPvRmT1_T2_T3_mT4_P12ihipStream_tbEUlT_E0_NS1_11comp_targetILNS1_3genE5ELNS1_11target_archE942ELNS1_3gpuE9ELNS1_3repE0EEENS1_30default_config_static_selectorELNS0_4arch9wavefront6targetE0EEEvSQ_, .Lfunc_end151-_ZN7rocprim17ROCPRIM_400000_NS6detail17trampoline_kernelINS0_14default_configENS1_22reduce_config_selectorIiEEZNS1_11reduce_implILb1ES3_PiS7_iN6hipcub16HIPCUB_304000_NS6detail34convert_binary_result_type_wrapperINS9_3SumENS9_22TransformInputIteratorIbN2at6native12_GLOBAL__N_19NonZeroOpIiEEPKilEEiEEEE10hipError_tPvRmT1_T2_T3_mT4_P12ihipStream_tbEUlT_E0_NS1_11comp_targetILNS1_3genE5ELNS1_11target_archE942ELNS1_3gpuE9ELNS1_3repE0EEENS1_30default_config_static_selectorELNS0_4arch9wavefront6targetE0EEEvSQ_
                                        ; -- End function
	.section	.AMDGPU.csdata,"",@progbits
; Kernel info:
; codeLenInByte = 0
; NumSgprs: 0
; NumVgprs: 0
; ScratchSize: 0
; MemoryBound: 0
; FloatMode: 240
; IeeeMode: 1
; LDSByteSize: 0 bytes/workgroup (compile time only)
; SGPRBlocks: 0
; VGPRBlocks: 0
; NumSGPRsForWavesPerEU: 1
; NumVGPRsForWavesPerEU: 1
; Occupancy: 16
; WaveLimiterHint : 0
; COMPUTE_PGM_RSRC2:SCRATCH_EN: 0
; COMPUTE_PGM_RSRC2:USER_SGPR: 15
; COMPUTE_PGM_RSRC2:TRAP_HANDLER: 0
; COMPUTE_PGM_RSRC2:TGID_X_EN: 1
; COMPUTE_PGM_RSRC2:TGID_Y_EN: 0
; COMPUTE_PGM_RSRC2:TGID_Z_EN: 0
; COMPUTE_PGM_RSRC2:TIDIG_COMP_CNT: 0
	.section	.text._ZN7rocprim17ROCPRIM_400000_NS6detail17trampoline_kernelINS0_14default_configENS1_22reduce_config_selectorIiEEZNS1_11reduce_implILb1ES3_PiS7_iN6hipcub16HIPCUB_304000_NS6detail34convert_binary_result_type_wrapperINS9_3SumENS9_22TransformInputIteratorIbN2at6native12_GLOBAL__N_19NonZeroOpIiEEPKilEEiEEEE10hipError_tPvRmT1_T2_T3_mT4_P12ihipStream_tbEUlT_E0_NS1_11comp_targetILNS1_3genE4ELNS1_11target_archE910ELNS1_3gpuE8ELNS1_3repE0EEENS1_30default_config_static_selectorELNS0_4arch9wavefront6targetE0EEEvSQ_,"axG",@progbits,_ZN7rocprim17ROCPRIM_400000_NS6detail17trampoline_kernelINS0_14default_configENS1_22reduce_config_selectorIiEEZNS1_11reduce_implILb1ES3_PiS7_iN6hipcub16HIPCUB_304000_NS6detail34convert_binary_result_type_wrapperINS9_3SumENS9_22TransformInputIteratorIbN2at6native12_GLOBAL__N_19NonZeroOpIiEEPKilEEiEEEE10hipError_tPvRmT1_T2_T3_mT4_P12ihipStream_tbEUlT_E0_NS1_11comp_targetILNS1_3genE4ELNS1_11target_archE910ELNS1_3gpuE8ELNS1_3repE0EEENS1_30default_config_static_selectorELNS0_4arch9wavefront6targetE0EEEvSQ_,comdat
	.globl	_ZN7rocprim17ROCPRIM_400000_NS6detail17trampoline_kernelINS0_14default_configENS1_22reduce_config_selectorIiEEZNS1_11reduce_implILb1ES3_PiS7_iN6hipcub16HIPCUB_304000_NS6detail34convert_binary_result_type_wrapperINS9_3SumENS9_22TransformInputIteratorIbN2at6native12_GLOBAL__N_19NonZeroOpIiEEPKilEEiEEEE10hipError_tPvRmT1_T2_T3_mT4_P12ihipStream_tbEUlT_E0_NS1_11comp_targetILNS1_3genE4ELNS1_11target_archE910ELNS1_3gpuE8ELNS1_3repE0EEENS1_30default_config_static_selectorELNS0_4arch9wavefront6targetE0EEEvSQ_ ; -- Begin function _ZN7rocprim17ROCPRIM_400000_NS6detail17trampoline_kernelINS0_14default_configENS1_22reduce_config_selectorIiEEZNS1_11reduce_implILb1ES3_PiS7_iN6hipcub16HIPCUB_304000_NS6detail34convert_binary_result_type_wrapperINS9_3SumENS9_22TransformInputIteratorIbN2at6native12_GLOBAL__N_19NonZeroOpIiEEPKilEEiEEEE10hipError_tPvRmT1_T2_T3_mT4_P12ihipStream_tbEUlT_E0_NS1_11comp_targetILNS1_3genE4ELNS1_11target_archE910ELNS1_3gpuE8ELNS1_3repE0EEENS1_30default_config_static_selectorELNS0_4arch9wavefront6targetE0EEEvSQ_
	.p2align	8
	.type	_ZN7rocprim17ROCPRIM_400000_NS6detail17trampoline_kernelINS0_14default_configENS1_22reduce_config_selectorIiEEZNS1_11reduce_implILb1ES3_PiS7_iN6hipcub16HIPCUB_304000_NS6detail34convert_binary_result_type_wrapperINS9_3SumENS9_22TransformInputIteratorIbN2at6native12_GLOBAL__N_19NonZeroOpIiEEPKilEEiEEEE10hipError_tPvRmT1_T2_T3_mT4_P12ihipStream_tbEUlT_E0_NS1_11comp_targetILNS1_3genE4ELNS1_11target_archE910ELNS1_3gpuE8ELNS1_3repE0EEENS1_30default_config_static_selectorELNS0_4arch9wavefront6targetE0EEEvSQ_,@function
_ZN7rocprim17ROCPRIM_400000_NS6detail17trampoline_kernelINS0_14default_configENS1_22reduce_config_selectorIiEEZNS1_11reduce_implILb1ES3_PiS7_iN6hipcub16HIPCUB_304000_NS6detail34convert_binary_result_type_wrapperINS9_3SumENS9_22TransformInputIteratorIbN2at6native12_GLOBAL__N_19NonZeroOpIiEEPKilEEiEEEE10hipError_tPvRmT1_T2_T3_mT4_P12ihipStream_tbEUlT_E0_NS1_11comp_targetILNS1_3genE4ELNS1_11target_archE910ELNS1_3gpuE8ELNS1_3repE0EEENS1_30default_config_static_selectorELNS0_4arch9wavefront6targetE0EEEvSQ_: ; @_ZN7rocprim17ROCPRIM_400000_NS6detail17trampoline_kernelINS0_14default_configENS1_22reduce_config_selectorIiEEZNS1_11reduce_implILb1ES3_PiS7_iN6hipcub16HIPCUB_304000_NS6detail34convert_binary_result_type_wrapperINS9_3SumENS9_22TransformInputIteratorIbN2at6native12_GLOBAL__N_19NonZeroOpIiEEPKilEEiEEEE10hipError_tPvRmT1_T2_T3_mT4_P12ihipStream_tbEUlT_E0_NS1_11comp_targetILNS1_3genE4ELNS1_11target_archE910ELNS1_3gpuE8ELNS1_3repE0EEENS1_30default_config_static_selectorELNS0_4arch9wavefront6targetE0EEEvSQ_
; %bb.0:
	.section	.rodata,"a",@progbits
	.p2align	6, 0x0
	.amdhsa_kernel _ZN7rocprim17ROCPRIM_400000_NS6detail17trampoline_kernelINS0_14default_configENS1_22reduce_config_selectorIiEEZNS1_11reduce_implILb1ES3_PiS7_iN6hipcub16HIPCUB_304000_NS6detail34convert_binary_result_type_wrapperINS9_3SumENS9_22TransformInputIteratorIbN2at6native12_GLOBAL__N_19NonZeroOpIiEEPKilEEiEEEE10hipError_tPvRmT1_T2_T3_mT4_P12ihipStream_tbEUlT_E0_NS1_11comp_targetILNS1_3genE4ELNS1_11target_archE910ELNS1_3gpuE8ELNS1_3repE0EEENS1_30default_config_static_selectorELNS0_4arch9wavefront6targetE0EEEvSQ_
		.amdhsa_group_segment_fixed_size 0
		.amdhsa_private_segment_fixed_size 0
		.amdhsa_kernarg_size 56
		.amdhsa_user_sgpr_count 15
		.amdhsa_user_sgpr_dispatch_ptr 0
		.amdhsa_user_sgpr_queue_ptr 0
		.amdhsa_user_sgpr_kernarg_segment_ptr 1
		.amdhsa_user_sgpr_dispatch_id 0
		.amdhsa_user_sgpr_private_segment_size 0
		.amdhsa_wavefront_size32 1
		.amdhsa_uses_dynamic_stack 0
		.amdhsa_enable_private_segment 0
		.amdhsa_system_sgpr_workgroup_id_x 1
		.amdhsa_system_sgpr_workgroup_id_y 0
		.amdhsa_system_sgpr_workgroup_id_z 0
		.amdhsa_system_sgpr_workgroup_info 0
		.amdhsa_system_vgpr_workitem_id 0
		.amdhsa_next_free_vgpr 1
		.amdhsa_next_free_sgpr 1
		.amdhsa_reserve_vcc 0
		.amdhsa_float_round_mode_32 0
		.amdhsa_float_round_mode_16_64 0
		.amdhsa_float_denorm_mode_32 3
		.amdhsa_float_denorm_mode_16_64 3
		.amdhsa_dx10_clamp 1
		.amdhsa_ieee_mode 1
		.amdhsa_fp16_overflow 0
		.amdhsa_workgroup_processor_mode 1
		.amdhsa_memory_ordered 1
		.amdhsa_forward_progress 0
		.amdhsa_shared_vgpr_count 0
		.amdhsa_exception_fp_ieee_invalid_op 0
		.amdhsa_exception_fp_denorm_src 0
		.amdhsa_exception_fp_ieee_div_zero 0
		.amdhsa_exception_fp_ieee_overflow 0
		.amdhsa_exception_fp_ieee_underflow 0
		.amdhsa_exception_fp_ieee_inexact 0
		.amdhsa_exception_int_div_zero 0
	.end_amdhsa_kernel
	.section	.text._ZN7rocprim17ROCPRIM_400000_NS6detail17trampoline_kernelINS0_14default_configENS1_22reduce_config_selectorIiEEZNS1_11reduce_implILb1ES3_PiS7_iN6hipcub16HIPCUB_304000_NS6detail34convert_binary_result_type_wrapperINS9_3SumENS9_22TransformInputIteratorIbN2at6native12_GLOBAL__N_19NonZeroOpIiEEPKilEEiEEEE10hipError_tPvRmT1_T2_T3_mT4_P12ihipStream_tbEUlT_E0_NS1_11comp_targetILNS1_3genE4ELNS1_11target_archE910ELNS1_3gpuE8ELNS1_3repE0EEENS1_30default_config_static_selectorELNS0_4arch9wavefront6targetE0EEEvSQ_,"axG",@progbits,_ZN7rocprim17ROCPRIM_400000_NS6detail17trampoline_kernelINS0_14default_configENS1_22reduce_config_selectorIiEEZNS1_11reduce_implILb1ES3_PiS7_iN6hipcub16HIPCUB_304000_NS6detail34convert_binary_result_type_wrapperINS9_3SumENS9_22TransformInputIteratorIbN2at6native12_GLOBAL__N_19NonZeroOpIiEEPKilEEiEEEE10hipError_tPvRmT1_T2_T3_mT4_P12ihipStream_tbEUlT_E0_NS1_11comp_targetILNS1_3genE4ELNS1_11target_archE910ELNS1_3gpuE8ELNS1_3repE0EEENS1_30default_config_static_selectorELNS0_4arch9wavefront6targetE0EEEvSQ_,comdat
.Lfunc_end152:
	.size	_ZN7rocprim17ROCPRIM_400000_NS6detail17trampoline_kernelINS0_14default_configENS1_22reduce_config_selectorIiEEZNS1_11reduce_implILb1ES3_PiS7_iN6hipcub16HIPCUB_304000_NS6detail34convert_binary_result_type_wrapperINS9_3SumENS9_22TransformInputIteratorIbN2at6native12_GLOBAL__N_19NonZeroOpIiEEPKilEEiEEEE10hipError_tPvRmT1_T2_T3_mT4_P12ihipStream_tbEUlT_E0_NS1_11comp_targetILNS1_3genE4ELNS1_11target_archE910ELNS1_3gpuE8ELNS1_3repE0EEENS1_30default_config_static_selectorELNS0_4arch9wavefront6targetE0EEEvSQ_, .Lfunc_end152-_ZN7rocprim17ROCPRIM_400000_NS6detail17trampoline_kernelINS0_14default_configENS1_22reduce_config_selectorIiEEZNS1_11reduce_implILb1ES3_PiS7_iN6hipcub16HIPCUB_304000_NS6detail34convert_binary_result_type_wrapperINS9_3SumENS9_22TransformInputIteratorIbN2at6native12_GLOBAL__N_19NonZeroOpIiEEPKilEEiEEEE10hipError_tPvRmT1_T2_T3_mT4_P12ihipStream_tbEUlT_E0_NS1_11comp_targetILNS1_3genE4ELNS1_11target_archE910ELNS1_3gpuE8ELNS1_3repE0EEENS1_30default_config_static_selectorELNS0_4arch9wavefront6targetE0EEEvSQ_
                                        ; -- End function
	.section	.AMDGPU.csdata,"",@progbits
; Kernel info:
; codeLenInByte = 0
; NumSgprs: 0
; NumVgprs: 0
; ScratchSize: 0
; MemoryBound: 0
; FloatMode: 240
; IeeeMode: 1
; LDSByteSize: 0 bytes/workgroup (compile time only)
; SGPRBlocks: 0
; VGPRBlocks: 0
; NumSGPRsForWavesPerEU: 1
; NumVGPRsForWavesPerEU: 1
; Occupancy: 16
; WaveLimiterHint : 0
; COMPUTE_PGM_RSRC2:SCRATCH_EN: 0
; COMPUTE_PGM_RSRC2:USER_SGPR: 15
; COMPUTE_PGM_RSRC2:TRAP_HANDLER: 0
; COMPUTE_PGM_RSRC2:TGID_X_EN: 1
; COMPUTE_PGM_RSRC2:TGID_Y_EN: 0
; COMPUTE_PGM_RSRC2:TGID_Z_EN: 0
; COMPUTE_PGM_RSRC2:TIDIG_COMP_CNT: 0
	.section	.text._ZN7rocprim17ROCPRIM_400000_NS6detail17trampoline_kernelINS0_14default_configENS1_22reduce_config_selectorIiEEZNS1_11reduce_implILb1ES3_PiS7_iN6hipcub16HIPCUB_304000_NS6detail34convert_binary_result_type_wrapperINS9_3SumENS9_22TransformInputIteratorIbN2at6native12_GLOBAL__N_19NonZeroOpIiEEPKilEEiEEEE10hipError_tPvRmT1_T2_T3_mT4_P12ihipStream_tbEUlT_E0_NS1_11comp_targetILNS1_3genE3ELNS1_11target_archE908ELNS1_3gpuE7ELNS1_3repE0EEENS1_30default_config_static_selectorELNS0_4arch9wavefront6targetE0EEEvSQ_,"axG",@progbits,_ZN7rocprim17ROCPRIM_400000_NS6detail17trampoline_kernelINS0_14default_configENS1_22reduce_config_selectorIiEEZNS1_11reduce_implILb1ES3_PiS7_iN6hipcub16HIPCUB_304000_NS6detail34convert_binary_result_type_wrapperINS9_3SumENS9_22TransformInputIteratorIbN2at6native12_GLOBAL__N_19NonZeroOpIiEEPKilEEiEEEE10hipError_tPvRmT1_T2_T3_mT4_P12ihipStream_tbEUlT_E0_NS1_11comp_targetILNS1_3genE3ELNS1_11target_archE908ELNS1_3gpuE7ELNS1_3repE0EEENS1_30default_config_static_selectorELNS0_4arch9wavefront6targetE0EEEvSQ_,comdat
	.globl	_ZN7rocprim17ROCPRIM_400000_NS6detail17trampoline_kernelINS0_14default_configENS1_22reduce_config_selectorIiEEZNS1_11reduce_implILb1ES3_PiS7_iN6hipcub16HIPCUB_304000_NS6detail34convert_binary_result_type_wrapperINS9_3SumENS9_22TransformInputIteratorIbN2at6native12_GLOBAL__N_19NonZeroOpIiEEPKilEEiEEEE10hipError_tPvRmT1_T2_T3_mT4_P12ihipStream_tbEUlT_E0_NS1_11comp_targetILNS1_3genE3ELNS1_11target_archE908ELNS1_3gpuE7ELNS1_3repE0EEENS1_30default_config_static_selectorELNS0_4arch9wavefront6targetE0EEEvSQ_ ; -- Begin function _ZN7rocprim17ROCPRIM_400000_NS6detail17trampoline_kernelINS0_14default_configENS1_22reduce_config_selectorIiEEZNS1_11reduce_implILb1ES3_PiS7_iN6hipcub16HIPCUB_304000_NS6detail34convert_binary_result_type_wrapperINS9_3SumENS9_22TransformInputIteratorIbN2at6native12_GLOBAL__N_19NonZeroOpIiEEPKilEEiEEEE10hipError_tPvRmT1_T2_T3_mT4_P12ihipStream_tbEUlT_E0_NS1_11comp_targetILNS1_3genE3ELNS1_11target_archE908ELNS1_3gpuE7ELNS1_3repE0EEENS1_30default_config_static_selectorELNS0_4arch9wavefront6targetE0EEEvSQ_
	.p2align	8
	.type	_ZN7rocprim17ROCPRIM_400000_NS6detail17trampoline_kernelINS0_14default_configENS1_22reduce_config_selectorIiEEZNS1_11reduce_implILb1ES3_PiS7_iN6hipcub16HIPCUB_304000_NS6detail34convert_binary_result_type_wrapperINS9_3SumENS9_22TransformInputIteratorIbN2at6native12_GLOBAL__N_19NonZeroOpIiEEPKilEEiEEEE10hipError_tPvRmT1_T2_T3_mT4_P12ihipStream_tbEUlT_E0_NS1_11comp_targetILNS1_3genE3ELNS1_11target_archE908ELNS1_3gpuE7ELNS1_3repE0EEENS1_30default_config_static_selectorELNS0_4arch9wavefront6targetE0EEEvSQ_,@function
_ZN7rocprim17ROCPRIM_400000_NS6detail17trampoline_kernelINS0_14default_configENS1_22reduce_config_selectorIiEEZNS1_11reduce_implILb1ES3_PiS7_iN6hipcub16HIPCUB_304000_NS6detail34convert_binary_result_type_wrapperINS9_3SumENS9_22TransformInputIteratorIbN2at6native12_GLOBAL__N_19NonZeroOpIiEEPKilEEiEEEE10hipError_tPvRmT1_T2_T3_mT4_P12ihipStream_tbEUlT_E0_NS1_11comp_targetILNS1_3genE3ELNS1_11target_archE908ELNS1_3gpuE7ELNS1_3repE0EEENS1_30default_config_static_selectorELNS0_4arch9wavefront6targetE0EEEvSQ_: ; @_ZN7rocprim17ROCPRIM_400000_NS6detail17trampoline_kernelINS0_14default_configENS1_22reduce_config_selectorIiEEZNS1_11reduce_implILb1ES3_PiS7_iN6hipcub16HIPCUB_304000_NS6detail34convert_binary_result_type_wrapperINS9_3SumENS9_22TransformInputIteratorIbN2at6native12_GLOBAL__N_19NonZeroOpIiEEPKilEEiEEEE10hipError_tPvRmT1_T2_T3_mT4_P12ihipStream_tbEUlT_E0_NS1_11comp_targetILNS1_3genE3ELNS1_11target_archE908ELNS1_3gpuE7ELNS1_3repE0EEENS1_30default_config_static_selectorELNS0_4arch9wavefront6targetE0EEEvSQ_
; %bb.0:
	.section	.rodata,"a",@progbits
	.p2align	6, 0x0
	.amdhsa_kernel _ZN7rocprim17ROCPRIM_400000_NS6detail17trampoline_kernelINS0_14default_configENS1_22reduce_config_selectorIiEEZNS1_11reduce_implILb1ES3_PiS7_iN6hipcub16HIPCUB_304000_NS6detail34convert_binary_result_type_wrapperINS9_3SumENS9_22TransformInputIteratorIbN2at6native12_GLOBAL__N_19NonZeroOpIiEEPKilEEiEEEE10hipError_tPvRmT1_T2_T3_mT4_P12ihipStream_tbEUlT_E0_NS1_11comp_targetILNS1_3genE3ELNS1_11target_archE908ELNS1_3gpuE7ELNS1_3repE0EEENS1_30default_config_static_selectorELNS0_4arch9wavefront6targetE0EEEvSQ_
		.amdhsa_group_segment_fixed_size 0
		.amdhsa_private_segment_fixed_size 0
		.amdhsa_kernarg_size 56
		.amdhsa_user_sgpr_count 15
		.amdhsa_user_sgpr_dispatch_ptr 0
		.amdhsa_user_sgpr_queue_ptr 0
		.amdhsa_user_sgpr_kernarg_segment_ptr 1
		.amdhsa_user_sgpr_dispatch_id 0
		.amdhsa_user_sgpr_private_segment_size 0
		.amdhsa_wavefront_size32 1
		.amdhsa_uses_dynamic_stack 0
		.amdhsa_enable_private_segment 0
		.amdhsa_system_sgpr_workgroup_id_x 1
		.amdhsa_system_sgpr_workgroup_id_y 0
		.amdhsa_system_sgpr_workgroup_id_z 0
		.amdhsa_system_sgpr_workgroup_info 0
		.amdhsa_system_vgpr_workitem_id 0
		.amdhsa_next_free_vgpr 1
		.amdhsa_next_free_sgpr 1
		.amdhsa_reserve_vcc 0
		.amdhsa_float_round_mode_32 0
		.amdhsa_float_round_mode_16_64 0
		.amdhsa_float_denorm_mode_32 3
		.amdhsa_float_denorm_mode_16_64 3
		.amdhsa_dx10_clamp 1
		.amdhsa_ieee_mode 1
		.amdhsa_fp16_overflow 0
		.amdhsa_workgroup_processor_mode 1
		.amdhsa_memory_ordered 1
		.amdhsa_forward_progress 0
		.amdhsa_shared_vgpr_count 0
		.amdhsa_exception_fp_ieee_invalid_op 0
		.amdhsa_exception_fp_denorm_src 0
		.amdhsa_exception_fp_ieee_div_zero 0
		.amdhsa_exception_fp_ieee_overflow 0
		.amdhsa_exception_fp_ieee_underflow 0
		.amdhsa_exception_fp_ieee_inexact 0
		.amdhsa_exception_int_div_zero 0
	.end_amdhsa_kernel
	.section	.text._ZN7rocprim17ROCPRIM_400000_NS6detail17trampoline_kernelINS0_14default_configENS1_22reduce_config_selectorIiEEZNS1_11reduce_implILb1ES3_PiS7_iN6hipcub16HIPCUB_304000_NS6detail34convert_binary_result_type_wrapperINS9_3SumENS9_22TransformInputIteratorIbN2at6native12_GLOBAL__N_19NonZeroOpIiEEPKilEEiEEEE10hipError_tPvRmT1_T2_T3_mT4_P12ihipStream_tbEUlT_E0_NS1_11comp_targetILNS1_3genE3ELNS1_11target_archE908ELNS1_3gpuE7ELNS1_3repE0EEENS1_30default_config_static_selectorELNS0_4arch9wavefront6targetE0EEEvSQ_,"axG",@progbits,_ZN7rocprim17ROCPRIM_400000_NS6detail17trampoline_kernelINS0_14default_configENS1_22reduce_config_selectorIiEEZNS1_11reduce_implILb1ES3_PiS7_iN6hipcub16HIPCUB_304000_NS6detail34convert_binary_result_type_wrapperINS9_3SumENS9_22TransformInputIteratorIbN2at6native12_GLOBAL__N_19NonZeroOpIiEEPKilEEiEEEE10hipError_tPvRmT1_T2_T3_mT4_P12ihipStream_tbEUlT_E0_NS1_11comp_targetILNS1_3genE3ELNS1_11target_archE908ELNS1_3gpuE7ELNS1_3repE0EEENS1_30default_config_static_selectorELNS0_4arch9wavefront6targetE0EEEvSQ_,comdat
.Lfunc_end153:
	.size	_ZN7rocprim17ROCPRIM_400000_NS6detail17trampoline_kernelINS0_14default_configENS1_22reduce_config_selectorIiEEZNS1_11reduce_implILb1ES3_PiS7_iN6hipcub16HIPCUB_304000_NS6detail34convert_binary_result_type_wrapperINS9_3SumENS9_22TransformInputIteratorIbN2at6native12_GLOBAL__N_19NonZeroOpIiEEPKilEEiEEEE10hipError_tPvRmT1_T2_T3_mT4_P12ihipStream_tbEUlT_E0_NS1_11comp_targetILNS1_3genE3ELNS1_11target_archE908ELNS1_3gpuE7ELNS1_3repE0EEENS1_30default_config_static_selectorELNS0_4arch9wavefront6targetE0EEEvSQ_, .Lfunc_end153-_ZN7rocprim17ROCPRIM_400000_NS6detail17trampoline_kernelINS0_14default_configENS1_22reduce_config_selectorIiEEZNS1_11reduce_implILb1ES3_PiS7_iN6hipcub16HIPCUB_304000_NS6detail34convert_binary_result_type_wrapperINS9_3SumENS9_22TransformInputIteratorIbN2at6native12_GLOBAL__N_19NonZeroOpIiEEPKilEEiEEEE10hipError_tPvRmT1_T2_T3_mT4_P12ihipStream_tbEUlT_E0_NS1_11comp_targetILNS1_3genE3ELNS1_11target_archE908ELNS1_3gpuE7ELNS1_3repE0EEENS1_30default_config_static_selectorELNS0_4arch9wavefront6targetE0EEEvSQ_
                                        ; -- End function
	.section	.AMDGPU.csdata,"",@progbits
; Kernel info:
; codeLenInByte = 0
; NumSgprs: 0
; NumVgprs: 0
; ScratchSize: 0
; MemoryBound: 0
; FloatMode: 240
; IeeeMode: 1
; LDSByteSize: 0 bytes/workgroup (compile time only)
; SGPRBlocks: 0
; VGPRBlocks: 0
; NumSGPRsForWavesPerEU: 1
; NumVGPRsForWavesPerEU: 1
; Occupancy: 16
; WaveLimiterHint : 0
; COMPUTE_PGM_RSRC2:SCRATCH_EN: 0
; COMPUTE_PGM_RSRC2:USER_SGPR: 15
; COMPUTE_PGM_RSRC2:TRAP_HANDLER: 0
; COMPUTE_PGM_RSRC2:TGID_X_EN: 1
; COMPUTE_PGM_RSRC2:TGID_Y_EN: 0
; COMPUTE_PGM_RSRC2:TGID_Z_EN: 0
; COMPUTE_PGM_RSRC2:TIDIG_COMP_CNT: 0
	.section	.text._ZN7rocprim17ROCPRIM_400000_NS6detail17trampoline_kernelINS0_14default_configENS1_22reduce_config_selectorIiEEZNS1_11reduce_implILb1ES3_PiS7_iN6hipcub16HIPCUB_304000_NS6detail34convert_binary_result_type_wrapperINS9_3SumENS9_22TransformInputIteratorIbN2at6native12_GLOBAL__N_19NonZeroOpIiEEPKilEEiEEEE10hipError_tPvRmT1_T2_T3_mT4_P12ihipStream_tbEUlT_E0_NS1_11comp_targetILNS1_3genE2ELNS1_11target_archE906ELNS1_3gpuE6ELNS1_3repE0EEENS1_30default_config_static_selectorELNS0_4arch9wavefront6targetE0EEEvSQ_,"axG",@progbits,_ZN7rocprim17ROCPRIM_400000_NS6detail17trampoline_kernelINS0_14default_configENS1_22reduce_config_selectorIiEEZNS1_11reduce_implILb1ES3_PiS7_iN6hipcub16HIPCUB_304000_NS6detail34convert_binary_result_type_wrapperINS9_3SumENS9_22TransformInputIteratorIbN2at6native12_GLOBAL__N_19NonZeroOpIiEEPKilEEiEEEE10hipError_tPvRmT1_T2_T3_mT4_P12ihipStream_tbEUlT_E0_NS1_11comp_targetILNS1_3genE2ELNS1_11target_archE906ELNS1_3gpuE6ELNS1_3repE0EEENS1_30default_config_static_selectorELNS0_4arch9wavefront6targetE0EEEvSQ_,comdat
	.globl	_ZN7rocprim17ROCPRIM_400000_NS6detail17trampoline_kernelINS0_14default_configENS1_22reduce_config_selectorIiEEZNS1_11reduce_implILb1ES3_PiS7_iN6hipcub16HIPCUB_304000_NS6detail34convert_binary_result_type_wrapperINS9_3SumENS9_22TransformInputIteratorIbN2at6native12_GLOBAL__N_19NonZeroOpIiEEPKilEEiEEEE10hipError_tPvRmT1_T2_T3_mT4_P12ihipStream_tbEUlT_E0_NS1_11comp_targetILNS1_3genE2ELNS1_11target_archE906ELNS1_3gpuE6ELNS1_3repE0EEENS1_30default_config_static_selectorELNS0_4arch9wavefront6targetE0EEEvSQ_ ; -- Begin function _ZN7rocprim17ROCPRIM_400000_NS6detail17trampoline_kernelINS0_14default_configENS1_22reduce_config_selectorIiEEZNS1_11reduce_implILb1ES3_PiS7_iN6hipcub16HIPCUB_304000_NS6detail34convert_binary_result_type_wrapperINS9_3SumENS9_22TransformInputIteratorIbN2at6native12_GLOBAL__N_19NonZeroOpIiEEPKilEEiEEEE10hipError_tPvRmT1_T2_T3_mT4_P12ihipStream_tbEUlT_E0_NS1_11comp_targetILNS1_3genE2ELNS1_11target_archE906ELNS1_3gpuE6ELNS1_3repE0EEENS1_30default_config_static_selectorELNS0_4arch9wavefront6targetE0EEEvSQ_
	.p2align	8
	.type	_ZN7rocprim17ROCPRIM_400000_NS6detail17trampoline_kernelINS0_14default_configENS1_22reduce_config_selectorIiEEZNS1_11reduce_implILb1ES3_PiS7_iN6hipcub16HIPCUB_304000_NS6detail34convert_binary_result_type_wrapperINS9_3SumENS9_22TransformInputIteratorIbN2at6native12_GLOBAL__N_19NonZeroOpIiEEPKilEEiEEEE10hipError_tPvRmT1_T2_T3_mT4_P12ihipStream_tbEUlT_E0_NS1_11comp_targetILNS1_3genE2ELNS1_11target_archE906ELNS1_3gpuE6ELNS1_3repE0EEENS1_30default_config_static_selectorELNS0_4arch9wavefront6targetE0EEEvSQ_,@function
_ZN7rocprim17ROCPRIM_400000_NS6detail17trampoline_kernelINS0_14default_configENS1_22reduce_config_selectorIiEEZNS1_11reduce_implILb1ES3_PiS7_iN6hipcub16HIPCUB_304000_NS6detail34convert_binary_result_type_wrapperINS9_3SumENS9_22TransformInputIteratorIbN2at6native12_GLOBAL__N_19NonZeroOpIiEEPKilEEiEEEE10hipError_tPvRmT1_T2_T3_mT4_P12ihipStream_tbEUlT_E0_NS1_11comp_targetILNS1_3genE2ELNS1_11target_archE906ELNS1_3gpuE6ELNS1_3repE0EEENS1_30default_config_static_selectorELNS0_4arch9wavefront6targetE0EEEvSQ_: ; @_ZN7rocprim17ROCPRIM_400000_NS6detail17trampoline_kernelINS0_14default_configENS1_22reduce_config_selectorIiEEZNS1_11reduce_implILb1ES3_PiS7_iN6hipcub16HIPCUB_304000_NS6detail34convert_binary_result_type_wrapperINS9_3SumENS9_22TransformInputIteratorIbN2at6native12_GLOBAL__N_19NonZeroOpIiEEPKilEEiEEEE10hipError_tPvRmT1_T2_T3_mT4_P12ihipStream_tbEUlT_E0_NS1_11comp_targetILNS1_3genE2ELNS1_11target_archE906ELNS1_3gpuE6ELNS1_3repE0EEENS1_30default_config_static_selectorELNS0_4arch9wavefront6targetE0EEEvSQ_
; %bb.0:
	.section	.rodata,"a",@progbits
	.p2align	6, 0x0
	.amdhsa_kernel _ZN7rocprim17ROCPRIM_400000_NS6detail17trampoline_kernelINS0_14default_configENS1_22reduce_config_selectorIiEEZNS1_11reduce_implILb1ES3_PiS7_iN6hipcub16HIPCUB_304000_NS6detail34convert_binary_result_type_wrapperINS9_3SumENS9_22TransformInputIteratorIbN2at6native12_GLOBAL__N_19NonZeroOpIiEEPKilEEiEEEE10hipError_tPvRmT1_T2_T3_mT4_P12ihipStream_tbEUlT_E0_NS1_11comp_targetILNS1_3genE2ELNS1_11target_archE906ELNS1_3gpuE6ELNS1_3repE0EEENS1_30default_config_static_selectorELNS0_4arch9wavefront6targetE0EEEvSQ_
		.amdhsa_group_segment_fixed_size 0
		.amdhsa_private_segment_fixed_size 0
		.amdhsa_kernarg_size 56
		.amdhsa_user_sgpr_count 15
		.amdhsa_user_sgpr_dispatch_ptr 0
		.amdhsa_user_sgpr_queue_ptr 0
		.amdhsa_user_sgpr_kernarg_segment_ptr 1
		.amdhsa_user_sgpr_dispatch_id 0
		.amdhsa_user_sgpr_private_segment_size 0
		.amdhsa_wavefront_size32 1
		.amdhsa_uses_dynamic_stack 0
		.amdhsa_enable_private_segment 0
		.amdhsa_system_sgpr_workgroup_id_x 1
		.amdhsa_system_sgpr_workgroup_id_y 0
		.amdhsa_system_sgpr_workgroup_id_z 0
		.amdhsa_system_sgpr_workgroup_info 0
		.amdhsa_system_vgpr_workitem_id 0
		.amdhsa_next_free_vgpr 1
		.amdhsa_next_free_sgpr 1
		.amdhsa_reserve_vcc 0
		.amdhsa_float_round_mode_32 0
		.amdhsa_float_round_mode_16_64 0
		.amdhsa_float_denorm_mode_32 3
		.amdhsa_float_denorm_mode_16_64 3
		.amdhsa_dx10_clamp 1
		.amdhsa_ieee_mode 1
		.amdhsa_fp16_overflow 0
		.amdhsa_workgroup_processor_mode 1
		.amdhsa_memory_ordered 1
		.amdhsa_forward_progress 0
		.amdhsa_shared_vgpr_count 0
		.amdhsa_exception_fp_ieee_invalid_op 0
		.amdhsa_exception_fp_denorm_src 0
		.amdhsa_exception_fp_ieee_div_zero 0
		.amdhsa_exception_fp_ieee_overflow 0
		.amdhsa_exception_fp_ieee_underflow 0
		.amdhsa_exception_fp_ieee_inexact 0
		.amdhsa_exception_int_div_zero 0
	.end_amdhsa_kernel
	.section	.text._ZN7rocprim17ROCPRIM_400000_NS6detail17trampoline_kernelINS0_14default_configENS1_22reduce_config_selectorIiEEZNS1_11reduce_implILb1ES3_PiS7_iN6hipcub16HIPCUB_304000_NS6detail34convert_binary_result_type_wrapperINS9_3SumENS9_22TransformInputIteratorIbN2at6native12_GLOBAL__N_19NonZeroOpIiEEPKilEEiEEEE10hipError_tPvRmT1_T2_T3_mT4_P12ihipStream_tbEUlT_E0_NS1_11comp_targetILNS1_3genE2ELNS1_11target_archE906ELNS1_3gpuE6ELNS1_3repE0EEENS1_30default_config_static_selectorELNS0_4arch9wavefront6targetE0EEEvSQ_,"axG",@progbits,_ZN7rocprim17ROCPRIM_400000_NS6detail17trampoline_kernelINS0_14default_configENS1_22reduce_config_selectorIiEEZNS1_11reduce_implILb1ES3_PiS7_iN6hipcub16HIPCUB_304000_NS6detail34convert_binary_result_type_wrapperINS9_3SumENS9_22TransformInputIteratorIbN2at6native12_GLOBAL__N_19NonZeroOpIiEEPKilEEiEEEE10hipError_tPvRmT1_T2_T3_mT4_P12ihipStream_tbEUlT_E0_NS1_11comp_targetILNS1_3genE2ELNS1_11target_archE906ELNS1_3gpuE6ELNS1_3repE0EEENS1_30default_config_static_selectorELNS0_4arch9wavefront6targetE0EEEvSQ_,comdat
.Lfunc_end154:
	.size	_ZN7rocprim17ROCPRIM_400000_NS6detail17trampoline_kernelINS0_14default_configENS1_22reduce_config_selectorIiEEZNS1_11reduce_implILb1ES3_PiS7_iN6hipcub16HIPCUB_304000_NS6detail34convert_binary_result_type_wrapperINS9_3SumENS9_22TransformInputIteratorIbN2at6native12_GLOBAL__N_19NonZeroOpIiEEPKilEEiEEEE10hipError_tPvRmT1_T2_T3_mT4_P12ihipStream_tbEUlT_E0_NS1_11comp_targetILNS1_3genE2ELNS1_11target_archE906ELNS1_3gpuE6ELNS1_3repE0EEENS1_30default_config_static_selectorELNS0_4arch9wavefront6targetE0EEEvSQ_, .Lfunc_end154-_ZN7rocprim17ROCPRIM_400000_NS6detail17trampoline_kernelINS0_14default_configENS1_22reduce_config_selectorIiEEZNS1_11reduce_implILb1ES3_PiS7_iN6hipcub16HIPCUB_304000_NS6detail34convert_binary_result_type_wrapperINS9_3SumENS9_22TransformInputIteratorIbN2at6native12_GLOBAL__N_19NonZeroOpIiEEPKilEEiEEEE10hipError_tPvRmT1_T2_T3_mT4_P12ihipStream_tbEUlT_E0_NS1_11comp_targetILNS1_3genE2ELNS1_11target_archE906ELNS1_3gpuE6ELNS1_3repE0EEENS1_30default_config_static_selectorELNS0_4arch9wavefront6targetE0EEEvSQ_
                                        ; -- End function
	.section	.AMDGPU.csdata,"",@progbits
; Kernel info:
; codeLenInByte = 0
; NumSgprs: 0
; NumVgprs: 0
; ScratchSize: 0
; MemoryBound: 0
; FloatMode: 240
; IeeeMode: 1
; LDSByteSize: 0 bytes/workgroup (compile time only)
; SGPRBlocks: 0
; VGPRBlocks: 0
; NumSGPRsForWavesPerEU: 1
; NumVGPRsForWavesPerEU: 1
; Occupancy: 16
; WaveLimiterHint : 0
; COMPUTE_PGM_RSRC2:SCRATCH_EN: 0
; COMPUTE_PGM_RSRC2:USER_SGPR: 15
; COMPUTE_PGM_RSRC2:TRAP_HANDLER: 0
; COMPUTE_PGM_RSRC2:TGID_X_EN: 1
; COMPUTE_PGM_RSRC2:TGID_Y_EN: 0
; COMPUTE_PGM_RSRC2:TGID_Z_EN: 0
; COMPUTE_PGM_RSRC2:TIDIG_COMP_CNT: 0
	.section	.text._ZN7rocprim17ROCPRIM_400000_NS6detail17trampoline_kernelINS0_14default_configENS1_22reduce_config_selectorIiEEZNS1_11reduce_implILb1ES3_PiS7_iN6hipcub16HIPCUB_304000_NS6detail34convert_binary_result_type_wrapperINS9_3SumENS9_22TransformInputIteratorIbN2at6native12_GLOBAL__N_19NonZeroOpIiEEPKilEEiEEEE10hipError_tPvRmT1_T2_T3_mT4_P12ihipStream_tbEUlT_E0_NS1_11comp_targetILNS1_3genE10ELNS1_11target_archE1201ELNS1_3gpuE5ELNS1_3repE0EEENS1_30default_config_static_selectorELNS0_4arch9wavefront6targetE0EEEvSQ_,"axG",@progbits,_ZN7rocprim17ROCPRIM_400000_NS6detail17trampoline_kernelINS0_14default_configENS1_22reduce_config_selectorIiEEZNS1_11reduce_implILb1ES3_PiS7_iN6hipcub16HIPCUB_304000_NS6detail34convert_binary_result_type_wrapperINS9_3SumENS9_22TransformInputIteratorIbN2at6native12_GLOBAL__N_19NonZeroOpIiEEPKilEEiEEEE10hipError_tPvRmT1_T2_T3_mT4_P12ihipStream_tbEUlT_E0_NS1_11comp_targetILNS1_3genE10ELNS1_11target_archE1201ELNS1_3gpuE5ELNS1_3repE0EEENS1_30default_config_static_selectorELNS0_4arch9wavefront6targetE0EEEvSQ_,comdat
	.globl	_ZN7rocprim17ROCPRIM_400000_NS6detail17trampoline_kernelINS0_14default_configENS1_22reduce_config_selectorIiEEZNS1_11reduce_implILb1ES3_PiS7_iN6hipcub16HIPCUB_304000_NS6detail34convert_binary_result_type_wrapperINS9_3SumENS9_22TransformInputIteratorIbN2at6native12_GLOBAL__N_19NonZeroOpIiEEPKilEEiEEEE10hipError_tPvRmT1_T2_T3_mT4_P12ihipStream_tbEUlT_E0_NS1_11comp_targetILNS1_3genE10ELNS1_11target_archE1201ELNS1_3gpuE5ELNS1_3repE0EEENS1_30default_config_static_selectorELNS0_4arch9wavefront6targetE0EEEvSQ_ ; -- Begin function _ZN7rocprim17ROCPRIM_400000_NS6detail17trampoline_kernelINS0_14default_configENS1_22reduce_config_selectorIiEEZNS1_11reduce_implILb1ES3_PiS7_iN6hipcub16HIPCUB_304000_NS6detail34convert_binary_result_type_wrapperINS9_3SumENS9_22TransformInputIteratorIbN2at6native12_GLOBAL__N_19NonZeroOpIiEEPKilEEiEEEE10hipError_tPvRmT1_T2_T3_mT4_P12ihipStream_tbEUlT_E0_NS1_11comp_targetILNS1_3genE10ELNS1_11target_archE1201ELNS1_3gpuE5ELNS1_3repE0EEENS1_30default_config_static_selectorELNS0_4arch9wavefront6targetE0EEEvSQ_
	.p2align	8
	.type	_ZN7rocprim17ROCPRIM_400000_NS6detail17trampoline_kernelINS0_14default_configENS1_22reduce_config_selectorIiEEZNS1_11reduce_implILb1ES3_PiS7_iN6hipcub16HIPCUB_304000_NS6detail34convert_binary_result_type_wrapperINS9_3SumENS9_22TransformInputIteratorIbN2at6native12_GLOBAL__N_19NonZeroOpIiEEPKilEEiEEEE10hipError_tPvRmT1_T2_T3_mT4_P12ihipStream_tbEUlT_E0_NS1_11comp_targetILNS1_3genE10ELNS1_11target_archE1201ELNS1_3gpuE5ELNS1_3repE0EEENS1_30default_config_static_selectorELNS0_4arch9wavefront6targetE0EEEvSQ_,@function
_ZN7rocprim17ROCPRIM_400000_NS6detail17trampoline_kernelINS0_14default_configENS1_22reduce_config_selectorIiEEZNS1_11reduce_implILb1ES3_PiS7_iN6hipcub16HIPCUB_304000_NS6detail34convert_binary_result_type_wrapperINS9_3SumENS9_22TransformInputIteratorIbN2at6native12_GLOBAL__N_19NonZeroOpIiEEPKilEEiEEEE10hipError_tPvRmT1_T2_T3_mT4_P12ihipStream_tbEUlT_E0_NS1_11comp_targetILNS1_3genE10ELNS1_11target_archE1201ELNS1_3gpuE5ELNS1_3repE0EEENS1_30default_config_static_selectorELNS0_4arch9wavefront6targetE0EEEvSQ_: ; @_ZN7rocprim17ROCPRIM_400000_NS6detail17trampoline_kernelINS0_14default_configENS1_22reduce_config_selectorIiEEZNS1_11reduce_implILb1ES3_PiS7_iN6hipcub16HIPCUB_304000_NS6detail34convert_binary_result_type_wrapperINS9_3SumENS9_22TransformInputIteratorIbN2at6native12_GLOBAL__N_19NonZeroOpIiEEPKilEEiEEEE10hipError_tPvRmT1_T2_T3_mT4_P12ihipStream_tbEUlT_E0_NS1_11comp_targetILNS1_3genE10ELNS1_11target_archE1201ELNS1_3gpuE5ELNS1_3repE0EEENS1_30default_config_static_selectorELNS0_4arch9wavefront6targetE0EEEvSQ_
; %bb.0:
	.section	.rodata,"a",@progbits
	.p2align	6, 0x0
	.amdhsa_kernel _ZN7rocprim17ROCPRIM_400000_NS6detail17trampoline_kernelINS0_14default_configENS1_22reduce_config_selectorIiEEZNS1_11reduce_implILb1ES3_PiS7_iN6hipcub16HIPCUB_304000_NS6detail34convert_binary_result_type_wrapperINS9_3SumENS9_22TransformInputIteratorIbN2at6native12_GLOBAL__N_19NonZeroOpIiEEPKilEEiEEEE10hipError_tPvRmT1_T2_T3_mT4_P12ihipStream_tbEUlT_E0_NS1_11comp_targetILNS1_3genE10ELNS1_11target_archE1201ELNS1_3gpuE5ELNS1_3repE0EEENS1_30default_config_static_selectorELNS0_4arch9wavefront6targetE0EEEvSQ_
		.amdhsa_group_segment_fixed_size 0
		.amdhsa_private_segment_fixed_size 0
		.amdhsa_kernarg_size 56
		.amdhsa_user_sgpr_count 15
		.amdhsa_user_sgpr_dispatch_ptr 0
		.amdhsa_user_sgpr_queue_ptr 0
		.amdhsa_user_sgpr_kernarg_segment_ptr 1
		.amdhsa_user_sgpr_dispatch_id 0
		.amdhsa_user_sgpr_private_segment_size 0
		.amdhsa_wavefront_size32 1
		.amdhsa_uses_dynamic_stack 0
		.amdhsa_enable_private_segment 0
		.amdhsa_system_sgpr_workgroup_id_x 1
		.amdhsa_system_sgpr_workgroup_id_y 0
		.amdhsa_system_sgpr_workgroup_id_z 0
		.amdhsa_system_sgpr_workgroup_info 0
		.amdhsa_system_vgpr_workitem_id 0
		.amdhsa_next_free_vgpr 1
		.amdhsa_next_free_sgpr 1
		.amdhsa_reserve_vcc 0
		.amdhsa_float_round_mode_32 0
		.amdhsa_float_round_mode_16_64 0
		.amdhsa_float_denorm_mode_32 3
		.amdhsa_float_denorm_mode_16_64 3
		.amdhsa_dx10_clamp 1
		.amdhsa_ieee_mode 1
		.amdhsa_fp16_overflow 0
		.amdhsa_workgroup_processor_mode 1
		.amdhsa_memory_ordered 1
		.amdhsa_forward_progress 0
		.amdhsa_shared_vgpr_count 0
		.amdhsa_exception_fp_ieee_invalid_op 0
		.amdhsa_exception_fp_denorm_src 0
		.amdhsa_exception_fp_ieee_div_zero 0
		.amdhsa_exception_fp_ieee_overflow 0
		.amdhsa_exception_fp_ieee_underflow 0
		.amdhsa_exception_fp_ieee_inexact 0
		.amdhsa_exception_int_div_zero 0
	.end_amdhsa_kernel
	.section	.text._ZN7rocprim17ROCPRIM_400000_NS6detail17trampoline_kernelINS0_14default_configENS1_22reduce_config_selectorIiEEZNS1_11reduce_implILb1ES3_PiS7_iN6hipcub16HIPCUB_304000_NS6detail34convert_binary_result_type_wrapperINS9_3SumENS9_22TransformInputIteratorIbN2at6native12_GLOBAL__N_19NonZeroOpIiEEPKilEEiEEEE10hipError_tPvRmT1_T2_T3_mT4_P12ihipStream_tbEUlT_E0_NS1_11comp_targetILNS1_3genE10ELNS1_11target_archE1201ELNS1_3gpuE5ELNS1_3repE0EEENS1_30default_config_static_selectorELNS0_4arch9wavefront6targetE0EEEvSQ_,"axG",@progbits,_ZN7rocprim17ROCPRIM_400000_NS6detail17trampoline_kernelINS0_14default_configENS1_22reduce_config_selectorIiEEZNS1_11reduce_implILb1ES3_PiS7_iN6hipcub16HIPCUB_304000_NS6detail34convert_binary_result_type_wrapperINS9_3SumENS9_22TransformInputIteratorIbN2at6native12_GLOBAL__N_19NonZeroOpIiEEPKilEEiEEEE10hipError_tPvRmT1_T2_T3_mT4_P12ihipStream_tbEUlT_E0_NS1_11comp_targetILNS1_3genE10ELNS1_11target_archE1201ELNS1_3gpuE5ELNS1_3repE0EEENS1_30default_config_static_selectorELNS0_4arch9wavefront6targetE0EEEvSQ_,comdat
.Lfunc_end155:
	.size	_ZN7rocprim17ROCPRIM_400000_NS6detail17trampoline_kernelINS0_14default_configENS1_22reduce_config_selectorIiEEZNS1_11reduce_implILb1ES3_PiS7_iN6hipcub16HIPCUB_304000_NS6detail34convert_binary_result_type_wrapperINS9_3SumENS9_22TransformInputIteratorIbN2at6native12_GLOBAL__N_19NonZeroOpIiEEPKilEEiEEEE10hipError_tPvRmT1_T2_T3_mT4_P12ihipStream_tbEUlT_E0_NS1_11comp_targetILNS1_3genE10ELNS1_11target_archE1201ELNS1_3gpuE5ELNS1_3repE0EEENS1_30default_config_static_selectorELNS0_4arch9wavefront6targetE0EEEvSQ_, .Lfunc_end155-_ZN7rocprim17ROCPRIM_400000_NS6detail17trampoline_kernelINS0_14default_configENS1_22reduce_config_selectorIiEEZNS1_11reduce_implILb1ES3_PiS7_iN6hipcub16HIPCUB_304000_NS6detail34convert_binary_result_type_wrapperINS9_3SumENS9_22TransformInputIteratorIbN2at6native12_GLOBAL__N_19NonZeroOpIiEEPKilEEiEEEE10hipError_tPvRmT1_T2_T3_mT4_P12ihipStream_tbEUlT_E0_NS1_11comp_targetILNS1_3genE10ELNS1_11target_archE1201ELNS1_3gpuE5ELNS1_3repE0EEENS1_30default_config_static_selectorELNS0_4arch9wavefront6targetE0EEEvSQ_
                                        ; -- End function
	.section	.AMDGPU.csdata,"",@progbits
; Kernel info:
; codeLenInByte = 0
; NumSgprs: 0
; NumVgprs: 0
; ScratchSize: 0
; MemoryBound: 0
; FloatMode: 240
; IeeeMode: 1
; LDSByteSize: 0 bytes/workgroup (compile time only)
; SGPRBlocks: 0
; VGPRBlocks: 0
; NumSGPRsForWavesPerEU: 1
; NumVGPRsForWavesPerEU: 1
; Occupancy: 16
; WaveLimiterHint : 0
; COMPUTE_PGM_RSRC2:SCRATCH_EN: 0
; COMPUTE_PGM_RSRC2:USER_SGPR: 15
; COMPUTE_PGM_RSRC2:TRAP_HANDLER: 0
; COMPUTE_PGM_RSRC2:TGID_X_EN: 1
; COMPUTE_PGM_RSRC2:TGID_Y_EN: 0
; COMPUTE_PGM_RSRC2:TGID_Z_EN: 0
; COMPUTE_PGM_RSRC2:TIDIG_COMP_CNT: 0
	.section	.text._ZN7rocprim17ROCPRIM_400000_NS6detail17trampoline_kernelINS0_14default_configENS1_22reduce_config_selectorIiEEZNS1_11reduce_implILb1ES3_PiS7_iN6hipcub16HIPCUB_304000_NS6detail34convert_binary_result_type_wrapperINS9_3SumENS9_22TransformInputIteratorIbN2at6native12_GLOBAL__N_19NonZeroOpIiEEPKilEEiEEEE10hipError_tPvRmT1_T2_T3_mT4_P12ihipStream_tbEUlT_E0_NS1_11comp_targetILNS1_3genE10ELNS1_11target_archE1200ELNS1_3gpuE4ELNS1_3repE0EEENS1_30default_config_static_selectorELNS0_4arch9wavefront6targetE0EEEvSQ_,"axG",@progbits,_ZN7rocprim17ROCPRIM_400000_NS6detail17trampoline_kernelINS0_14default_configENS1_22reduce_config_selectorIiEEZNS1_11reduce_implILb1ES3_PiS7_iN6hipcub16HIPCUB_304000_NS6detail34convert_binary_result_type_wrapperINS9_3SumENS9_22TransformInputIteratorIbN2at6native12_GLOBAL__N_19NonZeroOpIiEEPKilEEiEEEE10hipError_tPvRmT1_T2_T3_mT4_P12ihipStream_tbEUlT_E0_NS1_11comp_targetILNS1_3genE10ELNS1_11target_archE1200ELNS1_3gpuE4ELNS1_3repE0EEENS1_30default_config_static_selectorELNS0_4arch9wavefront6targetE0EEEvSQ_,comdat
	.globl	_ZN7rocprim17ROCPRIM_400000_NS6detail17trampoline_kernelINS0_14default_configENS1_22reduce_config_selectorIiEEZNS1_11reduce_implILb1ES3_PiS7_iN6hipcub16HIPCUB_304000_NS6detail34convert_binary_result_type_wrapperINS9_3SumENS9_22TransformInputIteratorIbN2at6native12_GLOBAL__N_19NonZeroOpIiEEPKilEEiEEEE10hipError_tPvRmT1_T2_T3_mT4_P12ihipStream_tbEUlT_E0_NS1_11comp_targetILNS1_3genE10ELNS1_11target_archE1200ELNS1_3gpuE4ELNS1_3repE0EEENS1_30default_config_static_selectorELNS0_4arch9wavefront6targetE0EEEvSQ_ ; -- Begin function _ZN7rocprim17ROCPRIM_400000_NS6detail17trampoline_kernelINS0_14default_configENS1_22reduce_config_selectorIiEEZNS1_11reduce_implILb1ES3_PiS7_iN6hipcub16HIPCUB_304000_NS6detail34convert_binary_result_type_wrapperINS9_3SumENS9_22TransformInputIteratorIbN2at6native12_GLOBAL__N_19NonZeroOpIiEEPKilEEiEEEE10hipError_tPvRmT1_T2_T3_mT4_P12ihipStream_tbEUlT_E0_NS1_11comp_targetILNS1_3genE10ELNS1_11target_archE1200ELNS1_3gpuE4ELNS1_3repE0EEENS1_30default_config_static_selectorELNS0_4arch9wavefront6targetE0EEEvSQ_
	.p2align	8
	.type	_ZN7rocprim17ROCPRIM_400000_NS6detail17trampoline_kernelINS0_14default_configENS1_22reduce_config_selectorIiEEZNS1_11reduce_implILb1ES3_PiS7_iN6hipcub16HIPCUB_304000_NS6detail34convert_binary_result_type_wrapperINS9_3SumENS9_22TransformInputIteratorIbN2at6native12_GLOBAL__N_19NonZeroOpIiEEPKilEEiEEEE10hipError_tPvRmT1_T2_T3_mT4_P12ihipStream_tbEUlT_E0_NS1_11comp_targetILNS1_3genE10ELNS1_11target_archE1200ELNS1_3gpuE4ELNS1_3repE0EEENS1_30default_config_static_selectorELNS0_4arch9wavefront6targetE0EEEvSQ_,@function
_ZN7rocprim17ROCPRIM_400000_NS6detail17trampoline_kernelINS0_14default_configENS1_22reduce_config_selectorIiEEZNS1_11reduce_implILb1ES3_PiS7_iN6hipcub16HIPCUB_304000_NS6detail34convert_binary_result_type_wrapperINS9_3SumENS9_22TransformInputIteratorIbN2at6native12_GLOBAL__N_19NonZeroOpIiEEPKilEEiEEEE10hipError_tPvRmT1_T2_T3_mT4_P12ihipStream_tbEUlT_E0_NS1_11comp_targetILNS1_3genE10ELNS1_11target_archE1200ELNS1_3gpuE4ELNS1_3repE0EEENS1_30default_config_static_selectorELNS0_4arch9wavefront6targetE0EEEvSQ_: ; @_ZN7rocprim17ROCPRIM_400000_NS6detail17trampoline_kernelINS0_14default_configENS1_22reduce_config_selectorIiEEZNS1_11reduce_implILb1ES3_PiS7_iN6hipcub16HIPCUB_304000_NS6detail34convert_binary_result_type_wrapperINS9_3SumENS9_22TransformInputIteratorIbN2at6native12_GLOBAL__N_19NonZeroOpIiEEPKilEEiEEEE10hipError_tPvRmT1_T2_T3_mT4_P12ihipStream_tbEUlT_E0_NS1_11comp_targetILNS1_3genE10ELNS1_11target_archE1200ELNS1_3gpuE4ELNS1_3repE0EEENS1_30default_config_static_selectorELNS0_4arch9wavefront6targetE0EEEvSQ_
; %bb.0:
	.section	.rodata,"a",@progbits
	.p2align	6, 0x0
	.amdhsa_kernel _ZN7rocprim17ROCPRIM_400000_NS6detail17trampoline_kernelINS0_14default_configENS1_22reduce_config_selectorIiEEZNS1_11reduce_implILb1ES3_PiS7_iN6hipcub16HIPCUB_304000_NS6detail34convert_binary_result_type_wrapperINS9_3SumENS9_22TransformInputIteratorIbN2at6native12_GLOBAL__N_19NonZeroOpIiEEPKilEEiEEEE10hipError_tPvRmT1_T2_T3_mT4_P12ihipStream_tbEUlT_E0_NS1_11comp_targetILNS1_3genE10ELNS1_11target_archE1200ELNS1_3gpuE4ELNS1_3repE0EEENS1_30default_config_static_selectorELNS0_4arch9wavefront6targetE0EEEvSQ_
		.amdhsa_group_segment_fixed_size 0
		.amdhsa_private_segment_fixed_size 0
		.amdhsa_kernarg_size 56
		.amdhsa_user_sgpr_count 15
		.amdhsa_user_sgpr_dispatch_ptr 0
		.amdhsa_user_sgpr_queue_ptr 0
		.amdhsa_user_sgpr_kernarg_segment_ptr 1
		.amdhsa_user_sgpr_dispatch_id 0
		.amdhsa_user_sgpr_private_segment_size 0
		.amdhsa_wavefront_size32 1
		.amdhsa_uses_dynamic_stack 0
		.amdhsa_enable_private_segment 0
		.amdhsa_system_sgpr_workgroup_id_x 1
		.amdhsa_system_sgpr_workgroup_id_y 0
		.amdhsa_system_sgpr_workgroup_id_z 0
		.amdhsa_system_sgpr_workgroup_info 0
		.amdhsa_system_vgpr_workitem_id 0
		.amdhsa_next_free_vgpr 1
		.amdhsa_next_free_sgpr 1
		.amdhsa_reserve_vcc 0
		.amdhsa_float_round_mode_32 0
		.amdhsa_float_round_mode_16_64 0
		.amdhsa_float_denorm_mode_32 3
		.amdhsa_float_denorm_mode_16_64 3
		.amdhsa_dx10_clamp 1
		.amdhsa_ieee_mode 1
		.amdhsa_fp16_overflow 0
		.amdhsa_workgroup_processor_mode 1
		.amdhsa_memory_ordered 1
		.amdhsa_forward_progress 0
		.amdhsa_shared_vgpr_count 0
		.amdhsa_exception_fp_ieee_invalid_op 0
		.amdhsa_exception_fp_denorm_src 0
		.amdhsa_exception_fp_ieee_div_zero 0
		.amdhsa_exception_fp_ieee_overflow 0
		.amdhsa_exception_fp_ieee_underflow 0
		.amdhsa_exception_fp_ieee_inexact 0
		.amdhsa_exception_int_div_zero 0
	.end_amdhsa_kernel
	.section	.text._ZN7rocprim17ROCPRIM_400000_NS6detail17trampoline_kernelINS0_14default_configENS1_22reduce_config_selectorIiEEZNS1_11reduce_implILb1ES3_PiS7_iN6hipcub16HIPCUB_304000_NS6detail34convert_binary_result_type_wrapperINS9_3SumENS9_22TransformInputIteratorIbN2at6native12_GLOBAL__N_19NonZeroOpIiEEPKilEEiEEEE10hipError_tPvRmT1_T2_T3_mT4_P12ihipStream_tbEUlT_E0_NS1_11comp_targetILNS1_3genE10ELNS1_11target_archE1200ELNS1_3gpuE4ELNS1_3repE0EEENS1_30default_config_static_selectorELNS0_4arch9wavefront6targetE0EEEvSQ_,"axG",@progbits,_ZN7rocprim17ROCPRIM_400000_NS6detail17trampoline_kernelINS0_14default_configENS1_22reduce_config_selectorIiEEZNS1_11reduce_implILb1ES3_PiS7_iN6hipcub16HIPCUB_304000_NS6detail34convert_binary_result_type_wrapperINS9_3SumENS9_22TransformInputIteratorIbN2at6native12_GLOBAL__N_19NonZeroOpIiEEPKilEEiEEEE10hipError_tPvRmT1_T2_T3_mT4_P12ihipStream_tbEUlT_E0_NS1_11comp_targetILNS1_3genE10ELNS1_11target_archE1200ELNS1_3gpuE4ELNS1_3repE0EEENS1_30default_config_static_selectorELNS0_4arch9wavefront6targetE0EEEvSQ_,comdat
.Lfunc_end156:
	.size	_ZN7rocprim17ROCPRIM_400000_NS6detail17trampoline_kernelINS0_14default_configENS1_22reduce_config_selectorIiEEZNS1_11reduce_implILb1ES3_PiS7_iN6hipcub16HIPCUB_304000_NS6detail34convert_binary_result_type_wrapperINS9_3SumENS9_22TransformInputIteratorIbN2at6native12_GLOBAL__N_19NonZeroOpIiEEPKilEEiEEEE10hipError_tPvRmT1_T2_T3_mT4_P12ihipStream_tbEUlT_E0_NS1_11comp_targetILNS1_3genE10ELNS1_11target_archE1200ELNS1_3gpuE4ELNS1_3repE0EEENS1_30default_config_static_selectorELNS0_4arch9wavefront6targetE0EEEvSQ_, .Lfunc_end156-_ZN7rocprim17ROCPRIM_400000_NS6detail17trampoline_kernelINS0_14default_configENS1_22reduce_config_selectorIiEEZNS1_11reduce_implILb1ES3_PiS7_iN6hipcub16HIPCUB_304000_NS6detail34convert_binary_result_type_wrapperINS9_3SumENS9_22TransformInputIteratorIbN2at6native12_GLOBAL__N_19NonZeroOpIiEEPKilEEiEEEE10hipError_tPvRmT1_T2_T3_mT4_P12ihipStream_tbEUlT_E0_NS1_11comp_targetILNS1_3genE10ELNS1_11target_archE1200ELNS1_3gpuE4ELNS1_3repE0EEENS1_30default_config_static_selectorELNS0_4arch9wavefront6targetE0EEEvSQ_
                                        ; -- End function
	.section	.AMDGPU.csdata,"",@progbits
; Kernel info:
; codeLenInByte = 0
; NumSgprs: 0
; NumVgprs: 0
; ScratchSize: 0
; MemoryBound: 0
; FloatMode: 240
; IeeeMode: 1
; LDSByteSize: 0 bytes/workgroup (compile time only)
; SGPRBlocks: 0
; VGPRBlocks: 0
; NumSGPRsForWavesPerEU: 1
; NumVGPRsForWavesPerEU: 1
; Occupancy: 16
; WaveLimiterHint : 0
; COMPUTE_PGM_RSRC2:SCRATCH_EN: 0
; COMPUTE_PGM_RSRC2:USER_SGPR: 15
; COMPUTE_PGM_RSRC2:TRAP_HANDLER: 0
; COMPUTE_PGM_RSRC2:TGID_X_EN: 1
; COMPUTE_PGM_RSRC2:TGID_Y_EN: 0
; COMPUTE_PGM_RSRC2:TGID_Z_EN: 0
; COMPUTE_PGM_RSRC2:TIDIG_COMP_CNT: 0
	.section	.text._ZN7rocprim17ROCPRIM_400000_NS6detail17trampoline_kernelINS0_14default_configENS1_22reduce_config_selectorIiEEZNS1_11reduce_implILb1ES3_PiS7_iN6hipcub16HIPCUB_304000_NS6detail34convert_binary_result_type_wrapperINS9_3SumENS9_22TransformInputIteratorIbN2at6native12_GLOBAL__N_19NonZeroOpIiEEPKilEEiEEEE10hipError_tPvRmT1_T2_T3_mT4_P12ihipStream_tbEUlT_E0_NS1_11comp_targetILNS1_3genE9ELNS1_11target_archE1100ELNS1_3gpuE3ELNS1_3repE0EEENS1_30default_config_static_selectorELNS0_4arch9wavefront6targetE0EEEvSQ_,"axG",@progbits,_ZN7rocprim17ROCPRIM_400000_NS6detail17trampoline_kernelINS0_14default_configENS1_22reduce_config_selectorIiEEZNS1_11reduce_implILb1ES3_PiS7_iN6hipcub16HIPCUB_304000_NS6detail34convert_binary_result_type_wrapperINS9_3SumENS9_22TransformInputIteratorIbN2at6native12_GLOBAL__N_19NonZeroOpIiEEPKilEEiEEEE10hipError_tPvRmT1_T2_T3_mT4_P12ihipStream_tbEUlT_E0_NS1_11comp_targetILNS1_3genE9ELNS1_11target_archE1100ELNS1_3gpuE3ELNS1_3repE0EEENS1_30default_config_static_selectorELNS0_4arch9wavefront6targetE0EEEvSQ_,comdat
	.globl	_ZN7rocprim17ROCPRIM_400000_NS6detail17trampoline_kernelINS0_14default_configENS1_22reduce_config_selectorIiEEZNS1_11reduce_implILb1ES3_PiS7_iN6hipcub16HIPCUB_304000_NS6detail34convert_binary_result_type_wrapperINS9_3SumENS9_22TransformInputIteratorIbN2at6native12_GLOBAL__N_19NonZeroOpIiEEPKilEEiEEEE10hipError_tPvRmT1_T2_T3_mT4_P12ihipStream_tbEUlT_E0_NS1_11comp_targetILNS1_3genE9ELNS1_11target_archE1100ELNS1_3gpuE3ELNS1_3repE0EEENS1_30default_config_static_selectorELNS0_4arch9wavefront6targetE0EEEvSQ_ ; -- Begin function _ZN7rocprim17ROCPRIM_400000_NS6detail17trampoline_kernelINS0_14default_configENS1_22reduce_config_selectorIiEEZNS1_11reduce_implILb1ES3_PiS7_iN6hipcub16HIPCUB_304000_NS6detail34convert_binary_result_type_wrapperINS9_3SumENS9_22TransformInputIteratorIbN2at6native12_GLOBAL__N_19NonZeroOpIiEEPKilEEiEEEE10hipError_tPvRmT1_T2_T3_mT4_P12ihipStream_tbEUlT_E0_NS1_11comp_targetILNS1_3genE9ELNS1_11target_archE1100ELNS1_3gpuE3ELNS1_3repE0EEENS1_30default_config_static_selectorELNS0_4arch9wavefront6targetE0EEEvSQ_
	.p2align	8
	.type	_ZN7rocprim17ROCPRIM_400000_NS6detail17trampoline_kernelINS0_14default_configENS1_22reduce_config_selectorIiEEZNS1_11reduce_implILb1ES3_PiS7_iN6hipcub16HIPCUB_304000_NS6detail34convert_binary_result_type_wrapperINS9_3SumENS9_22TransformInputIteratorIbN2at6native12_GLOBAL__N_19NonZeroOpIiEEPKilEEiEEEE10hipError_tPvRmT1_T2_T3_mT4_P12ihipStream_tbEUlT_E0_NS1_11comp_targetILNS1_3genE9ELNS1_11target_archE1100ELNS1_3gpuE3ELNS1_3repE0EEENS1_30default_config_static_selectorELNS0_4arch9wavefront6targetE0EEEvSQ_,@function
_ZN7rocprim17ROCPRIM_400000_NS6detail17trampoline_kernelINS0_14default_configENS1_22reduce_config_selectorIiEEZNS1_11reduce_implILb1ES3_PiS7_iN6hipcub16HIPCUB_304000_NS6detail34convert_binary_result_type_wrapperINS9_3SumENS9_22TransformInputIteratorIbN2at6native12_GLOBAL__N_19NonZeroOpIiEEPKilEEiEEEE10hipError_tPvRmT1_T2_T3_mT4_P12ihipStream_tbEUlT_E0_NS1_11comp_targetILNS1_3genE9ELNS1_11target_archE1100ELNS1_3gpuE3ELNS1_3repE0EEENS1_30default_config_static_selectorELNS0_4arch9wavefront6targetE0EEEvSQ_: ; @_ZN7rocprim17ROCPRIM_400000_NS6detail17trampoline_kernelINS0_14default_configENS1_22reduce_config_selectorIiEEZNS1_11reduce_implILb1ES3_PiS7_iN6hipcub16HIPCUB_304000_NS6detail34convert_binary_result_type_wrapperINS9_3SumENS9_22TransformInputIteratorIbN2at6native12_GLOBAL__N_19NonZeroOpIiEEPKilEEiEEEE10hipError_tPvRmT1_T2_T3_mT4_P12ihipStream_tbEUlT_E0_NS1_11comp_targetILNS1_3genE9ELNS1_11target_archE1100ELNS1_3gpuE3ELNS1_3repE0EEENS1_30default_config_static_selectorELNS0_4arch9wavefront6targetE0EEEvSQ_
; %bb.0:
	s_mov_b32 s16, s15
	s_clause 0x1
	s_load_b256 s[4:11], s[0:1], 0x0
	s_load_b128 s[12:15], s[0:1], 0x20
	s_mov_b32 s3, 0
	v_lshlrev_b32_e32 v10, 2, v0
	v_mbcnt_lo_u32_b32 v9, -1, 0
	s_mov_b32 s17, s3
	s_waitcnt lgkmcnt(0)
	s_lshl_b64 s[6:7], s[6:7], 2
	s_delay_alu instid0(SALU_CYCLE_1) | instskip(SKIP_4) | instid1(SALU_CYCLE_1)
	s_add_u32 s18, s4, s6
	s_addc_u32 s19, s5, s7
	s_lshl_b32 s2, s16, 11
	s_lshr_b64 s[6:7], s[8:9], 11
	s_lshl_b64 s[4:5], s[2:3], 2
	s_add_u32 s18, s18, s4
	s_addc_u32 s19, s19, s5
	s_cmp_lg_u64 s[6:7], s[16:17]
	s_cbranch_scc0 .LBB157_6
; %bb.1:
	v_add_co_u32 v1, s3, s18, v10
	s_clause 0x1
	global_load_b32 v3, v10, s[18:19]
	global_load_b32 v4, v10, s[18:19] offset:1024
	v_add_co_ci_u32_e64 v2, null, s19, 0, s3
	v_add_co_u32 v1, vcc_lo, 0x1000, v1
	s_mov_b32 s3, exec_lo
	s_delay_alu instid0(VALU_DEP_2)
	v_add_co_ci_u32_e32 v2, vcc_lo, 0, v2, vcc_lo
	s_clause 0x5
	global_load_b32 v5, v10, s[18:19] offset:2048
	global_load_b32 v6, v10, s[18:19] offset:3072
	global_load_b32 v7, v[1:2], off
	global_load_b32 v8, v[1:2], off offset:1024
	global_load_b32 v11, v[1:2], off offset:2048
	;; [unrolled: 1-line block ×3, first 2 shown]
	s_waitcnt vmcnt(6)
	v_dual_mov_b32 v3, 0 :: v_dual_add_nc_u32 v2, v4, v3
	s_waitcnt vmcnt(4)
	s_delay_alu instid0(VALU_DEP_1) | instskip(SKIP_1) | instid1(VALU_DEP_1)
	v_add3_u32 v2, v2, v5, v6
	s_waitcnt vmcnt(2)
	v_add3_u32 v2, v2, v7, v8
	s_waitcnt vmcnt(0)
	s_delay_alu instid0(VALU_DEP_1) | instskip(NEXT) | instid1(VALU_DEP_1)
	v_add3_u32 v1, v2, v11, v1
	v_mov_b32_dpp v2, v1 quad_perm:[1,0,3,2] row_mask:0xf bank_mask:0xf
	s_delay_alu instid0(VALU_DEP_1) | instskip(NEXT) | instid1(VALU_DEP_1)
	v_add_nc_u32_e32 v1, v2, v1
	v_mov_b32_dpp v2, v1 quad_perm:[2,3,0,1] row_mask:0xf bank_mask:0xf
	s_delay_alu instid0(VALU_DEP_1) | instskip(NEXT) | instid1(VALU_DEP_1)
	v_add_nc_u32_e32 v1, v1, v2
	v_mov_b32_dpp v2, v1 row_ror:4 row_mask:0xf bank_mask:0xf
	s_delay_alu instid0(VALU_DEP_1) | instskip(NEXT) | instid1(VALU_DEP_1)
	v_add_nc_u32_e32 v1, v1, v2
	v_mov_b32_dpp v2, v1 row_ror:8 row_mask:0xf bank_mask:0xf
	s_delay_alu instid0(VALU_DEP_1)
	v_add_nc_u32_e32 v1, v1, v2
	ds_swizzle_b32 v2, v1 offset:swizzle(BROADCAST,32,15)
	s_waitcnt lgkmcnt(0)
	v_add_nc_u32_e32 v1, v1, v2
	ds_bpermute_b32 v1, v3, v1 offset:124
	v_cmpx_eq_u32_e32 0, v9
	s_cbranch_execz .LBB157_3
; %bb.2:
	v_lshrrev_b32_e32 v2, 3, v0
	s_delay_alu instid0(VALU_DEP_1)
	v_and_b32_e32 v2, 28, v2
	s_waitcnt lgkmcnt(0)
	ds_store_b32 v2, v1
.LBB157_3:
	s_or_b32 exec_lo, exec_lo, s3
	s_delay_alu instid0(SALU_CYCLE_1)
	s_mov_b32 s3, exec_lo
	s_waitcnt lgkmcnt(0)
	s_barrier
	buffer_gl0_inv
	v_cmpx_gt_u32_e32 32, v0
	s_cbranch_execz .LBB157_5
; %bb.4:
	v_and_b32_e32 v1, 7, v9
	s_delay_alu instid0(VALU_DEP_1) | instskip(SKIP_4) | instid1(VALU_DEP_2)
	v_lshlrev_b32_e32 v2, 2, v1
	v_cmp_ne_u32_e32 vcc_lo, 7, v1
	ds_load_b32 v2, v2
	v_add_co_ci_u32_e32 v3, vcc_lo, 0, v9, vcc_lo
	v_cmp_gt_u32_e32 vcc_lo, 6, v1
	v_lshlrev_b32_e32 v3, 2, v3
	v_cndmask_b32_e64 v4, 0, 1, vcc_lo
	v_cmp_gt_u32_e32 vcc_lo, 4, v1
	s_delay_alu instid0(VALU_DEP_2) | instskip(SKIP_1) | instid1(VALU_DEP_2)
	v_lshlrev_b32_e32 v4, 1, v4
	v_cndmask_b32_e64 v1, 0, 1, vcc_lo
	v_add_lshl_u32 v4, v4, v9, 2
	s_delay_alu instid0(VALU_DEP_2)
	v_lshlrev_b32_e32 v1, 2, v1
	s_waitcnt lgkmcnt(0)
	ds_bpermute_b32 v3, v3, v2
	v_add_lshl_u32 v1, v1, v9, 2
	s_waitcnt lgkmcnt(0)
	v_add_nc_u32_e32 v2, v3, v2
	ds_bpermute_b32 v3, v4, v2
	s_waitcnt lgkmcnt(0)
	v_add_nc_u32_e32 v2, v3, v2
	ds_bpermute_b32 v1, v1, v2
	s_waitcnt lgkmcnt(0)
	v_add_nc_u32_e32 v1, v1, v2
.LBB157_5:
	s_or_b32 exec_lo, exec_lo, s3
	s_branch .LBB157_28
.LBB157_6:
                                        ; implicit-def: $vgpr1
	s_cbranch_execz .LBB157_28
; %bb.7:
	s_sub_i32 s20, s8, s2
	s_mov_b32 s2, exec_lo
                                        ; implicit-def: $vgpr1_vgpr2_vgpr3_vgpr4_vgpr5_vgpr6_vgpr7_vgpr8
	v_cmpx_gt_u32_e64 s20, v0
	s_cbranch_execz .LBB157_9
; %bb.8:
	global_load_b32 v1, v10, s[18:19]
.LBB157_9:
	s_or_b32 exec_lo, exec_lo, s2
	v_or_b32_e32 v11, 0x100, v0
	s_delay_alu instid0(VALU_DEP_1)
	v_cmp_gt_u32_e32 vcc_lo, s20, v11
	s_and_saveexec_b32 s2, vcc_lo
	s_cbranch_execz .LBB157_11
; %bb.10:
	global_load_b32 v2, v10, s[18:19] offset:1024
.LBB157_11:
	s_or_b32 exec_lo, exec_lo, s2
	v_or_b32_e32 v11, 0x200, v0
	s_delay_alu instid0(VALU_DEP_1) | instskip(NEXT) | instid1(VALU_DEP_1)
	v_cmp_gt_u32_e64 s2, s20, v11
	s_and_saveexec_b32 s3, s2
	s_cbranch_execz .LBB157_13
; %bb.12:
	global_load_b32 v3, v10, s[18:19] offset:2048
.LBB157_13:
	s_or_b32 exec_lo, exec_lo, s3
	v_or_b32_e32 v11, 0x300, v0
	s_delay_alu instid0(VALU_DEP_1) | instskip(NEXT) | instid1(VALU_DEP_1)
	v_cmp_gt_u32_e64 s3, s20, v11
	s_and_saveexec_b32 s4, s3
	;; [unrolled: 9-line block ×3, first 2 shown]
	s_cbranch_execz .LBB157_17
; %bb.16:
	v_lshlrev_b32_e32 v5, 2, v10
	global_load_b32 v5, v5, s[18:19]
.LBB157_17:
	s_or_b32 exec_lo, exec_lo, s5
	v_or_b32_e32 v10, 0x500, v0
	s_delay_alu instid0(VALU_DEP_1) | instskip(NEXT) | instid1(VALU_DEP_1)
	v_cmp_gt_u32_e64 s5, s20, v10
	s_and_saveexec_b32 s6, s5
	s_cbranch_execz .LBB157_19
; %bb.18:
	v_lshlrev_b32_e32 v6, 2, v10
	global_load_b32 v6, v6, s[18:19]
.LBB157_19:
	s_or_b32 exec_lo, exec_lo, s6
	v_or_b32_e32 v10, 0x600, v0
	s_delay_alu instid0(VALU_DEP_1) | instskip(NEXT) | instid1(VALU_DEP_1)
	v_cmp_gt_u32_e64 s6, s20, v10
	s_and_saveexec_b32 s7, s6
	;; [unrolled: 10-line block ×3, first 2 shown]
	s_cbranch_execz .LBB157_23
; %bb.22:
	v_lshlrev_b32_e32 v8, 2, v10
	global_load_b32 v8, v8, s[18:19]
.LBB157_23:
	s_or_b32 exec_lo, exec_lo, s21
	s_waitcnt vmcnt(0)
	v_cndmask_b32_e32 v2, 0, v2, vcc_lo
	v_cndmask_b32_e64 v3, 0, v3, s2
	v_cndmask_b32_e64 v4, 0, v4, s3
	v_cmp_ne_u32_e32 vcc_lo, 31, v9
	s_min_u32 s2, s20, 0x100
	v_add_nc_u32_e32 v1, v2, v1
	v_cndmask_b32_e64 v2, 0, v5, s4
	v_cndmask_b32_e64 v5, 0, v6, s5
	;; [unrolled: 1-line block ×3, first 2 shown]
	s_mov_b32 s3, exec_lo
	v_add3_u32 v1, v1, v3, v4
	v_cndmask_b32_e64 v3, 0, v8, s7
	v_add_co_ci_u32_e32 v4, vcc_lo, 0, v9, vcc_lo
	v_cmp_gt_u32_e32 vcc_lo, 30, v9
	s_delay_alu instid0(VALU_DEP_4) | instskip(NEXT) | instid1(VALU_DEP_3)
	v_add3_u32 v1, v1, v2, v5
	v_lshlrev_b32_e32 v2, 2, v4
	v_add_nc_u32_e32 v4, 1, v9
	v_cndmask_b32_e64 v5, 0, 1, vcc_lo
	s_delay_alu instid0(VALU_DEP_4) | instskip(SKIP_1) | instid1(VALU_DEP_3)
	v_add3_u32 v1, v1, v6, v3
	v_and_b32_e32 v3, 0xe0, v0
	v_lshlrev_b32_e32 v5, 1, v5
	ds_bpermute_b32 v2, v2, v1
	v_sub_nc_u32_e64 v3, s2, v3 clamp
	s_delay_alu instid0(VALU_DEP_1) | instskip(SKIP_4) | instid1(VALU_DEP_2)
	v_cmp_lt_u32_e32 vcc_lo, v4, v3
	v_add_lshl_u32 v4, v5, v9, 2
	s_waitcnt lgkmcnt(0)
	v_dual_cndmask_b32 v2, 0, v2 :: v_dual_add_nc_u32 v5, 2, v9
	v_cmp_gt_u32_e32 vcc_lo, 28, v9
	v_add_nc_u32_e32 v1, v1, v2
	ds_bpermute_b32 v2, v4, v1
	v_cndmask_b32_e64 v4, 0, 1, vcc_lo
	v_cmp_lt_u32_e32 vcc_lo, v5, v3
	v_add_nc_u32_e32 v5, 4, v9
	s_delay_alu instid0(VALU_DEP_3) | instskip(NEXT) | instid1(VALU_DEP_1)
	v_lshlrev_b32_e32 v4, 2, v4
	v_add_lshl_u32 v4, v4, v9, 2
	s_waitcnt lgkmcnt(0)
	v_cndmask_b32_e32 v2, 0, v2, vcc_lo
	v_cmp_gt_u32_e32 vcc_lo, 24, v9
	s_delay_alu instid0(VALU_DEP_2) | instskip(SKIP_4) | instid1(VALU_DEP_3)
	v_add_nc_u32_e32 v1, v1, v2
	ds_bpermute_b32 v2, v4, v1
	v_cndmask_b32_e64 v4, 0, 1, vcc_lo
	v_cmp_lt_u32_e32 vcc_lo, v5, v3
	v_add_nc_u32_e32 v5, 8, v9
	v_lshlrev_b32_e32 v4, 3, v4
	s_delay_alu instid0(VALU_DEP_1) | instskip(SKIP_3) | instid1(VALU_DEP_2)
	v_add_lshl_u32 v4, v4, v9, 2
	s_waitcnt lgkmcnt(0)
	v_cndmask_b32_e32 v2, 0, v2, vcc_lo
	v_cmp_gt_u32_e32 vcc_lo, 16, v9
	v_add_nc_u32_e32 v1, v1, v2
	ds_bpermute_b32 v2, v4, v1
	v_cndmask_b32_e64 v4, 0, 1, vcc_lo
	v_cmp_lt_u32_e32 vcc_lo, v5, v3
	s_delay_alu instid0(VALU_DEP_2) | instskip(NEXT) | instid1(VALU_DEP_1)
	v_lshlrev_b32_e32 v4, 4, v4
	v_add_lshl_u32 v4, v4, v9, 2
	s_waitcnt lgkmcnt(0)
	v_cndmask_b32_e32 v2, 0, v2, vcc_lo
	s_delay_alu instid0(VALU_DEP_1) | instskip(SKIP_2) | instid1(VALU_DEP_1)
	v_add_nc_u32_e32 v1, v1, v2
	ds_bpermute_b32 v2, v4, v1
	v_add_nc_u32_e32 v4, 16, v9
	v_cmp_lt_u32_e32 vcc_lo, v4, v3
	s_waitcnt lgkmcnt(0)
	v_cndmask_b32_e32 v2, 0, v2, vcc_lo
	s_delay_alu instid0(VALU_DEP_1)
	v_add_nc_u32_e32 v1, v1, v2
	v_cmpx_eq_u32_e32 0, v9
	s_cbranch_execz .LBB157_25
; %bb.24:
	v_lshrrev_b32_e32 v2, 3, v0
	s_delay_alu instid0(VALU_DEP_1)
	v_and_b32_e32 v2, 28, v2
	ds_store_b32 v2, v1 offset:32
.LBB157_25:
	s_or_b32 exec_lo, exec_lo, s3
	s_delay_alu instid0(SALU_CYCLE_1)
	s_mov_b32 s3, exec_lo
	s_waitcnt lgkmcnt(0)
	s_barrier
	buffer_gl0_inv
	v_cmpx_gt_u32_e32 8, v0
	s_cbranch_execz .LBB157_27
; %bb.26:
	v_lshlrev_b32_e32 v1, 2, v9
	v_and_b32_e32 v2, 7, v9
	s_add_i32 s2, s2, 31
	s_delay_alu instid0(SALU_CYCLE_1)
	s_lshr_b32 s2, s2, 5
	ds_load_b32 v1, v1 offset:32
	v_cmp_ne_u32_e32 vcc_lo, 7, v2
	v_add_nc_u32_e32 v5, 1, v2
	v_add_co_ci_u32_e32 v3, vcc_lo, 0, v9, vcc_lo
	v_cmp_gt_u32_e32 vcc_lo, 6, v2
	s_delay_alu instid0(VALU_DEP_2) | instskip(SKIP_2) | instid1(VALU_DEP_2)
	v_lshlrev_b32_e32 v3, 2, v3
	v_cndmask_b32_e64 v4, 0, 1, vcc_lo
	v_cmp_gt_u32_e32 vcc_lo, s2, v5
	v_lshlrev_b32_e32 v4, 1, v4
	s_waitcnt lgkmcnt(0)
	ds_bpermute_b32 v3, v3, v1
	v_add_lshl_u32 v4, v4, v9, 2
	s_waitcnt lgkmcnt(0)
	v_cndmask_b32_e32 v3, 0, v3, vcc_lo
	v_cmp_gt_u32_e32 vcc_lo, 4, v2
	s_delay_alu instid0(VALU_DEP_2) | instskip(SKIP_4) | instid1(VALU_DEP_2)
	v_add_nc_u32_e32 v1, v3, v1
	v_cndmask_b32_e64 v5, 0, 1, vcc_lo
	ds_bpermute_b32 v3, v4, v1
	v_add_nc_u32_e32 v4, 2, v2
	v_add_nc_u32_e32 v2, 4, v2
	v_cmp_gt_u32_e32 vcc_lo, s2, v4
	s_waitcnt lgkmcnt(0)
	v_dual_cndmask_b32 v3, 0, v3 :: v_dual_lshlrev_b32 v4, 2, v5
	s_delay_alu instid0(VALU_DEP_3) | instskip(NEXT) | instid1(VALU_DEP_2)
	v_cmp_gt_u32_e32 vcc_lo, s2, v2
	v_add_nc_u32_e32 v1, v1, v3
	s_delay_alu instid0(VALU_DEP_3) | instskip(SKIP_3) | instid1(VALU_DEP_1)
	v_add_lshl_u32 v3, v4, v9, 2
	ds_bpermute_b32 v3, v3, v1
	s_waitcnt lgkmcnt(0)
	v_cndmask_b32_e32 v2, 0, v3, vcc_lo
	v_add_nc_u32_e32 v1, v1, v2
.LBB157_27:
	s_or_b32 exec_lo, exec_lo, s3
.LBB157_28:
	s_load_b32 s0, s[0:1], 0x30
	s_mov_b32 s1, exec_lo
	v_cmpx_eq_u32_e32 0, v0
	s_cbranch_execz .LBB157_30
; %bb.29:
	s_mul_i32 s1, s14, s13
	s_mul_hi_u32 s2, s14, s12
	s_mul_i32 s3, s15, s12
	s_add_i32 s1, s2, s1
	s_mul_i32 s2, s14, s12
	s_add_i32 s3, s1, s3
	s_delay_alu instid0(SALU_CYCLE_1) | instskip(NEXT) | instid1(SALU_CYCLE_1)
	s_lshl_b64 s[2:3], s[2:3], 2
	s_add_u32 s2, s10, s2
	s_addc_u32 s3, s11, s3
	s_cmp_eq_u64 s[8:9], 0
	s_cselect_b32 s1, -1, 0
	s_waitcnt lgkmcnt(0)
	v_cndmask_b32_e64 v0, v1, s0, s1
	s_lshl_b64 s[0:1], s[16:17], 2
	v_mov_b32_e32 v1, 0
	s_add_u32 s0, s2, s0
	s_addc_u32 s1, s3, s1
	global_store_b32 v1, v0, s[0:1]
.LBB157_30:
	s_nop 0
	s_sendmsg sendmsg(MSG_DEALLOC_VGPRS)
	s_endpgm
	.section	.rodata,"a",@progbits
	.p2align	6, 0x0
	.amdhsa_kernel _ZN7rocprim17ROCPRIM_400000_NS6detail17trampoline_kernelINS0_14default_configENS1_22reduce_config_selectorIiEEZNS1_11reduce_implILb1ES3_PiS7_iN6hipcub16HIPCUB_304000_NS6detail34convert_binary_result_type_wrapperINS9_3SumENS9_22TransformInputIteratorIbN2at6native12_GLOBAL__N_19NonZeroOpIiEEPKilEEiEEEE10hipError_tPvRmT1_T2_T3_mT4_P12ihipStream_tbEUlT_E0_NS1_11comp_targetILNS1_3genE9ELNS1_11target_archE1100ELNS1_3gpuE3ELNS1_3repE0EEENS1_30default_config_static_selectorELNS0_4arch9wavefront6targetE0EEEvSQ_
		.amdhsa_group_segment_fixed_size 64
		.amdhsa_private_segment_fixed_size 0
		.amdhsa_kernarg_size 56
		.amdhsa_user_sgpr_count 15
		.amdhsa_user_sgpr_dispatch_ptr 0
		.amdhsa_user_sgpr_queue_ptr 0
		.amdhsa_user_sgpr_kernarg_segment_ptr 1
		.amdhsa_user_sgpr_dispatch_id 0
		.amdhsa_user_sgpr_private_segment_size 0
		.amdhsa_wavefront_size32 1
		.amdhsa_uses_dynamic_stack 0
		.amdhsa_enable_private_segment 0
		.amdhsa_system_sgpr_workgroup_id_x 1
		.amdhsa_system_sgpr_workgroup_id_y 0
		.amdhsa_system_sgpr_workgroup_id_z 0
		.amdhsa_system_sgpr_workgroup_info 0
		.amdhsa_system_vgpr_workitem_id 0
		.amdhsa_next_free_vgpr 12
		.amdhsa_next_free_sgpr 22
		.amdhsa_reserve_vcc 1
		.amdhsa_float_round_mode_32 0
		.amdhsa_float_round_mode_16_64 0
		.amdhsa_float_denorm_mode_32 3
		.amdhsa_float_denorm_mode_16_64 3
		.amdhsa_dx10_clamp 1
		.amdhsa_ieee_mode 1
		.amdhsa_fp16_overflow 0
		.amdhsa_workgroup_processor_mode 1
		.amdhsa_memory_ordered 1
		.amdhsa_forward_progress 0
		.amdhsa_shared_vgpr_count 0
		.amdhsa_exception_fp_ieee_invalid_op 0
		.amdhsa_exception_fp_denorm_src 0
		.amdhsa_exception_fp_ieee_div_zero 0
		.amdhsa_exception_fp_ieee_overflow 0
		.amdhsa_exception_fp_ieee_underflow 0
		.amdhsa_exception_fp_ieee_inexact 0
		.amdhsa_exception_int_div_zero 0
	.end_amdhsa_kernel
	.section	.text._ZN7rocprim17ROCPRIM_400000_NS6detail17trampoline_kernelINS0_14default_configENS1_22reduce_config_selectorIiEEZNS1_11reduce_implILb1ES3_PiS7_iN6hipcub16HIPCUB_304000_NS6detail34convert_binary_result_type_wrapperINS9_3SumENS9_22TransformInputIteratorIbN2at6native12_GLOBAL__N_19NonZeroOpIiEEPKilEEiEEEE10hipError_tPvRmT1_T2_T3_mT4_P12ihipStream_tbEUlT_E0_NS1_11comp_targetILNS1_3genE9ELNS1_11target_archE1100ELNS1_3gpuE3ELNS1_3repE0EEENS1_30default_config_static_selectorELNS0_4arch9wavefront6targetE0EEEvSQ_,"axG",@progbits,_ZN7rocprim17ROCPRIM_400000_NS6detail17trampoline_kernelINS0_14default_configENS1_22reduce_config_selectorIiEEZNS1_11reduce_implILb1ES3_PiS7_iN6hipcub16HIPCUB_304000_NS6detail34convert_binary_result_type_wrapperINS9_3SumENS9_22TransformInputIteratorIbN2at6native12_GLOBAL__N_19NonZeroOpIiEEPKilEEiEEEE10hipError_tPvRmT1_T2_T3_mT4_P12ihipStream_tbEUlT_E0_NS1_11comp_targetILNS1_3genE9ELNS1_11target_archE1100ELNS1_3gpuE3ELNS1_3repE0EEENS1_30default_config_static_selectorELNS0_4arch9wavefront6targetE0EEEvSQ_,comdat
.Lfunc_end157:
	.size	_ZN7rocprim17ROCPRIM_400000_NS6detail17trampoline_kernelINS0_14default_configENS1_22reduce_config_selectorIiEEZNS1_11reduce_implILb1ES3_PiS7_iN6hipcub16HIPCUB_304000_NS6detail34convert_binary_result_type_wrapperINS9_3SumENS9_22TransformInputIteratorIbN2at6native12_GLOBAL__N_19NonZeroOpIiEEPKilEEiEEEE10hipError_tPvRmT1_T2_T3_mT4_P12ihipStream_tbEUlT_E0_NS1_11comp_targetILNS1_3genE9ELNS1_11target_archE1100ELNS1_3gpuE3ELNS1_3repE0EEENS1_30default_config_static_selectorELNS0_4arch9wavefront6targetE0EEEvSQ_, .Lfunc_end157-_ZN7rocprim17ROCPRIM_400000_NS6detail17trampoline_kernelINS0_14default_configENS1_22reduce_config_selectorIiEEZNS1_11reduce_implILb1ES3_PiS7_iN6hipcub16HIPCUB_304000_NS6detail34convert_binary_result_type_wrapperINS9_3SumENS9_22TransformInputIteratorIbN2at6native12_GLOBAL__N_19NonZeroOpIiEEPKilEEiEEEE10hipError_tPvRmT1_T2_T3_mT4_P12ihipStream_tbEUlT_E0_NS1_11comp_targetILNS1_3genE9ELNS1_11target_archE1100ELNS1_3gpuE3ELNS1_3repE0EEENS1_30default_config_static_selectorELNS0_4arch9wavefront6targetE0EEEvSQ_
                                        ; -- End function
	.section	.AMDGPU.csdata,"",@progbits
; Kernel info:
; codeLenInByte = 1664
; NumSgprs: 24
; NumVgprs: 12
; ScratchSize: 0
; MemoryBound: 0
; FloatMode: 240
; IeeeMode: 1
; LDSByteSize: 64 bytes/workgroup (compile time only)
; SGPRBlocks: 2
; VGPRBlocks: 1
; NumSGPRsForWavesPerEU: 24
; NumVGPRsForWavesPerEU: 12
; Occupancy: 16
; WaveLimiterHint : 1
; COMPUTE_PGM_RSRC2:SCRATCH_EN: 0
; COMPUTE_PGM_RSRC2:USER_SGPR: 15
; COMPUTE_PGM_RSRC2:TRAP_HANDLER: 0
; COMPUTE_PGM_RSRC2:TGID_X_EN: 1
; COMPUTE_PGM_RSRC2:TGID_Y_EN: 0
; COMPUTE_PGM_RSRC2:TGID_Z_EN: 0
; COMPUTE_PGM_RSRC2:TIDIG_COMP_CNT: 0
	.section	.text._ZN7rocprim17ROCPRIM_400000_NS6detail17trampoline_kernelINS0_14default_configENS1_22reduce_config_selectorIiEEZNS1_11reduce_implILb1ES3_PiS7_iN6hipcub16HIPCUB_304000_NS6detail34convert_binary_result_type_wrapperINS9_3SumENS9_22TransformInputIteratorIbN2at6native12_GLOBAL__N_19NonZeroOpIiEEPKilEEiEEEE10hipError_tPvRmT1_T2_T3_mT4_P12ihipStream_tbEUlT_E0_NS1_11comp_targetILNS1_3genE8ELNS1_11target_archE1030ELNS1_3gpuE2ELNS1_3repE0EEENS1_30default_config_static_selectorELNS0_4arch9wavefront6targetE0EEEvSQ_,"axG",@progbits,_ZN7rocprim17ROCPRIM_400000_NS6detail17trampoline_kernelINS0_14default_configENS1_22reduce_config_selectorIiEEZNS1_11reduce_implILb1ES3_PiS7_iN6hipcub16HIPCUB_304000_NS6detail34convert_binary_result_type_wrapperINS9_3SumENS9_22TransformInputIteratorIbN2at6native12_GLOBAL__N_19NonZeroOpIiEEPKilEEiEEEE10hipError_tPvRmT1_T2_T3_mT4_P12ihipStream_tbEUlT_E0_NS1_11comp_targetILNS1_3genE8ELNS1_11target_archE1030ELNS1_3gpuE2ELNS1_3repE0EEENS1_30default_config_static_selectorELNS0_4arch9wavefront6targetE0EEEvSQ_,comdat
	.globl	_ZN7rocprim17ROCPRIM_400000_NS6detail17trampoline_kernelINS0_14default_configENS1_22reduce_config_selectorIiEEZNS1_11reduce_implILb1ES3_PiS7_iN6hipcub16HIPCUB_304000_NS6detail34convert_binary_result_type_wrapperINS9_3SumENS9_22TransformInputIteratorIbN2at6native12_GLOBAL__N_19NonZeroOpIiEEPKilEEiEEEE10hipError_tPvRmT1_T2_T3_mT4_P12ihipStream_tbEUlT_E0_NS1_11comp_targetILNS1_3genE8ELNS1_11target_archE1030ELNS1_3gpuE2ELNS1_3repE0EEENS1_30default_config_static_selectorELNS0_4arch9wavefront6targetE0EEEvSQ_ ; -- Begin function _ZN7rocprim17ROCPRIM_400000_NS6detail17trampoline_kernelINS0_14default_configENS1_22reduce_config_selectorIiEEZNS1_11reduce_implILb1ES3_PiS7_iN6hipcub16HIPCUB_304000_NS6detail34convert_binary_result_type_wrapperINS9_3SumENS9_22TransformInputIteratorIbN2at6native12_GLOBAL__N_19NonZeroOpIiEEPKilEEiEEEE10hipError_tPvRmT1_T2_T3_mT4_P12ihipStream_tbEUlT_E0_NS1_11comp_targetILNS1_3genE8ELNS1_11target_archE1030ELNS1_3gpuE2ELNS1_3repE0EEENS1_30default_config_static_selectorELNS0_4arch9wavefront6targetE0EEEvSQ_
	.p2align	8
	.type	_ZN7rocprim17ROCPRIM_400000_NS6detail17trampoline_kernelINS0_14default_configENS1_22reduce_config_selectorIiEEZNS1_11reduce_implILb1ES3_PiS7_iN6hipcub16HIPCUB_304000_NS6detail34convert_binary_result_type_wrapperINS9_3SumENS9_22TransformInputIteratorIbN2at6native12_GLOBAL__N_19NonZeroOpIiEEPKilEEiEEEE10hipError_tPvRmT1_T2_T3_mT4_P12ihipStream_tbEUlT_E0_NS1_11comp_targetILNS1_3genE8ELNS1_11target_archE1030ELNS1_3gpuE2ELNS1_3repE0EEENS1_30default_config_static_selectorELNS0_4arch9wavefront6targetE0EEEvSQ_,@function
_ZN7rocprim17ROCPRIM_400000_NS6detail17trampoline_kernelINS0_14default_configENS1_22reduce_config_selectorIiEEZNS1_11reduce_implILb1ES3_PiS7_iN6hipcub16HIPCUB_304000_NS6detail34convert_binary_result_type_wrapperINS9_3SumENS9_22TransformInputIteratorIbN2at6native12_GLOBAL__N_19NonZeroOpIiEEPKilEEiEEEE10hipError_tPvRmT1_T2_T3_mT4_P12ihipStream_tbEUlT_E0_NS1_11comp_targetILNS1_3genE8ELNS1_11target_archE1030ELNS1_3gpuE2ELNS1_3repE0EEENS1_30default_config_static_selectorELNS0_4arch9wavefront6targetE0EEEvSQ_: ; @_ZN7rocprim17ROCPRIM_400000_NS6detail17trampoline_kernelINS0_14default_configENS1_22reduce_config_selectorIiEEZNS1_11reduce_implILb1ES3_PiS7_iN6hipcub16HIPCUB_304000_NS6detail34convert_binary_result_type_wrapperINS9_3SumENS9_22TransformInputIteratorIbN2at6native12_GLOBAL__N_19NonZeroOpIiEEPKilEEiEEEE10hipError_tPvRmT1_T2_T3_mT4_P12ihipStream_tbEUlT_E0_NS1_11comp_targetILNS1_3genE8ELNS1_11target_archE1030ELNS1_3gpuE2ELNS1_3repE0EEENS1_30default_config_static_selectorELNS0_4arch9wavefront6targetE0EEEvSQ_
; %bb.0:
	.section	.rodata,"a",@progbits
	.p2align	6, 0x0
	.amdhsa_kernel _ZN7rocprim17ROCPRIM_400000_NS6detail17trampoline_kernelINS0_14default_configENS1_22reduce_config_selectorIiEEZNS1_11reduce_implILb1ES3_PiS7_iN6hipcub16HIPCUB_304000_NS6detail34convert_binary_result_type_wrapperINS9_3SumENS9_22TransformInputIteratorIbN2at6native12_GLOBAL__N_19NonZeroOpIiEEPKilEEiEEEE10hipError_tPvRmT1_T2_T3_mT4_P12ihipStream_tbEUlT_E0_NS1_11comp_targetILNS1_3genE8ELNS1_11target_archE1030ELNS1_3gpuE2ELNS1_3repE0EEENS1_30default_config_static_selectorELNS0_4arch9wavefront6targetE0EEEvSQ_
		.amdhsa_group_segment_fixed_size 0
		.amdhsa_private_segment_fixed_size 0
		.amdhsa_kernarg_size 56
		.amdhsa_user_sgpr_count 15
		.amdhsa_user_sgpr_dispatch_ptr 0
		.amdhsa_user_sgpr_queue_ptr 0
		.amdhsa_user_sgpr_kernarg_segment_ptr 1
		.amdhsa_user_sgpr_dispatch_id 0
		.amdhsa_user_sgpr_private_segment_size 0
		.amdhsa_wavefront_size32 1
		.amdhsa_uses_dynamic_stack 0
		.amdhsa_enable_private_segment 0
		.amdhsa_system_sgpr_workgroup_id_x 1
		.amdhsa_system_sgpr_workgroup_id_y 0
		.amdhsa_system_sgpr_workgroup_id_z 0
		.amdhsa_system_sgpr_workgroup_info 0
		.amdhsa_system_vgpr_workitem_id 0
		.amdhsa_next_free_vgpr 1
		.amdhsa_next_free_sgpr 1
		.amdhsa_reserve_vcc 0
		.amdhsa_float_round_mode_32 0
		.amdhsa_float_round_mode_16_64 0
		.amdhsa_float_denorm_mode_32 3
		.amdhsa_float_denorm_mode_16_64 3
		.amdhsa_dx10_clamp 1
		.amdhsa_ieee_mode 1
		.amdhsa_fp16_overflow 0
		.amdhsa_workgroup_processor_mode 1
		.amdhsa_memory_ordered 1
		.amdhsa_forward_progress 0
		.amdhsa_shared_vgpr_count 0
		.amdhsa_exception_fp_ieee_invalid_op 0
		.amdhsa_exception_fp_denorm_src 0
		.amdhsa_exception_fp_ieee_div_zero 0
		.amdhsa_exception_fp_ieee_overflow 0
		.amdhsa_exception_fp_ieee_underflow 0
		.amdhsa_exception_fp_ieee_inexact 0
		.amdhsa_exception_int_div_zero 0
	.end_amdhsa_kernel
	.section	.text._ZN7rocprim17ROCPRIM_400000_NS6detail17trampoline_kernelINS0_14default_configENS1_22reduce_config_selectorIiEEZNS1_11reduce_implILb1ES3_PiS7_iN6hipcub16HIPCUB_304000_NS6detail34convert_binary_result_type_wrapperINS9_3SumENS9_22TransformInputIteratorIbN2at6native12_GLOBAL__N_19NonZeroOpIiEEPKilEEiEEEE10hipError_tPvRmT1_T2_T3_mT4_P12ihipStream_tbEUlT_E0_NS1_11comp_targetILNS1_3genE8ELNS1_11target_archE1030ELNS1_3gpuE2ELNS1_3repE0EEENS1_30default_config_static_selectorELNS0_4arch9wavefront6targetE0EEEvSQ_,"axG",@progbits,_ZN7rocprim17ROCPRIM_400000_NS6detail17trampoline_kernelINS0_14default_configENS1_22reduce_config_selectorIiEEZNS1_11reduce_implILb1ES3_PiS7_iN6hipcub16HIPCUB_304000_NS6detail34convert_binary_result_type_wrapperINS9_3SumENS9_22TransformInputIteratorIbN2at6native12_GLOBAL__N_19NonZeroOpIiEEPKilEEiEEEE10hipError_tPvRmT1_T2_T3_mT4_P12ihipStream_tbEUlT_E0_NS1_11comp_targetILNS1_3genE8ELNS1_11target_archE1030ELNS1_3gpuE2ELNS1_3repE0EEENS1_30default_config_static_selectorELNS0_4arch9wavefront6targetE0EEEvSQ_,comdat
.Lfunc_end158:
	.size	_ZN7rocprim17ROCPRIM_400000_NS6detail17trampoline_kernelINS0_14default_configENS1_22reduce_config_selectorIiEEZNS1_11reduce_implILb1ES3_PiS7_iN6hipcub16HIPCUB_304000_NS6detail34convert_binary_result_type_wrapperINS9_3SumENS9_22TransformInputIteratorIbN2at6native12_GLOBAL__N_19NonZeroOpIiEEPKilEEiEEEE10hipError_tPvRmT1_T2_T3_mT4_P12ihipStream_tbEUlT_E0_NS1_11comp_targetILNS1_3genE8ELNS1_11target_archE1030ELNS1_3gpuE2ELNS1_3repE0EEENS1_30default_config_static_selectorELNS0_4arch9wavefront6targetE0EEEvSQ_, .Lfunc_end158-_ZN7rocprim17ROCPRIM_400000_NS6detail17trampoline_kernelINS0_14default_configENS1_22reduce_config_selectorIiEEZNS1_11reduce_implILb1ES3_PiS7_iN6hipcub16HIPCUB_304000_NS6detail34convert_binary_result_type_wrapperINS9_3SumENS9_22TransformInputIteratorIbN2at6native12_GLOBAL__N_19NonZeroOpIiEEPKilEEiEEEE10hipError_tPvRmT1_T2_T3_mT4_P12ihipStream_tbEUlT_E0_NS1_11comp_targetILNS1_3genE8ELNS1_11target_archE1030ELNS1_3gpuE2ELNS1_3repE0EEENS1_30default_config_static_selectorELNS0_4arch9wavefront6targetE0EEEvSQ_
                                        ; -- End function
	.section	.AMDGPU.csdata,"",@progbits
; Kernel info:
; codeLenInByte = 0
; NumSgprs: 0
; NumVgprs: 0
; ScratchSize: 0
; MemoryBound: 0
; FloatMode: 240
; IeeeMode: 1
; LDSByteSize: 0 bytes/workgroup (compile time only)
; SGPRBlocks: 0
; VGPRBlocks: 0
; NumSGPRsForWavesPerEU: 1
; NumVGPRsForWavesPerEU: 1
; Occupancy: 16
; WaveLimiterHint : 0
; COMPUTE_PGM_RSRC2:SCRATCH_EN: 0
; COMPUTE_PGM_RSRC2:USER_SGPR: 15
; COMPUTE_PGM_RSRC2:TRAP_HANDLER: 0
; COMPUTE_PGM_RSRC2:TGID_X_EN: 1
; COMPUTE_PGM_RSRC2:TGID_Y_EN: 0
; COMPUTE_PGM_RSRC2:TGID_Z_EN: 0
; COMPUTE_PGM_RSRC2:TIDIG_COMP_CNT: 0
	.section	.text._ZN7rocprim17ROCPRIM_400000_NS6detail17trampoline_kernelINS0_14default_configENS1_22reduce_config_selectorIiEEZNS1_11reduce_implILb1ES3_PiS7_iN6hipcub16HIPCUB_304000_NS6detail34convert_binary_result_type_wrapperINS9_3SumENS9_22TransformInputIteratorIbN2at6native12_GLOBAL__N_19NonZeroOpIiEEPKilEEiEEEE10hipError_tPvRmT1_T2_T3_mT4_P12ihipStream_tbEUlT_E1_NS1_11comp_targetILNS1_3genE0ELNS1_11target_archE4294967295ELNS1_3gpuE0ELNS1_3repE0EEENS1_30default_config_static_selectorELNS0_4arch9wavefront6targetE0EEEvSQ_,"axG",@progbits,_ZN7rocprim17ROCPRIM_400000_NS6detail17trampoline_kernelINS0_14default_configENS1_22reduce_config_selectorIiEEZNS1_11reduce_implILb1ES3_PiS7_iN6hipcub16HIPCUB_304000_NS6detail34convert_binary_result_type_wrapperINS9_3SumENS9_22TransformInputIteratorIbN2at6native12_GLOBAL__N_19NonZeroOpIiEEPKilEEiEEEE10hipError_tPvRmT1_T2_T3_mT4_P12ihipStream_tbEUlT_E1_NS1_11comp_targetILNS1_3genE0ELNS1_11target_archE4294967295ELNS1_3gpuE0ELNS1_3repE0EEENS1_30default_config_static_selectorELNS0_4arch9wavefront6targetE0EEEvSQ_,comdat
	.globl	_ZN7rocprim17ROCPRIM_400000_NS6detail17trampoline_kernelINS0_14default_configENS1_22reduce_config_selectorIiEEZNS1_11reduce_implILb1ES3_PiS7_iN6hipcub16HIPCUB_304000_NS6detail34convert_binary_result_type_wrapperINS9_3SumENS9_22TransformInputIteratorIbN2at6native12_GLOBAL__N_19NonZeroOpIiEEPKilEEiEEEE10hipError_tPvRmT1_T2_T3_mT4_P12ihipStream_tbEUlT_E1_NS1_11comp_targetILNS1_3genE0ELNS1_11target_archE4294967295ELNS1_3gpuE0ELNS1_3repE0EEENS1_30default_config_static_selectorELNS0_4arch9wavefront6targetE0EEEvSQ_ ; -- Begin function _ZN7rocprim17ROCPRIM_400000_NS6detail17trampoline_kernelINS0_14default_configENS1_22reduce_config_selectorIiEEZNS1_11reduce_implILb1ES3_PiS7_iN6hipcub16HIPCUB_304000_NS6detail34convert_binary_result_type_wrapperINS9_3SumENS9_22TransformInputIteratorIbN2at6native12_GLOBAL__N_19NonZeroOpIiEEPKilEEiEEEE10hipError_tPvRmT1_T2_T3_mT4_P12ihipStream_tbEUlT_E1_NS1_11comp_targetILNS1_3genE0ELNS1_11target_archE4294967295ELNS1_3gpuE0ELNS1_3repE0EEENS1_30default_config_static_selectorELNS0_4arch9wavefront6targetE0EEEvSQ_
	.p2align	8
	.type	_ZN7rocprim17ROCPRIM_400000_NS6detail17trampoline_kernelINS0_14default_configENS1_22reduce_config_selectorIiEEZNS1_11reduce_implILb1ES3_PiS7_iN6hipcub16HIPCUB_304000_NS6detail34convert_binary_result_type_wrapperINS9_3SumENS9_22TransformInputIteratorIbN2at6native12_GLOBAL__N_19NonZeroOpIiEEPKilEEiEEEE10hipError_tPvRmT1_T2_T3_mT4_P12ihipStream_tbEUlT_E1_NS1_11comp_targetILNS1_3genE0ELNS1_11target_archE4294967295ELNS1_3gpuE0ELNS1_3repE0EEENS1_30default_config_static_selectorELNS0_4arch9wavefront6targetE0EEEvSQ_,@function
_ZN7rocprim17ROCPRIM_400000_NS6detail17trampoline_kernelINS0_14default_configENS1_22reduce_config_selectorIiEEZNS1_11reduce_implILb1ES3_PiS7_iN6hipcub16HIPCUB_304000_NS6detail34convert_binary_result_type_wrapperINS9_3SumENS9_22TransformInputIteratorIbN2at6native12_GLOBAL__N_19NonZeroOpIiEEPKilEEiEEEE10hipError_tPvRmT1_T2_T3_mT4_P12ihipStream_tbEUlT_E1_NS1_11comp_targetILNS1_3genE0ELNS1_11target_archE4294967295ELNS1_3gpuE0ELNS1_3repE0EEENS1_30default_config_static_selectorELNS0_4arch9wavefront6targetE0EEEvSQ_: ; @_ZN7rocprim17ROCPRIM_400000_NS6detail17trampoline_kernelINS0_14default_configENS1_22reduce_config_selectorIiEEZNS1_11reduce_implILb1ES3_PiS7_iN6hipcub16HIPCUB_304000_NS6detail34convert_binary_result_type_wrapperINS9_3SumENS9_22TransformInputIteratorIbN2at6native12_GLOBAL__N_19NonZeroOpIiEEPKilEEiEEEE10hipError_tPvRmT1_T2_T3_mT4_P12ihipStream_tbEUlT_E1_NS1_11comp_targetILNS1_3genE0ELNS1_11target_archE4294967295ELNS1_3gpuE0ELNS1_3repE0EEENS1_30default_config_static_selectorELNS0_4arch9wavefront6targetE0EEEvSQ_
; %bb.0:
	.section	.rodata,"a",@progbits
	.p2align	6, 0x0
	.amdhsa_kernel _ZN7rocprim17ROCPRIM_400000_NS6detail17trampoline_kernelINS0_14default_configENS1_22reduce_config_selectorIiEEZNS1_11reduce_implILb1ES3_PiS7_iN6hipcub16HIPCUB_304000_NS6detail34convert_binary_result_type_wrapperINS9_3SumENS9_22TransformInputIteratorIbN2at6native12_GLOBAL__N_19NonZeroOpIiEEPKilEEiEEEE10hipError_tPvRmT1_T2_T3_mT4_P12ihipStream_tbEUlT_E1_NS1_11comp_targetILNS1_3genE0ELNS1_11target_archE4294967295ELNS1_3gpuE0ELNS1_3repE0EEENS1_30default_config_static_selectorELNS0_4arch9wavefront6targetE0EEEvSQ_
		.amdhsa_group_segment_fixed_size 0
		.amdhsa_private_segment_fixed_size 0
		.amdhsa_kernarg_size 40
		.amdhsa_user_sgpr_count 15
		.amdhsa_user_sgpr_dispatch_ptr 0
		.amdhsa_user_sgpr_queue_ptr 0
		.amdhsa_user_sgpr_kernarg_segment_ptr 1
		.amdhsa_user_sgpr_dispatch_id 0
		.amdhsa_user_sgpr_private_segment_size 0
		.amdhsa_wavefront_size32 1
		.amdhsa_uses_dynamic_stack 0
		.amdhsa_enable_private_segment 0
		.amdhsa_system_sgpr_workgroup_id_x 1
		.amdhsa_system_sgpr_workgroup_id_y 0
		.amdhsa_system_sgpr_workgroup_id_z 0
		.amdhsa_system_sgpr_workgroup_info 0
		.amdhsa_system_vgpr_workitem_id 0
		.amdhsa_next_free_vgpr 1
		.amdhsa_next_free_sgpr 1
		.amdhsa_reserve_vcc 0
		.amdhsa_float_round_mode_32 0
		.amdhsa_float_round_mode_16_64 0
		.amdhsa_float_denorm_mode_32 3
		.amdhsa_float_denorm_mode_16_64 3
		.amdhsa_dx10_clamp 1
		.amdhsa_ieee_mode 1
		.amdhsa_fp16_overflow 0
		.amdhsa_workgroup_processor_mode 1
		.amdhsa_memory_ordered 1
		.amdhsa_forward_progress 0
		.amdhsa_shared_vgpr_count 0
		.amdhsa_exception_fp_ieee_invalid_op 0
		.amdhsa_exception_fp_denorm_src 0
		.amdhsa_exception_fp_ieee_div_zero 0
		.amdhsa_exception_fp_ieee_overflow 0
		.amdhsa_exception_fp_ieee_underflow 0
		.amdhsa_exception_fp_ieee_inexact 0
		.amdhsa_exception_int_div_zero 0
	.end_amdhsa_kernel
	.section	.text._ZN7rocprim17ROCPRIM_400000_NS6detail17trampoline_kernelINS0_14default_configENS1_22reduce_config_selectorIiEEZNS1_11reduce_implILb1ES3_PiS7_iN6hipcub16HIPCUB_304000_NS6detail34convert_binary_result_type_wrapperINS9_3SumENS9_22TransformInputIteratorIbN2at6native12_GLOBAL__N_19NonZeroOpIiEEPKilEEiEEEE10hipError_tPvRmT1_T2_T3_mT4_P12ihipStream_tbEUlT_E1_NS1_11comp_targetILNS1_3genE0ELNS1_11target_archE4294967295ELNS1_3gpuE0ELNS1_3repE0EEENS1_30default_config_static_selectorELNS0_4arch9wavefront6targetE0EEEvSQ_,"axG",@progbits,_ZN7rocprim17ROCPRIM_400000_NS6detail17trampoline_kernelINS0_14default_configENS1_22reduce_config_selectorIiEEZNS1_11reduce_implILb1ES3_PiS7_iN6hipcub16HIPCUB_304000_NS6detail34convert_binary_result_type_wrapperINS9_3SumENS9_22TransformInputIteratorIbN2at6native12_GLOBAL__N_19NonZeroOpIiEEPKilEEiEEEE10hipError_tPvRmT1_T2_T3_mT4_P12ihipStream_tbEUlT_E1_NS1_11comp_targetILNS1_3genE0ELNS1_11target_archE4294967295ELNS1_3gpuE0ELNS1_3repE0EEENS1_30default_config_static_selectorELNS0_4arch9wavefront6targetE0EEEvSQ_,comdat
.Lfunc_end159:
	.size	_ZN7rocprim17ROCPRIM_400000_NS6detail17trampoline_kernelINS0_14default_configENS1_22reduce_config_selectorIiEEZNS1_11reduce_implILb1ES3_PiS7_iN6hipcub16HIPCUB_304000_NS6detail34convert_binary_result_type_wrapperINS9_3SumENS9_22TransformInputIteratorIbN2at6native12_GLOBAL__N_19NonZeroOpIiEEPKilEEiEEEE10hipError_tPvRmT1_T2_T3_mT4_P12ihipStream_tbEUlT_E1_NS1_11comp_targetILNS1_3genE0ELNS1_11target_archE4294967295ELNS1_3gpuE0ELNS1_3repE0EEENS1_30default_config_static_selectorELNS0_4arch9wavefront6targetE0EEEvSQ_, .Lfunc_end159-_ZN7rocprim17ROCPRIM_400000_NS6detail17trampoline_kernelINS0_14default_configENS1_22reduce_config_selectorIiEEZNS1_11reduce_implILb1ES3_PiS7_iN6hipcub16HIPCUB_304000_NS6detail34convert_binary_result_type_wrapperINS9_3SumENS9_22TransformInputIteratorIbN2at6native12_GLOBAL__N_19NonZeroOpIiEEPKilEEiEEEE10hipError_tPvRmT1_T2_T3_mT4_P12ihipStream_tbEUlT_E1_NS1_11comp_targetILNS1_3genE0ELNS1_11target_archE4294967295ELNS1_3gpuE0ELNS1_3repE0EEENS1_30default_config_static_selectorELNS0_4arch9wavefront6targetE0EEEvSQ_
                                        ; -- End function
	.section	.AMDGPU.csdata,"",@progbits
; Kernel info:
; codeLenInByte = 0
; NumSgprs: 0
; NumVgprs: 0
; ScratchSize: 0
; MemoryBound: 0
; FloatMode: 240
; IeeeMode: 1
; LDSByteSize: 0 bytes/workgroup (compile time only)
; SGPRBlocks: 0
; VGPRBlocks: 0
; NumSGPRsForWavesPerEU: 1
; NumVGPRsForWavesPerEU: 1
; Occupancy: 16
; WaveLimiterHint : 0
; COMPUTE_PGM_RSRC2:SCRATCH_EN: 0
; COMPUTE_PGM_RSRC2:USER_SGPR: 15
; COMPUTE_PGM_RSRC2:TRAP_HANDLER: 0
; COMPUTE_PGM_RSRC2:TGID_X_EN: 1
; COMPUTE_PGM_RSRC2:TGID_Y_EN: 0
; COMPUTE_PGM_RSRC2:TGID_Z_EN: 0
; COMPUTE_PGM_RSRC2:TIDIG_COMP_CNT: 0
	.section	.text._ZN7rocprim17ROCPRIM_400000_NS6detail17trampoline_kernelINS0_14default_configENS1_22reduce_config_selectorIiEEZNS1_11reduce_implILb1ES3_PiS7_iN6hipcub16HIPCUB_304000_NS6detail34convert_binary_result_type_wrapperINS9_3SumENS9_22TransformInputIteratorIbN2at6native12_GLOBAL__N_19NonZeroOpIiEEPKilEEiEEEE10hipError_tPvRmT1_T2_T3_mT4_P12ihipStream_tbEUlT_E1_NS1_11comp_targetILNS1_3genE5ELNS1_11target_archE942ELNS1_3gpuE9ELNS1_3repE0EEENS1_30default_config_static_selectorELNS0_4arch9wavefront6targetE0EEEvSQ_,"axG",@progbits,_ZN7rocprim17ROCPRIM_400000_NS6detail17trampoline_kernelINS0_14default_configENS1_22reduce_config_selectorIiEEZNS1_11reduce_implILb1ES3_PiS7_iN6hipcub16HIPCUB_304000_NS6detail34convert_binary_result_type_wrapperINS9_3SumENS9_22TransformInputIteratorIbN2at6native12_GLOBAL__N_19NonZeroOpIiEEPKilEEiEEEE10hipError_tPvRmT1_T2_T3_mT4_P12ihipStream_tbEUlT_E1_NS1_11comp_targetILNS1_3genE5ELNS1_11target_archE942ELNS1_3gpuE9ELNS1_3repE0EEENS1_30default_config_static_selectorELNS0_4arch9wavefront6targetE0EEEvSQ_,comdat
	.globl	_ZN7rocprim17ROCPRIM_400000_NS6detail17trampoline_kernelINS0_14default_configENS1_22reduce_config_selectorIiEEZNS1_11reduce_implILb1ES3_PiS7_iN6hipcub16HIPCUB_304000_NS6detail34convert_binary_result_type_wrapperINS9_3SumENS9_22TransformInputIteratorIbN2at6native12_GLOBAL__N_19NonZeroOpIiEEPKilEEiEEEE10hipError_tPvRmT1_T2_T3_mT4_P12ihipStream_tbEUlT_E1_NS1_11comp_targetILNS1_3genE5ELNS1_11target_archE942ELNS1_3gpuE9ELNS1_3repE0EEENS1_30default_config_static_selectorELNS0_4arch9wavefront6targetE0EEEvSQ_ ; -- Begin function _ZN7rocprim17ROCPRIM_400000_NS6detail17trampoline_kernelINS0_14default_configENS1_22reduce_config_selectorIiEEZNS1_11reduce_implILb1ES3_PiS7_iN6hipcub16HIPCUB_304000_NS6detail34convert_binary_result_type_wrapperINS9_3SumENS9_22TransformInputIteratorIbN2at6native12_GLOBAL__N_19NonZeroOpIiEEPKilEEiEEEE10hipError_tPvRmT1_T2_T3_mT4_P12ihipStream_tbEUlT_E1_NS1_11comp_targetILNS1_3genE5ELNS1_11target_archE942ELNS1_3gpuE9ELNS1_3repE0EEENS1_30default_config_static_selectorELNS0_4arch9wavefront6targetE0EEEvSQ_
	.p2align	8
	.type	_ZN7rocprim17ROCPRIM_400000_NS6detail17trampoline_kernelINS0_14default_configENS1_22reduce_config_selectorIiEEZNS1_11reduce_implILb1ES3_PiS7_iN6hipcub16HIPCUB_304000_NS6detail34convert_binary_result_type_wrapperINS9_3SumENS9_22TransformInputIteratorIbN2at6native12_GLOBAL__N_19NonZeroOpIiEEPKilEEiEEEE10hipError_tPvRmT1_T2_T3_mT4_P12ihipStream_tbEUlT_E1_NS1_11comp_targetILNS1_3genE5ELNS1_11target_archE942ELNS1_3gpuE9ELNS1_3repE0EEENS1_30default_config_static_selectorELNS0_4arch9wavefront6targetE0EEEvSQ_,@function
_ZN7rocprim17ROCPRIM_400000_NS6detail17trampoline_kernelINS0_14default_configENS1_22reduce_config_selectorIiEEZNS1_11reduce_implILb1ES3_PiS7_iN6hipcub16HIPCUB_304000_NS6detail34convert_binary_result_type_wrapperINS9_3SumENS9_22TransformInputIteratorIbN2at6native12_GLOBAL__N_19NonZeroOpIiEEPKilEEiEEEE10hipError_tPvRmT1_T2_T3_mT4_P12ihipStream_tbEUlT_E1_NS1_11comp_targetILNS1_3genE5ELNS1_11target_archE942ELNS1_3gpuE9ELNS1_3repE0EEENS1_30default_config_static_selectorELNS0_4arch9wavefront6targetE0EEEvSQ_: ; @_ZN7rocprim17ROCPRIM_400000_NS6detail17trampoline_kernelINS0_14default_configENS1_22reduce_config_selectorIiEEZNS1_11reduce_implILb1ES3_PiS7_iN6hipcub16HIPCUB_304000_NS6detail34convert_binary_result_type_wrapperINS9_3SumENS9_22TransformInputIteratorIbN2at6native12_GLOBAL__N_19NonZeroOpIiEEPKilEEiEEEE10hipError_tPvRmT1_T2_T3_mT4_P12ihipStream_tbEUlT_E1_NS1_11comp_targetILNS1_3genE5ELNS1_11target_archE942ELNS1_3gpuE9ELNS1_3repE0EEENS1_30default_config_static_selectorELNS0_4arch9wavefront6targetE0EEEvSQ_
; %bb.0:
	.section	.rodata,"a",@progbits
	.p2align	6, 0x0
	.amdhsa_kernel _ZN7rocprim17ROCPRIM_400000_NS6detail17trampoline_kernelINS0_14default_configENS1_22reduce_config_selectorIiEEZNS1_11reduce_implILb1ES3_PiS7_iN6hipcub16HIPCUB_304000_NS6detail34convert_binary_result_type_wrapperINS9_3SumENS9_22TransformInputIteratorIbN2at6native12_GLOBAL__N_19NonZeroOpIiEEPKilEEiEEEE10hipError_tPvRmT1_T2_T3_mT4_P12ihipStream_tbEUlT_E1_NS1_11comp_targetILNS1_3genE5ELNS1_11target_archE942ELNS1_3gpuE9ELNS1_3repE0EEENS1_30default_config_static_selectorELNS0_4arch9wavefront6targetE0EEEvSQ_
		.amdhsa_group_segment_fixed_size 0
		.amdhsa_private_segment_fixed_size 0
		.amdhsa_kernarg_size 40
		.amdhsa_user_sgpr_count 15
		.amdhsa_user_sgpr_dispatch_ptr 0
		.amdhsa_user_sgpr_queue_ptr 0
		.amdhsa_user_sgpr_kernarg_segment_ptr 1
		.amdhsa_user_sgpr_dispatch_id 0
		.amdhsa_user_sgpr_private_segment_size 0
		.amdhsa_wavefront_size32 1
		.amdhsa_uses_dynamic_stack 0
		.amdhsa_enable_private_segment 0
		.amdhsa_system_sgpr_workgroup_id_x 1
		.amdhsa_system_sgpr_workgroup_id_y 0
		.amdhsa_system_sgpr_workgroup_id_z 0
		.amdhsa_system_sgpr_workgroup_info 0
		.amdhsa_system_vgpr_workitem_id 0
		.amdhsa_next_free_vgpr 1
		.amdhsa_next_free_sgpr 1
		.amdhsa_reserve_vcc 0
		.amdhsa_float_round_mode_32 0
		.amdhsa_float_round_mode_16_64 0
		.amdhsa_float_denorm_mode_32 3
		.amdhsa_float_denorm_mode_16_64 3
		.amdhsa_dx10_clamp 1
		.amdhsa_ieee_mode 1
		.amdhsa_fp16_overflow 0
		.amdhsa_workgroup_processor_mode 1
		.amdhsa_memory_ordered 1
		.amdhsa_forward_progress 0
		.amdhsa_shared_vgpr_count 0
		.amdhsa_exception_fp_ieee_invalid_op 0
		.amdhsa_exception_fp_denorm_src 0
		.amdhsa_exception_fp_ieee_div_zero 0
		.amdhsa_exception_fp_ieee_overflow 0
		.amdhsa_exception_fp_ieee_underflow 0
		.amdhsa_exception_fp_ieee_inexact 0
		.amdhsa_exception_int_div_zero 0
	.end_amdhsa_kernel
	.section	.text._ZN7rocprim17ROCPRIM_400000_NS6detail17trampoline_kernelINS0_14default_configENS1_22reduce_config_selectorIiEEZNS1_11reduce_implILb1ES3_PiS7_iN6hipcub16HIPCUB_304000_NS6detail34convert_binary_result_type_wrapperINS9_3SumENS9_22TransformInputIteratorIbN2at6native12_GLOBAL__N_19NonZeroOpIiEEPKilEEiEEEE10hipError_tPvRmT1_T2_T3_mT4_P12ihipStream_tbEUlT_E1_NS1_11comp_targetILNS1_3genE5ELNS1_11target_archE942ELNS1_3gpuE9ELNS1_3repE0EEENS1_30default_config_static_selectorELNS0_4arch9wavefront6targetE0EEEvSQ_,"axG",@progbits,_ZN7rocprim17ROCPRIM_400000_NS6detail17trampoline_kernelINS0_14default_configENS1_22reduce_config_selectorIiEEZNS1_11reduce_implILb1ES3_PiS7_iN6hipcub16HIPCUB_304000_NS6detail34convert_binary_result_type_wrapperINS9_3SumENS9_22TransformInputIteratorIbN2at6native12_GLOBAL__N_19NonZeroOpIiEEPKilEEiEEEE10hipError_tPvRmT1_T2_T3_mT4_P12ihipStream_tbEUlT_E1_NS1_11comp_targetILNS1_3genE5ELNS1_11target_archE942ELNS1_3gpuE9ELNS1_3repE0EEENS1_30default_config_static_selectorELNS0_4arch9wavefront6targetE0EEEvSQ_,comdat
.Lfunc_end160:
	.size	_ZN7rocprim17ROCPRIM_400000_NS6detail17trampoline_kernelINS0_14default_configENS1_22reduce_config_selectorIiEEZNS1_11reduce_implILb1ES3_PiS7_iN6hipcub16HIPCUB_304000_NS6detail34convert_binary_result_type_wrapperINS9_3SumENS9_22TransformInputIteratorIbN2at6native12_GLOBAL__N_19NonZeroOpIiEEPKilEEiEEEE10hipError_tPvRmT1_T2_T3_mT4_P12ihipStream_tbEUlT_E1_NS1_11comp_targetILNS1_3genE5ELNS1_11target_archE942ELNS1_3gpuE9ELNS1_3repE0EEENS1_30default_config_static_selectorELNS0_4arch9wavefront6targetE0EEEvSQ_, .Lfunc_end160-_ZN7rocprim17ROCPRIM_400000_NS6detail17trampoline_kernelINS0_14default_configENS1_22reduce_config_selectorIiEEZNS1_11reduce_implILb1ES3_PiS7_iN6hipcub16HIPCUB_304000_NS6detail34convert_binary_result_type_wrapperINS9_3SumENS9_22TransformInputIteratorIbN2at6native12_GLOBAL__N_19NonZeroOpIiEEPKilEEiEEEE10hipError_tPvRmT1_T2_T3_mT4_P12ihipStream_tbEUlT_E1_NS1_11comp_targetILNS1_3genE5ELNS1_11target_archE942ELNS1_3gpuE9ELNS1_3repE0EEENS1_30default_config_static_selectorELNS0_4arch9wavefront6targetE0EEEvSQ_
                                        ; -- End function
	.section	.AMDGPU.csdata,"",@progbits
; Kernel info:
; codeLenInByte = 0
; NumSgprs: 0
; NumVgprs: 0
; ScratchSize: 0
; MemoryBound: 0
; FloatMode: 240
; IeeeMode: 1
; LDSByteSize: 0 bytes/workgroup (compile time only)
; SGPRBlocks: 0
; VGPRBlocks: 0
; NumSGPRsForWavesPerEU: 1
; NumVGPRsForWavesPerEU: 1
; Occupancy: 16
; WaveLimiterHint : 0
; COMPUTE_PGM_RSRC2:SCRATCH_EN: 0
; COMPUTE_PGM_RSRC2:USER_SGPR: 15
; COMPUTE_PGM_RSRC2:TRAP_HANDLER: 0
; COMPUTE_PGM_RSRC2:TGID_X_EN: 1
; COMPUTE_PGM_RSRC2:TGID_Y_EN: 0
; COMPUTE_PGM_RSRC2:TGID_Z_EN: 0
; COMPUTE_PGM_RSRC2:TIDIG_COMP_CNT: 0
	.section	.text._ZN7rocprim17ROCPRIM_400000_NS6detail17trampoline_kernelINS0_14default_configENS1_22reduce_config_selectorIiEEZNS1_11reduce_implILb1ES3_PiS7_iN6hipcub16HIPCUB_304000_NS6detail34convert_binary_result_type_wrapperINS9_3SumENS9_22TransformInputIteratorIbN2at6native12_GLOBAL__N_19NonZeroOpIiEEPKilEEiEEEE10hipError_tPvRmT1_T2_T3_mT4_P12ihipStream_tbEUlT_E1_NS1_11comp_targetILNS1_3genE4ELNS1_11target_archE910ELNS1_3gpuE8ELNS1_3repE0EEENS1_30default_config_static_selectorELNS0_4arch9wavefront6targetE0EEEvSQ_,"axG",@progbits,_ZN7rocprim17ROCPRIM_400000_NS6detail17trampoline_kernelINS0_14default_configENS1_22reduce_config_selectorIiEEZNS1_11reduce_implILb1ES3_PiS7_iN6hipcub16HIPCUB_304000_NS6detail34convert_binary_result_type_wrapperINS9_3SumENS9_22TransformInputIteratorIbN2at6native12_GLOBAL__N_19NonZeroOpIiEEPKilEEiEEEE10hipError_tPvRmT1_T2_T3_mT4_P12ihipStream_tbEUlT_E1_NS1_11comp_targetILNS1_3genE4ELNS1_11target_archE910ELNS1_3gpuE8ELNS1_3repE0EEENS1_30default_config_static_selectorELNS0_4arch9wavefront6targetE0EEEvSQ_,comdat
	.globl	_ZN7rocprim17ROCPRIM_400000_NS6detail17trampoline_kernelINS0_14default_configENS1_22reduce_config_selectorIiEEZNS1_11reduce_implILb1ES3_PiS7_iN6hipcub16HIPCUB_304000_NS6detail34convert_binary_result_type_wrapperINS9_3SumENS9_22TransformInputIteratorIbN2at6native12_GLOBAL__N_19NonZeroOpIiEEPKilEEiEEEE10hipError_tPvRmT1_T2_T3_mT4_P12ihipStream_tbEUlT_E1_NS1_11comp_targetILNS1_3genE4ELNS1_11target_archE910ELNS1_3gpuE8ELNS1_3repE0EEENS1_30default_config_static_selectorELNS0_4arch9wavefront6targetE0EEEvSQ_ ; -- Begin function _ZN7rocprim17ROCPRIM_400000_NS6detail17trampoline_kernelINS0_14default_configENS1_22reduce_config_selectorIiEEZNS1_11reduce_implILb1ES3_PiS7_iN6hipcub16HIPCUB_304000_NS6detail34convert_binary_result_type_wrapperINS9_3SumENS9_22TransformInputIteratorIbN2at6native12_GLOBAL__N_19NonZeroOpIiEEPKilEEiEEEE10hipError_tPvRmT1_T2_T3_mT4_P12ihipStream_tbEUlT_E1_NS1_11comp_targetILNS1_3genE4ELNS1_11target_archE910ELNS1_3gpuE8ELNS1_3repE0EEENS1_30default_config_static_selectorELNS0_4arch9wavefront6targetE0EEEvSQ_
	.p2align	8
	.type	_ZN7rocprim17ROCPRIM_400000_NS6detail17trampoline_kernelINS0_14default_configENS1_22reduce_config_selectorIiEEZNS1_11reduce_implILb1ES3_PiS7_iN6hipcub16HIPCUB_304000_NS6detail34convert_binary_result_type_wrapperINS9_3SumENS9_22TransformInputIteratorIbN2at6native12_GLOBAL__N_19NonZeroOpIiEEPKilEEiEEEE10hipError_tPvRmT1_T2_T3_mT4_P12ihipStream_tbEUlT_E1_NS1_11comp_targetILNS1_3genE4ELNS1_11target_archE910ELNS1_3gpuE8ELNS1_3repE0EEENS1_30default_config_static_selectorELNS0_4arch9wavefront6targetE0EEEvSQ_,@function
_ZN7rocprim17ROCPRIM_400000_NS6detail17trampoline_kernelINS0_14default_configENS1_22reduce_config_selectorIiEEZNS1_11reduce_implILb1ES3_PiS7_iN6hipcub16HIPCUB_304000_NS6detail34convert_binary_result_type_wrapperINS9_3SumENS9_22TransformInputIteratorIbN2at6native12_GLOBAL__N_19NonZeroOpIiEEPKilEEiEEEE10hipError_tPvRmT1_T2_T3_mT4_P12ihipStream_tbEUlT_E1_NS1_11comp_targetILNS1_3genE4ELNS1_11target_archE910ELNS1_3gpuE8ELNS1_3repE0EEENS1_30default_config_static_selectorELNS0_4arch9wavefront6targetE0EEEvSQ_: ; @_ZN7rocprim17ROCPRIM_400000_NS6detail17trampoline_kernelINS0_14default_configENS1_22reduce_config_selectorIiEEZNS1_11reduce_implILb1ES3_PiS7_iN6hipcub16HIPCUB_304000_NS6detail34convert_binary_result_type_wrapperINS9_3SumENS9_22TransformInputIteratorIbN2at6native12_GLOBAL__N_19NonZeroOpIiEEPKilEEiEEEE10hipError_tPvRmT1_T2_T3_mT4_P12ihipStream_tbEUlT_E1_NS1_11comp_targetILNS1_3genE4ELNS1_11target_archE910ELNS1_3gpuE8ELNS1_3repE0EEENS1_30default_config_static_selectorELNS0_4arch9wavefront6targetE0EEEvSQ_
; %bb.0:
	.section	.rodata,"a",@progbits
	.p2align	6, 0x0
	.amdhsa_kernel _ZN7rocprim17ROCPRIM_400000_NS6detail17trampoline_kernelINS0_14default_configENS1_22reduce_config_selectorIiEEZNS1_11reduce_implILb1ES3_PiS7_iN6hipcub16HIPCUB_304000_NS6detail34convert_binary_result_type_wrapperINS9_3SumENS9_22TransformInputIteratorIbN2at6native12_GLOBAL__N_19NonZeroOpIiEEPKilEEiEEEE10hipError_tPvRmT1_T2_T3_mT4_P12ihipStream_tbEUlT_E1_NS1_11comp_targetILNS1_3genE4ELNS1_11target_archE910ELNS1_3gpuE8ELNS1_3repE0EEENS1_30default_config_static_selectorELNS0_4arch9wavefront6targetE0EEEvSQ_
		.amdhsa_group_segment_fixed_size 0
		.amdhsa_private_segment_fixed_size 0
		.amdhsa_kernarg_size 40
		.amdhsa_user_sgpr_count 15
		.amdhsa_user_sgpr_dispatch_ptr 0
		.amdhsa_user_sgpr_queue_ptr 0
		.amdhsa_user_sgpr_kernarg_segment_ptr 1
		.amdhsa_user_sgpr_dispatch_id 0
		.amdhsa_user_sgpr_private_segment_size 0
		.amdhsa_wavefront_size32 1
		.amdhsa_uses_dynamic_stack 0
		.amdhsa_enable_private_segment 0
		.amdhsa_system_sgpr_workgroup_id_x 1
		.amdhsa_system_sgpr_workgroup_id_y 0
		.amdhsa_system_sgpr_workgroup_id_z 0
		.amdhsa_system_sgpr_workgroup_info 0
		.amdhsa_system_vgpr_workitem_id 0
		.amdhsa_next_free_vgpr 1
		.amdhsa_next_free_sgpr 1
		.amdhsa_reserve_vcc 0
		.amdhsa_float_round_mode_32 0
		.amdhsa_float_round_mode_16_64 0
		.amdhsa_float_denorm_mode_32 3
		.amdhsa_float_denorm_mode_16_64 3
		.amdhsa_dx10_clamp 1
		.amdhsa_ieee_mode 1
		.amdhsa_fp16_overflow 0
		.amdhsa_workgroup_processor_mode 1
		.amdhsa_memory_ordered 1
		.amdhsa_forward_progress 0
		.amdhsa_shared_vgpr_count 0
		.amdhsa_exception_fp_ieee_invalid_op 0
		.amdhsa_exception_fp_denorm_src 0
		.amdhsa_exception_fp_ieee_div_zero 0
		.amdhsa_exception_fp_ieee_overflow 0
		.amdhsa_exception_fp_ieee_underflow 0
		.amdhsa_exception_fp_ieee_inexact 0
		.amdhsa_exception_int_div_zero 0
	.end_amdhsa_kernel
	.section	.text._ZN7rocprim17ROCPRIM_400000_NS6detail17trampoline_kernelINS0_14default_configENS1_22reduce_config_selectorIiEEZNS1_11reduce_implILb1ES3_PiS7_iN6hipcub16HIPCUB_304000_NS6detail34convert_binary_result_type_wrapperINS9_3SumENS9_22TransformInputIteratorIbN2at6native12_GLOBAL__N_19NonZeroOpIiEEPKilEEiEEEE10hipError_tPvRmT1_T2_T3_mT4_P12ihipStream_tbEUlT_E1_NS1_11comp_targetILNS1_3genE4ELNS1_11target_archE910ELNS1_3gpuE8ELNS1_3repE0EEENS1_30default_config_static_selectorELNS0_4arch9wavefront6targetE0EEEvSQ_,"axG",@progbits,_ZN7rocprim17ROCPRIM_400000_NS6detail17trampoline_kernelINS0_14default_configENS1_22reduce_config_selectorIiEEZNS1_11reduce_implILb1ES3_PiS7_iN6hipcub16HIPCUB_304000_NS6detail34convert_binary_result_type_wrapperINS9_3SumENS9_22TransformInputIteratorIbN2at6native12_GLOBAL__N_19NonZeroOpIiEEPKilEEiEEEE10hipError_tPvRmT1_T2_T3_mT4_P12ihipStream_tbEUlT_E1_NS1_11comp_targetILNS1_3genE4ELNS1_11target_archE910ELNS1_3gpuE8ELNS1_3repE0EEENS1_30default_config_static_selectorELNS0_4arch9wavefront6targetE0EEEvSQ_,comdat
.Lfunc_end161:
	.size	_ZN7rocprim17ROCPRIM_400000_NS6detail17trampoline_kernelINS0_14default_configENS1_22reduce_config_selectorIiEEZNS1_11reduce_implILb1ES3_PiS7_iN6hipcub16HIPCUB_304000_NS6detail34convert_binary_result_type_wrapperINS9_3SumENS9_22TransformInputIteratorIbN2at6native12_GLOBAL__N_19NonZeroOpIiEEPKilEEiEEEE10hipError_tPvRmT1_T2_T3_mT4_P12ihipStream_tbEUlT_E1_NS1_11comp_targetILNS1_3genE4ELNS1_11target_archE910ELNS1_3gpuE8ELNS1_3repE0EEENS1_30default_config_static_selectorELNS0_4arch9wavefront6targetE0EEEvSQ_, .Lfunc_end161-_ZN7rocprim17ROCPRIM_400000_NS6detail17trampoline_kernelINS0_14default_configENS1_22reduce_config_selectorIiEEZNS1_11reduce_implILb1ES3_PiS7_iN6hipcub16HIPCUB_304000_NS6detail34convert_binary_result_type_wrapperINS9_3SumENS9_22TransformInputIteratorIbN2at6native12_GLOBAL__N_19NonZeroOpIiEEPKilEEiEEEE10hipError_tPvRmT1_T2_T3_mT4_P12ihipStream_tbEUlT_E1_NS1_11comp_targetILNS1_3genE4ELNS1_11target_archE910ELNS1_3gpuE8ELNS1_3repE0EEENS1_30default_config_static_selectorELNS0_4arch9wavefront6targetE0EEEvSQ_
                                        ; -- End function
	.section	.AMDGPU.csdata,"",@progbits
; Kernel info:
; codeLenInByte = 0
; NumSgprs: 0
; NumVgprs: 0
; ScratchSize: 0
; MemoryBound: 0
; FloatMode: 240
; IeeeMode: 1
; LDSByteSize: 0 bytes/workgroup (compile time only)
; SGPRBlocks: 0
; VGPRBlocks: 0
; NumSGPRsForWavesPerEU: 1
; NumVGPRsForWavesPerEU: 1
; Occupancy: 16
; WaveLimiterHint : 0
; COMPUTE_PGM_RSRC2:SCRATCH_EN: 0
; COMPUTE_PGM_RSRC2:USER_SGPR: 15
; COMPUTE_PGM_RSRC2:TRAP_HANDLER: 0
; COMPUTE_PGM_RSRC2:TGID_X_EN: 1
; COMPUTE_PGM_RSRC2:TGID_Y_EN: 0
; COMPUTE_PGM_RSRC2:TGID_Z_EN: 0
; COMPUTE_PGM_RSRC2:TIDIG_COMP_CNT: 0
	.section	.text._ZN7rocprim17ROCPRIM_400000_NS6detail17trampoline_kernelINS0_14default_configENS1_22reduce_config_selectorIiEEZNS1_11reduce_implILb1ES3_PiS7_iN6hipcub16HIPCUB_304000_NS6detail34convert_binary_result_type_wrapperINS9_3SumENS9_22TransformInputIteratorIbN2at6native12_GLOBAL__N_19NonZeroOpIiEEPKilEEiEEEE10hipError_tPvRmT1_T2_T3_mT4_P12ihipStream_tbEUlT_E1_NS1_11comp_targetILNS1_3genE3ELNS1_11target_archE908ELNS1_3gpuE7ELNS1_3repE0EEENS1_30default_config_static_selectorELNS0_4arch9wavefront6targetE0EEEvSQ_,"axG",@progbits,_ZN7rocprim17ROCPRIM_400000_NS6detail17trampoline_kernelINS0_14default_configENS1_22reduce_config_selectorIiEEZNS1_11reduce_implILb1ES3_PiS7_iN6hipcub16HIPCUB_304000_NS6detail34convert_binary_result_type_wrapperINS9_3SumENS9_22TransformInputIteratorIbN2at6native12_GLOBAL__N_19NonZeroOpIiEEPKilEEiEEEE10hipError_tPvRmT1_T2_T3_mT4_P12ihipStream_tbEUlT_E1_NS1_11comp_targetILNS1_3genE3ELNS1_11target_archE908ELNS1_3gpuE7ELNS1_3repE0EEENS1_30default_config_static_selectorELNS0_4arch9wavefront6targetE0EEEvSQ_,comdat
	.globl	_ZN7rocprim17ROCPRIM_400000_NS6detail17trampoline_kernelINS0_14default_configENS1_22reduce_config_selectorIiEEZNS1_11reduce_implILb1ES3_PiS7_iN6hipcub16HIPCUB_304000_NS6detail34convert_binary_result_type_wrapperINS9_3SumENS9_22TransformInputIteratorIbN2at6native12_GLOBAL__N_19NonZeroOpIiEEPKilEEiEEEE10hipError_tPvRmT1_T2_T3_mT4_P12ihipStream_tbEUlT_E1_NS1_11comp_targetILNS1_3genE3ELNS1_11target_archE908ELNS1_3gpuE7ELNS1_3repE0EEENS1_30default_config_static_selectorELNS0_4arch9wavefront6targetE0EEEvSQ_ ; -- Begin function _ZN7rocprim17ROCPRIM_400000_NS6detail17trampoline_kernelINS0_14default_configENS1_22reduce_config_selectorIiEEZNS1_11reduce_implILb1ES3_PiS7_iN6hipcub16HIPCUB_304000_NS6detail34convert_binary_result_type_wrapperINS9_3SumENS9_22TransformInputIteratorIbN2at6native12_GLOBAL__N_19NonZeroOpIiEEPKilEEiEEEE10hipError_tPvRmT1_T2_T3_mT4_P12ihipStream_tbEUlT_E1_NS1_11comp_targetILNS1_3genE3ELNS1_11target_archE908ELNS1_3gpuE7ELNS1_3repE0EEENS1_30default_config_static_selectorELNS0_4arch9wavefront6targetE0EEEvSQ_
	.p2align	8
	.type	_ZN7rocprim17ROCPRIM_400000_NS6detail17trampoline_kernelINS0_14default_configENS1_22reduce_config_selectorIiEEZNS1_11reduce_implILb1ES3_PiS7_iN6hipcub16HIPCUB_304000_NS6detail34convert_binary_result_type_wrapperINS9_3SumENS9_22TransformInputIteratorIbN2at6native12_GLOBAL__N_19NonZeroOpIiEEPKilEEiEEEE10hipError_tPvRmT1_T2_T3_mT4_P12ihipStream_tbEUlT_E1_NS1_11comp_targetILNS1_3genE3ELNS1_11target_archE908ELNS1_3gpuE7ELNS1_3repE0EEENS1_30default_config_static_selectorELNS0_4arch9wavefront6targetE0EEEvSQ_,@function
_ZN7rocprim17ROCPRIM_400000_NS6detail17trampoline_kernelINS0_14default_configENS1_22reduce_config_selectorIiEEZNS1_11reduce_implILb1ES3_PiS7_iN6hipcub16HIPCUB_304000_NS6detail34convert_binary_result_type_wrapperINS9_3SumENS9_22TransformInputIteratorIbN2at6native12_GLOBAL__N_19NonZeroOpIiEEPKilEEiEEEE10hipError_tPvRmT1_T2_T3_mT4_P12ihipStream_tbEUlT_E1_NS1_11comp_targetILNS1_3genE3ELNS1_11target_archE908ELNS1_3gpuE7ELNS1_3repE0EEENS1_30default_config_static_selectorELNS0_4arch9wavefront6targetE0EEEvSQ_: ; @_ZN7rocprim17ROCPRIM_400000_NS6detail17trampoline_kernelINS0_14default_configENS1_22reduce_config_selectorIiEEZNS1_11reduce_implILb1ES3_PiS7_iN6hipcub16HIPCUB_304000_NS6detail34convert_binary_result_type_wrapperINS9_3SumENS9_22TransformInputIteratorIbN2at6native12_GLOBAL__N_19NonZeroOpIiEEPKilEEiEEEE10hipError_tPvRmT1_T2_T3_mT4_P12ihipStream_tbEUlT_E1_NS1_11comp_targetILNS1_3genE3ELNS1_11target_archE908ELNS1_3gpuE7ELNS1_3repE0EEENS1_30default_config_static_selectorELNS0_4arch9wavefront6targetE0EEEvSQ_
; %bb.0:
	.section	.rodata,"a",@progbits
	.p2align	6, 0x0
	.amdhsa_kernel _ZN7rocprim17ROCPRIM_400000_NS6detail17trampoline_kernelINS0_14default_configENS1_22reduce_config_selectorIiEEZNS1_11reduce_implILb1ES3_PiS7_iN6hipcub16HIPCUB_304000_NS6detail34convert_binary_result_type_wrapperINS9_3SumENS9_22TransformInputIteratorIbN2at6native12_GLOBAL__N_19NonZeroOpIiEEPKilEEiEEEE10hipError_tPvRmT1_T2_T3_mT4_P12ihipStream_tbEUlT_E1_NS1_11comp_targetILNS1_3genE3ELNS1_11target_archE908ELNS1_3gpuE7ELNS1_3repE0EEENS1_30default_config_static_selectorELNS0_4arch9wavefront6targetE0EEEvSQ_
		.amdhsa_group_segment_fixed_size 0
		.amdhsa_private_segment_fixed_size 0
		.amdhsa_kernarg_size 40
		.amdhsa_user_sgpr_count 15
		.amdhsa_user_sgpr_dispatch_ptr 0
		.amdhsa_user_sgpr_queue_ptr 0
		.amdhsa_user_sgpr_kernarg_segment_ptr 1
		.amdhsa_user_sgpr_dispatch_id 0
		.amdhsa_user_sgpr_private_segment_size 0
		.amdhsa_wavefront_size32 1
		.amdhsa_uses_dynamic_stack 0
		.amdhsa_enable_private_segment 0
		.amdhsa_system_sgpr_workgroup_id_x 1
		.amdhsa_system_sgpr_workgroup_id_y 0
		.amdhsa_system_sgpr_workgroup_id_z 0
		.amdhsa_system_sgpr_workgroup_info 0
		.amdhsa_system_vgpr_workitem_id 0
		.amdhsa_next_free_vgpr 1
		.amdhsa_next_free_sgpr 1
		.amdhsa_reserve_vcc 0
		.amdhsa_float_round_mode_32 0
		.amdhsa_float_round_mode_16_64 0
		.amdhsa_float_denorm_mode_32 3
		.amdhsa_float_denorm_mode_16_64 3
		.amdhsa_dx10_clamp 1
		.amdhsa_ieee_mode 1
		.amdhsa_fp16_overflow 0
		.amdhsa_workgroup_processor_mode 1
		.amdhsa_memory_ordered 1
		.amdhsa_forward_progress 0
		.amdhsa_shared_vgpr_count 0
		.amdhsa_exception_fp_ieee_invalid_op 0
		.amdhsa_exception_fp_denorm_src 0
		.amdhsa_exception_fp_ieee_div_zero 0
		.amdhsa_exception_fp_ieee_overflow 0
		.amdhsa_exception_fp_ieee_underflow 0
		.amdhsa_exception_fp_ieee_inexact 0
		.amdhsa_exception_int_div_zero 0
	.end_amdhsa_kernel
	.section	.text._ZN7rocprim17ROCPRIM_400000_NS6detail17trampoline_kernelINS0_14default_configENS1_22reduce_config_selectorIiEEZNS1_11reduce_implILb1ES3_PiS7_iN6hipcub16HIPCUB_304000_NS6detail34convert_binary_result_type_wrapperINS9_3SumENS9_22TransformInputIteratorIbN2at6native12_GLOBAL__N_19NonZeroOpIiEEPKilEEiEEEE10hipError_tPvRmT1_T2_T3_mT4_P12ihipStream_tbEUlT_E1_NS1_11comp_targetILNS1_3genE3ELNS1_11target_archE908ELNS1_3gpuE7ELNS1_3repE0EEENS1_30default_config_static_selectorELNS0_4arch9wavefront6targetE0EEEvSQ_,"axG",@progbits,_ZN7rocprim17ROCPRIM_400000_NS6detail17trampoline_kernelINS0_14default_configENS1_22reduce_config_selectorIiEEZNS1_11reduce_implILb1ES3_PiS7_iN6hipcub16HIPCUB_304000_NS6detail34convert_binary_result_type_wrapperINS9_3SumENS9_22TransformInputIteratorIbN2at6native12_GLOBAL__N_19NonZeroOpIiEEPKilEEiEEEE10hipError_tPvRmT1_T2_T3_mT4_P12ihipStream_tbEUlT_E1_NS1_11comp_targetILNS1_3genE3ELNS1_11target_archE908ELNS1_3gpuE7ELNS1_3repE0EEENS1_30default_config_static_selectorELNS0_4arch9wavefront6targetE0EEEvSQ_,comdat
.Lfunc_end162:
	.size	_ZN7rocprim17ROCPRIM_400000_NS6detail17trampoline_kernelINS0_14default_configENS1_22reduce_config_selectorIiEEZNS1_11reduce_implILb1ES3_PiS7_iN6hipcub16HIPCUB_304000_NS6detail34convert_binary_result_type_wrapperINS9_3SumENS9_22TransformInputIteratorIbN2at6native12_GLOBAL__N_19NonZeroOpIiEEPKilEEiEEEE10hipError_tPvRmT1_T2_T3_mT4_P12ihipStream_tbEUlT_E1_NS1_11comp_targetILNS1_3genE3ELNS1_11target_archE908ELNS1_3gpuE7ELNS1_3repE0EEENS1_30default_config_static_selectorELNS0_4arch9wavefront6targetE0EEEvSQ_, .Lfunc_end162-_ZN7rocprim17ROCPRIM_400000_NS6detail17trampoline_kernelINS0_14default_configENS1_22reduce_config_selectorIiEEZNS1_11reduce_implILb1ES3_PiS7_iN6hipcub16HIPCUB_304000_NS6detail34convert_binary_result_type_wrapperINS9_3SumENS9_22TransformInputIteratorIbN2at6native12_GLOBAL__N_19NonZeroOpIiEEPKilEEiEEEE10hipError_tPvRmT1_T2_T3_mT4_P12ihipStream_tbEUlT_E1_NS1_11comp_targetILNS1_3genE3ELNS1_11target_archE908ELNS1_3gpuE7ELNS1_3repE0EEENS1_30default_config_static_selectorELNS0_4arch9wavefront6targetE0EEEvSQ_
                                        ; -- End function
	.section	.AMDGPU.csdata,"",@progbits
; Kernel info:
; codeLenInByte = 0
; NumSgprs: 0
; NumVgprs: 0
; ScratchSize: 0
; MemoryBound: 0
; FloatMode: 240
; IeeeMode: 1
; LDSByteSize: 0 bytes/workgroup (compile time only)
; SGPRBlocks: 0
; VGPRBlocks: 0
; NumSGPRsForWavesPerEU: 1
; NumVGPRsForWavesPerEU: 1
; Occupancy: 16
; WaveLimiterHint : 0
; COMPUTE_PGM_RSRC2:SCRATCH_EN: 0
; COMPUTE_PGM_RSRC2:USER_SGPR: 15
; COMPUTE_PGM_RSRC2:TRAP_HANDLER: 0
; COMPUTE_PGM_RSRC2:TGID_X_EN: 1
; COMPUTE_PGM_RSRC2:TGID_Y_EN: 0
; COMPUTE_PGM_RSRC2:TGID_Z_EN: 0
; COMPUTE_PGM_RSRC2:TIDIG_COMP_CNT: 0
	.section	.text._ZN7rocprim17ROCPRIM_400000_NS6detail17trampoline_kernelINS0_14default_configENS1_22reduce_config_selectorIiEEZNS1_11reduce_implILb1ES3_PiS7_iN6hipcub16HIPCUB_304000_NS6detail34convert_binary_result_type_wrapperINS9_3SumENS9_22TransformInputIteratorIbN2at6native12_GLOBAL__N_19NonZeroOpIiEEPKilEEiEEEE10hipError_tPvRmT1_T2_T3_mT4_P12ihipStream_tbEUlT_E1_NS1_11comp_targetILNS1_3genE2ELNS1_11target_archE906ELNS1_3gpuE6ELNS1_3repE0EEENS1_30default_config_static_selectorELNS0_4arch9wavefront6targetE0EEEvSQ_,"axG",@progbits,_ZN7rocprim17ROCPRIM_400000_NS6detail17trampoline_kernelINS0_14default_configENS1_22reduce_config_selectorIiEEZNS1_11reduce_implILb1ES3_PiS7_iN6hipcub16HIPCUB_304000_NS6detail34convert_binary_result_type_wrapperINS9_3SumENS9_22TransformInputIteratorIbN2at6native12_GLOBAL__N_19NonZeroOpIiEEPKilEEiEEEE10hipError_tPvRmT1_T2_T3_mT4_P12ihipStream_tbEUlT_E1_NS1_11comp_targetILNS1_3genE2ELNS1_11target_archE906ELNS1_3gpuE6ELNS1_3repE0EEENS1_30default_config_static_selectorELNS0_4arch9wavefront6targetE0EEEvSQ_,comdat
	.globl	_ZN7rocprim17ROCPRIM_400000_NS6detail17trampoline_kernelINS0_14default_configENS1_22reduce_config_selectorIiEEZNS1_11reduce_implILb1ES3_PiS7_iN6hipcub16HIPCUB_304000_NS6detail34convert_binary_result_type_wrapperINS9_3SumENS9_22TransformInputIteratorIbN2at6native12_GLOBAL__N_19NonZeroOpIiEEPKilEEiEEEE10hipError_tPvRmT1_T2_T3_mT4_P12ihipStream_tbEUlT_E1_NS1_11comp_targetILNS1_3genE2ELNS1_11target_archE906ELNS1_3gpuE6ELNS1_3repE0EEENS1_30default_config_static_selectorELNS0_4arch9wavefront6targetE0EEEvSQ_ ; -- Begin function _ZN7rocprim17ROCPRIM_400000_NS6detail17trampoline_kernelINS0_14default_configENS1_22reduce_config_selectorIiEEZNS1_11reduce_implILb1ES3_PiS7_iN6hipcub16HIPCUB_304000_NS6detail34convert_binary_result_type_wrapperINS9_3SumENS9_22TransformInputIteratorIbN2at6native12_GLOBAL__N_19NonZeroOpIiEEPKilEEiEEEE10hipError_tPvRmT1_T2_T3_mT4_P12ihipStream_tbEUlT_E1_NS1_11comp_targetILNS1_3genE2ELNS1_11target_archE906ELNS1_3gpuE6ELNS1_3repE0EEENS1_30default_config_static_selectorELNS0_4arch9wavefront6targetE0EEEvSQ_
	.p2align	8
	.type	_ZN7rocprim17ROCPRIM_400000_NS6detail17trampoline_kernelINS0_14default_configENS1_22reduce_config_selectorIiEEZNS1_11reduce_implILb1ES3_PiS7_iN6hipcub16HIPCUB_304000_NS6detail34convert_binary_result_type_wrapperINS9_3SumENS9_22TransformInputIteratorIbN2at6native12_GLOBAL__N_19NonZeroOpIiEEPKilEEiEEEE10hipError_tPvRmT1_T2_T3_mT4_P12ihipStream_tbEUlT_E1_NS1_11comp_targetILNS1_3genE2ELNS1_11target_archE906ELNS1_3gpuE6ELNS1_3repE0EEENS1_30default_config_static_selectorELNS0_4arch9wavefront6targetE0EEEvSQ_,@function
_ZN7rocprim17ROCPRIM_400000_NS6detail17trampoline_kernelINS0_14default_configENS1_22reduce_config_selectorIiEEZNS1_11reduce_implILb1ES3_PiS7_iN6hipcub16HIPCUB_304000_NS6detail34convert_binary_result_type_wrapperINS9_3SumENS9_22TransformInputIteratorIbN2at6native12_GLOBAL__N_19NonZeroOpIiEEPKilEEiEEEE10hipError_tPvRmT1_T2_T3_mT4_P12ihipStream_tbEUlT_E1_NS1_11comp_targetILNS1_3genE2ELNS1_11target_archE906ELNS1_3gpuE6ELNS1_3repE0EEENS1_30default_config_static_selectorELNS0_4arch9wavefront6targetE0EEEvSQ_: ; @_ZN7rocprim17ROCPRIM_400000_NS6detail17trampoline_kernelINS0_14default_configENS1_22reduce_config_selectorIiEEZNS1_11reduce_implILb1ES3_PiS7_iN6hipcub16HIPCUB_304000_NS6detail34convert_binary_result_type_wrapperINS9_3SumENS9_22TransformInputIteratorIbN2at6native12_GLOBAL__N_19NonZeroOpIiEEPKilEEiEEEE10hipError_tPvRmT1_T2_T3_mT4_P12ihipStream_tbEUlT_E1_NS1_11comp_targetILNS1_3genE2ELNS1_11target_archE906ELNS1_3gpuE6ELNS1_3repE0EEENS1_30default_config_static_selectorELNS0_4arch9wavefront6targetE0EEEvSQ_
; %bb.0:
	.section	.rodata,"a",@progbits
	.p2align	6, 0x0
	.amdhsa_kernel _ZN7rocprim17ROCPRIM_400000_NS6detail17trampoline_kernelINS0_14default_configENS1_22reduce_config_selectorIiEEZNS1_11reduce_implILb1ES3_PiS7_iN6hipcub16HIPCUB_304000_NS6detail34convert_binary_result_type_wrapperINS9_3SumENS9_22TransformInputIteratorIbN2at6native12_GLOBAL__N_19NonZeroOpIiEEPKilEEiEEEE10hipError_tPvRmT1_T2_T3_mT4_P12ihipStream_tbEUlT_E1_NS1_11comp_targetILNS1_3genE2ELNS1_11target_archE906ELNS1_3gpuE6ELNS1_3repE0EEENS1_30default_config_static_selectorELNS0_4arch9wavefront6targetE0EEEvSQ_
		.amdhsa_group_segment_fixed_size 0
		.amdhsa_private_segment_fixed_size 0
		.amdhsa_kernarg_size 40
		.amdhsa_user_sgpr_count 15
		.amdhsa_user_sgpr_dispatch_ptr 0
		.amdhsa_user_sgpr_queue_ptr 0
		.amdhsa_user_sgpr_kernarg_segment_ptr 1
		.amdhsa_user_sgpr_dispatch_id 0
		.amdhsa_user_sgpr_private_segment_size 0
		.amdhsa_wavefront_size32 1
		.amdhsa_uses_dynamic_stack 0
		.amdhsa_enable_private_segment 0
		.amdhsa_system_sgpr_workgroup_id_x 1
		.amdhsa_system_sgpr_workgroup_id_y 0
		.amdhsa_system_sgpr_workgroup_id_z 0
		.amdhsa_system_sgpr_workgroup_info 0
		.amdhsa_system_vgpr_workitem_id 0
		.amdhsa_next_free_vgpr 1
		.amdhsa_next_free_sgpr 1
		.amdhsa_reserve_vcc 0
		.amdhsa_float_round_mode_32 0
		.amdhsa_float_round_mode_16_64 0
		.amdhsa_float_denorm_mode_32 3
		.amdhsa_float_denorm_mode_16_64 3
		.amdhsa_dx10_clamp 1
		.amdhsa_ieee_mode 1
		.amdhsa_fp16_overflow 0
		.amdhsa_workgroup_processor_mode 1
		.amdhsa_memory_ordered 1
		.amdhsa_forward_progress 0
		.amdhsa_shared_vgpr_count 0
		.amdhsa_exception_fp_ieee_invalid_op 0
		.amdhsa_exception_fp_denorm_src 0
		.amdhsa_exception_fp_ieee_div_zero 0
		.amdhsa_exception_fp_ieee_overflow 0
		.amdhsa_exception_fp_ieee_underflow 0
		.amdhsa_exception_fp_ieee_inexact 0
		.amdhsa_exception_int_div_zero 0
	.end_amdhsa_kernel
	.section	.text._ZN7rocprim17ROCPRIM_400000_NS6detail17trampoline_kernelINS0_14default_configENS1_22reduce_config_selectorIiEEZNS1_11reduce_implILb1ES3_PiS7_iN6hipcub16HIPCUB_304000_NS6detail34convert_binary_result_type_wrapperINS9_3SumENS9_22TransformInputIteratorIbN2at6native12_GLOBAL__N_19NonZeroOpIiEEPKilEEiEEEE10hipError_tPvRmT1_T2_T3_mT4_P12ihipStream_tbEUlT_E1_NS1_11comp_targetILNS1_3genE2ELNS1_11target_archE906ELNS1_3gpuE6ELNS1_3repE0EEENS1_30default_config_static_selectorELNS0_4arch9wavefront6targetE0EEEvSQ_,"axG",@progbits,_ZN7rocprim17ROCPRIM_400000_NS6detail17trampoline_kernelINS0_14default_configENS1_22reduce_config_selectorIiEEZNS1_11reduce_implILb1ES3_PiS7_iN6hipcub16HIPCUB_304000_NS6detail34convert_binary_result_type_wrapperINS9_3SumENS9_22TransformInputIteratorIbN2at6native12_GLOBAL__N_19NonZeroOpIiEEPKilEEiEEEE10hipError_tPvRmT1_T2_T3_mT4_P12ihipStream_tbEUlT_E1_NS1_11comp_targetILNS1_3genE2ELNS1_11target_archE906ELNS1_3gpuE6ELNS1_3repE0EEENS1_30default_config_static_selectorELNS0_4arch9wavefront6targetE0EEEvSQ_,comdat
.Lfunc_end163:
	.size	_ZN7rocprim17ROCPRIM_400000_NS6detail17trampoline_kernelINS0_14default_configENS1_22reduce_config_selectorIiEEZNS1_11reduce_implILb1ES3_PiS7_iN6hipcub16HIPCUB_304000_NS6detail34convert_binary_result_type_wrapperINS9_3SumENS9_22TransformInputIteratorIbN2at6native12_GLOBAL__N_19NonZeroOpIiEEPKilEEiEEEE10hipError_tPvRmT1_T2_T3_mT4_P12ihipStream_tbEUlT_E1_NS1_11comp_targetILNS1_3genE2ELNS1_11target_archE906ELNS1_3gpuE6ELNS1_3repE0EEENS1_30default_config_static_selectorELNS0_4arch9wavefront6targetE0EEEvSQ_, .Lfunc_end163-_ZN7rocprim17ROCPRIM_400000_NS6detail17trampoline_kernelINS0_14default_configENS1_22reduce_config_selectorIiEEZNS1_11reduce_implILb1ES3_PiS7_iN6hipcub16HIPCUB_304000_NS6detail34convert_binary_result_type_wrapperINS9_3SumENS9_22TransformInputIteratorIbN2at6native12_GLOBAL__N_19NonZeroOpIiEEPKilEEiEEEE10hipError_tPvRmT1_T2_T3_mT4_P12ihipStream_tbEUlT_E1_NS1_11comp_targetILNS1_3genE2ELNS1_11target_archE906ELNS1_3gpuE6ELNS1_3repE0EEENS1_30default_config_static_selectorELNS0_4arch9wavefront6targetE0EEEvSQ_
                                        ; -- End function
	.section	.AMDGPU.csdata,"",@progbits
; Kernel info:
; codeLenInByte = 0
; NumSgprs: 0
; NumVgprs: 0
; ScratchSize: 0
; MemoryBound: 0
; FloatMode: 240
; IeeeMode: 1
; LDSByteSize: 0 bytes/workgroup (compile time only)
; SGPRBlocks: 0
; VGPRBlocks: 0
; NumSGPRsForWavesPerEU: 1
; NumVGPRsForWavesPerEU: 1
; Occupancy: 16
; WaveLimiterHint : 0
; COMPUTE_PGM_RSRC2:SCRATCH_EN: 0
; COMPUTE_PGM_RSRC2:USER_SGPR: 15
; COMPUTE_PGM_RSRC2:TRAP_HANDLER: 0
; COMPUTE_PGM_RSRC2:TGID_X_EN: 1
; COMPUTE_PGM_RSRC2:TGID_Y_EN: 0
; COMPUTE_PGM_RSRC2:TGID_Z_EN: 0
; COMPUTE_PGM_RSRC2:TIDIG_COMP_CNT: 0
	.section	.text._ZN7rocprim17ROCPRIM_400000_NS6detail17trampoline_kernelINS0_14default_configENS1_22reduce_config_selectorIiEEZNS1_11reduce_implILb1ES3_PiS7_iN6hipcub16HIPCUB_304000_NS6detail34convert_binary_result_type_wrapperINS9_3SumENS9_22TransformInputIteratorIbN2at6native12_GLOBAL__N_19NonZeroOpIiEEPKilEEiEEEE10hipError_tPvRmT1_T2_T3_mT4_P12ihipStream_tbEUlT_E1_NS1_11comp_targetILNS1_3genE10ELNS1_11target_archE1201ELNS1_3gpuE5ELNS1_3repE0EEENS1_30default_config_static_selectorELNS0_4arch9wavefront6targetE0EEEvSQ_,"axG",@progbits,_ZN7rocprim17ROCPRIM_400000_NS6detail17trampoline_kernelINS0_14default_configENS1_22reduce_config_selectorIiEEZNS1_11reduce_implILb1ES3_PiS7_iN6hipcub16HIPCUB_304000_NS6detail34convert_binary_result_type_wrapperINS9_3SumENS9_22TransformInputIteratorIbN2at6native12_GLOBAL__N_19NonZeroOpIiEEPKilEEiEEEE10hipError_tPvRmT1_T2_T3_mT4_P12ihipStream_tbEUlT_E1_NS1_11comp_targetILNS1_3genE10ELNS1_11target_archE1201ELNS1_3gpuE5ELNS1_3repE0EEENS1_30default_config_static_selectorELNS0_4arch9wavefront6targetE0EEEvSQ_,comdat
	.globl	_ZN7rocprim17ROCPRIM_400000_NS6detail17trampoline_kernelINS0_14default_configENS1_22reduce_config_selectorIiEEZNS1_11reduce_implILb1ES3_PiS7_iN6hipcub16HIPCUB_304000_NS6detail34convert_binary_result_type_wrapperINS9_3SumENS9_22TransformInputIteratorIbN2at6native12_GLOBAL__N_19NonZeroOpIiEEPKilEEiEEEE10hipError_tPvRmT1_T2_T3_mT4_P12ihipStream_tbEUlT_E1_NS1_11comp_targetILNS1_3genE10ELNS1_11target_archE1201ELNS1_3gpuE5ELNS1_3repE0EEENS1_30default_config_static_selectorELNS0_4arch9wavefront6targetE0EEEvSQ_ ; -- Begin function _ZN7rocprim17ROCPRIM_400000_NS6detail17trampoline_kernelINS0_14default_configENS1_22reduce_config_selectorIiEEZNS1_11reduce_implILb1ES3_PiS7_iN6hipcub16HIPCUB_304000_NS6detail34convert_binary_result_type_wrapperINS9_3SumENS9_22TransformInputIteratorIbN2at6native12_GLOBAL__N_19NonZeroOpIiEEPKilEEiEEEE10hipError_tPvRmT1_T2_T3_mT4_P12ihipStream_tbEUlT_E1_NS1_11comp_targetILNS1_3genE10ELNS1_11target_archE1201ELNS1_3gpuE5ELNS1_3repE0EEENS1_30default_config_static_selectorELNS0_4arch9wavefront6targetE0EEEvSQ_
	.p2align	8
	.type	_ZN7rocprim17ROCPRIM_400000_NS6detail17trampoline_kernelINS0_14default_configENS1_22reduce_config_selectorIiEEZNS1_11reduce_implILb1ES3_PiS7_iN6hipcub16HIPCUB_304000_NS6detail34convert_binary_result_type_wrapperINS9_3SumENS9_22TransformInputIteratorIbN2at6native12_GLOBAL__N_19NonZeroOpIiEEPKilEEiEEEE10hipError_tPvRmT1_T2_T3_mT4_P12ihipStream_tbEUlT_E1_NS1_11comp_targetILNS1_3genE10ELNS1_11target_archE1201ELNS1_3gpuE5ELNS1_3repE0EEENS1_30default_config_static_selectorELNS0_4arch9wavefront6targetE0EEEvSQ_,@function
_ZN7rocprim17ROCPRIM_400000_NS6detail17trampoline_kernelINS0_14default_configENS1_22reduce_config_selectorIiEEZNS1_11reduce_implILb1ES3_PiS7_iN6hipcub16HIPCUB_304000_NS6detail34convert_binary_result_type_wrapperINS9_3SumENS9_22TransformInputIteratorIbN2at6native12_GLOBAL__N_19NonZeroOpIiEEPKilEEiEEEE10hipError_tPvRmT1_T2_T3_mT4_P12ihipStream_tbEUlT_E1_NS1_11comp_targetILNS1_3genE10ELNS1_11target_archE1201ELNS1_3gpuE5ELNS1_3repE0EEENS1_30default_config_static_selectorELNS0_4arch9wavefront6targetE0EEEvSQ_: ; @_ZN7rocprim17ROCPRIM_400000_NS6detail17trampoline_kernelINS0_14default_configENS1_22reduce_config_selectorIiEEZNS1_11reduce_implILb1ES3_PiS7_iN6hipcub16HIPCUB_304000_NS6detail34convert_binary_result_type_wrapperINS9_3SumENS9_22TransformInputIteratorIbN2at6native12_GLOBAL__N_19NonZeroOpIiEEPKilEEiEEEE10hipError_tPvRmT1_T2_T3_mT4_P12ihipStream_tbEUlT_E1_NS1_11comp_targetILNS1_3genE10ELNS1_11target_archE1201ELNS1_3gpuE5ELNS1_3repE0EEENS1_30default_config_static_selectorELNS0_4arch9wavefront6targetE0EEEvSQ_
; %bb.0:
	.section	.rodata,"a",@progbits
	.p2align	6, 0x0
	.amdhsa_kernel _ZN7rocprim17ROCPRIM_400000_NS6detail17trampoline_kernelINS0_14default_configENS1_22reduce_config_selectorIiEEZNS1_11reduce_implILb1ES3_PiS7_iN6hipcub16HIPCUB_304000_NS6detail34convert_binary_result_type_wrapperINS9_3SumENS9_22TransformInputIteratorIbN2at6native12_GLOBAL__N_19NonZeroOpIiEEPKilEEiEEEE10hipError_tPvRmT1_T2_T3_mT4_P12ihipStream_tbEUlT_E1_NS1_11comp_targetILNS1_3genE10ELNS1_11target_archE1201ELNS1_3gpuE5ELNS1_3repE0EEENS1_30default_config_static_selectorELNS0_4arch9wavefront6targetE0EEEvSQ_
		.amdhsa_group_segment_fixed_size 0
		.amdhsa_private_segment_fixed_size 0
		.amdhsa_kernarg_size 40
		.amdhsa_user_sgpr_count 15
		.amdhsa_user_sgpr_dispatch_ptr 0
		.amdhsa_user_sgpr_queue_ptr 0
		.amdhsa_user_sgpr_kernarg_segment_ptr 1
		.amdhsa_user_sgpr_dispatch_id 0
		.amdhsa_user_sgpr_private_segment_size 0
		.amdhsa_wavefront_size32 1
		.amdhsa_uses_dynamic_stack 0
		.amdhsa_enable_private_segment 0
		.amdhsa_system_sgpr_workgroup_id_x 1
		.amdhsa_system_sgpr_workgroup_id_y 0
		.amdhsa_system_sgpr_workgroup_id_z 0
		.amdhsa_system_sgpr_workgroup_info 0
		.amdhsa_system_vgpr_workitem_id 0
		.amdhsa_next_free_vgpr 1
		.amdhsa_next_free_sgpr 1
		.amdhsa_reserve_vcc 0
		.amdhsa_float_round_mode_32 0
		.amdhsa_float_round_mode_16_64 0
		.amdhsa_float_denorm_mode_32 3
		.amdhsa_float_denorm_mode_16_64 3
		.amdhsa_dx10_clamp 1
		.amdhsa_ieee_mode 1
		.amdhsa_fp16_overflow 0
		.amdhsa_workgroup_processor_mode 1
		.amdhsa_memory_ordered 1
		.amdhsa_forward_progress 0
		.amdhsa_shared_vgpr_count 0
		.amdhsa_exception_fp_ieee_invalid_op 0
		.amdhsa_exception_fp_denorm_src 0
		.amdhsa_exception_fp_ieee_div_zero 0
		.amdhsa_exception_fp_ieee_overflow 0
		.amdhsa_exception_fp_ieee_underflow 0
		.amdhsa_exception_fp_ieee_inexact 0
		.amdhsa_exception_int_div_zero 0
	.end_amdhsa_kernel
	.section	.text._ZN7rocprim17ROCPRIM_400000_NS6detail17trampoline_kernelINS0_14default_configENS1_22reduce_config_selectorIiEEZNS1_11reduce_implILb1ES3_PiS7_iN6hipcub16HIPCUB_304000_NS6detail34convert_binary_result_type_wrapperINS9_3SumENS9_22TransformInputIteratorIbN2at6native12_GLOBAL__N_19NonZeroOpIiEEPKilEEiEEEE10hipError_tPvRmT1_T2_T3_mT4_P12ihipStream_tbEUlT_E1_NS1_11comp_targetILNS1_3genE10ELNS1_11target_archE1201ELNS1_3gpuE5ELNS1_3repE0EEENS1_30default_config_static_selectorELNS0_4arch9wavefront6targetE0EEEvSQ_,"axG",@progbits,_ZN7rocprim17ROCPRIM_400000_NS6detail17trampoline_kernelINS0_14default_configENS1_22reduce_config_selectorIiEEZNS1_11reduce_implILb1ES3_PiS7_iN6hipcub16HIPCUB_304000_NS6detail34convert_binary_result_type_wrapperINS9_3SumENS9_22TransformInputIteratorIbN2at6native12_GLOBAL__N_19NonZeroOpIiEEPKilEEiEEEE10hipError_tPvRmT1_T2_T3_mT4_P12ihipStream_tbEUlT_E1_NS1_11comp_targetILNS1_3genE10ELNS1_11target_archE1201ELNS1_3gpuE5ELNS1_3repE0EEENS1_30default_config_static_selectorELNS0_4arch9wavefront6targetE0EEEvSQ_,comdat
.Lfunc_end164:
	.size	_ZN7rocprim17ROCPRIM_400000_NS6detail17trampoline_kernelINS0_14default_configENS1_22reduce_config_selectorIiEEZNS1_11reduce_implILb1ES3_PiS7_iN6hipcub16HIPCUB_304000_NS6detail34convert_binary_result_type_wrapperINS9_3SumENS9_22TransformInputIteratorIbN2at6native12_GLOBAL__N_19NonZeroOpIiEEPKilEEiEEEE10hipError_tPvRmT1_T2_T3_mT4_P12ihipStream_tbEUlT_E1_NS1_11comp_targetILNS1_3genE10ELNS1_11target_archE1201ELNS1_3gpuE5ELNS1_3repE0EEENS1_30default_config_static_selectorELNS0_4arch9wavefront6targetE0EEEvSQ_, .Lfunc_end164-_ZN7rocprim17ROCPRIM_400000_NS6detail17trampoline_kernelINS0_14default_configENS1_22reduce_config_selectorIiEEZNS1_11reduce_implILb1ES3_PiS7_iN6hipcub16HIPCUB_304000_NS6detail34convert_binary_result_type_wrapperINS9_3SumENS9_22TransformInputIteratorIbN2at6native12_GLOBAL__N_19NonZeroOpIiEEPKilEEiEEEE10hipError_tPvRmT1_T2_T3_mT4_P12ihipStream_tbEUlT_E1_NS1_11comp_targetILNS1_3genE10ELNS1_11target_archE1201ELNS1_3gpuE5ELNS1_3repE0EEENS1_30default_config_static_selectorELNS0_4arch9wavefront6targetE0EEEvSQ_
                                        ; -- End function
	.section	.AMDGPU.csdata,"",@progbits
; Kernel info:
; codeLenInByte = 0
; NumSgprs: 0
; NumVgprs: 0
; ScratchSize: 0
; MemoryBound: 0
; FloatMode: 240
; IeeeMode: 1
; LDSByteSize: 0 bytes/workgroup (compile time only)
; SGPRBlocks: 0
; VGPRBlocks: 0
; NumSGPRsForWavesPerEU: 1
; NumVGPRsForWavesPerEU: 1
; Occupancy: 16
; WaveLimiterHint : 0
; COMPUTE_PGM_RSRC2:SCRATCH_EN: 0
; COMPUTE_PGM_RSRC2:USER_SGPR: 15
; COMPUTE_PGM_RSRC2:TRAP_HANDLER: 0
; COMPUTE_PGM_RSRC2:TGID_X_EN: 1
; COMPUTE_PGM_RSRC2:TGID_Y_EN: 0
; COMPUTE_PGM_RSRC2:TGID_Z_EN: 0
; COMPUTE_PGM_RSRC2:TIDIG_COMP_CNT: 0
	.section	.text._ZN7rocprim17ROCPRIM_400000_NS6detail17trampoline_kernelINS0_14default_configENS1_22reduce_config_selectorIiEEZNS1_11reduce_implILb1ES3_PiS7_iN6hipcub16HIPCUB_304000_NS6detail34convert_binary_result_type_wrapperINS9_3SumENS9_22TransformInputIteratorIbN2at6native12_GLOBAL__N_19NonZeroOpIiEEPKilEEiEEEE10hipError_tPvRmT1_T2_T3_mT4_P12ihipStream_tbEUlT_E1_NS1_11comp_targetILNS1_3genE10ELNS1_11target_archE1200ELNS1_3gpuE4ELNS1_3repE0EEENS1_30default_config_static_selectorELNS0_4arch9wavefront6targetE0EEEvSQ_,"axG",@progbits,_ZN7rocprim17ROCPRIM_400000_NS6detail17trampoline_kernelINS0_14default_configENS1_22reduce_config_selectorIiEEZNS1_11reduce_implILb1ES3_PiS7_iN6hipcub16HIPCUB_304000_NS6detail34convert_binary_result_type_wrapperINS9_3SumENS9_22TransformInputIteratorIbN2at6native12_GLOBAL__N_19NonZeroOpIiEEPKilEEiEEEE10hipError_tPvRmT1_T2_T3_mT4_P12ihipStream_tbEUlT_E1_NS1_11comp_targetILNS1_3genE10ELNS1_11target_archE1200ELNS1_3gpuE4ELNS1_3repE0EEENS1_30default_config_static_selectorELNS0_4arch9wavefront6targetE0EEEvSQ_,comdat
	.globl	_ZN7rocprim17ROCPRIM_400000_NS6detail17trampoline_kernelINS0_14default_configENS1_22reduce_config_selectorIiEEZNS1_11reduce_implILb1ES3_PiS7_iN6hipcub16HIPCUB_304000_NS6detail34convert_binary_result_type_wrapperINS9_3SumENS9_22TransformInputIteratorIbN2at6native12_GLOBAL__N_19NonZeroOpIiEEPKilEEiEEEE10hipError_tPvRmT1_T2_T3_mT4_P12ihipStream_tbEUlT_E1_NS1_11comp_targetILNS1_3genE10ELNS1_11target_archE1200ELNS1_3gpuE4ELNS1_3repE0EEENS1_30default_config_static_selectorELNS0_4arch9wavefront6targetE0EEEvSQ_ ; -- Begin function _ZN7rocprim17ROCPRIM_400000_NS6detail17trampoline_kernelINS0_14default_configENS1_22reduce_config_selectorIiEEZNS1_11reduce_implILb1ES3_PiS7_iN6hipcub16HIPCUB_304000_NS6detail34convert_binary_result_type_wrapperINS9_3SumENS9_22TransformInputIteratorIbN2at6native12_GLOBAL__N_19NonZeroOpIiEEPKilEEiEEEE10hipError_tPvRmT1_T2_T3_mT4_P12ihipStream_tbEUlT_E1_NS1_11comp_targetILNS1_3genE10ELNS1_11target_archE1200ELNS1_3gpuE4ELNS1_3repE0EEENS1_30default_config_static_selectorELNS0_4arch9wavefront6targetE0EEEvSQ_
	.p2align	8
	.type	_ZN7rocprim17ROCPRIM_400000_NS6detail17trampoline_kernelINS0_14default_configENS1_22reduce_config_selectorIiEEZNS1_11reduce_implILb1ES3_PiS7_iN6hipcub16HIPCUB_304000_NS6detail34convert_binary_result_type_wrapperINS9_3SumENS9_22TransformInputIteratorIbN2at6native12_GLOBAL__N_19NonZeroOpIiEEPKilEEiEEEE10hipError_tPvRmT1_T2_T3_mT4_P12ihipStream_tbEUlT_E1_NS1_11comp_targetILNS1_3genE10ELNS1_11target_archE1200ELNS1_3gpuE4ELNS1_3repE0EEENS1_30default_config_static_selectorELNS0_4arch9wavefront6targetE0EEEvSQ_,@function
_ZN7rocprim17ROCPRIM_400000_NS6detail17trampoline_kernelINS0_14default_configENS1_22reduce_config_selectorIiEEZNS1_11reduce_implILb1ES3_PiS7_iN6hipcub16HIPCUB_304000_NS6detail34convert_binary_result_type_wrapperINS9_3SumENS9_22TransformInputIteratorIbN2at6native12_GLOBAL__N_19NonZeroOpIiEEPKilEEiEEEE10hipError_tPvRmT1_T2_T3_mT4_P12ihipStream_tbEUlT_E1_NS1_11comp_targetILNS1_3genE10ELNS1_11target_archE1200ELNS1_3gpuE4ELNS1_3repE0EEENS1_30default_config_static_selectorELNS0_4arch9wavefront6targetE0EEEvSQ_: ; @_ZN7rocprim17ROCPRIM_400000_NS6detail17trampoline_kernelINS0_14default_configENS1_22reduce_config_selectorIiEEZNS1_11reduce_implILb1ES3_PiS7_iN6hipcub16HIPCUB_304000_NS6detail34convert_binary_result_type_wrapperINS9_3SumENS9_22TransformInputIteratorIbN2at6native12_GLOBAL__N_19NonZeroOpIiEEPKilEEiEEEE10hipError_tPvRmT1_T2_T3_mT4_P12ihipStream_tbEUlT_E1_NS1_11comp_targetILNS1_3genE10ELNS1_11target_archE1200ELNS1_3gpuE4ELNS1_3repE0EEENS1_30default_config_static_selectorELNS0_4arch9wavefront6targetE0EEEvSQ_
; %bb.0:
	.section	.rodata,"a",@progbits
	.p2align	6, 0x0
	.amdhsa_kernel _ZN7rocprim17ROCPRIM_400000_NS6detail17trampoline_kernelINS0_14default_configENS1_22reduce_config_selectorIiEEZNS1_11reduce_implILb1ES3_PiS7_iN6hipcub16HIPCUB_304000_NS6detail34convert_binary_result_type_wrapperINS9_3SumENS9_22TransformInputIteratorIbN2at6native12_GLOBAL__N_19NonZeroOpIiEEPKilEEiEEEE10hipError_tPvRmT1_T2_T3_mT4_P12ihipStream_tbEUlT_E1_NS1_11comp_targetILNS1_3genE10ELNS1_11target_archE1200ELNS1_3gpuE4ELNS1_3repE0EEENS1_30default_config_static_selectorELNS0_4arch9wavefront6targetE0EEEvSQ_
		.amdhsa_group_segment_fixed_size 0
		.amdhsa_private_segment_fixed_size 0
		.amdhsa_kernarg_size 40
		.amdhsa_user_sgpr_count 15
		.amdhsa_user_sgpr_dispatch_ptr 0
		.amdhsa_user_sgpr_queue_ptr 0
		.amdhsa_user_sgpr_kernarg_segment_ptr 1
		.amdhsa_user_sgpr_dispatch_id 0
		.amdhsa_user_sgpr_private_segment_size 0
		.amdhsa_wavefront_size32 1
		.amdhsa_uses_dynamic_stack 0
		.amdhsa_enable_private_segment 0
		.amdhsa_system_sgpr_workgroup_id_x 1
		.amdhsa_system_sgpr_workgroup_id_y 0
		.amdhsa_system_sgpr_workgroup_id_z 0
		.amdhsa_system_sgpr_workgroup_info 0
		.amdhsa_system_vgpr_workitem_id 0
		.amdhsa_next_free_vgpr 1
		.amdhsa_next_free_sgpr 1
		.amdhsa_reserve_vcc 0
		.amdhsa_float_round_mode_32 0
		.amdhsa_float_round_mode_16_64 0
		.amdhsa_float_denorm_mode_32 3
		.amdhsa_float_denorm_mode_16_64 3
		.amdhsa_dx10_clamp 1
		.amdhsa_ieee_mode 1
		.amdhsa_fp16_overflow 0
		.amdhsa_workgroup_processor_mode 1
		.amdhsa_memory_ordered 1
		.amdhsa_forward_progress 0
		.amdhsa_shared_vgpr_count 0
		.amdhsa_exception_fp_ieee_invalid_op 0
		.amdhsa_exception_fp_denorm_src 0
		.amdhsa_exception_fp_ieee_div_zero 0
		.amdhsa_exception_fp_ieee_overflow 0
		.amdhsa_exception_fp_ieee_underflow 0
		.amdhsa_exception_fp_ieee_inexact 0
		.amdhsa_exception_int_div_zero 0
	.end_amdhsa_kernel
	.section	.text._ZN7rocprim17ROCPRIM_400000_NS6detail17trampoline_kernelINS0_14default_configENS1_22reduce_config_selectorIiEEZNS1_11reduce_implILb1ES3_PiS7_iN6hipcub16HIPCUB_304000_NS6detail34convert_binary_result_type_wrapperINS9_3SumENS9_22TransformInputIteratorIbN2at6native12_GLOBAL__N_19NonZeroOpIiEEPKilEEiEEEE10hipError_tPvRmT1_T2_T3_mT4_P12ihipStream_tbEUlT_E1_NS1_11comp_targetILNS1_3genE10ELNS1_11target_archE1200ELNS1_3gpuE4ELNS1_3repE0EEENS1_30default_config_static_selectorELNS0_4arch9wavefront6targetE0EEEvSQ_,"axG",@progbits,_ZN7rocprim17ROCPRIM_400000_NS6detail17trampoline_kernelINS0_14default_configENS1_22reduce_config_selectorIiEEZNS1_11reduce_implILb1ES3_PiS7_iN6hipcub16HIPCUB_304000_NS6detail34convert_binary_result_type_wrapperINS9_3SumENS9_22TransformInputIteratorIbN2at6native12_GLOBAL__N_19NonZeroOpIiEEPKilEEiEEEE10hipError_tPvRmT1_T2_T3_mT4_P12ihipStream_tbEUlT_E1_NS1_11comp_targetILNS1_3genE10ELNS1_11target_archE1200ELNS1_3gpuE4ELNS1_3repE0EEENS1_30default_config_static_selectorELNS0_4arch9wavefront6targetE0EEEvSQ_,comdat
.Lfunc_end165:
	.size	_ZN7rocprim17ROCPRIM_400000_NS6detail17trampoline_kernelINS0_14default_configENS1_22reduce_config_selectorIiEEZNS1_11reduce_implILb1ES3_PiS7_iN6hipcub16HIPCUB_304000_NS6detail34convert_binary_result_type_wrapperINS9_3SumENS9_22TransformInputIteratorIbN2at6native12_GLOBAL__N_19NonZeroOpIiEEPKilEEiEEEE10hipError_tPvRmT1_T2_T3_mT4_P12ihipStream_tbEUlT_E1_NS1_11comp_targetILNS1_3genE10ELNS1_11target_archE1200ELNS1_3gpuE4ELNS1_3repE0EEENS1_30default_config_static_selectorELNS0_4arch9wavefront6targetE0EEEvSQ_, .Lfunc_end165-_ZN7rocprim17ROCPRIM_400000_NS6detail17trampoline_kernelINS0_14default_configENS1_22reduce_config_selectorIiEEZNS1_11reduce_implILb1ES3_PiS7_iN6hipcub16HIPCUB_304000_NS6detail34convert_binary_result_type_wrapperINS9_3SumENS9_22TransformInputIteratorIbN2at6native12_GLOBAL__N_19NonZeroOpIiEEPKilEEiEEEE10hipError_tPvRmT1_T2_T3_mT4_P12ihipStream_tbEUlT_E1_NS1_11comp_targetILNS1_3genE10ELNS1_11target_archE1200ELNS1_3gpuE4ELNS1_3repE0EEENS1_30default_config_static_selectorELNS0_4arch9wavefront6targetE0EEEvSQ_
                                        ; -- End function
	.section	.AMDGPU.csdata,"",@progbits
; Kernel info:
; codeLenInByte = 0
; NumSgprs: 0
; NumVgprs: 0
; ScratchSize: 0
; MemoryBound: 0
; FloatMode: 240
; IeeeMode: 1
; LDSByteSize: 0 bytes/workgroup (compile time only)
; SGPRBlocks: 0
; VGPRBlocks: 0
; NumSGPRsForWavesPerEU: 1
; NumVGPRsForWavesPerEU: 1
; Occupancy: 16
; WaveLimiterHint : 0
; COMPUTE_PGM_RSRC2:SCRATCH_EN: 0
; COMPUTE_PGM_RSRC2:USER_SGPR: 15
; COMPUTE_PGM_RSRC2:TRAP_HANDLER: 0
; COMPUTE_PGM_RSRC2:TGID_X_EN: 1
; COMPUTE_PGM_RSRC2:TGID_Y_EN: 0
; COMPUTE_PGM_RSRC2:TGID_Z_EN: 0
; COMPUTE_PGM_RSRC2:TIDIG_COMP_CNT: 0
	.section	.text._ZN7rocprim17ROCPRIM_400000_NS6detail17trampoline_kernelINS0_14default_configENS1_22reduce_config_selectorIiEEZNS1_11reduce_implILb1ES3_PiS7_iN6hipcub16HIPCUB_304000_NS6detail34convert_binary_result_type_wrapperINS9_3SumENS9_22TransformInputIteratorIbN2at6native12_GLOBAL__N_19NonZeroOpIiEEPKilEEiEEEE10hipError_tPvRmT1_T2_T3_mT4_P12ihipStream_tbEUlT_E1_NS1_11comp_targetILNS1_3genE9ELNS1_11target_archE1100ELNS1_3gpuE3ELNS1_3repE0EEENS1_30default_config_static_selectorELNS0_4arch9wavefront6targetE0EEEvSQ_,"axG",@progbits,_ZN7rocprim17ROCPRIM_400000_NS6detail17trampoline_kernelINS0_14default_configENS1_22reduce_config_selectorIiEEZNS1_11reduce_implILb1ES3_PiS7_iN6hipcub16HIPCUB_304000_NS6detail34convert_binary_result_type_wrapperINS9_3SumENS9_22TransformInputIteratorIbN2at6native12_GLOBAL__N_19NonZeroOpIiEEPKilEEiEEEE10hipError_tPvRmT1_T2_T3_mT4_P12ihipStream_tbEUlT_E1_NS1_11comp_targetILNS1_3genE9ELNS1_11target_archE1100ELNS1_3gpuE3ELNS1_3repE0EEENS1_30default_config_static_selectorELNS0_4arch9wavefront6targetE0EEEvSQ_,comdat
	.globl	_ZN7rocprim17ROCPRIM_400000_NS6detail17trampoline_kernelINS0_14default_configENS1_22reduce_config_selectorIiEEZNS1_11reduce_implILb1ES3_PiS7_iN6hipcub16HIPCUB_304000_NS6detail34convert_binary_result_type_wrapperINS9_3SumENS9_22TransformInputIteratorIbN2at6native12_GLOBAL__N_19NonZeroOpIiEEPKilEEiEEEE10hipError_tPvRmT1_T2_T3_mT4_P12ihipStream_tbEUlT_E1_NS1_11comp_targetILNS1_3genE9ELNS1_11target_archE1100ELNS1_3gpuE3ELNS1_3repE0EEENS1_30default_config_static_selectorELNS0_4arch9wavefront6targetE0EEEvSQ_ ; -- Begin function _ZN7rocprim17ROCPRIM_400000_NS6detail17trampoline_kernelINS0_14default_configENS1_22reduce_config_selectorIiEEZNS1_11reduce_implILb1ES3_PiS7_iN6hipcub16HIPCUB_304000_NS6detail34convert_binary_result_type_wrapperINS9_3SumENS9_22TransformInputIteratorIbN2at6native12_GLOBAL__N_19NonZeroOpIiEEPKilEEiEEEE10hipError_tPvRmT1_T2_T3_mT4_P12ihipStream_tbEUlT_E1_NS1_11comp_targetILNS1_3genE9ELNS1_11target_archE1100ELNS1_3gpuE3ELNS1_3repE0EEENS1_30default_config_static_selectorELNS0_4arch9wavefront6targetE0EEEvSQ_
	.p2align	8
	.type	_ZN7rocprim17ROCPRIM_400000_NS6detail17trampoline_kernelINS0_14default_configENS1_22reduce_config_selectorIiEEZNS1_11reduce_implILb1ES3_PiS7_iN6hipcub16HIPCUB_304000_NS6detail34convert_binary_result_type_wrapperINS9_3SumENS9_22TransformInputIteratorIbN2at6native12_GLOBAL__N_19NonZeroOpIiEEPKilEEiEEEE10hipError_tPvRmT1_T2_T3_mT4_P12ihipStream_tbEUlT_E1_NS1_11comp_targetILNS1_3genE9ELNS1_11target_archE1100ELNS1_3gpuE3ELNS1_3repE0EEENS1_30default_config_static_selectorELNS0_4arch9wavefront6targetE0EEEvSQ_,@function
_ZN7rocprim17ROCPRIM_400000_NS6detail17trampoline_kernelINS0_14default_configENS1_22reduce_config_selectorIiEEZNS1_11reduce_implILb1ES3_PiS7_iN6hipcub16HIPCUB_304000_NS6detail34convert_binary_result_type_wrapperINS9_3SumENS9_22TransformInputIteratorIbN2at6native12_GLOBAL__N_19NonZeroOpIiEEPKilEEiEEEE10hipError_tPvRmT1_T2_T3_mT4_P12ihipStream_tbEUlT_E1_NS1_11comp_targetILNS1_3genE9ELNS1_11target_archE1100ELNS1_3gpuE3ELNS1_3repE0EEENS1_30default_config_static_selectorELNS0_4arch9wavefront6targetE0EEEvSQ_: ; @_ZN7rocprim17ROCPRIM_400000_NS6detail17trampoline_kernelINS0_14default_configENS1_22reduce_config_selectorIiEEZNS1_11reduce_implILb1ES3_PiS7_iN6hipcub16HIPCUB_304000_NS6detail34convert_binary_result_type_wrapperINS9_3SumENS9_22TransformInputIteratorIbN2at6native12_GLOBAL__N_19NonZeroOpIiEEPKilEEiEEEE10hipError_tPvRmT1_T2_T3_mT4_P12ihipStream_tbEUlT_E1_NS1_11comp_targetILNS1_3genE9ELNS1_11target_archE1100ELNS1_3gpuE3ELNS1_3repE0EEENS1_30default_config_static_selectorELNS0_4arch9wavefront6targetE0EEEvSQ_
; %bb.0:
	s_clause 0x1
	s_load_b32 s24, s[0:1], 0x4
	s_load_b128 s[16:19], s[0:1], 0x8
	s_mov_b32 s20, s15
	s_waitcnt lgkmcnt(0)
	s_cmp_lt_i32 s24, 8
	s_cbranch_scc1 .LBB166_11
; %bb.1:
	s_cmp_gt_i32 s24, 15
	s_cbranch_scc0 .LBB166_12
; %bb.2:
	s_cmp_gt_i32 s24, 31
	s_cbranch_scc0 .LBB166_13
; %bb.3:
	s_cmp_eq_u32 s24, 32
	s_mov_b32 s6, 0
	s_cbranch_scc0 .LBB166_14
; %bb.4:
	s_mov_b32 s21, 0
	s_lshl_b32 s4, s20, 13
	s_mov_b32 s5, s21
	s_lshr_b64 s[8:9], s[18:19], 13
	s_lshl_b64 s[2:3], s[4:5], 2
	s_delay_alu instid0(SALU_CYCLE_1)
	s_add_u32 s2, s16, s2
	s_addc_u32 s3, s17, s3
	s_cmp_lg_u64 s[8:9], s[20:21]
	s_cbranch_scc0 .LBB166_23
; %bb.5:
	v_lshlrev_b32_e32 v5, 2, v0
	s_clause 0x1
	global_load_b32 v9, v5, s[2:3]
	global_load_b32 v10, v5, s[2:3] offset:1024
	v_add_co_u32 v7, s5, s2, v5
	s_delay_alu instid0(VALU_DEP_1) | instskip(SKIP_1) | instid1(VALU_DEP_2)
	v_add_co_ci_u32_e64 v8, null, s3, 0, s5
	s_mov_b32 s5, exec_lo
	v_add_co_u32 v1, vcc_lo, 0x1000, v7
	s_delay_alu instid0(VALU_DEP_2)
	v_add_co_ci_u32_e32 v2, vcc_lo, 0, v8, vcc_lo
	s_clause 0x2
	global_load_b32 v11, v5, s[2:3] offset:2048
	global_load_b32 v12, v5, s[2:3] offset:3072
	global_load_b32 v13, v[1:2], off offset:1024
	v_add_co_u32 v3, vcc_lo, v7, 0x2000
	v_add_co_ci_u32_e32 v4, vcc_lo, 0, v8, vcc_lo
	v_add_co_u32 v5, vcc_lo, 0x2000, v7
	v_add_co_ci_u32_e32 v6, vcc_lo, 0, v8, vcc_lo
	s_clause 0x4
	global_load_b32 v14, v[3:4], off offset:-4096
	global_load_b32 v15, v[3:4], off
	global_load_b32 v16, v[1:2], off offset:2048
	global_load_b32 v17, v[1:2], off offset:3072
	;; [unrolled: 1-line block ×3, first 2 shown]
	v_add_co_u32 v1, vcc_lo, 0x3000, v7
	v_add_co_ci_u32_e32 v2, vcc_lo, 0, v8, vcc_lo
	s_clause 0x2
	global_load_b32 v19, v[5:6], off offset:2048
	global_load_b32 v20, v[5:6], off offset:3072
	;; [unrolled: 1-line block ×3, first 2 shown]
	v_add_co_u32 v3, vcc_lo, v7, 0x4000
	v_add_co_ci_u32_e32 v4, vcc_lo, 0, v8, vcc_lo
	v_add_co_u32 v5, vcc_lo, 0x4000, v7
	v_add_co_ci_u32_e32 v6, vcc_lo, 0, v8, vcc_lo
	s_clause 0x4
	global_load_b32 v22, v[3:4], off offset:-4096
	global_load_b32 v23, v[3:4], off
	global_load_b32 v24, v[1:2], off offset:2048
	global_load_b32 v25, v[1:2], off offset:3072
	;; [unrolled: 1-line block ×3, first 2 shown]
	v_add_co_u32 v1, vcc_lo, 0x5000, v7
	v_add_co_ci_u32_e32 v2, vcc_lo, 0, v8, vcc_lo
	v_add_co_u32 v3, vcc_lo, v7, 0x6000
	v_add_co_ci_u32_e32 v4, vcc_lo, 0, v8, vcc_lo
	s_clause 0x3
	global_load_b32 v27, v[5:6], off offset:2048
	global_load_b32 v28, v[5:6], off offset:3072
	global_load_b32 v29, v[3:4], off offset:-4096
	global_load_b32 v30, v[1:2], off offset:1024
	v_add_co_u32 v5, vcc_lo, 0x6000, v7
	v_add_co_ci_u32_e32 v6, vcc_lo, 0, v8, vcc_lo
	s_clause 0x3
	global_load_b32 v31, v[1:2], off offset:2048
	global_load_b32 v32, v[1:2], off offset:3072
	global_load_b32 v3, v[3:4], off
	global_load_b32 v4, v[5:6], off offset:1024
	v_add_co_u32 v1, vcc_lo, 0x7000, v7
	v_add_co_ci_u32_e32 v2, vcc_lo, 0, v8, vcc_lo
	s_clause 0x5
	global_load_b32 v7, v[5:6], off offset:2048
	global_load_b32 v5, v[5:6], off offset:3072
	global_load_b32 v6, v[1:2], off
	global_load_b32 v8, v[1:2], off offset:1024
	global_load_b32 v33, v[1:2], off offset:2048
	global_load_b32 v1, v[1:2], off offset:3072
	s_waitcnt vmcnt(30)
	v_add_nc_u32_e32 v2, v10, v9
	s_waitcnt vmcnt(28)
	s_delay_alu instid0(VALU_DEP_1) | instskip(SKIP_1) | instid1(VALU_DEP_1)
	v_add3_u32 v2, v2, v11, v12
	s_waitcnt vmcnt(26)
	v_add3_u32 v2, v2, v14, v13
	s_waitcnt vmcnt(23)
	s_delay_alu instid0(VALU_DEP_1) | instskip(SKIP_1) | instid1(VALU_DEP_1)
	v_add3_u32 v2, v2, v16, v17
	s_waitcnt vmcnt(22)
	v_add3_u32 v2, v2, v15, v18
	;; [unrolled: 5-line block ×6, first 2 shown]
	v_mov_b32_e32 v3, 0
	s_waitcnt vmcnt(4)
	s_delay_alu instid0(VALU_DEP_2) | instskip(SKIP_1) | instid1(VALU_DEP_1)
	v_add3_u32 v2, v2, v7, v5
	s_waitcnt vmcnt(2)
	v_add3_u32 v2, v2, v6, v8
	s_waitcnt vmcnt(0)
	s_delay_alu instid0(VALU_DEP_1) | instskip(NEXT) | instid1(VALU_DEP_1)
	v_add3_u32 v1, v2, v33, v1
	v_mov_b32_dpp v2, v1 quad_perm:[1,0,3,2] row_mask:0xf bank_mask:0xf
	s_delay_alu instid0(VALU_DEP_1) | instskip(NEXT) | instid1(VALU_DEP_1)
	v_add_nc_u32_e32 v1, v2, v1
	v_mov_b32_dpp v2, v1 quad_perm:[2,3,0,1] row_mask:0xf bank_mask:0xf
	s_delay_alu instid0(VALU_DEP_1) | instskip(NEXT) | instid1(VALU_DEP_1)
	v_add_nc_u32_e32 v1, v1, v2
	v_mov_b32_dpp v2, v1 row_ror:4 row_mask:0xf bank_mask:0xf
	s_delay_alu instid0(VALU_DEP_1) | instskip(NEXT) | instid1(VALU_DEP_1)
	v_add_nc_u32_e32 v1, v1, v2
	v_mov_b32_dpp v2, v1 row_ror:8 row_mask:0xf bank_mask:0xf
	s_delay_alu instid0(VALU_DEP_1)
	v_add_nc_u32_e32 v1, v1, v2
	ds_swizzle_b32 v2, v1 offset:swizzle(BROADCAST,32,15)
	s_waitcnt lgkmcnt(0)
	v_add_nc_u32_e32 v1, v1, v2
	v_mbcnt_lo_u32_b32 v2, -1, 0
	ds_bpermute_b32 v1, v3, v1 offset:124
	v_cmpx_eq_u32_e32 0, v2
	s_cbranch_execz .LBB166_7
; %bb.6:
	v_lshrrev_b32_e32 v3, 3, v0
	s_delay_alu instid0(VALU_DEP_1)
	v_and_b32_e32 v3, 28, v3
	s_waitcnt lgkmcnt(0)
	ds_store_b32 v3, v1 offset:96
.LBB166_7:
	s_or_b32 exec_lo, exec_lo, s5
	s_delay_alu instid0(SALU_CYCLE_1)
	s_mov_b32 s5, exec_lo
	s_waitcnt lgkmcnt(0)
	s_barrier
	buffer_gl0_inv
	v_cmpx_gt_u32_e32 32, v0
	s_cbranch_execz .LBB166_9
; %bb.8:
	v_lshl_or_b32 v1, v2, 2, 0x60
	v_and_b32_e32 v3, 7, v2
	ds_load_b32 v1, v1
	v_cmp_ne_u32_e32 vcc_lo, 7, v3
	v_add_co_ci_u32_e32 v4, vcc_lo, 0, v2, vcc_lo
	v_cmp_gt_u32_e32 vcc_lo, 6, v3
	s_delay_alu instid0(VALU_DEP_2) | instskip(SKIP_2) | instid1(VALU_DEP_2)
	v_lshlrev_b32_e32 v4, 2, v4
	v_cndmask_b32_e64 v5, 0, 1, vcc_lo
	v_cmp_gt_u32_e32 vcc_lo, 4, v3
	v_lshlrev_b32_e32 v5, 1, v5
	v_cndmask_b32_e64 v3, 0, 1, vcc_lo
	s_waitcnt lgkmcnt(0)
	ds_bpermute_b32 v4, v4, v1
	v_add_lshl_u32 v5, v5, v2, 2
	v_lshlrev_b32_e32 v3, 2, v3
	s_delay_alu instid0(VALU_DEP_1)
	v_add_lshl_u32 v2, v3, v2, 2
	s_waitcnt lgkmcnt(0)
	v_add_nc_u32_e32 v1, v4, v1
	ds_bpermute_b32 v4, v5, v1
	s_waitcnt lgkmcnt(0)
	v_add_nc_u32_e32 v1, v4, v1
	ds_bpermute_b32 v2, v2, v1
	s_waitcnt lgkmcnt(0)
	v_add_nc_u32_e32 v1, v2, v1
.LBB166_9:
	s_or_b32 exec_lo, exec_lo, s5
.LBB166_10:
	v_cmp_eq_u32_e64 s2, 0, v0
	s_and_b32 vcc_lo, exec_lo, s6
	s_cbranch_vccnz .LBB166_15
	s_branch .LBB166_93
.LBB166_11:
	s_mov_b32 s2, 0
                                        ; implicit-def: $vgpr1
	s_cbranch_execnz .LBB166_166
	s_branch .LBB166_224
.LBB166_12:
	s_mov_b32 s2, 0
                                        ; implicit-def: $vgpr1
	s_cbranch_execnz .LBB166_134
	s_branch .LBB166_142
.LBB166_13:
	s_mov_b32 s6, -1
.LBB166_14:
	s_mov_b32 s2, 0
                                        ; implicit-def: $vgpr1
	s_and_b32 vcc_lo, exec_lo, s6
	s_cbranch_vccz .LBB166_93
.LBB166_15:
	s_cmp_eq_u32 s24, 16
	s_cbranch_scc0 .LBB166_22
; %bb.16:
	s_mov_b32 s21, 0
	s_lshl_b32 s2, s20, 12
	s_mov_b32 s3, s21
	s_lshr_b64 s[6:7], s[18:19], 12
	s_lshl_b64 s[4:5], s[2:3], 2
	s_delay_alu instid0(SALU_CYCLE_1)
	s_add_u32 s22, s16, s4
	s_addc_u32 s23, s17, s5
	s_cmp_lg_u64 s[6:7], s[20:21]
	s_cbranch_scc0 .LBB166_94
; %bb.17:
	v_lshlrev_b32_e32 v5, 2, v0
	s_clause 0x1
	global_load_b32 v9, v5, s[22:23]
	global_load_b32 v10, v5, s[22:23] offset:1024
	v_add_co_u32 v7, s3, s22, v5
	s_delay_alu instid0(VALU_DEP_1) | instskip(SKIP_1) | instid1(VALU_DEP_2)
	v_add_co_ci_u32_e64 v8, null, s23, 0, s3
	s_mov_b32 s3, exec_lo
	v_add_co_u32 v1, vcc_lo, 0x1000, v7
	s_delay_alu instid0(VALU_DEP_2)
	v_add_co_ci_u32_e32 v2, vcc_lo, 0, v8, vcc_lo
	v_add_co_u32 v3, vcc_lo, v7, 0x2000
	v_add_co_ci_u32_e32 v4, vcc_lo, 0, v8, vcc_lo
	s_clause 0x3
	global_load_b32 v11, v5, s[22:23] offset:2048
	global_load_b32 v12, v5, s[22:23] offset:3072
	global_load_b32 v13, v[3:4], off offset:-4096
	global_load_b32 v14, v[1:2], off offset:1024
	v_add_co_u32 v5, vcc_lo, 0x2000, v7
	v_add_co_ci_u32_e32 v6, vcc_lo, 0, v8, vcc_lo
	s_clause 0x3
	global_load_b32 v15, v[1:2], off offset:2048
	global_load_b32 v16, v[1:2], off offset:3072
	global_load_b32 v3, v[3:4], off
	global_load_b32 v4, v[5:6], off offset:1024
	v_add_co_u32 v1, vcc_lo, 0x3000, v7
	v_add_co_ci_u32_e32 v2, vcc_lo, 0, v8, vcc_lo
	s_clause 0x5
	global_load_b32 v7, v[5:6], off offset:2048
	global_load_b32 v5, v[5:6], off offset:3072
	global_load_b32 v6, v[1:2], off
	global_load_b32 v8, v[1:2], off offset:1024
	global_load_b32 v17, v[1:2], off offset:2048
	;; [unrolled: 1-line block ×3, first 2 shown]
	s_waitcnt vmcnt(14)
	v_add_nc_u32_e32 v2, v10, v9
	s_waitcnt vmcnt(12)
	s_delay_alu instid0(VALU_DEP_1) | instskip(SKIP_1) | instid1(VALU_DEP_1)
	v_add3_u32 v2, v2, v11, v12
	s_waitcnt vmcnt(10)
	v_add3_u32 v2, v2, v13, v14
	s_waitcnt vmcnt(8)
	s_delay_alu instid0(VALU_DEP_1) | instskip(SKIP_1) | instid1(VALU_DEP_1)
	v_add3_u32 v2, v2, v15, v16
	s_waitcnt vmcnt(6)
	v_add3_u32 v2, v2, v3, v4
	v_mov_b32_e32 v3, 0
	s_waitcnt vmcnt(4)
	s_delay_alu instid0(VALU_DEP_2) | instskip(SKIP_1) | instid1(VALU_DEP_1)
	v_add3_u32 v2, v2, v7, v5
	s_waitcnt vmcnt(2)
	v_add3_u32 v2, v2, v6, v8
	s_waitcnt vmcnt(0)
	s_delay_alu instid0(VALU_DEP_1) | instskip(NEXT) | instid1(VALU_DEP_1)
	v_add3_u32 v1, v2, v17, v1
	v_mov_b32_dpp v2, v1 quad_perm:[1,0,3,2] row_mask:0xf bank_mask:0xf
	s_delay_alu instid0(VALU_DEP_1) | instskip(NEXT) | instid1(VALU_DEP_1)
	v_add_nc_u32_e32 v1, v2, v1
	v_mov_b32_dpp v2, v1 quad_perm:[2,3,0,1] row_mask:0xf bank_mask:0xf
	s_delay_alu instid0(VALU_DEP_1) | instskip(NEXT) | instid1(VALU_DEP_1)
	v_add_nc_u32_e32 v1, v1, v2
	v_mov_b32_dpp v2, v1 row_ror:4 row_mask:0xf bank_mask:0xf
	s_delay_alu instid0(VALU_DEP_1) | instskip(NEXT) | instid1(VALU_DEP_1)
	v_add_nc_u32_e32 v1, v1, v2
	v_mov_b32_dpp v2, v1 row_ror:8 row_mask:0xf bank_mask:0xf
	s_delay_alu instid0(VALU_DEP_1)
	v_add_nc_u32_e32 v1, v1, v2
	ds_swizzle_b32 v2, v1 offset:swizzle(BROADCAST,32,15)
	s_waitcnt lgkmcnt(0)
	v_add_nc_u32_e32 v1, v1, v2
	v_mbcnt_lo_u32_b32 v2, -1, 0
	ds_bpermute_b32 v1, v3, v1 offset:124
	v_cmpx_eq_u32_e32 0, v2
	s_cbranch_execz .LBB166_19
; %bb.18:
	v_lshrrev_b32_e32 v3, 3, v0
	s_delay_alu instid0(VALU_DEP_1)
	v_and_b32_e32 v3, 28, v3
	s_waitcnt lgkmcnt(0)
	ds_store_b32 v3, v1
.LBB166_19:
	s_or_b32 exec_lo, exec_lo, s3
	s_delay_alu instid0(SALU_CYCLE_1)
	s_mov_b32 s3, exec_lo
	s_waitcnt lgkmcnt(0)
	s_barrier
	buffer_gl0_inv
	v_cmpx_gt_u32_e32 32, v0
	s_cbranch_execz .LBB166_21
; %bb.20:
	v_and_b32_e32 v1, 7, v2
	s_delay_alu instid0(VALU_DEP_1) | instskip(SKIP_4) | instid1(VALU_DEP_2)
	v_lshlrev_b32_e32 v3, 2, v1
	v_cmp_ne_u32_e32 vcc_lo, 7, v1
	ds_load_b32 v3, v3
	v_add_co_ci_u32_e32 v4, vcc_lo, 0, v2, vcc_lo
	v_cmp_gt_u32_e32 vcc_lo, 6, v1
	v_lshlrev_b32_e32 v4, 2, v4
	v_cndmask_b32_e64 v5, 0, 1, vcc_lo
	v_cmp_gt_u32_e32 vcc_lo, 4, v1
	s_delay_alu instid0(VALU_DEP_2) | instskip(SKIP_1) | instid1(VALU_DEP_2)
	v_lshlrev_b32_e32 v5, 1, v5
	v_cndmask_b32_e64 v1, 0, 1, vcc_lo
	v_add_lshl_u32 v5, v5, v2, 2
	s_delay_alu instid0(VALU_DEP_2)
	v_lshlrev_b32_e32 v1, 2, v1
	s_waitcnt lgkmcnt(0)
	ds_bpermute_b32 v4, v4, v3
	v_add_lshl_u32 v1, v1, v2, 2
	s_waitcnt lgkmcnt(0)
	v_add_nc_u32_e32 v3, v4, v3
	ds_bpermute_b32 v4, v5, v3
	s_waitcnt lgkmcnt(0)
	v_add_nc_u32_e32 v3, v4, v3
	ds_bpermute_b32 v1, v1, v3
	s_waitcnt lgkmcnt(0)
	v_add_nc_u32_e32 v1, v1, v3
.LBB166_21:
	s_or_b32 exec_lo, exec_lo, s3
	s_mov_b32 s3, 0
	s_branch .LBB166_95
.LBB166_22:
                                        ; implicit-def: $vgpr1
	s_branch .LBB166_142
.LBB166_23:
                                        ; implicit-def: $vgpr1
	s_cbranch_execz .LBB166_10
; %bb.24:
	s_sub_i32 s4, s18, s4
	s_mov_b32 s5, exec_lo
                                        ; implicit-def: $vgpr1
	v_cmpx_gt_u32_e64 s4, v0
	s_cbranch_execz .LBB166_26
; %bb.25:
	v_lshlrev_b32_e32 v1, 2, v0
	global_load_b32 v1, v1, s[2:3]
.LBB166_26:
	s_or_b32 exec_lo, exec_lo, s5
	v_or_b32_e32 v3, 0x100, v0
	v_mov_b32_e32 v2, 0
	s_delay_alu instid0(VALU_DEP_2)
	v_cmp_gt_u32_e32 vcc_lo, s4, v3
	v_mov_b32_e32 v3, 0
	s_and_saveexec_b32 s5, vcc_lo
	s_cbranch_execz .LBB166_28
; %bb.27:
	v_lshlrev_b32_e32 v3, 2, v0
	global_load_b32 v3, v3, s[2:3] offset:1024
.LBB166_28:
	s_or_b32 exec_lo, exec_lo, s5
	v_or_b32_e32 v4, 0x200, v0
	s_mov_b32 s5, exec_lo
	s_delay_alu instid0(VALU_DEP_1)
	v_cmpx_gt_u32_e64 s4, v4
	s_cbranch_execz .LBB166_30
; %bb.29:
	v_lshlrev_b32_e32 v2, 2, v0
	global_load_b32 v2, v2, s[2:3] offset:2048
.LBB166_30:
	s_or_b32 exec_lo, exec_lo, s5
	v_or_b32_e32 v5, 0x300, v0
	v_mov_b32_e32 v4, 0
	s_delay_alu instid0(VALU_DEP_2)
	v_cmp_gt_u32_e32 vcc_lo, s4, v5
	v_mov_b32_e32 v5, 0
	s_and_saveexec_b32 s5, vcc_lo
	s_cbranch_execz .LBB166_32
; %bb.31:
	v_lshlrev_b32_e32 v5, 2, v0
	global_load_b32 v5, v5, s[2:3] offset:3072
.LBB166_32:
	s_or_b32 exec_lo, exec_lo, s5
	v_or_b32_e32 v6, 0x400, v0
	s_mov_b32 s5, exec_lo
	s_delay_alu instid0(VALU_DEP_1)
	v_cmpx_gt_u32_e64 s4, v6
	s_cbranch_execz .LBB166_34
; %bb.33:
	v_lshlrev_b32_e32 v4, 2, v6
	global_load_b32 v4, v4, s[2:3]
.LBB166_34:
	s_or_b32 exec_lo, exec_lo, s5
	v_or_b32_e32 v8, 0x500, v0
	v_dual_mov_b32 v6, 0 :: v_dual_mov_b32 v7, 0
	s_mov_b32 s5, exec_lo
	s_delay_alu instid0(VALU_DEP_2)
	v_cmpx_gt_u32_e64 s4, v8
	s_cbranch_execz .LBB166_36
; %bb.35:
	v_lshlrev_b32_e32 v7, 2, v8
	global_load_b32 v7, v7, s[2:3]
.LBB166_36:
	s_or_b32 exec_lo, exec_lo, s5
	v_or_b32_e32 v8, 0x600, v0
	s_mov_b32 s5, exec_lo
	s_delay_alu instid0(VALU_DEP_1)
	v_cmpx_gt_u32_e64 s4, v8
	s_cbranch_execz .LBB166_38
; %bb.37:
	v_lshlrev_b32_e32 v6, 2, v8
	global_load_b32 v6, v6, s[2:3]
.LBB166_38:
	s_or_b32 exec_lo, exec_lo, s5
	v_or_b32_e32 v10, 0x700, v0
	v_dual_mov_b32 v8, 0 :: v_dual_mov_b32 v9, 0
	s_mov_b32 s5, exec_lo
	s_delay_alu instid0(VALU_DEP_2)
	v_cmpx_gt_u32_e64 s4, v10
	s_cbranch_execz .LBB166_40
; %bb.39:
	v_lshlrev_b32_e32 v9, 2, v10
	global_load_b32 v9, v9, s[2:3]
.LBB166_40:
	;; [unrolled: 21-line block ×13, first 2 shown]
	s_or_b32 exec_lo, exec_lo, s5
	v_or_b32_e32 v32, 0x1e00, v0
	s_mov_b32 s5, exec_lo
	s_delay_alu instid0(VALU_DEP_1)
	v_cmpx_gt_u32_e64 s4, v32
	s_cbranch_execz .LBB166_86
; %bb.85:
	v_lshlrev_b32_e32 v30, 2, v32
	global_load_b32 v30, v30, s[2:3]
.LBB166_86:
	s_or_b32 exec_lo, exec_lo, s5
	v_or_b32_e32 v33, 0x1f00, v0
	v_mov_b32_e32 v32, 0
	s_mov_b32 s5, exec_lo
	s_delay_alu instid0(VALU_DEP_2)
	v_cmpx_gt_u32_e64 s4, v33
	s_cbranch_execz .LBB166_88
; %bb.87:
	v_lshlrev_b32_e32 v32, 2, v33
	global_load_b32 v32, v32, s[2:3]
.LBB166_88:
	s_or_b32 exec_lo, exec_lo, s5
	s_waitcnt vmcnt(0)
	v_add_nc_u32_e32 v1, v3, v1
	s_min_u32 s2, s4, 0x100
	s_mov_b32 s3, exec_lo
	s_delay_alu instid0(VALU_DEP_1) | instskip(SKIP_1) | instid1(VALU_DEP_2)
	v_add3_u32 v1, v1, v2, v5
	v_mbcnt_lo_u32_b32 v2, -1, 0
	v_add3_u32 v1, v1, v4, v7
	s_delay_alu instid0(VALU_DEP_2) | instskip(NEXT) | instid1(VALU_DEP_2)
	v_cmp_ne_u32_e32 vcc_lo, 31, v2
	v_add3_u32 v1, v1, v6, v9
	v_add_co_ci_u32_e32 v3, vcc_lo, 0, v2, vcc_lo
	v_cmp_gt_u32_e32 vcc_lo, 30, v2
	v_add_nc_u32_e32 v6, 1, v2
	s_delay_alu instid0(VALU_DEP_4) | instskip(NEXT) | instid1(VALU_DEP_4)
	v_add3_u32 v1, v1, v8, v11
	v_lshlrev_b32_e32 v3, 2, v3
	v_cndmask_b32_e64 v5, 0, 1, vcc_lo
	s_delay_alu instid0(VALU_DEP_3) | instskip(NEXT) | instid1(VALU_DEP_2)
	v_add3_u32 v1, v1, v10, v13
	v_lshlrev_b32_e32 v5, 1, v5
	s_delay_alu instid0(VALU_DEP_2) | instskip(NEXT) | instid1(VALU_DEP_2)
	v_add3_u32 v1, v1, v12, v15
	v_add_lshl_u32 v5, v5, v2, 2
	s_delay_alu instid0(VALU_DEP_2) | instskip(NEXT) | instid1(VALU_DEP_1)
	v_add3_u32 v1, v1, v14, v17
	v_add3_u32 v1, v1, v16, v19
	s_delay_alu instid0(VALU_DEP_1) | instskip(NEXT) | instid1(VALU_DEP_1)
	v_add3_u32 v1, v1, v18, v21
	v_add3_u32 v1, v1, v20, v23
	s_delay_alu instid0(VALU_DEP_1) | instskip(NEXT) | instid1(VALU_DEP_1)
	;; [unrolled: 3-line block ×3, first 2 shown]
	v_add3_u32 v1, v1, v26, v29
	v_add3_u32 v1, v1, v28, v31
	s_delay_alu instid0(VALU_DEP_1) | instskip(SKIP_2) | instid1(VALU_DEP_1)
	v_add3_u32 v1, v1, v30, v32
	ds_bpermute_b32 v3, v3, v1
	v_and_b32_e32 v4, 0xe0, v0
	v_sub_nc_u32_e64 v4, s2, v4 clamp
	s_delay_alu instid0(VALU_DEP_1) | instskip(SKIP_3) | instid1(VALU_DEP_2)
	v_cmp_lt_u32_e32 vcc_lo, v6, v4
	s_waitcnt lgkmcnt(0)
	v_dual_cndmask_b32 v3, 0, v3 :: v_dual_add_nc_u32 v6, 2, v2
	v_cmp_gt_u32_e32 vcc_lo, 28, v2
	v_add_nc_u32_e32 v1, v3, v1
	ds_bpermute_b32 v3, v5, v1
	v_cndmask_b32_e64 v5, 0, 1, vcc_lo
	v_cmp_lt_u32_e32 vcc_lo, v6, v4
	v_add_nc_u32_e32 v6, 4, v2
	s_delay_alu instid0(VALU_DEP_3) | instskip(NEXT) | instid1(VALU_DEP_1)
	v_lshlrev_b32_e32 v5, 2, v5
	v_add_lshl_u32 v5, v5, v2, 2
	s_waitcnt lgkmcnt(0)
	v_cndmask_b32_e32 v3, 0, v3, vcc_lo
	v_cmp_gt_u32_e32 vcc_lo, 24, v2
	s_delay_alu instid0(VALU_DEP_2) | instskip(SKIP_4) | instid1(VALU_DEP_3)
	v_add_nc_u32_e32 v1, v1, v3
	ds_bpermute_b32 v3, v5, v1
	v_cndmask_b32_e64 v5, 0, 1, vcc_lo
	v_cmp_lt_u32_e32 vcc_lo, v6, v4
	v_add_nc_u32_e32 v6, 8, v2
	v_lshlrev_b32_e32 v5, 3, v5
	s_delay_alu instid0(VALU_DEP_1) | instskip(SKIP_3) | instid1(VALU_DEP_2)
	v_add_lshl_u32 v5, v5, v2, 2
	s_waitcnt lgkmcnt(0)
	v_cndmask_b32_e32 v3, 0, v3, vcc_lo
	v_cmp_gt_u32_e32 vcc_lo, 16, v2
	v_add_nc_u32_e32 v1, v1, v3
	ds_bpermute_b32 v3, v5, v1
	v_cndmask_b32_e64 v5, 0, 1, vcc_lo
	v_cmp_lt_u32_e32 vcc_lo, v6, v4
	s_delay_alu instid0(VALU_DEP_2) | instskip(NEXT) | instid1(VALU_DEP_1)
	v_lshlrev_b32_e32 v5, 4, v5
	v_add_lshl_u32 v5, v5, v2, 2
	s_waitcnt lgkmcnt(0)
	v_cndmask_b32_e32 v3, 0, v3, vcc_lo
	s_delay_alu instid0(VALU_DEP_1) | instskip(SKIP_2) | instid1(VALU_DEP_1)
	v_add_nc_u32_e32 v1, v1, v3
	ds_bpermute_b32 v3, v5, v1
	v_add_nc_u32_e32 v5, 16, v2
	v_cmp_lt_u32_e32 vcc_lo, v5, v4
	s_waitcnt lgkmcnt(0)
	v_cndmask_b32_e32 v3, 0, v3, vcc_lo
	s_delay_alu instid0(VALU_DEP_1)
	v_add_nc_u32_e32 v1, v1, v3
	v_cmpx_eq_u32_e32 0, v2
	s_cbranch_execz .LBB166_90
; %bb.89:
	v_lshrrev_b32_e32 v3, 3, v0
	s_delay_alu instid0(VALU_DEP_1)
	v_and_b32_e32 v3, 28, v3
	ds_store_b32 v3, v1 offset:192
.LBB166_90:
	s_or_b32 exec_lo, exec_lo, s3
	s_delay_alu instid0(SALU_CYCLE_1)
	s_mov_b32 s3, exec_lo
	s_waitcnt lgkmcnt(0)
	s_barrier
	buffer_gl0_inv
	v_cmpx_gt_u32_e32 8, v0
	s_cbranch_execz .LBB166_92
; %bb.91:
	v_and_b32_e32 v3, 7, v2
	s_add_i32 s2, s2, 31
	s_delay_alu instid0(SALU_CYCLE_1) | instskip(NEXT) | instid1(VALU_DEP_1)
	s_lshr_b32 s2, s2, 5
	v_cmp_ne_u32_e32 vcc_lo, 7, v3
	v_add_nc_u32_e32 v6, 1, v3
	v_add_co_ci_u32_e32 v4, vcc_lo, 0, v2, vcc_lo
	v_cmp_gt_u32_e32 vcc_lo, 6, v3
	s_delay_alu instid0(VALU_DEP_2) | instskip(SKIP_3) | instid1(VALU_DEP_3)
	v_lshlrev_b32_e32 v4, 2, v4
	v_cndmask_b32_e64 v5, 0, 1, vcc_lo
	v_cmp_gt_u32_e32 vcc_lo, s2, v6
	v_lshlrev_b32_e32 v1, 2, v2
	v_lshlrev_b32_e32 v5, 1, v5
	ds_load_b32 v1, v1 offset:192
	v_add_lshl_u32 v5, v5, v2, 2
	s_waitcnt lgkmcnt(0)
	ds_bpermute_b32 v4, v4, v1
	s_waitcnt lgkmcnt(0)
	v_cndmask_b32_e32 v4, 0, v4, vcc_lo
	v_cmp_gt_u32_e32 vcc_lo, 4, v3
	s_delay_alu instid0(VALU_DEP_2) | instskip(SKIP_3) | instid1(VALU_DEP_1)
	v_add_nc_u32_e32 v1, v4, v1
	v_cndmask_b32_e64 v6, 0, 1, vcc_lo
	ds_bpermute_b32 v4, v5, v1
	v_add_nc_u32_e32 v5, 2, v3
	v_cmp_gt_u32_e32 vcc_lo, s2, v5
	v_lshlrev_b32_e32 v5, 2, v6
	s_delay_alu instid0(VALU_DEP_1) | instskip(SKIP_2) | instid1(VALU_DEP_1)
	v_add_lshl_u32 v2, v5, v2, 2
	s_waitcnt lgkmcnt(0)
	v_dual_cndmask_b32 v4, 0, v4 :: v_dual_add_nc_u32 v3, 4, v3
	v_add_nc_u32_e32 v1, v1, v4
	s_delay_alu instid0(VALU_DEP_2) | instskip(SKIP_3) | instid1(VALU_DEP_1)
	v_cmp_gt_u32_e32 vcc_lo, s2, v3
	ds_bpermute_b32 v2, v2, v1
	s_waitcnt lgkmcnt(0)
	v_cndmask_b32_e32 v2, 0, v2, vcc_lo
	v_add_nc_u32_e32 v1, v1, v2
.LBB166_92:
	s_or_b32 exec_lo, exec_lo, s3
	v_cmp_eq_u32_e64 s2, 0, v0
	s_and_b32 vcc_lo, exec_lo, s6
	s_cbranch_vccnz .LBB166_15
.LBB166_93:
	s_branch .LBB166_142
.LBB166_94:
	s_mov_b32 s3, -1
                                        ; implicit-def: $vgpr1
.LBB166_95:
	s_delay_alu instid0(SALU_CYCLE_1)
	s_and_b32 vcc_lo, exec_lo, s3
	s_cbranch_vccz .LBB166_133
; %bb.96:
	s_sub_i32 s25, s18, s2
	s_mov_b32 s2, exec_lo
                                        ; implicit-def: $vgpr1_vgpr2_vgpr3_vgpr4_vgpr5_vgpr6_vgpr7_vgpr8_vgpr9_vgpr10_vgpr11_vgpr12_vgpr13_vgpr14_vgpr15_vgpr16
	v_cmpx_gt_u32_e64 s25, v0
	s_cbranch_execz .LBB166_98
; %bb.97:
	v_lshlrev_b32_e32 v1, 2, v0
	global_load_b32 v1, v1, s[22:23]
.LBB166_98:
	s_or_b32 exec_lo, exec_lo, s2
	v_or_b32_e32 v17, 0x100, v0
	s_delay_alu instid0(VALU_DEP_1)
	v_cmp_gt_u32_e32 vcc_lo, s25, v17
	s_and_saveexec_b32 s2, vcc_lo
	s_cbranch_execz .LBB166_100
; %bb.99:
	v_lshlrev_b32_e32 v2, 2, v0
	global_load_b32 v2, v2, s[22:23] offset:1024
.LBB166_100:
	s_or_b32 exec_lo, exec_lo, s2
	v_or_b32_e32 v17, 0x200, v0
	s_delay_alu instid0(VALU_DEP_1) | instskip(NEXT) | instid1(VALU_DEP_1)
	v_cmp_gt_u32_e64 s2, s25, v17
	s_and_saveexec_b32 s3, s2
	s_cbranch_execz .LBB166_102
; %bb.101:
	v_lshlrev_b32_e32 v3, 2, v0
	global_load_b32 v3, v3, s[22:23] offset:2048
.LBB166_102:
	s_or_b32 exec_lo, exec_lo, s3
	v_or_b32_e32 v17, 0x300, v0
	s_delay_alu instid0(VALU_DEP_1) | instskip(NEXT) | instid1(VALU_DEP_1)
	v_cmp_gt_u32_e64 s3, s25, v17
	s_and_saveexec_b32 s4, s3
	;; [unrolled: 10-line block ×3, first 2 shown]
	s_cbranch_execz .LBB166_106
; %bb.105:
	v_lshlrev_b32_e32 v5, 2, v17
	global_load_b32 v5, v5, s[22:23]
.LBB166_106:
	s_or_b32 exec_lo, exec_lo, s5
	v_or_b32_e32 v17, 0x500, v0
	s_delay_alu instid0(VALU_DEP_1) | instskip(NEXT) | instid1(VALU_DEP_1)
	v_cmp_gt_u32_e64 s5, s25, v17
	s_and_saveexec_b32 s6, s5
	s_cbranch_execz .LBB166_108
; %bb.107:
	v_lshlrev_b32_e32 v6, 2, v17
	global_load_b32 v6, v6, s[22:23]
.LBB166_108:
	s_or_b32 exec_lo, exec_lo, s6
	v_or_b32_e32 v17, 0x600, v0
	s_delay_alu instid0(VALU_DEP_1) | instskip(NEXT) | instid1(VALU_DEP_1)
	v_cmp_gt_u32_e64 s6, s25, v17
	s_and_saveexec_b32 s7, s6
	;; [unrolled: 10-line block ×11, first 2 shown]
	s_cbranch_execz .LBB166_128
; %bb.127:
	v_lshlrev_b32_e32 v16, 2, v17
	global_load_b32 v16, v16, s[22:23]
.LBB166_128:
	s_or_b32 exec_lo, exec_lo, s26
	s_waitcnt vmcnt(0)
	v_cndmask_b32_e32 v2, 0, v2, vcc_lo
	v_cndmask_b32_e64 v3, 0, v3, s2
	v_cndmask_b32_e64 v4, 0, v4, s3
	s_min_u32 s2, s25, 0x100
	s_mov_b32 s3, exec_lo
	v_add_nc_u32_e32 v1, v2, v1
	v_cndmask_b32_e64 v2, 0, v5, s4
	v_cndmask_b32_e64 v5, 0, v6, s5
	;; [unrolled: 1-line block ×3, first 2 shown]
	s_delay_alu instid0(VALU_DEP_4) | instskip(SKIP_3) | instid1(VALU_DEP_4)
	v_add3_u32 v1, v1, v3, v4
	v_cndmask_b32_e64 v3, 0, v7, s6
	v_cndmask_b32_e64 v4, 0, v8, s7
	v_cndmask_b32_e64 v7, 0, v15, s14
	v_add3_u32 v1, v1, v2, v5
	v_cndmask_b32_e64 v2, 0, v9, s8
	v_cndmask_b32_e64 v5, 0, v10, s9
	s_delay_alu instid0(VALU_DEP_3) | instskip(SKIP_2) | instid1(VALU_DEP_3)
	v_add3_u32 v1, v1, v3, v4
	v_cndmask_b32_e64 v3, 0, v11, s10
	v_cndmask_b32_e64 v4, 0, v12, s11
	v_add3_u32 v1, v1, v2, v5
	v_mbcnt_lo_u32_b32 v2, -1, 0
	v_cndmask_b32_e64 v5, 0, v13, s12
	s_delay_alu instid0(VALU_DEP_3) | instskip(NEXT) | instid1(VALU_DEP_3)
	v_add3_u32 v1, v1, v3, v4
	v_cmp_ne_u32_e32 vcc_lo, 31, v2
	v_cndmask_b32_e64 v3, 0, v16, s15
	s_delay_alu instid0(VALU_DEP_3) | instskip(SKIP_3) | instid1(VALU_DEP_4)
	v_add3_u32 v1, v1, v5, v6
	v_add_co_ci_u32_e32 v4, vcc_lo, 0, v2, vcc_lo
	v_cmp_gt_u32_e32 vcc_lo, 30, v2
	v_add_nc_u32_e32 v6, 1, v2
	v_add3_u32 v1, v1, v7, v3
	s_delay_alu instid0(VALU_DEP_4) | instskip(SKIP_4) | instid1(VALU_DEP_2)
	v_lshlrev_b32_e32 v4, 2, v4
	v_cndmask_b32_e64 v5, 0, 1, vcc_lo
	ds_bpermute_b32 v3, v4, v1
	v_and_b32_e32 v4, 0xe0, v0
	v_lshlrev_b32_e32 v5, 1, v5
	v_sub_nc_u32_e64 v4, s2, v4 clamp
	s_delay_alu instid0(VALU_DEP_2) | instskip(NEXT) | instid1(VALU_DEP_2)
	v_add_lshl_u32 v5, v5, v2, 2
	v_cmp_lt_u32_e32 vcc_lo, v6, v4
	s_waitcnt lgkmcnt(0)
	v_dual_cndmask_b32 v3, 0, v3 :: v_dual_add_nc_u32 v6, 2, v2
	v_cmp_gt_u32_e32 vcc_lo, 28, v2
	s_delay_alu instid0(VALU_DEP_2) | instskip(SKIP_4) | instid1(VALU_DEP_3)
	v_add_nc_u32_e32 v1, v1, v3
	ds_bpermute_b32 v3, v5, v1
	v_cndmask_b32_e64 v5, 0, 1, vcc_lo
	v_cmp_lt_u32_e32 vcc_lo, v6, v4
	v_add_nc_u32_e32 v6, 4, v2
	v_lshlrev_b32_e32 v5, 2, v5
	s_delay_alu instid0(VALU_DEP_1) | instskip(SKIP_3) | instid1(VALU_DEP_2)
	v_add_lshl_u32 v5, v5, v2, 2
	s_waitcnt lgkmcnt(0)
	v_cndmask_b32_e32 v3, 0, v3, vcc_lo
	v_cmp_gt_u32_e32 vcc_lo, 24, v2
	v_add_nc_u32_e32 v1, v1, v3
	ds_bpermute_b32 v3, v5, v1
	v_cndmask_b32_e64 v5, 0, 1, vcc_lo
	v_cmp_lt_u32_e32 vcc_lo, v6, v4
	v_add_nc_u32_e32 v6, 8, v2
	s_delay_alu instid0(VALU_DEP_3) | instskip(NEXT) | instid1(VALU_DEP_1)
	v_lshlrev_b32_e32 v5, 3, v5
	v_add_lshl_u32 v5, v5, v2, 2
	s_waitcnt lgkmcnt(0)
	v_cndmask_b32_e32 v3, 0, v3, vcc_lo
	v_cmp_gt_u32_e32 vcc_lo, 16, v2
	s_delay_alu instid0(VALU_DEP_2) | instskip(SKIP_3) | instid1(VALU_DEP_2)
	v_add_nc_u32_e32 v1, v1, v3
	ds_bpermute_b32 v3, v5, v1
	v_cndmask_b32_e64 v5, 0, 1, vcc_lo
	v_cmp_lt_u32_e32 vcc_lo, v6, v4
	v_lshlrev_b32_e32 v5, 4, v5
	s_delay_alu instid0(VALU_DEP_1) | instskip(SKIP_2) | instid1(VALU_DEP_1)
	v_add_lshl_u32 v5, v5, v2, 2
	s_waitcnt lgkmcnt(0)
	v_cndmask_b32_e32 v3, 0, v3, vcc_lo
	v_add_nc_u32_e32 v1, v1, v3
	ds_bpermute_b32 v3, v5, v1
	v_add_nc_u32_e32 v5, 16, v2
	s_delay_alu instid0(VALU_DEP_1) | instskip(SKIP_2) | instid1(VALU_DEP_1)
	v_cmp_lt_u32_e32 vcc_lo, v5, v4
	s_waitcnt lgkmcnt(0)
	v_cndmask_b32_e32 v3, 0, v3, vcc_lo
	v_add_nc_u32_e32 v1, v1, v3
	v_cmpx_eq_u32_e32 0, v2
	s_cbranch_execz .LBB166_130
; %bb.129:
	v_lshrrev_b32_e32 v3, 3, v0
	s_delay_alu instid0(VALU_DEP_1)
	v_and_b32_e32 v3, 28, v3
	ds_store_b32 v3, v1 offset:192
.LBB166_130:
	s_or_b32 exec_lo, exec_lo, s3
	s_delay_alu instid0(SALU_CYCLE_1)
	s_mov_b32 s3, exec_lo
	s_waitcnt lgkmcnt(0)
	s_barrier
	buffer_gl0_inv
	v_cmpx_gt_u32_e32 8, v0
	s_cbranch_execz .LBB166_132
; %bb.131:
	v_and_b32_e32 v3, 7, v2
	s_add_i32 s2, s2, 31
	s_delay_alu instid0(SALU_CYCLE_1) | instskip(NEXT) | instid1(VALU_DEP_1)
	s_lshr_b32 s2, s2, 5
	v_cmp_ne_u32_e32 vcc_lo, 7, v3
	v_add_nc_u32_e32 v6, 1, v3
	v_add_co_ci_u32_e32 v4, vcc_lo, 0, v2, vcc_lo
	v_cmp_gt_u32_e32 vcc_lo, 6, v3
	s_delay_alu instid0(VALU_DEP_2) | instskip(SKIP_3) | instid1(VALU_DEP_3)
	v_lshlrev_b32_e32 v4, 2, v4
	v_cndmask_b32_e64 v5, 0, 1, vcc_lo
	v_cmp_gt_u32_e32 vcc_lo, s2, v6
	v_lshlrev_b32_e32 v1, 2, v2
	v_lshlrev_b32_e32 v5, 1, v5
	ds_load_b32 v1, v1 offset:192
	v_add_lshl_u32 v5, v5, v2, 2
	s_waitcnt lgkmcnt(0)
	ds_bpermute_b32 v4, v4, v1
	s_waitcnt lgkmcnt(0)
	v_cndmask_b32_e32 v4, 0, v4, vcc_lo
	v_cmp_gt_u32_e32 vcc_lo, 4, v3
	s_delay_alu instid0(VALU_DEP_2) | instskip(SKIP_3) | instid1(VALU_DEP_1)
	v_add_nc_u32_e32 v1, v4, v1
	v_cndmask_b32_e64 v6, 0, 1, vcc_lo
	ds_bpermute_b32 v4, v5, v1
	v_add_nc_u32_e32 v5, 2, v3
	v_cmp_gt_u32_e32 vcc_lo, s2, v5
	v_lshlrev_b32_e32 v5, 2, v6
	s_delay_alu instid0(VALU_DEP_1) | instskip(SKIP_2) | instid1(VALU_DEP_1)
	v_add_lshl_u32 v2, v5, v2, 2
	s_waitcnt lgkmcnt(0)
	v_dual_cndmask_b32 v4, 0, v4 :: v_dual_add_nc_u32 v3, 4, v3
	v_add_nc_u32_e32 v1, v1, v4
	s_delay_alu instid0(VALU_DEP_2) | instskip(SKIP_3) | instid1(VALU_DEP_1)
	v_cmp_gt_u32_e32 vcc_lo, s2, v3
	ds_bpermute_b32 v2, v2, v1
	s_waitcnt lgkmcnt(0)
	v_cndmask_b32_e32 v2, 0, v2, vcc_lo
	v_add_nc_u32_e32 v1, v1, v2
.LBB166_132:
	s_or_b32 exec_lo, exec_lo, s3
.LBB166_133:
	v_cmp_eq_u32_e64 s2, 0, v0
	s_branch .LBB166_142
.LBB166_134:
	s_cmp_eq_u32 s24, 8
	s_cbranch_scc0 .LBB166_141
; %bb.135:
	s_mov_b32 s21, 0
	s_lshl_b32 s2, s20, 11
	s_mov_b32 s3, s21
	s_lshr_b64 s[6:7], s[18:19], 11
	s_lshl_b64 s[4:5], s[2:3], 2
	s_delay_alu instid0(SALU_CYCLE_1)
	s_add_u32 s8, s16, s4
	s_addc_u32 s9, s17, s5
	s_cmp_lg_u64 s[6:7], s[20:21]
	s_cbranch_scc0 .LBB166_143
; %bb.136:
	v_lshlrev_b32_e32 v3, 2, v0
	s_clause 0x1
	global_load_b32 v4, v3, s[8:9]
	global_load_b32 v5, v3, s[8:9] offset:1024
	v_add_co_u32 v1, s3, s8, v3
	s_delay_alu instid0(VALU_DEP_1) | instskip(SKIP_1) | instid1(VALU_DEP_2)
	v_add_co_ci_u32_e64 v2, null, s9, 0, s3
	s_mov_b32 s3, exec_lo
	v_add_co_u32 v1, vcc_lo, 0x1000, v1
	s_delay_alu instid0(VALU_DEP_2)
	v_add_co_ci_u32_e32 v2, vcc_lo, 0, v2, vcc_lo
	s_clause 0x5
	global_load_b32 v6, v3, s[8:9] offset:2048
	global_load_b32 v3, v3, s[8:9] offset:3072
	global_load_b32 v7, v[1:2], off
	global_load_b32 v8, v[1:2], off offset:1024
	global_load_b32 v9, v[1:2], off offset:2048
	;; [unrolled: 1-line block ×3, first 2 shown]
	s_waitcnt vmcnt(6)
	v_add_nc_u32_e32 v2, v5, v4
	s_waitcnt vmcnt(4)
	s_delay_alu instid0(VALU_DEP_1) | instskip(SKIP_2) | instid1(VALU_DEP_2)
	v_add3_u32 v2, v2, v6, v3
	v_mov_b32_e32 v3, 0
	s_waitcnt vmcnt(2)
	v_add3_u32 v2, v2, v7, v8
	s_waitcnt vmcnt(0)
	s_delay_alu instid0(VALU_DEP_1) | instskip(NEXT) | instid1(VALU_DEP_1)
	v_add3_u32 v1, v2, v9, v1
	v_mov_b32_dpp v2, v1 quad_perm:[1,0,3,2] row_mask:0xf bank_mask:0xf
	s_delay_alu instid0(VALU_DEP_1) | instskip(NEXT) | instid1(VALU_DEP_1)
	v_add_nc_u32_e32 v1, v2, v1
	v_mov_b32_dpp v2, v1 quad_perm:[2,3,0,1] row_mask:0xf bank_mask:0xf
	s_delay_alu instid0(VALU_DEP_1) | instskip(NEXT) | instid1(VALU_DEP_1)
	v_add_nc_u32_e32 v1, v1, v2
	v_mov_b32_dpp v2, v1 row_ror:4 row_mask:0xf bank_mask:0xf
	s_delay_alu instid0(VALU_DEP_1) | instskip(NEXT) | instid1(VALU_DEP_1)
	v_add_nc_u32_e32 v1, v1, v2
	v_mov_b32_dpp v2, v1 row_ror:8 row_mask:0xf bank_mask:0xf
	s_delay_alu instid0(VALU_DEP_1)
	v_add_nc_u32_e32 v1, v1, v2
	ds_swizzle_b32 v2, v1 offset:swizzle(BROADCAST,32,15)
	s_waitcnt lgkmcnt(0)
	v_add_nc_u32_e32 v1, v1, v2
	v_mbcnt_lo_u32_b32 v2, -1, 0
	ds_bpermute_b32 v1, v3, v1 offset:124
	v_cmpx_eq_u32_e32 0, v2
	s_cbranch_execz .LBB166_138
; %bb.137:
	v_lshrrev_b32_e32 v3, 3, v0
	s_delay_alu instid0(VALU_DEP_1)
	v_and_b32_e32 v3, 28, v3
	s_waitcnt lgkmcnt(0)
	ds_store_b32 v3, v1 offset:160
.LBB166_138:
	s_or_b32 exec_lo, exec_lo, s3
	s_delay_alu instid0(SALU_CYCLE_1)
	s_mov_b32 s3, exec_lo
	s_waitcnt lgkmcnt(0)
	s_barrier
	buffer_gl0_inv
	v_cmpx_gt_u32_e32 32, v0
	s_cbranch_execz .LBB166_140
; %bb.139:
	v_and_b32_e32 v1, 7, v2
	s_delay_alu instid0(VALU_DEP_1) | instskip(SKIP_4) | instid1(VALU_DEP_2)
	v_lshlrev_b32_e32 v3, 2, v1
	v_cmp_ne_u32_e32 vcc_lo, 7, v1
	ds_load_b32 v3, v3 offset:160
	v_add_co_ci_u32_e32 v4, vcc_lo, 0, v2, vcc_lo
	v_cmp_gt_u32_e32 vcc_lo, 6, v1
	v_lshlrev_b32_e32 v4, 2, v4
	v_cndmask_b32_e64 v5, 0, 1, vcc_lo
	v_cmp_gt_u32_e32 vcc_lo, 4, v1
	s_delay_alu instid0(VALU_DEP_2) | instskip(SKIP_1) | instid1(VALU_DEP_2)
	v_lshlrev_b32_e32 v5, 1, v5
	v_cndmask_b32_e64 v1, 0, 1, vcc_lo
	v_add_lshl_u32 v5, v5, v2, 2
	s_delay_alu instid0(VALU_DEP_2)
	v_lshlrev_b32_e32 v1, 2, v1
	s_waitcnt lgkmcnt(0)
	ds_bpermute_b32 v4, v4, v3
	v_add_lshl_u32 v1, v1, v2, 2
	s_waitcnt lgkmcnt(0)
	v_add_nc_u32_e32 v3, v4, v3
	ds_bpermute_b32 v4, v5, v3
	s_waitcnt lgkmcnt(0)
	v_add_nc_u32_e32 v3, v4, v3
	ds_bpermute_b32 v1, v1, v3
	s_waitcnt lgkmcnt(0)
	v_add_nc_u32_e32 v1, v1, v3
.LBB166_140:
	s_or_b32 exec_lo, exec_lo, s3
	s_branch .LBB166_165
.LBB166_141:
                                        ; implicit-def: $vgpr1
.LBB166_142:
	s_branch .LBB166_224
.LBB166_143:
                                        ; implicit-def: $vgpr1
	s_cbranch_execz .LBB166_165
; %bb.144:
	s_sub_i32 s10, s18, s2
	s_mov_b32 s2, exec_lo
                                        ; implicit-def: $vgpr1_vgpr2_vgpr3_vgpr4_vgpr5_vgpr6_vgpr7_vgpr8
	v_cmpx_gt_u32_e64 s10, v0
	s_cbranch_execz .LBB166_146
; %bb.145:
	v_lshlrev_b32_e32 v1, 2, v0
	global_load_b32 v1, v1, s[8:9]
.LBB166_146:
	s_or_b32 exec_lo, exec_lo, s2
	v_or_b32_e32 v9, 0x100, v0
	s_delay_alu instid0(VALU_DEP_1)
	v_cmp_gt_u32_e32 vcc_lo, s10, v9
	s_and_saveexec_b32 s2, vcc_lo
	s_cbranch_execz .LBB166_148
; %bb.147:
	v_lshlrev_b32_e32 v2, 2, v0
	global_load_b32 v2, v2, s[8:9] offset:1024
.LBB166_148:
	s_or_b32 exec_lo, exec_lo, s2
	v_or_b32_e32 v9, 0x200, v0
	s_delay_alu instid0(VALU_DEP_1) | instskip(NEXT) | instid1(VALU_DEP_1)
	v_cmp_gt_u32_e64 s2, s10, v9
	s_and_saveexec_b32 s3, s2
	s_cbranch_execz .LBB166_150
; %bb.149:
	v_lshlrev_b32_e32 v3, 2, v0
	global_load_b32 v3, v3, s[8:9] offset:2048
.LBB166_150:
	s_or_b32 exec_lo, exec_lo, s3
	v_or_b32_e32 v9, 0x300, v0
	s_delay_alu instid0(VALU_DEP_1) | instskip(NEXT) | instid1(VALU_DEP_1)
	v_cmp_gt_u32_e64 s3, s10, v9
	s_and_saveexec_b32 s4, s3
	;; [unrolled: 10-line block ×3, first 2 shown]
	s_cbranch_execz .LBB166_154
; %bb.153:
	v_lshlrev_b32_e32 v5, 2, v9
	global_load_b32 v5, v5, s[8:9]
.LBB166_154:
	s_or_b32 exec_lo, exec_lo, s5
	v_or_b32_e32 v9, 0x500, v0
	s_delay_alu instid0(VALU_DEP_1) | instskip(NEXT) | instid1(VALU_DEP_1)
	v_cmp_gt_u32_e64 s5, s10, v9
	s_and_saveexec_b32 s6, s5
	s_cbranch_execz .LBB166_156
; %bb.155:
	v_lshlrev_b32_e32 v6, 2, v9
	global_load_b32 v6, v6, s[8:9]
.LBB166_156:
	s_or_b32 exec_lo, exec_lo, s6
	v_or_b32_e32 v9, 0x600, v0
	s_delay_alu instid0(VALU_DEP_1) | instskip(NEXT) | instid1(VALU_DEP_1)
	v_cmp_gt_u32_e64 s6, s10, v9
	s_and_saveexec_b32 s7, s6
	;; [unrolled: 10-line block ×3, first 2 shown]
	s_cbranch_execz .LBB166_160
; %bb.159:
	v_lshlrev_b32_e32 v8, 2, v9
	global_load_b32 v8, v8, s[8:9]
.LBB166_160:
	s_or_b32 exec_lo, exec_lo, s11
	s_waitcnt vmcnt(0)
	v_cndmask_b32_e32 v2, 0, v2, vcc_lo
	v_cndmask_b32_e64 v3, 0, v3, s2
	v_cndmask_b32_e64 v4, 0, v4, s3
	;; [unrolled: 1-line block ×4, first 2 shown]
	v_add_nc_u32_e32 v1, v2, v1
	v_mbcnt_lo_u32_b32 v2, -1, 0
	v_cndmask_b32_e64 v7, 0, v7, s6
	s_min_u32 s2, s10, 0x100
	s_mov_b32 s3, exec_lo
	v_add3_u32 v1, v1, v3, v4
	v_cmp_ne_u32_e32 vcc_lo, 31, v2
	v_cndmask_b32_e64 v3, 0, v8, s7
	s_delay_alu instid0(VALU_DEP_3) | instskip(SKIP_3) | instid1(VALU_DEP_4)
	v_add3_u32 v1, v1, v5, v6
	v_add_co_ci_u32_e32 v4, vcc_lo, 0, v2, vcc_lo
	v_cmp_gt_u32_e32 vcc_lo, 30, v2
	v_add_nc_u32_e32 v6, 1, v2
	v_add3_u32 v1, v1, v7, v3
	s_delay_alu instid0(VALU_DEP_4) | instskip(SKIP_4) | instid1(VALU_DEP_2)
	v_lshlrev_b32_e32 v4, 2, v4
	v_cndmask_b32_e64 v5, 0, 1, vcc_lo
	ds_bpermute_b32 v3, v4, v1
	v_and_b32_e32 v4, 0xe0, v0
	v_lshlrev_b32_e32 v5, 1, v5
	v_sub_nc_u32_e64 v4, s2, v4 clamp
	s_delay_alu instid0(VALU_DEP_2) | instskip(NEXT) | instid1(VALU_DEP_2)
	v_add_lshl_u32 v5, v5, v2, 2
	v_cmp_lt_u32_e32 vcc_lo, v6, v4
	s_waitcnt lgkmcnt(0)
	v_dual_cndmask_b32 v3, 0, v3 :: v_dual_add_nc_u32 v6, 2, v2
	v_cmp_gt_u32_e32 vcc_lo, 28, v2
	s_delay_alu instid0(VALU_DEP_2) | instskip(SKIP_4) | instid1(VALU_DEP_3)
	v_add_nc_u32_e32 v1, v1, v3
	ds_bpermute_b32 v3, v5, v1
	v_cndmask_b32_e64 v5, 0, 1, vcc_lo
	v_cmp_lt_u32_e32 vcc_lo, v6, v4
	v_add_nc_u32_e32 v6, 4, v2
	v_lshlrev_b32_e32 v5, 2, v5
	s_delay_alu instid0(VALU_DEP_1) | instskip(SKIP_3) | instid1(VALU_DEP_2)
	v_add_lshl_u32 v5, v5, v2, 2
	s_waitcnt lgkmcnt(0)
	v_cndmask_b32_e32 v3, 0, v3, vcc_lo
	v_cmp_gt_u32_e32 vcc_lo, 24, v2
	v_add_nc_u32_e32 v1, v1, v3
	ds_bpermute_b32 v3, v5, v1
	v_cndmask_b32_e64 v5, 0, 1, vcc_lo
	v_cmp_lt_u32_e32 vcc_lo, v6, v4
	v_add_nc_u32_e32 v6, 8, v2
	s_delay_alu instid0(VALU_DEP_3) | instskip(NEXT) | instid1(VALU_DEP_1)
	v_lshlrev_b32_e32 v5, 3, v5
	v_add_lshl_u32 v5, v5, v2, 2
	s_waitcnt lgkmcnt(0)
	v_cndmask_b32_e32 v3, 0, v3, vcc_lo
	v_cmp_gt_u32_e32 vcc_lo, 16, v2
	s_delay_alu instid0(VALU_DEP_2) | instskip(SKIP_3) | instid1(VALU_DEP_2)
	v_add_nc_u32_e32 v1, v1, v3
	ds_bpermute_b32 v3, v5, v1
	v_cndmask_b32_e64 v5, 0, 1, vcc_lo
	v_cmp_lt_u32_e32 vcc_lo, v6, v4
	v_lshlrev_b32_e32 v5, 4, v5
	s_delay_alu instid0(VALU_DEP_1) | instskip(SKIP_2) | instid1(VALU_DEP_1)
	v_add_lshl_u32 v5, v5, v2, 2
	s_waitcnt lgkmcnt(0)
	v_cndmask_b32_e32 v3, 0, v3, vcc_lo
	v_add_nc_u32_e32 v1, v1, v3
	ds_bpermute_b32 v3, v5, v1
	v_add_nc_u32_e32 v5, 16, v2
	s_delay_alu instid0(VALU_DEP_1) | instskip(SKIP_2) | instid1(VALU_DEP_1)
	v_cmp_lt_u32_e32 vcc_lo, v5, v4
	s_waitcnt lgkmcnt(0)
	v_cndmask_b32_e32 v3, 0, v3, vcc_lo
	v_add_nc_u32_e32 v1, v1, v3
	v_cmpx_eq_u32_e32 0, v2
	s_cbranch_execz .LBB166_162
; %bb.161:
	v_lshrrev_b32_e32 v3, 3, v0
	s_delay_alu instid0(VALU_DEP_1)
	v_and_b32_e32 v3, 28, v3
	ds_store_b32 v3, v1 offset:192
.LBB166_162:
	s_or_b32 exec_lo, exec_lo, s3
	s_delay_alu instid0(SALU_CYCLE_1)
	s_mov_b32 s3, exec_lo
	s_waitcnt lgkmcnt(0)
	s_barrier
	buffer_gl0_inv
	v_cmpx_gt_u32_e32 8, v0
	s_cbranch_execz .LBB166_164
; %bb.163:
	v_and_b32_e32 v3, 7, v2
	s_add_i32 s2, s2, 31
	s_delay_alu instid0(SALU_CYCLE_1) | instskip(NEXT) | instid1(VALU_DEP_1)
	s_lshr_b32 s2, s2, 5
	v_cmp_ne_u32_e32 vcc_lo, 7, v3
	v_add_nc_u32_e32 v6, 1, v3
	v_add_co_ci_u32_e32 v4, vcc_lo, 0, v2, vcc_lo
	v_cmp_gt_u32_e32 vcc_lo, 6, v3
	s_delay_alu instid0(VALU_DEP_2) | instskip(SKIP_3) | instid1(VALU_DEP_3)
	v_lshlrev_b32_e32 v4, 2, v4
	v_cndmask_b32_e64 v5, 0, 1, vcc_lo
	v_cmp_gt_u32_e32 vcc_lo, s2, v6
	v_lshlrev_b32_e32 v1, 2, v2
	v_lshlrev_b32_e32 v5, 1, v5
	ds_load_b32 v1, v1 offset:192
	v_add_lshl_u32 v5, v5, v2, 2
	s_waitcnt lgkmcnt(0)
	ds_bpermute_b32 v4, v4, v1
	s_waitcnt lgkmcnt(0)
	v_cndmask_b32_e32 v4, 0, v4, vcc_lo
	v_cmp_gt_u32_e32 vcc_lo, 4, v3
	s_delay_alu instid0(VALU_DEP_2) | instskip(SKIP_3) | instid1(VALU_DEP_1)
	v_add_nc_u32_e32 v1, v4, v1
	v_cndmask_b32_e64 v6, 0, 1, vcc_lo
	ds_bpermute_b32 v4, v5, v1
	v_add_nc_u32_e32 v5, 2, v3
	v_cmp_gt_u32_e32 vcc_lo, s2, v5
	v_lshlrev_b32_e32 v5, 2, v6
	s_delay_alu instid0(VALU_DEP_1) | instskip(SKIP_2) | instid1(VALU_DEP_1)
	v_add_lshl_u32 v2, v5, v2, 2
	s_waitcnt lgkmcnt(0)
	v_dual_cndmask_b32 v4, 0, v4 :: v_dual_add_nc_u32 v3, 4, v3
	v_add_nc_u32_e32 v1, v1, v4
	s_delay_alu instid0(VALU_DEP_2) | instskip(SKIP_3) | instid1(VALU_DEP_1)
	v_cmp_gt_u32_e32 vcc_lo, s2, v3
	ds_bpermute_b32 v2, v2, v1
	s_waitcnt lgkmcnt(0)
	v_cndmask_b32_e32 v2, 0, v2, vcc_lo
	v_add_nc_u32_e32 v1, v1, v2
.LBB166_164:
	s_or_b32 exec_lo, exec_lo, s3
.LBB166_165:
	v_cmp_eq_u32_e64 s2, 0, v0
	s_branch .LBB166_224
.LBB166_166:
	s_cmp_gt_i32 s24, 1
	s_cbranch_scc0 .LBB166_175
; %bb.167:
	s_cmp_gt_i32 s24, 3
	s_cbranch_scc0 .LBB166_176
; %bb.168:
	s_cmp_eq_u32 s24, 4
	s_cbranch_scc0 .LBB166_177
; %bb.169:
	s_mov_b32 s21, 0
	s_lshl_b32 s2, s20, 10
	s_mov_b32 s3, s21
	s_lshr_b64 s[6:7], s[18:19], 10
	s_lshl_b64 s[4:5], s[2:3], 2
	s_delay_alu instid0(SALU_CYCLE_1)
	s_add_u32 s4, s16, s4
	s_addc_u32 s5, s17, s5
	s_cmp_lg_u64 s[6:7], s[20:21]
	s_cbranch_scc0 .LBB166_179
; %bb.170:
	v_lshlrev_b32_e32 v1, 2, v0
	s_mov_b32 s3, exec_lo
	s_clause 0x3
	global_load_b32 v2, v1, s[4:5]
	global_load_b32 v3, v1, s[4:5] offset:1024
	global_load_b32 v4, v1, s[4:5] offset:2048
	;; [unrolled: 1-line block ×3, first 2 shown]
	s_waitcnt vmcnt(2)
	v_add_nc_u32_e32 v2, v3, v2
	s_waitcnt vmcnt(0)
	s_delay_alu instid0(VALU_DEP_1) | instskip(NEXT) | instid1(VALU_DEP_1)
	v_add3_u32 v1, v2, v4, v1
	v_mov_b32_dpp v2, v1 quad_perm:[1,0,3,2] row_mask:0xf bank_mask:0xf
	s_delay_alu instid0(VALU_DEP_1) | instskip(NEXT) | instid1(VALU_DEP_1)
	v_add_nc_u32_e32 v1, v2, v1
	v_mov_b32_dpp v2, v1 quad_perm:[2,3,0,1] row_mask:0xf bank_mask:0xf
	s_delay_alu instid0(VALU_DEP_1) | instskip(NEXT) | instid1(VALU_DEP_1)
	v_add_nc_u32_e32 v1, v1, v2
	v_mov_b32_dpp v2, v1 row_ror:4 row_mask:0xf bank_mask:0xf
	s_delay_alu instid0(VALU_DEP_1) | instskip(NEXT) | instid1(VALU_DEP_1)
	v_add_nc_u32_e32 v1, v1, v2
	v_mov_b32_dpp v2, v1 row_ror:8 row_mask:0xf bank_mask:0xf
	s_delay_alu instid0(VALU_DEP_1)
	v_add_nc_u32_e32 v1, v1, v2
	ds_swizzle_b32 v2, v1 offset:swizzle(BROADCAST,32,15)
	s_waitcnt lgkmcnt(0)
	v_dual_mov_b32 v2, 0 :: v_dual_add_nc_u32 v1, v1, v2
	ds_bpermute_b32 v1, v2, v1 offset:124
	v_mbcnt_lo_u32_b32 v2, -1, 0
	s_delay_alu instid0(VALU_DEP_1)
	v_cmpx_eq_u32_e32 0, v2
	s_cbranch_execz .LBB166_172
; %bb.171:
	v_lshrrev_b32_e32 v3, 3, v0
	s_delay_alu instid0(VALU_DEP_1)
	v_and_b32_e32 v3, 28, v3
	s_waitcnt lgkmcnt(0)
	ds_store_b32 v3, v1 offset:128
.LBB166_172:
	s_or_b32 exec_lo, exec_lo, s3
	s_delay_alu instid0(SALU_CYCLE_1)
	s_mov_b32 s3, exec_lo
	s_waitcnt lgkmcnt(0)
	s_barrier
	buffer_gl0_inv
	v_cmpx_gt_u32_e32 32, v0
	s_cbranch_execz .LBB166_174
; %bb.173:
	v_and_b32_e32 v1, 7, v2
	s_delay_alu instid0(VALU_DEP_1) | instskip(SKIP_4) | instid1(VALU_DEP_2)
	v_lshlrev_b32_e32 v3, 2, v1
	v_cmp_ne_u32_e32 vcc_lo, 7, v1
	ds_load_b32 v3, v3 offset:128
	v_add_co_ci_u32_e32 v4, vcc_lo, 0, v2, vcc_lo
	v_cmp_gt_u32_e32 vcc_lo, 6, v1
	v_lshlrev_b32_e32 v4, 2, v4
	v_cndmask_b32_e64 v5, 0, 1, vcc_lo
	v_cmp_gt_u32_e32 vcc_lo, 4, v1
	s_delay_alu instid0(VALU_DEP_2) | instskip(SKIP_1) | instid1(VALU_DEP_2)
	v_lshlrev_b32_e32 v5, 1, v5
	v_cndmask_b32_e64 v1, 0, 1, vcc_lo
	v_add_lshl_u32 v5, v5, v2, 2
	s_delay_alu instid0(VALU_DEP_2)
	v_lshlrev_b32_e32 v1, 2, v1
	s_waitcnt lgkmcnt(0)
	ds_bpermute_b32 v4, v4, v3
	v_add_lshl_u32 v1, v1, v2, 2
	s_waitcnt lgkmcnt(0)
	v_add_nc_u32_e32 v3, v4, v3
	ds_bpermute_b32 v4, v5, v3
	s_waitcnt lgkmcnt(0)
	v_add_nc_u32_e32 v3, v4, v3
	ds_bpermute_b32 v1, v1, v3
	s_waitcnt lgkmcnt(0)
	v_add_nc_u32_e32 v1, v1, v3
.LBB166_174:
	s_or_b32 exec_lo, exec_lo, s3
	s_mov_b32 s3, 0
	s_branch .LBB166_180
.LBB166_175:
                                        ; implicit-def: $vgpr1
	s_cbranch_execnz .LBB166_215
	s_branch .LBB166_224
.LBB166_176:
                                        ; implicit-def: $vgpr1
	s_cbranch_execz .LBB166_178
	s_branch .LBB166_195
.LBB166_177:
                                        ; implicit-def: $vgpr1
.LBB166_178:
	s_branch .LBB166_224
.LBB166_179:
	s_mov_b32 s3, -1
                                        ; implicit-def: $vgpr1
.LBB166_180:
	s_delay_alu instid0(SALU_CYCLE_1)
	s_and_b32 vcc_lo, exec_lo, s3
	s_cbranch_vccz .LBB166_194
; %bb.181:
	s_sub_i32 s6, s18, s2
	s_mov_b32 s2, exec_lo
                                        ; implicit-def: $vgpr1_vgpr2_vgpr3_vgpr4
	v_cmpx_gt_u32_e64 s6, v0
	s_cbranch_execz .LBB166_183
; %bb.182:
	v_lshlrev_b32_e32 v1, 2, v0
	global_load_b32 v1, v1, s[4:5]
.LBB166_183:
	s_or_b32 exec_lo, exec_lo, s2
	v_or_b32_e32 v5, 0x100, v0
	s_delay_alu instid0(VALU_DEP_1)
	v_cmp_gt_u32_e32 vcc_lo, s6, v5
	s_and_saveexec_b32 s2, vcc_lo
	s_cbranch_execz .LBB166_185
; %bb.184:
	v_lshlrev_b32_e32 v2, 2, v0
	global_load_b32 v2, v2, s[4:5] offset:1024
.LBB166_185:
	s_or_b32 exec_lo, exec_lo, s2
	v_or_b32_e32 v5, 0x200, v0
	s_delay_alu instid0(VALU_DEP_1) | instskip(NEXT) | instid1(VALU_DEP_1)
	v_cmp_gt_u32_e64 s2, s6, v5
	s_and_saveexec_b32 s3, s2
	s_cbranch_execz .LBB166_187
; %bb.186:
	v_lshlrev_b32_e32 v3, 2, v0
	global_load_b32 v3, v3, s[4:5] offset:2048
.LBB166_187:
	s_or_b32 exec_lo, exec_lo, s3
	v_or_b32_e32 v5, 0x300, v0
	s_delay_alu instid0(VALU_DEP_1) | instskip(NEXT) | instid1(VALU_DEP_1)
	v_cmp_gt_u32_e64 s3, s6, v5
	s_and_saveexec_b32 s7, s3
	s_cbranch_execz .LBB166_189
; %bb.188:
	v_lshlrev_b32_e32 v4, 2, v0
	global_load_b32 v4, v4, s[4:5] offset:3072
.LBB166_189:
	s_or_b32 exec_lo, exec_lo, s7
	s_waitcnt vmcnt(0)
	v_cndmask_b32_e32 v5, 0, v2, vcc_lo
	v_mbcnt_lo_u32_b32 v2, -1, 0
	v_cndmask_b32_e64 v3, 0, v3, s2
	v_cndmask_b32_e64 v4, 0, v4, s3
	s_min_u32 s2, s6, 0x100
	v_add_nc_u32_e32 v1, v5, v1
	v_cmp_ne_u32_e32 vcc_lo, 31, v2
	s_mov_b32 s3, exec_lo
	s_delay_alu instid0(VALU_DEP_2) | instskip(SKIP_3) | instid1(VALU_DEP_3)
	v_add3_u32 v1, v1, v3, v4
	v_and_b32_e32 v4, 0xe0, v0
	v_add_co_ci_u32_e32 v5, vcc_lo, 0, v2, vcc_lo
	v_cmp_gt_u32_e32 vcc_lo, 30, v2
	v_sub_nc_u32_e64 v4, s2, v4 clamp
	s_delay_alu instid0(VALU_DEP_3) | instskip(SKIP_4) | instid1(VALU_DEP_2)
	v_lshlrev_b32_e32 v3, 2, v5
	v_cndmask_b32_e64 v5, 0, 1, vcc_lo
	ds_bpermute_b32 v3, v3, v1
	v_add_nc_u32_e32 v6, 1, v2
	v_lshlrev_b32_e32 v5, 1, v5
	v_cmp_lt_u32_e32 vcc_lo, v6, v4
	s_delay_alu instid0(VALU_DEP_2) | instskip(SKIP_3) | instid1(VALU_DEP_2)
	v_add_lshl_u32 v5, v5, v2, 2
	s_waitcnt lgkmcnt(0)
	v_cndmask_b32_e32 v3, 0, v3, vcc_lo
	v_cmp_gt_u32_e32 vcc_lo, 28, v2
	v_add_nc_u32_e32 v1, v3, v1
	ds_bpermute_b32 v3, v5, v1
	v_add_nc_u32_e32 v6, 2, v2
	v_cndmask_b32_e64 v5, 0, 1, vcc_lo
	s_delay_alu instid0(VALU_DEP_2) | instskip(NEXT) | instid1(VALU_DEP_2)
	v_cmp_lt_u32_e32 vcc_lo, v6, v4
	v_lshlrev_b32_e32 v5, 2, v5
	s_delay_alu instid0(VALU_DEP_1) | instskip(SKIP_3) | instid1(VALU_DEP_2)
	v_add_lshl_u32 v5, v5, v2, 2
	s_waitcnt lgkmcnt(0)
	v_cndmask_b32_e32 v3, 0, v3, vcc_lo
	v_cmp_gt_u32_e32 vcc_lo, 24, v2
	v_add_nc_u32_e32 v1, v1, v3
	ds_bpermute_b32 v3, v5, v1
	v_add_nc_u32_e32 v6, 4, v2
	v_cndmask_b32_e64 v5, 0, 1, vcc_lo
	s_delay_alu instid0(VALU_DEP_2) | instskip(NEXT) | instid1(VALU_DEP_2)
	v_cmp_lt_u32_e32 vcc_lo, v6, v4
	v_lshlrev_b32_e32 v5, 3, v5
	s_delay_alu instid0(VALU_DEP_1) | instskip(SKIP_3) | instid1(VALU_DEP_2)
	v_add_lshl_u32 v5, v5, v2, 2
	s_waitcnt lgkmcnt(0)
	v_cndmask_b32_e32 v3, 0, v3, vcc_lo
	v_cmp_gt_u32_e32 vcc_lo, 16, v2
	v_add_nc_u32_e32 v1, v1, v3
	ds_bpermute_b32 v3, v5, v1
	v_add_nc_u32_e32 v6, 8, v2
	v_cndmask_b32_e64 v5, 0, 1, vcc_lo
	s_delay_alu instid0(VALU_DEP_2) | instskip(NEXT) | instid1(VALU_DEP_2)
	v_cmp_lt_u32_e32 vcc_lo, v6, v4
	v_lshlrev_b32_e32 v5, 4, v5
	s_delay_alu instid0(VALU_DEP_1) | instskip(SKIP_2) | instid1(VALU_DEP_1)
	v_add_lshl_u32 v5, v5, v2, 2
	s_waitcnt lgkmcnt(0)
	v_cndmask_b32_e32 v3, 0, v3, vcc_lo
	v_add_nc_u32_e32 v1, v1, v3
	ds_bpermute_b32 v3, v5, v1
	v_add_nc_u32_e32 v5, 16, v2
	s_delay_alu instid0(VALU_DEP_1) | instskip(SKIP_2) | instid1(VALU_DEP_1)
	v_cmp_lt_u32_e32 vcc_lo, v5, v4
	s_waitcnt lgkmcnt(0)
	v_cndmask_b32_e32 v3, 0, v3, vcc_lo
	v_add_nc_u32_e32 v1, v1, v3
	v_cmpx_eq_u32_e32 0, v2
	s_cbranch_execz .LBB166_191
; %bb.190:
	v_lshrrev_b32_e32 v3, 3, v0
	s_delay_alu instid0(VALU_DEP_1)
	v_and_b32_e32 v3, 28, v3
	ds_store_b32 v3, v1 offset:192
.LBB166_191:
	s_or_b32 exec_lo, exec_lo, s3
	s_delay_alu instid0(SALU_CYCLE_1)
	s_mov_b32 s3, exec_lo
	s_waitcnt lgkmcnt(0)
	s_barrier
	buffer_gl0_inv
	v_cmpx_gt_u32_e32 8, v0
	s_cbranch_execz .LBB166_193
; %bb.192:
	v_and_b32_e32 v3, 7, v2
	s_add_i32 s2, s2, 31
	s_delay_alu instid0(SALU_CYCLE_1) | instskip(NEXT) | instid1(VALU_DEP_1)
	s_lshr_b32 s2, s2, 5
	v_cmp_ne_u32_e32 vcc_lo, 7, v3
	v_add_nc_u32_e32 v6, 1, v3
	v_add_co_ci_u32_e32 v4, vcc_lo, 0, v2, vcc_lo
	v_cmp_gt_u32_e32 vcc_lo, 6, v3
	s_delay_alu instid0(VALU_DEP_2) | instskip(SKIP_3) | instid1(VALU_DEP_3)
	v_lshlrev_b32_e32 v4, 2, v4
	v_cndmask_b32_e64 v5, 0, 1, vcc_lo
	v_cmp_gt_u32_e32 vcc_lo, s2, v6
	v_lshlrev_b32_e32 v1, 2, v2
	v_lshlrev_b32_e32 v5, 1, v5
	ds_load_b32 v1, v1 offset:192
	v_add_lshl_u32 v5, v5, v2, 2
	s_waitcnt lgkmcnt(0)
	ds_bpermute_b32 v4, v4, v1
	s_waitcnt lgkmcnt(0)
	v_cndmask_b32_e32 v4, 0, v4, vcc_lo
	v_cmp_gt_u32_e32 vcc_lo, 4, v3
	s_delay_alu instid0(VALU_DEP_2) | instskip(SKIP_3) | instid1(VALU_DEP_1)
	v_add_nc_u32_e32 v1, v4, v1
	v_cndmask_b32_e64 v6, 0, 1, vcc_lo
	ds_bpermute_b32 v4, v5, v1
	v_add_nc_u32_e32 v5, 2, v3
	v_cmp_gt_u32_e32 vcc_lo, s2, v5
	v_lshlrev_b32_e32 v5, 2, v6
	s_delay_alu instid0(VALU_DEP_1) | instskip(SKIP_2) | instid1(VALU_DEP_1)
	v_add_lshl_u32 v2, v5, v2, 2
	s_waitcnt lgkmcnt(0)
	v_dual_cndmask_b32 v4, 0, v4 :: v_dual_add_nc_u32 v3, 4, v3
	v_add_nc_u32_e32 v1, v1, v4
	s_delay_alu instid0(VALU_DEP_2) | instskip(SKIP_3) | instid1(VALU_DEP_1)
	v_cmp_gt_u32_e32 vcc_lo, s2, v3
	ds_bpermute_b32 v2, v2, v1
	s_waitcnt lgkmcnt(0)
	v_cndmask_b32_e32 v2, 0, v2, vcc_lo
	v_add_nc_u32_e32 v1, v1, v2
.LBB166_193:
	s_or_b32 exec_lo, exec_lo, s3
.LBB166_194:
	v_cmp_eq_u32_e64 s2, 0, v0
	s_branch .LBB166_178
.LBB166_195:
	s_cmp_eq_u32 s24, 2
	s_cbranch_scc0 .LBB166_202
; %bb.196:
	s_mov_b32 s21, 0
	s_lshl_b32 s4, s20, 9
	s_mov_b32 s5, s21
	s_lshr_b64 s[6:7], s[18:19], 9
	s_lshl_b64 s[2:3], s[4:5], 2
	s_delay_alu instid0(SALU_CYCLE_1)
	s_add_u32 s2, s16, s2
	s_addc_u32 s3, s17, s3
	s_cmp_lg_u64 s[6:7], s[20:21]
	s_cbranch_scc0 .LBB166_203
; %bb.197:
	v_lshlrev_b32_e32 v1, 2, v0
	s_mov_b32 s5, exec_lo
	s_clause 0x1
	global_load_b32 v2, v1, s[2:3]
	global_load_b32 v1, v1, s[2:3] offset:1024
	s_waitcnt vmcnt(0)
	v_add_nc_u32_e32 v1, v1, v2
	s_delay_alu instid0(VALU_DEP_1) | instskip(NEXT) | instid1(VALU_DEP_1)
	v_mov_b32_dpp v2, v1 quad_perm:[1,0,3,2] row_mask:0xf bank_mask:0xf
	v_add_nc_u32_e32 v1, v2, v1
	s_delay_alu instid0(VALU_DEP_1) | instskip(NEXT) | instid1(VALU_DEP_1)
	v_mov_b32_dpp v2, v1 quad_perm:[2,3,0,1] row_mask:0xf bank_mask:0xf
	v_add_nc_u32_e32 v1, v1, v2
	s_delay_alu instid0(VALU_DEP_1) | instskip(NEXT) | instid1(VALU_DEP_1)
	v_mov_b32_dpp v2, v1 row_ror:4 row_mask:0xf bank_mask:0xf
	v_add_nc_u32_e32 v1, v1, v2
	s_delay_alu instid0(VALU_DEP_1) | instskip(NEXT) | instid1(VALU_DEP_1)
	v_mov_b32_dpp v2, v1 row_ror:8 row_mask:0xf bank_mask:0xf
	v_add_nc_u32_e32 v1, v1, v2
	ds_swizzle_b32 v2, v1 offset:swizzle(BROADCAST,32,15)
	s_waitcnt lgkmcnt(0)
	v_dual_mov_b32 v2, 0 :: v_dual_add_nc_u32 v1, v1, v2
	ds_bpermute_b32 v1, v2, v1 offset:124
	v_mbcnt_lo_u32_b32 v2, -1, 0
	s_delay_alu instid0(VALU_DEP_1)
	v_cmpx_eq_u32_e32 0, v2
	s_cbranch_execz .LBB166_199
; %bb.198:
	v_lshrrev_b32_e32 v3, 3, v0
	s_delay_alu instid0(VALU_DEP_1)
	v_and_b32_e32 v3, 28, v3
	s_waitcnt lgkmcnt(0)
	ds_store_b32 v3, v1 offset:64
.LBB166_199:
	s_or_b32 exec_lo, exec_lo, s5
	s_delay_alu instid0(SALU_CYCLE_1)
	s_mov_b32 s5, exec_lo
	s_waitcnt lgkmcnt(0)
	s_barrier
	buffer_gl0_inv
	v_cmpx_gt_u32_e32 32, v0
	s_cbranch_execz .LBB166_201
; %bb.200:
	v_and_b32_e32 v1, 7, v2
	s_delay_alu instid0(VALU_DEP_1) | instskip(SKIP_4) | instid1(VALU_DEP_2)
	v_lshlrev_b32_e32 v3, 2, v1
	v_cmp_ne_u32_e32 vcc_lo, 7, v1
	ds_load_b32 v3, v3 offset:64
	v_add_co_ci_u32_e32 v4, vcc_lo, 0, v2, vcc_lo
	v_cmp_gt_u32_e32 vcc_lo, 6, v1
	v_lshlrev_b32_e32 v4, 2, v4
	v_cndmask_b32_e64 v5, 0, 1, vcc_lo
	v_cmp_gt_u32_e32 vcc_lo, 4, v1
	s_delay_alu instid0(VALU_DEP_2) | instskip(SKIP_1) | instid1(VALU_DEP_2)
	v_lshlrev_b32_e32 v5, 1, v5
	v_cndmask_b32_e64 v1, 0, 1, vcc_lo
	v_add_lshl_u32 v5, v5, v2, 2
	s_delay_alu instid0(VALU_DEP_2)
	v_lshlrev_b32_e32 v1, 2, v1
	s_waitcnt lgkmcnt(0)
	ds_bpermute_b32 v4, v4, v3
	v_add_lshl_u32 v1, v1, v2, 2
	s_waitcnt lgkmcnt(0)
	v_add_nc_u32_e32 v3, v4, v3
	ds_bpermute_b32 v4, v5, v3
	s_waitcnt lgkmcnt(0)
	v_add_nc_u32_e32 v3, v4, v3
	ds_bpermute_b32 v1, v1, v3
	s_waitcnt lgkmcnt(0)
	v_add_nc_u32_e32 v1, v1, v3
.LBB166_201:
	s_or_b32 exec_lo, exec_lo, s5
	s_mov_b32 s5, 0
	s_branch .LBB166_204
.LBB166_202:
                                        ; implicit-def: $vgpr1
	s_branch .LBB166_224
.LBB166_203:
	s_mov_b32 s5, -1
                                        ; implicit-def: $vgpr1
.LBB166_204:
	s_delay_alu instid0(SALU_CYCLE_1)
	s_and_b32 vcc_lo, exec_lo, s5
	s_cbranch_vccz .LBB166_214
; %bb.205:
	s_sub_i32 s4, s18, s4
	s_mov_b32 s5, exec_lo
                                        ; implicit-def: $vgpr1_vgpr2
	v_cmpx_gt_u32_e64 s4, v0
	s_cbranch_execz .LBB166_207
; %bb.206:
	v_lshlrev_b32_e32 v1, 2, v0
	global_load_b32 v1, v1, s[2:3]
.LBB166_207:
	s_or_b32 exec_lo, exec_lo, s5
	v_or_b32_e32 v3, 0x100, v0
	s_delay_alu instid0(VALU_DEP_1)
	v_cmp_gt_u32_e32 vcc_lo, s4, v3
	s_and_saveexec_b32 s5, vcc_lo
	s_cbranch_execz .LBB166_209
; %bb.208:
	v_lshlrev_b32_e32 v2, 2, v0
	global_load_b32 v2, v2, s[2:3] offset:1024
.LBB166_209:
	s_or_b32 exec_lo, exec_lo, s5
	v_mbcnt_lo_u32_b32 v3, -1, 0
	s_waitcnt vmcnt(0)
	v_cndmask_b32_e32 v2, 0, v2, vcc_lo
	s_min_u32 s2, s4, 0x100
	s_mov_b32 s3, exec_lo
	v_cmp_ne_u32_e32 vcc_lo, 31, v3
	v_add_nc_u32_e32 v6, 1, v3
	v_add_co_ci_u32_e32 v4, vcc_lo, 0, v3, vcc_lo
	v_cmp_gt_u32_e32 vcc_lo, 30, v3
	v_cndmask_b32_e64 v5, 0, 1, vcc_lo
	s_delay_alu instid0(VALU_DEP_1) | instskip(SKIP_3) | instid1(VALU_DEP_4)
	v_lshlrev_b32_e32 v5, 1, v5
	v_add_nc_u32_e32 v1, v2, v1
	v_lshlrev_b32_e32 v2, 2, v4
	v_and_b32_e32 v4, 0xe0, v0
	v_add_lshl_u32 v5, v5, v3, 2
	ds_bpermute_b32 v2, v2, v1
	v_sub_nc_u32_e64 v4, s2, v4 clamp
	s_delay_alu instid0(VALU_DEP_1) | instskip(SKIP_4) | instid1(VALU_DEP_2)
	v_cmp_lt_u32_e32 vcc_lo, v6, v4
	v_add_nc_u32_e32 v6, 2, v3
	s_waitcnt lgkmcnt(0)
	v_cndmask_b32_e32 v2, 0, v2, vcc_lo
	v_cmp_gt_u32_e32 vcc_lo, 28, v3
	v_add_nc_u32_e32 v1, v2, v1
	ds_bpermute_b32 v2, v5, v1
	v_cndmask_b32_e64 v5, 0, 1, vcc_lo
	v_cmp_lt_u32_e32 vcc_lo, v6, v4
	v_add_nc_u32_e32 v6, 4, v3
	s_delay_alu instid0(VALU_DEP_3) | instskip(NEXT) | instid1(VALU_DEP_1)
	v_lshlrev_b32_e32 v5, 2, v5
	v_add_lshl_u32 v5, v5, v3, 2
	s_waitcnt lgkmcnt(0)
	v_cndmask_b32_e32 v2, 0, v2, vcc_lo
	v_cmp_gt_u32_e32 vcc_lo, 24, v3
	s_delay_alu instid0(VALU_DEP_2) | instskip(SKIP_4) | instid1(VALU_DEP_3)
	v_add_nc_u32_e32 v1, v1, v2
	ds_bpermute_b32 v2, v5, v1
	v_cndmask_b32_e64 v5, 0, 1, vcc_lo
	v_cmp_lt_u32_e32 vcc_lo, v6, v4
	v_add_nc_u32_e32 v6, 8, v3
	v_lshlrev_b32_e32 v5, 3, v5
	s_delay_alu instid0(VALU_DEP_1) | instskip(SKIP_3) | instid1(VALU_DEP_2)
	v_add_lshl_u32 v5, v5, v3, 2
	s_waitcnt lgkmcnt(0)
	v_cndmask_b32_e32 v2, 0, v2, vcc_lo
	v_cmp_gt_u32_e32 vcc_lo, 16, v3
	v_add_nc_u32_e32 v1, v1, v2
	ds_bpermute_b32 v2, v5, v1
	v_cndmask_b32_e64 v5, 0, 1, vcc_lo
	v_cmp_lt_u32_e32 vcc_lo, v6, v4
	s_delay_alu instid0(VALU_DEP_2) | instskip(NEXT) | instid1(VALU_DEP_1)
	v_lshlrev_b32_e32 v5, 4, v5
	v_add_lshl_u32 v5, v5, v3, 2
	s_waitcnt lgkmcnt(0)
	v_cndmask_b32_e32 v2, 0, v2, vcc_lo
	s_delay_alu instid0(VALU_DEP_1) | instskip(SKIP_2) | instid1(VALU_DEP_1)
	v_add_nc_u32_e32 v1, v1, v2
	ds_bpermute_b32 v2, v5, v1
	v_add_nc_u32_e32 v5, 16, v3
	v_cmp_lt_u32_e32 vcc_lo, v5, v4
	s_waitcnt lgkmcnt(0)
	v_cndmask_b32_e32 v2, 0, v2, vcc_lo
	s_delay_alu instid0(VALU_DEP_1)
	v_add_nc_u32_e32 v1, v1, v2
	v_cmpx_eq_u32_e32 0, v3
	s_cbranch_execz .LBB166_211
; %bb.210:
	v_lshrrev_b32_e32 v2, 3, v0
	s_delay_alu instid0(VALU_DEP_1)
	v_and_b32_e32 v2, 28, v2
	ds_store_b32 v2, v1 offset:192
.LBB166_211:
	s_or_b32 exec_lo, exec_lo, s3
	s_delay_alu instid0(SALU_CYCLE_1)
	s_mov_b32 s3, exec_lo
	s_waitcnt lgkmcnt(0)
	s_barrier
	buffer_gl0_inv
	v_cmpx_gt_u32_e32 8, v0
	s_cbranch_execz .LBB166_213
; %bb.212:
	v_and_b32_e32 v2, 7, v3
	s_add_i32 s2, s2, 31
	s_delay_alu instid0(SALU_CYCLE_1) | instskip(NEXT) | instid1(VALU_DEP_1)
	s_lshr_b32 s2, s2, 5
	v_cmp_ne_u32_e32 vcc_lo, 7, v2
	v_add_nc_u32_e32 v6, 1, v2
	v_add_co_ci_u32_e32 v4, vcc_lo, 0, v3, vcc_lo
	v_cmp_gt_u32_e32 vcc_lo, 6, v2
	s_delay_alu instid0(VALU_DEP_2) | instskip(SKIP_3) | instid1(VALU_DEP_3)
	v_lshlrev_b32_e32 v4, 2, v4
	v_cndmask_b32_e64 v5, 0, 1, vcc_lo
	v_cmp_gt_u32_e32 vcc_lo, s2, v6
	v_lshlrev_b32_e32 v1, 2, v3
	v_lshlrev_b32_e32 v5, 1, v5
	ds_load_b32 v1, v1 offset:192
	v_add_lshl_u32 v5, v5, v3, 2
	s_waitcnt lgkmcnt(0)
	ds_bpermute_b32 v4, v4, v1
	s_waitcnt lgkmcnt(0)
	v_cndmask_b32_e32 v4, 0, v4, vcc_lo
	v_cmp_gt_u32_e32 vcc_lo, 4, v2
	s_delay_alu instid0(VALU_DEP_2) | instskip(SKIP_4) | instid1(VALU_DEP_2)
	v_add_nc_u32_e32 v1, v4, v1
	v_cndmask_b32_e64 v6, 0, 1, vcc_lo
	ds_bpermute_b32 v4, v5, v1
	v_add_nc_u32_e32 v5, 2, v2
	v_add_nc_u32_e32 v2, 4, v2
	v_cmp_gt_u32_e32 vcc_lo, s2, v5
	v_lshlrev_b32_e32 v5, 2, v6
	s_delay_alu instid0(VALU_DEP_1) | instskip(SKIP_3) | instid1(VALU_DEP_2)
	v_add_lshl_u32 v3, v5, v3, 2
	s_waitcnt lgkmcnt(0)
	v_cndmask_b32_e32 v4, 0, v4, vcc_lo
	v_cmp_gt_u32_e32 vcc_lo, s2, v2
	v_add_nc_u32_e32 v1, v1, v4
	ds_bpermute_b32 v3, v3, v1
	s_waitcnt lgkmcnt(0)
	v_cndmask_b32_e32 v2, 0, v3, vcc_lo
	s_delay_alu instid0(VALU_DEP_1)
	v_add_nc_u32_e32 v1, v1, v2
.LBB166_213:
	s_or_b32 exec_lo, exec_lo, s3
.LBB166_214:
	v_cmp_eq_u32_e64 s2, 0, v0
	s_branch .LBB166_224
.LBB166_215:
	s_cmp_eq_u32 s24, 1
	s_cbranch_scc0 .LBB166_223
; %bb.216:
	s_mov_b32 s3, 0
	v_mbcnt_lo_u32_b32 v2, -1, 0
	s_lshr_b64 s[4:5], s[18:19], 8
	s_mov_b32 s21, s3
	s_lshl_b32 s2, s20, 8
	s_cmp_lg_u64 s[4:5], s[20:21]
	s_cbranch_scc0 .LBB166_227
; %bb.217:
	s_lshl_b64 s[4:5], s[2:3], 2
	v_lshlrev_b32_e32 v1, 2, v0
	s_add_u32 s4, s16, s4
	s_addc_u32 s5, s17, s5
	global_load_b32 v1, v1, s[4:5]
	s_mov_b32 s4, exec_lo
	s_waitcnt vmcnt(0)
	v_mov_b32_dpp v3, v1 quad_perm:[1,0,3,2] row_mask:0xf bank_mask:0xf
	s_delay_alu instid0(VALU_DEP_1) | instskip(NEXT) | instid1(VALU_DEP_1)
	v_add_nc_u32_e32 v1, v3, v1
	v_mov_b32_dpp v3, v1 quad_perm:[2,3,0,1] row_mask:0xf bank_mask:0xf
	s_delay_alu instid0(VALU_DEP_1) | instskip(NEXT) | instid1(VALU_DEP_1)
	v_add_nc_u32_e32 v1, v1, v3
	v_mov_b32_dpp v3, v1 row_ror:4 row_mask:0xf bank_mask:0xf
	s_delay_alu instid0(VALU_DEP_1) | instskip(NEXT) | instid1(VALU_DEP_1)
	v_add_nc_u32_e32 v1, v1, v3
	v_mov_b32_dpp v3, v1 row_ror:8 row_mask:0xf bank_mask:0xf
	s_delay_alu instid0(VALU_DEP_1)
	v_add_nc_u32_e32 v1, v1, v3
	ds_swizzle_b32 v3, v1 offset:swizzle(BROADCAST,32,15)
	s_waitcnt lgkmcnt(0)
	v_add_nc_u32_e32 v1, v1, v3
	v_mov_b32_e32 v3, 0
	ds_bpermute_b32 v1, v3, v1 offset:124
	v_cmpx_eq_u32_e32 0, v2
	s_cbranch_execz .LBB166_219
; %bb.218:
	v_lshrrev_b32_e32 v3, 3, v0
	s_delay_alu instid0(VALU_DEP_1)
	v_and_b32_e32 v3, 28, v3
	s_waitcnt lgkmcnt(0)
	ds_store_b32 v3, v1 offset:32
.LBB166_219:
	s_or_b32 exec_lo, exec_lo, s4
	s_delay_alu instid0(SALU_CYCLE_1)
	s_mov_b32 s4, exec_lo
	s_waitcnt lgkmcnt(0)
	s_barrier
	buffer_gl0_inv
	v_cmpx_gt_u32_e32 32, v0
	s_cbranch_execz .LBB166_221
; %bb.220:
	v_and_b32_e32 v1, 7, v2
	s_delay_alu instid0(VALU_DEP_1) | instskip(SKIP_4) | instid1(VALU_DEP_2)
	v_lshlrev_b32_e32 v3, 2, v1
	v_cmp_ne_u32_e32 vcc_lo, 7, v1
	ds_load_b32 v3, v3 offset:32
	v_add_co_ci_u32_e32 v4, vcc_lo, 0, v2, vcc_lo
	v_cmp_gt_u32_e32 vcc_lo, 6, v1
	v_lshlrev_b32_e32 v4, 2, v4
	v_cndmask_b32_e64 v5, 0, 1, vcc_lo
	v_cmp_gt_u32_e32 vcc_lo, 4, v1
	s_delay_alu instid0(VALU_DEP_2) | instskip(SKIP_1) | instid1(VALU_DEP_2)
	v_lshlrev_b32_e32 v5, 1, v5
	v_cndmask_b32_e64 v1, 0, 1, vcc_lo
	v_add_lshl_u32 v5, v5, v2, 2
	s_delay_alu instid0(VALU_DEP_2)
	v_lshlrev_b32_e32 v1, 2, v1
	s_waitcnt lgkmcnt(0)
	ds_bpermute_b32 v4, v4, v3
	v_add_lshl_u32 v1, v1, v2, 2
	s_waitcnt lgkmcnt(0)
	v_add_nc_u32_e32 v3, v4, v3
	ds_bpermute_b32 v4, v5, v3
	s_waitcnt lgkmcnt(0)
	v_add_nc_u32_e32 v3, v4, v3
	ds_bpermute_b32 v1, v1, v3
	s_waitcnt lgkmcnt(0)
	v_add_nc_u32_e32 v1, v1, v3
.LBB166_221:
	s_or_b32 exec_lo, exec_lo, s4
.LBB166_222:
	v_cmp_eq_u32_e64 s2, 0, v0
	s_delay_alu instid0(VALU_DEP_1)
	s_and_saveexec_b32 s3, s2
	s_cbranch_execnz .LBB166_225
	s_branch .LBB166_226
.LBB166_223:
                                        ; implicit-def: $vgpr1
                                        ; implicit-def: $sgpr20_sgpr21
.LBB166_224:
	s_delay_alu instid0(VALU_DEP_1)
	s_and_saveexec_b32 s3, s2
	s_cbranch_execz .LBB166_226
.LBB166_225:
	s_clause 0x1
	s_load_b64 s[2:3], s[0:1], 0x18
	s_load_b32 s4, s[0:1], 0x20
	s_lshl_b64 s[0:1], s[20:21], 2
	s_waitcnt lgkmcnt(0)
	s_add_u32 s0, s2, s0
	s_addc_u32 s1, s3, s1
	s_cmp_lg_u64 s[18:19], 0
	s_cselect_b32 vcc_lo, -1, 0
	v_dual_cndmask_b32 v0, 0, v1 :: v_dual_mov_b32 v1, 0
	s_delay_alu instid0(VALU_DEP_1)
	v_add_nc_u32_e32 v0, s4, v0
	global_store_b32 v1, v0, s[0:1]
.LBB166_226:
	s_nop 0
	s_sendmsg sendmsg(MSG_DEALLOC_VGPRS)
	s_endpgm
.LBB166_227:
                                        ; implicit-def: $vgpr1
	s_cbranch_execz .LBB166_222
; %bb.228:
	s_sub_i32 s4, s18, s2
	s_mov_b32 s5, exec_lo
                                        ; implicit-def: $vgpr1
	v_cmpx_gt_u32_e64 s4, v0
	s_cbranch_execz .LBB166_230
; %bb.229:
	s_lshl_b64 s[2:3], s[2:3], 2
	v_lshlrev_b32_e32 v1, 2, v0
	s_add_u32 s2, s16, s2
	s_addc_u32 s3, s17, s3
	global_load_b32 v1, v1, s[2:3]
.LBB166_230:
	s_or_b32 exec_lo, exec_lo, s5
	v_cmp_ne_u32_e32 vcc_lo, 31, v2
	s_min_u32 s2, s4, 0x100
	v_add_nc_u32_e32 v5, 1, v2
	s_mov_b32 s3, exec_lo
	v_add_co_ci_u32_e32 v3, vcc_lo, 0, v2, vcc_lo
	v_cmp_gt_u32_e32 vcc_lo, 30, v2
	s_delay_alu instid0(VALU_DEP_2)
	v_lshlrev_b32_e32 v3, 2, v3
	v_cndmask_b32_e64 v6, 0, 1, vcc_lo
	s_waitcnt vmcnt(0)
	ds_bpermute_b32 v3, v3, v1
	v_and_b32_e32 v4, 0xe0, v0
	v_lshlrev_b32_e32 v6, 1, v6
	s_delay_alu instid0(VALU_DEP_2) | instskip(NEXT) | instid1(VALU_DEP_1)
	v_sub_nc_u32_e64 v4, s2, v4 clamp
	v_cmp_lt_u32_e32 vcc_lo, v5, v4
	s_delay_alu instid0(VALU_DEP_3) | instskip(SKIP_3) | instid1(VALU_DEP_2)
	v_add_lshl_u32 v5, v6, v2, 2
	s_waitcnt lgkmcnt(0)
	v_dual_cndmask_b32 v3, 0, v3 :: v_dual_add_nc_u32 v6, 2, v2
	v_cmp_gt_u32_e32 vcc_lo, 28, v2
	v_add_nc_u32_e32 v1, v3, v1
	ds_bpermute_b32 v3, v5, v1
	v_cndmask_b32_e64 v5, 0, 1, vcc_lo
	v_cmp_lt_u32_e32 vcc_lo, v6, v4
	v_add_nc_u32_e32 v6, 4, v2
	s_delay_alu instid0(VALU_DEP_3) | instskip(NEXT) | instid1(VALU_DEP_1)
	v_lshlrev_b32_e32 v5, 2, v5
	v_add_lshl_u32 v5, v5, v2, 2
	s_waitcnt lgkmcnt(0)
	v_cndmask_b32_e32 v3, 0, v3, vcc_lo
	v_cmp_gt_u32_e32 vcc_lo, 24, v2
	s_delay_alu instid0(VALU_DEP_2) | instskip(SKIP_4) | instid1(VALU_DEP_3)
	v_add_nc_u32_e32 v1, v1, v3
	ds_bpermute_b32 v3, v5, v1
	v_cndmask_b32_e64 v5, 0, 1, vcc_lo
	v_cmp_lt_u32_e32 vcc_lo, v6, v4
	v_add_nc_u32_e32 v6, 8, v2
	v_lshlrev_b32_e32 v5, 3, v5
	s_delay_alu instid0(VALU_DEP_1) | instskip(SKIP_3) | instid1(VALU_DEP_2)
	v_add_lshl_u32 v5, v5, v2, 2
	s_waitcnt lgkmcnt(0)
	v_cndmask_b32_e32 v3, 0, v3, vcc_lo
	v_cmp_gt_u32_e32 vcc_lo, 16, v2
	v_add_nc_u32_e32 v1, v1, v3
	ds_bpermute_b32 v3, v5, v1
	v_cndmask_b32_e64 v5, 0, 1, vcc_lo
	v_cmp_lt_u32_e32 vcc_lo, v6, v4
	s_delay_alu instid0(VALU_DEP_2) | instskip(NEXT) | instid1(VALU_DEP_1)
	v_lshlrev_b32_e32 v5, 4, v5
	v_add_lshl_u32 v5, v5, v2, 2
	s_waitcnt lgkmcnt(0)
	v_cndmask_b32_e32 v3, 0, v3, vcc_lo
	s_delay_alu instid0(VALU_DEP_1) | instskip(SKIP_2) | instid1(VALU_DEP_1)
	v_add_nc_u32_e32 v1, v1, v3
	ds_bpermute_b32 v3, v5, v1
	v_add_nc_u32_e32 v5, 16, v2
	v_cmp_lt_u32_e32 vcc_lo, v5, v4
	s_waitcnt lgkmcnt(0)
	v_cndmask_b32_e32 v3, 0, v3, vcc_lo
	s_delay_alu instid0(VALU_DEP_1)
	v_add_nc_u32_e32 v1, v1, v3
	v_cmpx_eq_u32_e32 0, v2
	s_cbranch_execz .LBB166_232
; %bb.231:
	v_lshrrev_b32_e32 v3, 3, v0
	s_delay_alu instid0(VALU_DEP_1)
	v_and_b32_e32 v3, 28, v3
	ds_store_b32 v3, v1 offset:192
.LBB166_232:
	s_or_b32 exec_lo, exec_lo, s3
	s_delay_alu instid0(SALU_CYCLE_1)
	s_mov_b32 s3, exec_lo
	s_waitcnt lgkmcnt(0)
	s_barrier
	buffer_gl0_inv
	v_cmpx_gt_u32_e32 8, v0
	s_cbranch_execz .LBB166_234
; %bb.233:
	v_and_b32_e32 v3, 7, v2
	s_add_i32 s2, s2, 31
	s_delay_alu instid0(SALU_CYCLE_1) | instskip(NEXT) | instid1(VALU_DEP_1)
	s_lshr_b32 s2, s2, 5
	v_cmp_ne_u32_e32 vcc_lo, 7, v3
	v_add_nc_u32_e32 v6, 1, v3
	v_add_co_ci_u32_e32 v4, vcc_lo, 0, v2, vcc_lo
	v_cmp_gt_u32_e32 vcc_lo, 6, v3
	s_delay_alu instid0(VALU_DEP_2) | instskip(SKIP_3) | instid1(VALU_DEP_3)
	v_lshlrev_b32_e32 v4, 2, v4
	v_cndmask_b32_e64 v5, 0, 1, vcc_lo
	v_cmp_gt_u32_e32 vcc_lo, s2, v6
	v_lshlrev_b32_e32 v1, 2, v2
	v_lshlrev_b32_e32 v5, 1, v5
	ds_load_b32 v1, v1 offset:192
	v_add_lshl_u32 v5, v5, v2, 2
	s_waitcnt lgkmcnt(0)
	ds_bpermute_b32 v4, v4, v1
	s_waitcnt lgkmcnt(0)
	v_cndmask_b32_e32 v4, 0, v4, vcc_lo
	v_cmp_gt_u32_e32 vcc_lo, 4, v3
	s_delay_alu instid0(VALU_DEP_2) | instskip(SKIP_3) | instid1(VALU_DEP_1)
	v_add_nc_u32_e32 v1, v4, v1
	v_cndmask_b32_e64 v6, 0, 1, vcc_lo
	ds_bpermute_b32 v4, v5, v1
	v_add_nc_u32_e32 v5, 2, v3
	v_cmp_gt_u32_e32 vcc_lo, s2, v5
	v_lshlrev_b32_e32 v5, 2, v6
	s_delay_alu instid0(VALU_DEP_1) | instskip(SKIP_2) | instid1(VALU_DEP_1)
	v_add_lshl_u32 v2, v5, v2, 2
	s_waitcnt lgkmcnt(0)
	v_dual_cndmask_b32 v4, 0, v4 :: v_dual_add_nc_u32 v3, 4, v3
	v_add_nc_u32_e32 v1, v1, v4
	s_delay_alu instid0(VALU_DEP_2) | instskip(SKIP_3) | instid1(VALU_DEP_1)
	v_cmp_gt_u32_e32 vcc_lo, s2, v3
	ds_bpermute_b32 v2, v2, v1
	s_waitcnt lgkmcnt(0)
	v_cndmask_b32_e32 v2, 0, v2, vcc_lo
	v_add_nc_u32_e32 v1, v1, v2
.LBB166_234:
	s_or_b32 exec_lo, exec_lo, s3
	v_cmp_eq_u32_e64 s2, 0, v0
	s_delay_alu instid0(VALU_DEP_1)
	s_and_saveexec_b32 s3, s2
	s_cbranch_execnz .LBB166_225
	s_branch .LBB166_226
	.section	.rodata,"a",@progbits
	.p2align	6, 0x0
	.amdhsa_kernel _ZN7rocprim17ROCPRIM_400000_NS6detail17trampoline_kernelINS0_14default_configENS1_22reduce_config_selectorIiEEZNS1_11reduce_implILb1ES3_PiS7_iN6hipcub16HIPCUB_304000_NS6detail34convert_binary_result_type_wrapperINS9_3SumENS9_22TransformInputIteratorIbN2at6native12_GLOBAL__N_19NonZeroOpIiEEPKilEEiEEEE10hipError_tPvRmT1_T2_T3_mT4_P12ihipStream_tbEUlT_E1_NS1_11comp_targetILNS1_3genE9ELNS1_11target_archE1100ELNS1_3gpuE3ELNS1_3repE0EEENS1_30default_config_static_selectorELNS0_4arch9wavefront6targetE0EEEvSQ_
		.amdhsa_group_segment_fixed_size 224
		.amdhsa_private_segment_fixed_size 0
		.amdhsa_kernarg_size 40
		.amdhsa_user_sgpr_count 15
		.amdhsa_user_sgpr_dispatch_ptr 0
		.amdhsa_user_sgpr_queue_ptr 0
		.amdhsa_user_sgpr_kernarg_segment_ptr 1
		.amdhsa_user_sgpr_dispatch_id 0
		.amdhsa_user_sgpr_private_segment_size 0
		.amdhsa_wavefront_size32 1
		.amdhsa_uses_dynamic_stack 0
		.amdhsa_enable_private_segment 0
		.amdhsa_system_sgpr_workgroup_id_x 1
		.amdhsa_system_sgpr_workgroup_id_y 0
		.amdhsa_system_sgpr_workgroup_id_z 0
		.amdhsa_system_sgpr_workgroup_info 0
		.amdhsa_system_vgpr_workitem_id 0
		.amdhsa_next_free_vgpr 34
		.amdhsa_next_free_sgpr 27
		.amdhsa_reserve_vcc 1
		.amdhsa_float_round_mode_32 0
		.amdhsa_float_round_mode_16_64 0
		.amdhsa_float_denorm_mode_32 3
		.amdhsa_float_denorm_mode_16_64 3
		.amdhsa_dx10_clamp 1
		.amdhsa_ieee_mode 1
		.amdhsa_fp16_overflow 0
		.amdhsa_workgroup_processor_mode 1
		.amdhsa_memory_ordered 1
		.amdhsa_forward_progress 0
		.amdhsa_shared_vgpr_count 0
		.amdhsa_exception_fp_ieee_invalid_op 0
		.amdhsa_exception_fp_denorm_src 0
		.amdhsa_exception_fp_ieee_div_zero 0
		.amdhsa_exception_fp_ieee_overflow 0
		.amdhsa_exception_fp_ieee_underflow 0
		.amdhsa_exception_fp_ieee_inexact 0
		.amdhsa_exception_int_div_zero 0
	.end_amdhsa_kernel
	.section	.text._ZN7rocprim17ROCPRIM_400000_NS6detail17trampoline_kernelINS0_14default_configENS1_22reduce_config_selectorIiEEZNS1_11reduce_implILb1ES3_PiS7_iN6hipcub16HIPCUB_304000_NS6detail34convert_binary_result_type_wrapperINS9_3SumENS9_22TransformInputIteratorIbN2at6native12_GLOBAL__N_19NonZeroOpIiEEPKilEEiEEEE10hipError_tPvRmT1_T2_T3_mT4_P12ihipStream_tbEUlT_E1_NS1_11comp_targetILNS1_3genE9ELNS1_11target_archE1100ELNS1_3gpuE3ELNS1_3repE0EEENS1_30default_config_static_selectorELNS0_4arch9wavefront6targetE0EEEvSQ_,"axG",@progbits,_ZN7rocprim17ROCPRIM_400000_NS6detail17trampoline_kernelINS0_14default_configENS1_22reduce_config_selectorIiEEZNS1_11reduce_implILb1ES3_PiS7_iN6hipcub16HIPCUB_304000_NS6detail34convert_binary_result_type_wrapperINS9_3SumENS9_22TransformInputIteratorIbN2at6native12_GLOBAL__N_19NonZeroOpIiEEPKilEEiEEEE10hipError_tPvRmT1_T2_T3_mT4_P12ihipStream_tbEUlT_E1_NS1_11comp_targetILNS1_3genE9ELNS1_11target_archE1100ELNS1_3gpuE3ELNS1_3repE0EEENS1_30default_config_static_selectorELNS0_4arch9wavefront6targetE0EEEvSQ_,comdat
.Lfunc_end166:
	.size	_ZN7rocprim17ROCPRIM_400000_NS6detail17trampoline_kernelINS0_14default_configENS1_22reduce_config_selectorIiEEZNS1_11reduce_implILb1ES3_PiS7_iN6hipcub16HIPCUB_304000_NS6detail34convert_binary_result_type_wrapperINS9_3SumENS9_22TransformInputIteratorIbN2at6native12_GLOBAL__N_19NonZeroOpIiEEPKilEEiEEEE10hipError_tPvRmT1_T2_T3_mT4_P12ihipStream_tbEUlT_E1_NS1_11comp_targetILNS1_3genE9ELNS1_11target_archE1100ELNS1_3gpuE3ELNS1_3repE0EEENS1_30default_config_static_selectorELNS0_4arch9wavefront6targetE0EEEvSQ_, .Lfunc_end166-_ZN7rocprim17ROCPRIM_400000_NS6detail17trampoline_kernelINS0_14default_configENS1_22reduce_config_selectorIiEEZNS1_11reduce_implILb1ES3_PiS7_iN6hipcub16HIPCUB_304000_NS6detail34convert_binary_result_type_wrapperINS9_3SumENS9_22TransformInputIteratorIbN2at6native12_GLOBAL__N_19NonZeroOpIiEEPKilEEiEEEE10hipError_tPvRmT1_T2_T3_mT4_P12ihipStream_tbEUlT_E1_NS1_11comp_targetILNS1_3genE9ELNS1_11target_archE1100ELNS1_3gpuE3ELNS1_3repE0EEENS1_30default_config_static_selectorELNS0_4arch9wavefront6targetE0EEEvSQ_
                                        ; -- End function
	.section	.AMDGPU.csdata,"",@progbits
; Kernel info:
; codeLenInByte = 10768
; NumSgprs: 29
; NumVgprs: 34
; ScratchSize: 0
; MemoryBound: 0
; FloatMode: 240
; IeeeMode: 1
; LDSByteSize: 224 bytes/workgroup (compile time only)
; SGPRBlocks: 3
; VGPRBlocks: 4
; NumSGPRsForWavesPerEU: 29
; NumVGPRsForWavesPerEU: 34
; Occupancy: 16
; WaveLimiterHint : 1
; COMPUTE_PGM_RSRC2:SCRATCH_EN: 0
; COMPUTE_PGM_RSRC2:USER_SGPR: 15
; COMPUTE_PGM_RSRC2:TRAP_HANDLER: 0
; COMPUTE_PGM_RSRC2:TGID_X_EN: 1
; COMPUTE_PGM_RSRC2:TGID_Y_EN: 0
; COMPUTE_PGM_RSRC2:TGID_Z_EN: 0
; COMPUTE_PGM_RSRC2:TIDIG_COMP_CNT: 0
	.section	.text._ZN7rocprim17ROCPRIM_400000_NS6detail17trampoline_kernelINS0_14default_configENS1_22reduce_config_selectorIiEEZNS1_11reduce_implILb1ES3_PiS7_iN6hipcub16HIPCUB_304000_NS6detail34convert_binary_result_type_wrapperINS9_3SumENS9_22TransformInputIteratorIbN2at6native12_GLOBAL__N_19NonZeroOpIiEEPKilEEiEEEE10hipError_tPvRmT1_T2_T3_mT4_P12ihipStream_tbEUlT_E1_NS1_11comp_targetILNS1_3genE8ELNS1_11target_archE1030ELNS1_3gpuE2ELNS1_3repE0EEENS1_30default_config_static_selectorELNS0_4arch9wavefront6targetE0EEEvSQ_,"axG",@progbits,_ZN7rocprim17ROCPRIM_400000_NS6detail17trampoline_kernelINS0_14default_configENS1_22reduce_config_selectorIiEEZNS1_11reduce_implILb1ES3_PiS7_iN6hipcub16HIPCUB_304000_NS6detail34convert_binary_result_type_wrapperINS9_3SumENS9_22TransformInputIteratorIbN2at6native12_GLOBAL__N_19NonZeroOpIiEEPKilEEiEEEE10hipError_tPvRmT1_T2_T3_mT4_P12ihipStream_tbEUlT_E1_NS1_11comp_targetILNS1_3genE8ELNS1_11target_archE1030ELNS1_3gpuE2ELNS1_3repE0EEENS1_30default_config_static_selectorELNS0_4arch9wavefront6targetE0EEEvSQ_,comdat
	.globl	_ZN7rocprim17ROCPRIM_400000_NS6detail17trampoline_kernelINS0_14default_configENS1_22reduce_config_selectorIiEEZNS1_11reduce_implILb1ES3_PiS7_iN6hipcub16HIPCUB_304000_NS6detail34convert_binary_result_type_wrapperINS9_3SumENS9_22TransformInputIteratorIbN2at6native12_GLOBAL__N_19NonZeroOpIiEEPKilEEiEEEE10hipError_tPvRmT1_T2_T3_mT4_P12ihipStream_tbEUlT_E1_NS1_11comp_targetILNS1_3genE8ELNS1_11target_archE1030ELNS1_3gpuE2ELNS1_3repE0EEENS1_30default_config_static_selectorELNS0_4arch9wavefront6targetE0EEEvSQ_ ; -- Begin function _ZN7rocprim17ROCPRIM_400000_NS6detail17trampoline_kernelINS0_14default_configENS1_22reduce_config_selectorIiEEZNS1_11reduce_implILb1ES3_PiS7_iN6hipcub16HIPCUB_304000_NS6detail34convert_binary_result_type_wrapperINS9_3SumENS9_22TransformInputIteratorIbN2at6native12_GLOBAL__N_19NonZeroOpIiEEPKilEEiEEEE10hipError_tPvRmT1_T2_T3_mT4_P12ihipStream_tbEUlT_E1_NS1_11comp_targetILNS1_3genE8ELNS1_11target_archE1030ELNS1_3gpuE2ELNS1_3repE0EEENS1_30default_config_static_selectorELNS0_4arch9wavefront6targetE0EEEvSQ_
	.p2align	8
	.type	_ZN7rocprim17ROCPRIM_400000_NS6detail17trampoline_kernelINS0_14default_configENS1_22reduce_config_selectorIiEEZNS1_11reduce_implILb1ES3_PiS7_iN6hipcub16HIPCUB_304000_NS6detail34convert_binary_result_type_wrapperINS9_3SumENS9_22TransformInputIteratorIbN2at6native12_GLOBAL__N_19NonZeroOpIiEEPKilEEiEEEE10hipError_tPvRmT1_T2_T3_mT4_P12ihipStream_tbEUlT_E1_NS1_11comp_targetILNS1_3genE8ELNS1_11target_archE1030ELNS1_3gpuE2ELNS1_3repE0EEENS1_30default_config_static_selectorELNS0_4arch9wavefront6targetE0EEEvSQ_,@function
_ZN7rocprim17ROCPRIM_400000_NS6detail17trampoline_kernelINS0_14default_configENS1_22reduce_config_selectorIiEEZNS1_11reduce_implILb1ES3_PiS7_iN6hipcub16HIPCUB_304000_NS6detail34convert_binary_result_type_wrapperINS9_3SumENS9_22TransformInputIteratorIbN2at6native12_GLOBAL__N_19NonZeroOpIiEEPKilEEiEEEE10hipError_tPvRmT1_T2_T3_mT4_P12ihipStream_tbEUlT_E1_NS1_11comp_targetILNS1_3genE8ELNS1_11target_archE1030ELNS1_3gpuE2ELNS1_3repE0EEENS1_30default_config_static_selectorELNS0_4arch9wavefront6targetE0EEEvSQ_: ; @_ZN7rocprim17ROCPRIM_400000_NS6detail17trampoline_kernelINS0_14default_configENS1_22reduce_config_selectorIiEEZNS1_11reduce_implILb1ES3_PiS7_iN6hipcub16HIPCUB_304000_NS6detail34convert_binary_result_type_wrapperINS9_3SumENS9_22TransformInputIteratorIbN2at6native12_GLOBAL__N_19NonZeroOpIiEEPKilEEiEEEE10hipError_tPvRmT1_T2_T3_mT4_P12ihipStream_tbEUlT_E1_NS1_11comp_targetILNS1_3genE8ELNS1_11target_archE1030ELNS1_3gpuE2ELNS1_3repE0EEENS1_30default_config_static_selectorELNS0_4arch9wavefront6targetE0EEEvSQ_
; %bb.0:
	.section	.rodata,"a",@progbits
	.p2align	6, 0x0
	.amdhsa_kernel _ZN7rocprim17ROCPRIM_400000_NS6detail17trampoline_kernelINS0_14default_configENS1_22reduce_config_selectorIiEEZNS1_11reduce_implILb1ES3_PiS7_iN6hipcub16HIPCUB_304000_NS6detail34convert_binary_result_type_wrapperINS9_3SumENS9_22TransformInputIteratorIbN2at6native12_GLOBAL__N_19NonZeroOpIiEEPKilEEiEEEE10hipError_tPvRmT1_T2_T3_mT4_P12ihipStream_tbEUlT_E1_NS1_11comp_targetILNS1_3genE8ELNS1_11target_archE1030ELNS1_3gpuE2ELNS1_3repE0EEENS1_30default_config_static_selectorELNS0_4arch9wavefront6targetE0EEEvSQ_
		.amdhsa_group_segment_fixed_size 0
		.amdhsa_private_segment_fixed_size 0
		.amdhsa_kernarg_size 40
		.amdhsa_user_sgpr_count 15
		.amdhsa_user_sgpr_dispatch_ptr 0
		.amdhsa_user_sgpr_queue_ptr 0
		.amdhsa_user_sgpr_kernarg_segment_ptr 1
		.amdhsa_user_sgpr_dispatch_id 0
		.amdhsa_user_sgpr_private_segment_size 0
		.amdhsa_wavefront_size32 1
		.amdhsa_uses_dynamic_stack 0
		.amdhsa_enable_private_segment 0
		.amdhsa_system_sgpr_workgroup_id_x 1
		.amdhsa_system_sgpr_workgroup_id_y 0
		.amdhsa_system_sgpr_workgroup_id_z 0
		.amdhsa_system_sgpr_workgroup_info 0
		.amdhsa_system_vgpr_workitem_id 0
		.amdhsa_next_free_vgpr 1
		.amdhsa_next_free_sgpr 1
		.amdhsa_reserve_vcc 0
		.amdhsa_float_round_mode_32 0
		.amdhsa_float_round_mode_16_64 0
		.amdhsa_float_denorm_mode_32 3
		.amdhsa_float_denorm_mode_16_64 3
		.amdhsa_dx10_clamp 1
		.amdhsa_ieee_mode 1
		.amdhsa_fp16_overflow 0
		.amdhsa_workgroup_processor_mode 1
		.amdhsa_memory_ordered 1
		.amdhsa_forward_progress 0
		.amdhsa_shared_vgpr_count 0
		.amdhsa_exception_fp_ieee_invalid_op 0
		.amdhsa_exception_fp_denorm_src 0
		.amdhsa_exception_fp_ieee_div_zero 0
		.amdhsa_exception_fp_ieee_overflow 0
		.amdhsa_exception_fp_ieee_underflow 0
		.amdhsa_exception_fp_ieee_inexact 0
		.amdhsa_exception_int_div_zero 0
	.end_amdhsa_kernel
	.section	.text._ZN7rocprim17ROCPRIM_400000_NS6detail17trampoline_kernelINS0_14default_configENS1_22reduce_config_selectorIiEEZNS1_11reduce_implILb1ES3_PiS7_iN6hipcub16HIPCUB_304000_NS6detail34convert_binary_result_type_wrapperINS9_3SumENS9_22TransformInputIteratorIbN2at6native12_GLOBAL__N_19NonZeroOpIiEEPKilEEiEEEE10hipError_tPvRmT1_T2_T3_mT4_P12ihipStream_tbEUlT_E1_NS1_11comp_targetILNS1_3genE8ELNS1_11target_archE1030ELNS1_3gpuE2ELNS1_3repE0EEENS1_30default_config_static_selectorELNS0_4arch9wavefront6targetE0EEEvSQ_,"axG",@progbits,_ZN7rocprim17ROCPRIM_400000_NS6detail17trampoline_kernelINS0_14default_configENS1_22reduce_config_selectorIiEEZNS1_11reduce_implILb1ES3_PiS7_iN6hipcub16HIPCUB_304000_NS6detail34convert_binary_result_type_wrapperINS9_3SumENS9_22TransformInputIteratorIbN2at6native12_GLOBAL__N_19NonZeroOpIiEEPKilEEiEEEE10hipError_tPvRmT1_T2_T3_mT4_P12ihipStream_tbEUlT_E1_NS1_11comp_targetILNS1_3genE8ELNS1_11target_archE1030ELNS1_3gpuE2ELNS1_3repE0EEENS1_30default_config_static_selectorELNS0_4arch9wavefront6targetE0EEEvSQ_,comdat
.Lfunc_end167:
	.size	_ZN7rocprim17ROCPRIM_400000_NS6detail17trampoline_kernelINS0_14default_configENS1_22reduce_config_selectorIiEEZNS1_11reduce_implILb1ES3_PiS7_iN6hipcub16HIPCUB_304000_NS6detail34convert_binary_result_type_wrapperINS9_3SumENS9_22TransformInputIteratorIbN2at6native12_GLOBAL__N_19NonZeroOpIiEEPKilEEiEEEE10hipError_tPvRmT1_T2_T3_mT4_P12ihipStream_tbEUlT_E1_NS1_11comp_targetILNS1_3genE8ELNS1_11target_archE1030ELNS1_3gpuE2ELNS1_3repE0EEENS1_30default_config_static_selectorELNS0_4arch9wavefront6targetE0EEEvSQ_, .Lfunc_end167-_ZN7rocprim17ROCPRIM_400000_NS6detail17trampoline_kernelINS0_14default_configENS1_22reduce_config_selectorIiEEZNS1_11reduce_implILb1ES3_PiS7_iN6hipcub16HIPCUB_304000_NS6detail34convert_binary_result_type_wrapperINS9_3SumENS9_22TransformInputIteratorIbN2at6native12_GLOBAL__N_19NonZeroOpIiEEPKilEEiEEEE10hipError_tPvRmT1_T2_T3_mT4_P12ihipStream_tbEUlT_E1_NS1_11comp_targetILNS1_3genE8ELNS1_11target_archE1030ELNS1_3gpuE2ELNS1_3repE0EEENS1_30default_config_static_selectorELNS0_4arch9wavefront6targetE0EEEvSQ_
                                        ; -- End function
	.section	.AMDGPU.csdata,"",@progbits
; Kernel info:
; codeLenInByte = 0
; NumSgprs: 0
; NumVgprs: 0
; ScratchSize: 0
; MemoryBound: 0
; FloatMode: 240
; IeeeMode: 1
; LDSByteSize: 0 bytes/workgroup (compile time only)
; SGPRBlocks: 0
; VGPRBlocks: 0
; NumSGPRsForWavesPerEU: 1
; NumVGPRsForWavesPerEU: 1
; Occupancy: 16
; WaveLimiterHint : 0
; COMPUTE_PGM_RSRC2:SCRATCH_EN: 0
; COMPUTE_PGM_RSRC2:USER_SGPR: 15
; COMPUTE_PGM_RSRC2:TRAP_HANDLER: 0
; COMPUTE_PGM_RSRC2:TGID_X_EN: 1
; COMPUTE_PGM_RSRC2:TGID_Y_EN: 0
; COMPUTE_PGM_RSRC2:TGID_Z_EN: 0
; COMPUTE_PGM_RSRC2:TIDIG_COMP_CNT: 0
	.section	.text._ZN7rocprim17ROCPRIM_400000_NS6detail17trampoline_kernelINS0_14default_configENS1_22reduce_config_selectorIbEEZNS1_11reduce_implILb1ES3_N6hipcub16HIPCUB_304000_NS22TransformInputIteratorIbN2at6native12_GLOBAL__N_19NonZeroOpIiEEPKilEEPiiNS8_6detail34convert_binary_result_type_wrapperINS8_3SumESH_iEEEE10hipError_tPvRmT1_T2_T3_mT4_P12ihipStream_tbEUlT_E0_NS1_11comp_targetILNS1_3genE0ELNS1_11target_archE4294967295ELNS1_3gpuE0ELNS1_3repE0EEENS1_30default_config_static_selectorELNS0_4arch9wavefront6targetE0EEEvSQ_,"axG",@progbits,_ZN7rocprim17ROCPRIM_400000_NS6detail17trampoline_kernelINS0_14default_configENS1_22reduce_config_selectorIbEEZNS1_11reduce_implILb1ES3_N6hipcub16HIPCUB_304000_NS22TransformInputIteratorIbN2at6native12_GLOBAL__N_19NonZeroOpIiEEPKilEEPiiNS8_6detail34convert_binary_result_type_wrapperINS8_3SumESH_iEEEE10hipError_tPvRmT1_T2_T3_mT4_P12ihipStream_tbEUlT_E0_NS1_11comp_targetILNS1_3genE0ELNS1_11target_archE4294967295ELNS1_3gpuE0ELNS1_3repE0EEENS1_30default_config_static_selectorELNS0_4arch9wavefront6targetE0EEEvSQ_,comdat
	.globl	_ZN7rocprim17ROCPRIM_400000_NS6detail17trampoline_kernelINS0_14default_configENS1_22reduce_config_selectorIbEEZNS1_11reduce_implILb1ES3_N6hipcub16HIPCUB_304000_NS22TransformInputIteratorIbN2at6native12_GLOBAL__N_19NonZeroOpIiEEPKilEEPiiNS8_6detail34convert_binary_result_type_wrapperINS8_3SumESH_iEEEE10hipError_tPvRmT1_T2_T3_mT4_P12ihipStream_tbEUlT_E0_NS1_11comp_targetILNS1_3genE0ELNS1_11target_archE4294967295ELNS1_3gpuE0ELNS1_3repE0EEENS1_30default_config_static_selectorELNS0_4arch9wavefront6targetE0EEEvSQ_ ; -- Begin function _ZN7rocprim17ROCPRIM_400000_NS6detail17trampoline_kernelINS0_14default_configENS1_22reduce_config_selectorIbEEZNS1_11reduce_implILb1ES3_N6hipcub16HIPCUB_304000_NS22TransformInputIteratorIbN2at6native12_GLOBAL__N_19NonZeroOpIiEEPKilEEPiiNS8_6detail34convert_binary_result_type_wrapperINS8_3SumESH_iEEEE10hipError_tPvRmT1_T2_T3_mT4_P12ihipStream_tbEUlT_E0_NS1_11comp_targetILNS1_3genE0ELNS1_11target_archE4294967295ELNS1_3gpuE0ELNS1_3repE0EEENS1_30default_config_static_selectorELNS0_4arch9wavefront6targetE0EEEvSQ_
	.p2align	8
	.type	_ZN7rocprim17ROCPRIM_400000_NS6detail17trampoline_kernelINS0_14default_configENS1_22reduce_config_selectorIbEEZNS1_11reduce_implILb1ES3_N6hipcub16HIPCUB_304000_NS22TransformInputIteratorIbN2at6native12_GLOBAL__N_19NonZeroOpIiEEPKilEEPiiNS8_6detail34convert_binary_result_type_wrapperINS8_3SumESH_iEEEE10hipError_tPvRmT1_T2_T3_mT4_P12ihipStream_tbEUlT_E0_NS1_11comp_targetILNS1_3genE0ELNS1_11target_archE4294967295ELNS1_3gpuE0ELNS1_3repE0EEENS1_30default_config_static_selectorELNS0_4arch9wavefront6targetE0EEEvSQ_,@function
_ZN7rocprim17ROCPRIM_400000_NS6detail17trampoline_kernelINS0_14default_configENS1_22reduce_config_selectorIbEEZNS1_11reduce_implILb1ES3_N6hipcub16HIPCUB_304000_NS22TransformInputIteratorIbN2at6native12_GLOBAL__N_19NonZeroOpIiEEPKilEEPiiNS8_6detail34convert_binary_result_type_wrapperINS8_3SumESH_iEEEE10hipError_tPvRmT1_T2_T3_mT4_P12ihipStream_tbEUlT_E0_NS1_11comp_targetILNS1_3genE0ELNS1_11target_archE4294967295ELNS1_3gpuE0ELNS1_3repE0EEENS1_30default_config_static_selectorELNS0_4arch9wavefront6targetE0EEEvSQ_: ; @_ZN7rocprim17ROCPRIM_400000_NS6detail17trampoline_kernelINS0_14default_configENS1_22reduce_config_selectorIbEEZNS1_11reduce_implILb1ES3_N6hipcub16HIPCUB_304000_NS22TransformInputIteratorIbN2at6native12_GLOBAL__N_19NonZeroOpIiEEPKilEEPiiNS8_6detail34convert_binary_result_type_wrapperINS8_3SumESH_iEEEE10hipError_tPvRmT1_T2_T3_mT4_P12ihipStream_tbEUlT_E0_NS1_11comp_targetILNS1_3genE0ELNS1_11target_archE4294967295ELNS1_3gpuE0ELNS1_3repE0EEENS1_30default_config_static_selectorELNS0_4arch9wavefront6targetE0EEEvSQ_
; %bb.0:
	.section	.rodata,"a",@progbits
	.p2align	6, 0x0
	.amdhsa_kernel _ZN7rocprim17ROCPRIM_400000_NS6detail17trampoline_kernelINS0_14default_configENS1_22reduce_config_selectorIbEEZNS1_11reduce_implILb1ES3_N6hipcub16HIPCUB_304000_NS22TransformInputIteratorIbN2at6native12_GLOBAL__N_19NonZeroOpIiEEPKilEEPiiNS8_6detail34convert_binary_result_type_wrapperINS8_3SumESH_iEEEE10hipError_tPvRmT1_T2_T3_mT4_P12ihipStream_tbEUlT_E0_NS1_11comp_targetILNS1_3genE0ELNS1_11target_archE4294967295ELNS1_3gpuE0ELNS1_3repE0EEENS1_30default_config_static_selectorELNS0_4arch9wavefront6targetE0EEEvSQ_
		.amdhsa_group_segment_fixed_size 0
		.amdhsa_private_segment_fixed_size 0
		.amdhsa_kernarg_size 64
		.amdhsa_user_sgpr_count 15
		.amdhsa_user_sgpr_dispatch_ptr 0
		.amdhsa_user_sgpr_queue_ptr 0
		.amdhsa_user_sgpr_kernarg_segment_ptr 1
		.amdhsa_user_sgpr_dispatch_id 0
		.amdhsa_user_sgpr_private_segment_size 0
		.amdhsa_wavefront_size32 1
		.amdhsa_uses_dynamic_stack 0
		.amdhsa_enable_private_segment 0
		.amdhsa_system_sgpr_workgroup_id_x 1
		.amdhsa_system_sgpr_workgroup_id_y 0
		.amdhsa_system_sgpr_workgroup_id_z 0
		.amdhsa_system_sgpr_workgroup_info 0
		.amdhsa_system_vgpr_workitem_id 0
		.amdhsa_next_free_vgpr 1
		.amdhsa_next_free_sgpr 1
		.amdhsa_reserve_vcc 0
		.amdhsa_float_round_mode_32 0
		.amdhsa_float_round_mode_16_64 0
		.amdhsa_float_denorm_mode_32 3
		.amdhsa_float_denorm_mode_16_64 3
		.amdhsa_dx10_clamp 1
		.amdhsa_ieee_mode 1
		.amdhsa_fp16_overflow 0
		.amdhsa_workgroup_processor_mode 1
		.amdhsa_memory_ordered 1
		.amdhsa_forward_progress 0
		.amdhsa_shared_vgpr_count 0
		.amdhsa_exception_fp_ieee_invalid_op 0
		.amdhsa_exception_fp_denorm_src 0
		.amdhsa_exception_fp_ieee_div_zero 0
		.amdhsa_exception_fp_ieee_overflow 0
		.amdhsa_exception_fp_ieee_underflow 0
		.amdhsa_exception_fp_ieee_inexact 0
		.amdhsa_exception_int_div_zero 0
	.end_amdhsa_kernel
	.section	.text._ZN7rocprim17ROCPRIM_400000_NS6detail17trampoline_kernelINS0_14default_configENS1_22reduce_config_selectorIbEEZNS1_11reduce_implILb1ES3_N6hipcub16HIPCUB_304000_NS22TransformInputIteratorIbN2at6native12_GLOBAL__N_19NonZeroOpIiEEPKilEEPiiNS8_6detail34convert_binary_result_type_wrapperINS8_3SumESH_iEEEE10hipError_tPvRmT1_T2_T3_mT4_P12ihipStream_tbEUlT_E0_NS1_11comp_targetILNS1_3genE0ELNS1_11target_archE4294967295ELNS1_3gpuE0ELNS1_3repE0EEENS1_30default_config_static_selectorELNS0_4arch9wavefront6targetE0EEEvSQ_,"axG",@progbits,_ZN7rocprim17ROCPRIM_400000_NS6detail17trampoline_kernelINS0_14default_configENS1_22reduce_config_selectorIbEEZNS1_11reduce_implILb1ES3_N6hipcub16HIPCUB_304000_NS22TransformInputIteratorIbN2at6native12_GLOBAL__N_19NonZeroOpIiEEPKilEEPiiNS8_6detail34convert_binary_result_type_wrapperINS8_3SumESH_iEEEE10hipError_tPvRmT1_T2_T3_mT4_P12ihipStream_tbEUlT_E0_NS1_11comp_targetILNS1_3genE0ELNS1_11target_archE4294967295ELNS1_3gpuE0ELNS1_3repE0EEENS1_30default_config_static_selectorELNS0_4arch9wavefront6targetE0EEEvSQ_,comdat
.Lfunc_end168:
	.size	_ZN7rocprim17ROCPRIM_400000_NS6detail17trampoline_kernelINS0_14default_configENS1_22reduce_config_selectorIbEEZNS1_11reduce_implILb1ES3_N6hipcub16HIPCUB_304000_NS22TransformInputIteratorIbN2at6native12_GLOBAL__N_19NonZeroOpIiEEPKilEEPiiNS8_6detail34convert_binary_result_type_wrapperINS8_3SumESH_iEEEE10hipError_tPvRmT1_T2_T3_mT4_P12ihipStream_tbEUlT_E0_NS1_11comp_targetILNS1_3genE0ELNS1_11target_archE4294967295ELNS1_3gpuE0ELNS1_3repE0EEENS1_30default_config_static_selectorELNS0_4arch9wavefront6targetE0EEEvSQ_, .Lfunc_end168-_ZN7rocprim17ROCPRIM_400000_NS6detail17trampoline_kernelINS0_14default_configENS1_22reduce_config_selectorIbEEZNS1_11reduce_implILb1ES3_N6hipcub16HIPCUB_304000_NS22TransformInputIteratorIbN2at6native12_GLOBAL__N_19NonZeroOpIiEEPKilEEPiiNS8_6detail34convert_binary_result_type_wrapperINS8_3SumESH_iEEEE10hipError_tPvRmT1_T2_T3_mT4_P12ihipStream_tbEUlT_E0_NS1_11comp_targetILNS1_3genE0ELNS1_11target_archE4294967295ELNS1_3gpuE0ELNS1_3repE0EEENS1_30default_config_static_selectorELNS0_4arch9wavefront6targetE0EEEvSQ_
                                        ; -- End function
	.section	.AMDGPU.csdata,"",@progbits
; Kernel info:
; codeLenInByte = 0
; NumSgprs: 0
; NumVgprs: 0
; ScratchSize: 0
; MemoryBound: 0
; FloatMode: 240
; IeeeMode: 1
; LDSByteSize: 0 bytes/workgroup (compile time only)
; SGPRBlocks: 0
; VGPRBlocks: 0
; NumSGPRsForWavesPerEU: 1
; NumVGPRsForWavesPerEU: 1
; Occupancy: 16
; WaveLimiterHint : 0
; COMPUTE_PGM_RSRC2:SCRATCH_EN: 0
; COMPUTE_PGM_RSRC2:USER_SGPR: 15
; COMPUTE_PGM_RSRC2:TRAP_HANDLER: 0
; COMPUTE_PGM_RSRC2:TGID_X_EN: 1
; COMPUTE_PGM_RSRC2:TGID_Y_EN: 0
; COMPUTE_PGM_RSRC2:TGID_Z_EN: 0
; COMPUTE_PGM_RSRC2:TIDIG_COMP_CNT: 0
	.section	.text._ZN7rocprim17ROCPRIM_400000_NS6detail17trampoline_kernelINS0_14default_configENS1_22reduce_config_selectorIbEEZNS1_11reduce_implILb1ES3_N6hipcub16HIPCUB_304000_NS22TransformInputIteratorIbN2at6native12_GLOBAL__N_19NonZeroOpIiEEPKilEEPiiNS8_6detail34convert_binary_result_type_wrapperINS8_3SumESH_iEEEE10hipError_tPvRmT1_T2_T3_mT4_P12ihipStream_tbEUlT_E0_NS1_11comp_targetILNS1_3genE5ELNS1_11target_archE942ELNS1_3gpuE9ELNS1_3repE0EEENS1_30default_config_static_selectorELNS0_4arch9wavefront6targetE0EEEvSQ_,"axG",@progbits,_ZN7rocprim17ROCPRIM_400000_NS6detail17trampoline_kernelINS0_14default_configENS1_22reduce_config_selectorIbEEZNS1_11reduce_implILb1ES3_N6hipcub16HIPCUB_304000_NS22TransformInputIteratorIbN2at6native12_GLOBAL__N_19NonZeroOpIiEEPKilEEPiiNS8_6detail34convert_binary_result_type_wrapperINS8_3SumESH_iEEEE10hipError_tPvRmT1_T2_T3_mT4_P12ihipStream_tbEUlT_E0_NS1_11comp_targetILNS1_3genE5ELNS1_11target_archE942ELNS1_3gpuE9ELNS1_3repE0EEENS1_30default_config_static_selectorELNS0_4arch9wavefront6targetE0EEEvSQ_,comdat
	.globl	_ZN7rocprim17ROCPRIM_400000_NS6detail17trampoline_kernelINS0_14default_configENS1_22reduce_config_selectorIbEEZNS1_11reduce_implILb1ES3_N6hipcub16HIPCUB_304000_NS22TransformInputIteratorIbN2at6native12_GLOBAL__N_19NonZeroOpIiEEPKilEEPiiNS8_6detail34convert_binary_result_type_wrapperINS8_3SumESH_iEEEE10hipError_tPvRmT1_T2_T3_mT4_P12ihipStream_tbEUlT_E0_NS1_11comp_targetILNS1_3genE5ELNS1_11target_archE942ELNS1_3gpuE9ELNS1_3repE0EEENS1_30default_config_static_selectorELNS0_4arch9wavefront6targetE0EEEvSQ_ ; -- Begin function _ZN7rocprim17ROCPRIM_400000_NS6detail17trampoline_kernelINS0_14default_configENS1_22reduce_config_selectorIbEEZNS1_11reduce_implILb1ES3_N6hipcub16HIPCUB_304000_NS22TransformInputIteratorIbN2at6native12_GLOBAL__N_19NonZeroOpIiEEPKilEEPiiNS8_6detail34convert_binary_result_type_wrapperINS8_3SumESH_iEEEE10hipError_tPvRmT1_T2_T3_mT4_P12ihipStream_tbEUlT_E0_NS1_11comp_targetILNS1_3genE5ELNS1_11target_archE942ELNS1_3gpuE9ELNS1_3repE0EEENS1_30default_config_static_selectorELNS0_4arch9wavefront6targetE0EEEvSQ_
	.p2align	8
	.type	_ZN7rocprim17ROCPRIM_400000_NS6detail17trampoline_kernelINS0_14default_configENS1_22reduce_config_selectorIbEEZNS1_11reduce_implILb1ES3_N6hipcub16HIPCUB_304000_NS22TransformInputIteratorIbN2at6native12_GLOBAL__N_19NonZeroOpIiEEPKilEEPiiNS8_6detail34convert_binary_result_type_wrapperINS8_3SumESH_iEEEE10hipError_tPvRmT1_T2_T3_mT4_P12ihipStream_tbEUlT_E0_NS1_11comp_targetILNS1_3genE5ELNS1_11target_archE942ELNS1_3gpuE9ELNS1_3repE0EEENS1_30default_config_static_selectorELNS0_4arch9wavefront6targetE0EEEvSQ_,@function
_ZN7rocprim17ROCPRIM_400000_NS6detail17trampoline_kernelINS0_14default_configENS1_22reduce_config_selectorIbEEZNS1_11reduce_implILb1ES3_N6hipcub16HIPCUB_304000_NS22TransformInputIteratorIbN2at6native12_GLOBAL__N_19NonZeroOpIiEEPKilEEPiiNS8_6detail34convert_binary_result_type_wrapperINS8_3SumESH_iEEEE10hipError_tPvRmT1_T2_T3_mT4_P12ihipStream_tbEUlT_E0_NS1_11comp_targetILNS1_3genE5ELNS1_11target_archE942ELNS1_3gpuE9ELNS1_3repE0EEENS1_30default_config_static_selectorELNS0_4arch9wavefront6targetE0EEEvSQ_: ; @_ZN7rocprim17ROCPRIM_400000_NS6detail17trampoline_kernelINS0_14default_configENS1_22reduce_config_selectorIbEEZNS1_11reduce_implILb1ES3_N6hipcub16HIPCUB_304000_NS22TransformInputIteratorIbN2at6native12_GLOBAL__N_19NonZeroOpIiEEPKilEEPiiNS8_6detail34convert_binary_result_type_wrapperINS8_3SumESH_iEEEE10hipError_tPvRmT1_T2_T3_mT4_P12ihipStream_tbEUlT_E0_NS1_11comp_targetILNS1_3genE5ELNS1_11target_archE942ELNS1_3gpuE9ELNS1_3repE0EEENS1_30default_config_static_selectorELNS0_4arch9wavefront6targetE0EEEvSQ_
; %bb.0:
	.section	.rodata,"a",@progbits
	.p2align	6, 0x0
	.amdhsa_kernel _ZN7rocprim17ROCPRIM_400000_NS6detail17trampoline_kernelINS0_14default_configENS1_22reduce_config_selectorIbEEZNS1_11reduce_implILb1ES3_N6hipcub16HIPCUB_304000_NS22TransformInputIteratorIbN2at6native12_GLOBAL__N_19NonZeroOpIiEEPKilEEPiiNS8_6detail34convert_binary_result_type_wrapperINS8_3SumESH_iEEEE10hipError_tPvRmT1_T2_T3_mT4_P12ihipStream_tbEUlT_E0_NS1_11comp_targetILNS1_3genE5ELNS1_11target_archE942ELNS1_3gpuE9ELNS1_3repE0EEENS1_30default_config_static_selectorELNS0_4arch9wavefront6targetE0EEEvSQ_
		.amdhsa_group_segment_fixed_size 0
		.amdhsa_private_segment_fixed_size 0
		.amdhsa_kernarg_size 64
		.amdhsa_user_sgpr_count 15
		.amdhsa_user_sgpr_dispatch_ptr 0
		.amdhsa_user_sgpr_queue_ptr 0
		.amdhsa_user_sgpr_kernarg_segment_ptr 1
		.amdhsa_user_sgpr_dispatch_id 0
		.amdhsa_user_sgpr_private_segment_size 0
		.amdhsa_wavefront_size32 1
		.amdhsa_uses_dynamic_stack 0
		.amdhsa_enable_private_segment 0
		.amdhsa_system_sgpr_workgroup_id_x 1
		.amdhsa_system_sgpr_workgroup_id_y 0
		.amdhsa_system_sgpr_workgroup_id_z 0
		.amdhsa_system_sgpr_workgroup_info 0
		.amdhsa_system_vgpr_workitem_id 0
		.amdhsa_next_free_vgpr 1
		.amdhsa_next_free_sgpr 1
		.amdhsa_reserve_vcc 0
		.amdhsa_float_round_mode_32 0
		.amdhsa_float_round_mode_16_64 0
		.amdhsa_float_denorm_mode_32 3
		.amdhsa_float_denorm_mode_16_64 3
		.amdhsa_dx10_clamp 1
		.amdhsa_ieee_mode 1
		.amdhsa_fp16_overflow 0
		.amdhsa_workgroup_processor_mode 1
		.amdhsa_memory_ordered 1
		.amdhsa_forward_progress 0
		.amdhsa_shared_vgpr_count 0
		.amdhsa_exception_fp_ieee_invalid_op 0
		.amdhsa_exception_fp_denorm_src 0
		.amdhsa_exception_fp_ieee_div_zero 0
		.amdhsa_exception_fp_ieee_overflow 0
		.amdhsa_exception_fp_ieee_underflow 0
		.amdhsa_exception_fp_ieee_inexact 0
		.amdhsa_exception_int_div_zero 0
	.end_amdhsa_kernel
	.section	.text._ZN7rocprim17ROCPRIM_400000_NS6detail17trampoline_kernelINS0_14default_configENS1_22reduce_config_selectorIbEEZNS1_11reduce_implILb1ES3_N6hipcub16HIPCUB_304000_NS22TransformInputIteratorIbN2at6native12_GLOBAL__N_19NonZeroOpIiEEPKilEEPiiNS8_6detail34convert_binary_result_type_wrapperINS8_3SumESH_iEEEE10hipError_tPvRmT1_T2_T3_mT4_P12ihipStream_tbEUlT_E0_NS1_11comp_targetILNS1_3genE5ELNS1_11target_archE942ELNS1_3gpuE9ELNS1_3repE0EEENS1_30default_config_static_selectorELNS0_4arch9wavefront6targetE0EEEvSQ_,"axG",@progbits,_ZN7rocprim17ROCPRIM_400000_NS6detail17trampoline_kernelINS0_14default_configENS1_22reduce_config_selectorIbEEZNS1_11reduce_implILb1ES3_N6hipcub16HIPCUB_304000_NS22TransformInputIteratorIbN2at6native12_GLOBAL__N_19NonZeroOpIiEEPKilEEPiiNS8_6detail34convert_binary_result_type_wrapperINS8_3SumESH_iEEEE10hipError_tPvRmT1_T2_T3_mT4_P12ihipStream_tbEUlT_E0_NS1_11comp_targetILNS1_3genE5ELNS1_11target_archE942ELNS1_3gpuE9ELNS1_3repE0EEENS1_30default_config_static_selectorELNS0_4arch9wavefront6targetE0EEEvSQ_,comdat
.Lfunc_end169:
	.size	_ZN7rocprim17ROCPRIM_400000_NS6detail17trampoline_kernelINS0_14default_configENS1_22reduce_config_selectorIbEEZNS1_11reduce_implILb1ES3_N6hipcub16HIPCUB_304000_NS22TransformInputIteratorIbN2at6native12_GLOBAL__N_19NonZeroOpIiEEPKilEEPiiNS8_6detail34convert_binary_result_type_wrapperINS8_3SumESH_iEEEE10hipError_tPvRmT1_T2_T3_mT4_P12ihipStream_tbEUlT_E0_NS1_11comp_targetILNS1_3genE5ELNS1_11target_archE942ELNS1_3gpuE9ELNS1_3repE0EEENS1_30default_config_static_selectorELNS0_4arch9wavefront6targetE0EEEvSQ_, .Lfunc_end169-_ZN7rocprim17ROCPRIM_400000_NS6detail17trampoline_kernelINS0_14default_configENS1_22reduce_config_selectorIbEEZNS1_11reduce_implILb1ES3_N6hipcub16HIPCUB_304000_NS22TransformInputIteratorIbN2at6native12_GLOBAL__N_19NonZeroOpIiEEPKilEEPiiNS8_6detail34convert_binary_result_type_wrapperINS8_3SumESH_iEEEE10hipError_tPvRmT1_T2_T3_mT4_P12ihipStream_tbEUlT_E0_NS1_11comp_targetILNS1_3genE5ELNS1_11target_archE942ELNS1_3gpuE9ELNS1_3repE0EEENS1_30default_config_static_selectorELNS0_4arch9wavefront6targetE0EEEvSQ_
                                        ; -- End function
	.section	.AMDGPU.csdata,"",@progbits
; Kernel info:
; codeLenInByte = 0
; NumSgprs: 0
; NumVgprs: 0
; ScratchSize: 0
; MemoryBound: 0
; FloatMode: 240
; IeeeMode: 1
; LDSByteSize: 0 bytes/workgroup (compile time only)
; SGPRBlocks: 0
; VGPRBlocks: 0
; NumSGPRsForWavesPerEU: 1
; NumVGPRsForWavesPerEU: 1
; Occupancy: 16
; WaveLimiterHint : 0
; COMPUTE_PGM_RSRC2:SCRATCH_EN: 0
; COMPUTE_PGM_RSRC2:USER_SGPR: 15
; COMPUTE_PGM_RSRC2:TRAP_HANDLER: 0
; COMPUTE_PGM_RSRC2:TGID_X_EN: 1
; COMPUTE_PGM_RSRC2:TGID_Y_EN: 0
; COMPUTE_PGM_RSRC2:TGID_Z_EN: 0
; COMPUTE_PGM_RSRC2:TIDIG_COMP_CNT: 0
	.section	.text._ZN7rocprim17ROCPRIM_400000_NS6detail17trampoline_kernelINS0_14default_configENS1_22reduce_config_selectorIbEEZNS1_11reduce_implILb1ES3_N6hipcub16HIPCUB_304000_NS22TransformInputIteratorIbN2at6native12_GLOBAL__N_19NonZeroOpIiEEPKilEEPiiNS8_6detail34convert_binary_result_type_wrapperINS8_3SumESH_iEEEE10hipError_tPvRmT1_T2_T3_mT4_P12ihipStream_tbEUlT_E0_NS1_11comp_targetILNS1_3genE4ELNS1_11target_archE910ELNS1_3gpuE8ELNS1_3repE0EEENS1_30default_config_static_selectorELNS0_4arch9wavefront6targetE0EEEvSQ_,"axG",@progbits,_ZN7rocprim17ROCPRIM_400000_NS6detail17trampoline_kernelINS0_14default_configENS1_22reduce_config_selectorIbEEZNS1_11reduce_implILb1ES3_N6hipcub16HIPCUB_304000_NS22TransformInputIteratorIbN2at6native12_GLOBAL__N_19NonZeroOpIiEEPKilEEPiiNS8_6detail34convert_binary_result_type_wrapperINS8_3SumESH_iEEEE10hipError_tPvRmT1_T2_T3_mT4_P12ihipStream_tbEUlT_E0_NS1_11comp_targetILNS1_3genE4ELNS1_11target_archE910ELNS1_3gpuE8ELNS1_3repE0EEENS1_30default_config_static_selectorELNS0_4arch9wavefront6targetE0EEEvSQ_,comdat
	.globl	_ZN7rocprim17ROCPRIM_400000_NS6detail17trampoline_kernelINS0_14default_configENS1_22reduce_config_selectorIbEEZNS1_11reduce_implILb1ES3_N6hipcub16HIPCUB_304000_NS22TransformInputIteratorIbN2at6native12_GLOBAL__N_19NonZeroOpIiEEPKilEEPiiNS8_6detail34convert_binary_result_type_wrapperINS8_3SumESH_iEEEE10hipError_tPvRmT1_T2_T3_mT4_P12ihipStream_tbEUlT_E0_NS1_11comp_targetILNS1_3genE4ELNS1_11target_archE910ELNS1_3gpuE8ELNS1_3repE0EEENS1_30default_config_static_selectorELNS0_4arch9wavefront6targetE0EEEvSQ_ ; -- Begin function _ZN7rocprim17ROCPRIM_400000_NS6detail17trampoline_kernelINS0_14default_configENS1_22reduce_config_selectorIbEEZNS1_11reduce_implILb1ES3_N6hipcub16HIPCUB_304000_NS22TransformInputIteratorIbN2at6native12_GLOBAL__N_19NonZeroOpIiEEPKilEEPiiNS8_6detail34convert_binary_result_type_wrapperINS8_3SumESH_iEEEE10hipError_tPvRmT1_T2_T3_mT4_P12ihipStream_tbEUlT_E0_NS1_11comp_targetILNS1_3genE4ELNS1_11target_archE910ELNS1_3gpuE8ELNS1_3repE0EEENS1_30default_config_static_selectorELNS0_4arch9wavefront6targetE0EEEvSQ_
	.p2align	8
	.type	_ZN7rocprim17ROCPRIM_400000_NS6detail17trampoline_kernelINS0_14default_configENS1_22reduce_config_selectorIbEEZNS1_11reduce_implILb1ES3_N6hipcub16HIPCUB_304000_NS22TransformInputIteratorIbN2at6native12_GLOBAL__N_19NonZeroOpIiEEPKilEEPiiNS8_6detail34convert_binary_result_type_wrapperINS8_3SumESH_iEEEE10hipError_tPvRmT1_T2_T3_mT4_P12ihipStream_tbEUlT_E0_NS1_11comp_targetILNS1_3genE4ELNS1_11target_archE910ELNS1_3gpuE8ELNS1_3repE0EEENS1_30default_config_static_selectorELNS0_4arch9wavefront6targetE0EEEvSQ_,@function
_ZN7rocprim17ROCPRIM_400000_NS6detail17trampoline_kernelINS0_14default_configENS1_22reduce_config_selectorIbEEZNS1_11reduce_implILb1ES3_N6hipcub16HIPCUB_304000_NS22TransformInputIteratorIbN2at6native12_GLOBAL__N_19NonZeroOpIiEEPKilEEPiiNS8_6detail34convert_binary_result_type_wrapperINS8_3SumESH_iEEEE10hipError_tPvRmT1_T2_T3_mT4_P12ihipStream_tbEUlT_E0_NS1_11comp_targetILNS1_3genE4ELNS1_11target_archE910ELNS1_3gpuE8ELNS1_3repE0EEENS1_30default_config_static_selectorELNS0_4arch9wavefront6targetE0EEEvSQ_: ; @_ZN7rocprim17ROCPRIM_400000_NS6detail17trampoline_kernelINS0_14default_configENS1_22reduce_config_selectorIbEEZNS1_11reduce_implILb1ES3_N6hipcub16HIPCUB_304000_NS22TransformInputIteratorIbN2at6native12_GLOBAL__N_19NonZeroOpIiEEPKilEEPiiNS8_6detail34convert_binary_result_type_wrapperINS8_3SumESH_iEEEE10hipError_tPvRmT1_T2_T3_mT4_P12ihipStream_tbEUlT_E0_NS1_11comp_targetILNS1_3genE4ELNS1_11target_archE910ELNS1_3gpuE8ELNS1_3repE0EEENS1_30default_config_static_selectorELNS0_4arch9wavefront6targetE0EEEvSQ_
; %bb.0:
	.section	.rodata,"a",@progbits
	.p2align	6, 0x0
	.amdhsa_kernel _ZN7rocprim17ROCPRIM_400000_NS6detail17trampoline_kernelINS0_14default_configENS1_22reduce_config_selectorIbEEZNS1_11reduce_implILb1ES3_N6hipcub16HIPCUB_304000_NS22TransformInputIteratorIbN2at6native12_GLOBAL__N_19NonZeroOpIiEEPKilEEPiiNS8_6detail34convert_binary_result_type_wrapperINS8_3SumESH_iEEEE10hipError_tPvRmT1_T2_T3_mT4_P12ihipStream_tbEUlT_E0_NS1_11comp_targetILNS1_3genE4ELNS1_11target_archE910ELNS1_3gpuE8ELNS1_3repE0EEENS1_30default_config_static_selectorELNS0_4arch9wavefront6targetE0EEEvSQ_
		.amdhsa_group_segment_fixed_size 0
		.amdhsa_private_segment_fixed_size 0
		.amdhsa_kernarg_size 64
		.amdhsa_user_sgpr_count 15
		.amdhsa_user_sgpr_dispatch_ptr 0
		.amdhsa_user_sgpr_queue_ptr 0
		.amdhsa_user_sgpr_kernarg_segment_ptr 1
		.amdhsa_user_sgpr_dispatch_id 0
		.amdhsa_user_sgpr_private_segment_size 0
		.amdhsa_wavefront_size32 1
		.amdhsa_uses_dynamic_stack 0
		.amdhsa_enable_private_segment 0
		.amdhsa_system_sgpr_workgroup_id_x 1
		.amdhsa_system_sgpr_workgroup_id_y 0
		.amdhsa_system_sgpr_workgroup_id_z 0
		.amdhsa_system_sgpr_workgroup_info 0
		.amdhsa_system_vgpr_workitem_id 0
		.amdhsa_next_free_vgpr 1
		.amdhsa_next_free_sgpr 1
		.amdhsa_reserve_vcc 0
		.amdhsa_float_round_mode_32 0
		.amdhsa_float_round_mode_16_64 0
		.amdhsa_float_denorm_mode_32 3
		.amdhsa_float_denorm_mode_16_64 3
		.amdhsa_dx10_clamp 1
		.amdhsa_ieee_mode 1
		.amdhsa_fp16_overflow 0
		.amdhsa_workgroup_processor_mode 1
		.amdhsa_memory_ordered 1
		.amdhsa_forward_progress 0
		.amdhsa_shared_vgpr_count 0
		.amdhsa_exception_fp_ieee_invalid_op 0
		.amdhsa_exception_fp_denorm_src 0
		.amdhsa_exception_fp_ieee_div_zero 0
		.amdhsa_exception_fp_ieee_overflow 0
		.amdhsa_exception_fp_ieee_underflow 0
		.amdhsa_exception_fp_ieee_inexact 0
		.amdhsa_exception_int_div_zero 0
	.end_amdhsa_kernel
	.section	.text._ZN7rocprim17ROCPRIM_400000_NS6detail17trampoline_kernelINS0_14default_configENS1_22reduce_config_selectorIbEEZNS1_11reduce_implILb1ES3_N6hipcub16HIPCUB_304000_NS22TransformInputIteratorIbN2at6native12_GLOBAL__N_19NonZeroOpIiEEPKilEEPiiNS8_6detail34convert_binary_result_type_wrapperINS8_3SumESH_iEEEE10hipError_tPvRmT1_T2_T3_mT4_P12ihipStream_tbEUlT_E0_NS1_11comp_targetILNS1_3genE4ELNS1_11target_archE910ELNS1_3gpuE8ELNS1_3repE0EEENS1_30default_config_static_selectorELNS0_4arch9wavefront6targetE0EEEvSQ_,"axG",@progbits,_ZN7rocprim17ROCPRIM_400000_NS6detail17trampoline_kernelINS0_14default_configENS1_22reduce_config_selectorIbEEZNS1_11reduce_implILb1ES3_N6hipcub16HIPCUB_304000_NS22TransformInputIteratorIbN2at6native12_GLOBAL__N_19NonZeroOpIiEEPKilEEPiiNS8_6detail34convert_binary_result_type_wrapperINS8_3SumESH_iEEEE10hipError_tPvRmT1_T2_T3_mT4_P12ihipStream_tbEUlT_E0_NS1_11comp_targetILNS1_3genE4ELNS1_11target_archE910ELNS1_3gpuE8ELNS1_3repE0EEENS1_30default_config_static_selectorELNS0_4arch9wavefront6targetE0EEEvSQ_,comdat
.Lfunc_end170:
	.size	_ZN7rocprim17ROCPRIM_400000_NS6detail17trampoline_kernelINS0_14default_configENS1_22reduce_config_selectorIbEEZNS1_11reduce_implILb1ES3_N6hipcub16HIPCUB_304000_NS22TransformInputIteratorIbN2at6native12_GLOBAL__N_19NonZeroOpIiEEPKilEEPiiNS8_6detail34convert_binary_result_type_wrapperINS8_3SumESH_iEEEE10hipError_tPvRmT1_T2_T3_mT4_P12ihipStream_tbEUlT_E0_NS1_11comp_targetILNS1_3genE4ELNS1_11target_archE910ELNS1_3gpuE8ELNS1_3repE0EEENS1_30default_config_static_selectorELNS0_4arch9wavefront6targetE0EEEvSQ_, .Lfunc_end170-_ZN7rocprim17ROCPRIM_400000_NS6detail17trampoline_kernelINS0_14default_configENS1_22reduce_config_selectorIbEEZNS1_11reduce_implILb1ES3_N6hipcub16HIPCUB_304000_NS22TransformInputIteratorIbN2at6native12_GLOBAL__N_19NonZeroOpIiEEPKilEEPiiNS8_6detail34convert_binary_result_type_wrapperINS8_3SumESH_iEEEE10hipError_tPvRmT1_T2_T3_mT4_P12ihipStream_tbEUlT_E0_NS1_11comp_targetILNS1_3genE4ELNS1_11target_archE910ELNS1_3gpuE8ELNS1_3repE0EEENS1_30default_config_static_selectorELNS0_4arch9wavefront6targetE0EEEvSQ_
                                        ; -- End function
	.section	.AMDGPU.csdata,"",@progbits
; Kernel info:
; codeLenInByte = 0
; NumSgprs: 0
; NumVgprs: 0
; ScratchSize: 0
; MemoryBound: 0
; FloatMode: 240
; IeeeMode: 1
; LDSByteSize: 0 bytes/workgroup (compile time only)
; SGPRBlocks: 0
; VGPRBlocks: 0
; NumSGPRsForWavesPerEU: 1
; NumVGPRsForWavesPerEU: 1
; Occupancy: 16
; WaveLimiterHint : 0
; COMPUTE_PGM_RSRC2:SCRATCH_EN: 0
; COMPUTE_PGM_RSRC2:USER_SGPR: 15
; COMPUTE_PGM_RSRC2:TRAP_HANDLER: 0
; COMPUTE_PGM_RSRC2:TGID_X_EN: 1
; COMPUTE_PGM_RSRC2:TGID_Y_EN: 0
; COMPUTE_PGM_RSRC2:TGID_Z_EN: 0
; COMPUTE_PGM_RSRC2:TIDIG_COMP_CNT: 0
	.section	.text._ZN7rocprim17ROCPRIM_400000_NS6detail17trampoline_kernelINS0_14default_configENS1_22reduce_config_selectorIbEEZNS1_11reduce_implILb1ES3_N6hipcub16HIPCUB_304000_NS22TransformInputIteratorIbN2at6native12_GLOBAL__N_19NonZeroOpIiEEPKilEEPiiNS8_6detail34convert_binary_result_type_wrapperINS8_3SumESH_iEEEE10hipError_tPvRmT1_T2_T3_mT4_P12ihipStream_tbEUlT_E0_NS1_11comp_targetILNS1_3genE3ELNS1_11target_archE908ELNS1_3gpuE7ELNS1_3repE0EEENS1_30default_config_static_selectorELNS0_4arch9wavefront6targetE0EEEvSQ_,"axG",@progbits,_ZN7rocprim17ROCPRIM_400000_NS6detail17trampoline_kernelINS0_14default_configENS1_22reduce_config_selectorIbEEZNS1_11reduce_implILb1ES3_N6hipcub16HIPCUB_304000_NS22TransformInputIteratorIbN2at6native12_GLOBAL__N_19NonZeroOpIiEEPKilEEPiiNS8_6detail34convert_binary_result_type_wrapperINS8_3SumESH_iEEEE10hipError_tPvRmT1_T2_T3_mT4_P12ihipStream_tbEUlT_E0_NS1_11comp_targetILNS1_3genE3ELNS1_11target_archE908ELNS1_3gpuE7ELNS1_3repE0EEENS1_30default_config_static_selectorELNS0_4arch9wavefront6targetE0EEEvSQ_,comdat
	.globl	_ZN7rocprim17ROCPRIM_400000_NS6detail17trampoline_kernelINS0_14default_configENS1_22reduce_config_selectorIbEEZNS1_11reduce_implILb1ES3_N6hipcub16HIPCUB_304000_NS22TransformInputIteratorIbN2at6native12_GLOBAL__N_19NonZeroOpIiEEPKilEEPiiNS8_6detail34convert_binary_result_type_wrapperINS8_3SumESH_iEEEE10hipError_tPvRmT1_T2_T3_mT4_P12ihipStream_tbEUlT_E0_NS1_11comp_targetILNS1_3genE3ELNS1_11target_archE908ELNS1_3gpuE7ELNS1_3repE0EEENS1_30default_config_static_selectorELNS0_4arch9wavefront6targetE0EEEvSQ_ ; -- Begin function _ZN7rocprim17ROCPRIM_400000_NS6detail17trampoline_kernelINS0_14default_configENS1_22reduce_config_selectorIbEEZNS1_11reduce_implILb1ES3_N6hipcub16HIPCUB_304000_NS22TransformInputIteratorIbN2at6native12_GLOBAL__N_19NonZeroOpIiEEPKilEEPiiNS8_6detail34convert_binary_result_type_wrapperINS8_3SumESH_iEEEE10hipError_tPvRmT1_T2_T3_mT4_P12ihipStream_tbEUlT_E0_NS1_11comp_targetILNS1_3genE3ELNS1_11target_archE908ELNS1_3gpuE7ELNS1_3repE0EEENS1_30default_config_static_selectorELNS0_4arch9wavefront6targetE0EEEvSQ_
	.p2align	8
	.type	_ZN7rocprim17ROCPRIM_400000_NS6detail17trampoline_kernelINS0_14default_configENS1_22reduce_config_selectorIbEEZNS1_11reduce_implILb1ES3_N6hipcub16HIPCUB_304000_NS22TransformInputIteratorIbN2at6native12_GLOBAL__N_19NonZeroOpIiEEPKilEEPiiNS8_6detail34convert_binary_result_type_wrapperINS8_3SumESH_iEEEE10hipError_tPvRmT1_T2_T3_mT4_P12ihipStream_tbEUlT_E0_NS1_11comp_targetILNS1_3genE3ELNS1_11target_archE908ELNS1_3gpuE7ELNS1_3repE0EEENS1_30default_config_static_selectorELNS0_4arch9wavefront6targetE0EEEvSQ_,@function
_ZN7rocprim17ROCPRIM_400000_NS6detail17trampoline_kernelINS0_14default_configENS1_22reduce_config_selectorIbEEZNS1_11reduce_implILb1ES3_N6hipcub16HIPCUB_304000_NS22TransformInputIteratorIbN2at6native12_GLOBAL__N_19NonZeroOpIiEEPKilEEPiiNS8_6detail34convert_binary_result_type_wrapperINS8_3SumESH_iEEEE10hipError_tPvRmT1_T2_T3_mT4_P12ihipStream_tbEUlT_E0_NS1_11comp_targetILNS1_3genE3ELNS1_11target_archE908ELNS1_3gpuE7ELNS1_3repE0EEENS1_30default_config_static_selectorELNS0_4arch9wavefront6targetE0EEEvSQ_: ; @_ZN7rocprim17ROCPRIM_400000_NS6detail17trampoline_kernelINS0_14default_configENS1_22reduce_config_selectorIbEEZNS1_11reduce_implILb1ES3_N6hipcub16HIPCUB_304000_NS22TransformInputIteratorIbN2at6native12_GLOBAL__N_19NonZeroOpIiEEPKilEEPiiNS8_6detail34convert_binary_result_type_wrapperINS8_3SumESH_iEEEE10hipError_tPvRmT1_T2_T3_mT4_P12ihipStream_tbEUlT_E0_NS1_11comp_targetILNS1_3genE3ELNS1_11target_archE908ELNS1_3gpuE7ELNS1_3repE0EEENS1_30default_config_static_selectorELNS0_4arch9wavefront6targetE0EEEvSQ_
; %bb.0:
	.section	.rodata,"a",@progbits
	.p2align	6, 0x0
	.amdhsa_kernel _ZN7rocprim17ROCPRIM_400000_NS6detail17trampoline_kernelINS0_14default_configENS1_22reduce_config_selectorIbEEZNS1_11reduce_implILb1ES3_N6hipcub16HIPCUB_304000_NS22TransformInputIteratorIbN2at6native12_GLOBAL__N_19NonZeroOpIiEEPKilEEPiiNS8_6detail34convert_binary_result_type_wrapperINS8_3SumESH_iEEEE10hipError_tPvRmT1_T2_T3_mT4_P12ihipStream_tbEUlT_E0_NS1_11comp_targetILNS1_3genE3ELNS1_11target_archE908ELNS1_3gpuE7ELNS1_3repE0EEENS1_30default_config_static_selectorELNS0_4arch9wavefront6targetE0EEEvSQ_
		.amdhsa_group_segment_fixed_size 0
		.amdhsa_private_segment_fixed_size 0
		.amdhsa_kernarg_size 64
		.amdhsa_user_sgpr_count 15
		.amdhsa_user_sgpr_dispatch_ptr 0
		.amdhsa_user_sgpr_queue_ptr 0
		.amdhsa_user_sgpr_kernarg_segment_ptr 1
		.amdhsa_user_sgpr_dispatch_id 0
		.amdhsa_user_sgpr_private_segment_size 0
		.amdhsa_wavefront_size32 1
		.amdhsa_uses_dynamic_stack 0
		.amdhsa_enable_private_segment 0
		.amdhsa_system_sgpr_workgroup_id_x 1
		.amdhsa_system_sgpr_workgroup_id_y 0
		.amdhsa_system_sgpr_workgroup_id_z 0
		.amdhsa_system_sgpr_workgroup_info 0
		.amdhsa_system_vgpr_workitem_id 0
		.amdhsa_next_free_vgpr 1
		.amdhsa_next_free_sgpr 1
		.amdhsa_reserve_vcc 0
		.amdhsa_float_round_mode_32 0
		.amdhsa_float_round_mode_16_64 0
		.amdhsa_float_denorm_mode_32 3
		.amdhsa_float_denorm_mode_16_64 3
		.amdhsa_dx10_clamp 1
		.amdhsa_ieee_mode 1
		.amdhsa_fp16_overflow 0
		.amdhsa_workgroup_processor_mode 1
		.amdhsa_memory_ordered 1
		.amdhsa_forward_progress 0
		.amdhsa_shared_vgpr_count 0
		.amdhsa_exception_fp_ieee_invalid_op 0
		.amdhsa_exception_fp_denorm_src 0
		.amdhsa_exception_fp_ieee_div_zero 0
		.amdhsa_exception_fp_ieee_overflow 0
		.amdhsa_exception_fp_ieee_underflow 0
		.amdhsa_exception_fp_ieee_inexact 0
		.amdhsa_exception_int_div_zero 0
	.end_amdhsa_kernel
	.section	.text._ZN7rocprim17ROCPRIM_400000_NS6detail17trampoline_kernelINS0_14default_configENS1_22reduce_config_selectorIbEEZNS1_11reduce_implILb1ES3_N6hipcub16HIPCUB_304000_NS22TransformInputIteratorIbN2at6native12_GLOBAL__N_19NonZeroOpIiEEPKilEEPiiNS8_6detail34convert_binary_result_type_wrapperINS8_3SumESH_iEEEE10hipError_tPvRmT1_T2_T3_mT4_P12ihipStream_tbEUlT_E0_NS1_11comp_targetILNS1_3genE3ELNS1_11target_archE908ELNS1_3gpuE7ELNS1_3repE0EEENS1_30default_config_static_selectorELNS0_4arch9wavefront6targetE0EEEvSQ_,"axG",@progbits,_ZN7rocprim17ROCPRIM_400000_NS6detail17trampoline_kernelINS0_14default_configENS1_22reduce_config_selectorIbEEZNS1_11reduce_implILb1ES3_N6hipcub16HIPCUB_304000_NS22TransformInputIteratorIbN2at6native12_GLOBAL__N_19NonZeroOpIiEEPKilEEPiiNS8_6detail34convert_binary_result_type_wrapperINS8_3SumESH_iEEEE10hipError_tPvRmT1_T2_T3_mT4_P12ihipStream_tbEUlT_E0_NS1_11comp_targetILNS1_3genE3ELNS1_11target_archE908ELNS1_3gpuE7ELNS1_3repE0EEENS1_30default_config_static_selectorELNS0_4arch9wavefront6targetE0EEEvSQ_,comdat
.Lfunc_end171:
	.size	_ZN7rocprim17ROCPRIM_400000_NS6detail17trampoline_kernelINS0_14default_configENS1_22reduce_config_selectorIbEEZNS1_11reduce_implILb1ES3_N6hipcub16HIPCUB_304000_NS22TransformInputIteratorIbN2at6native12_GLOBAL__N_19NonZeroOpIiEEPKilEEPiiNS8_6detail34convert_binary_result_type_wrapperINS8_3SumESH_iEEEE10hipError_tPvRmT1_T2_T3_mT4_P12ihipStream_tbEUlT_E0_NS1_11comp_targetILNS1_3genE3ELNS1_11target_archE908ELNS1_3gpuE7ELNS1_3repE0EEENS1_30default_config_static_selectorELNS0_4arch9wavefront6targetE0EEEvSQ_, .Lfunc_end171-_ZN7rocprim17ROCPRIM_400000_NS6detail17trampoline_kernelINS0_14default_configENS1_22reduce_config_selectorIbEEZNS1_11reduce_implILb1ES3_N6hipcub16HIPCUB_304000_NS22TransformInputIteratorIbN2at6native12_GLOBAL__N_19NonZeroOpIiEEPKilEEPiiNS8_6detail34convert_binary_result_type_wrapperINS8_3SumESH_iEEEE10hipError_tPvRmT1_T2_T3_mT4_P12ihipStream_tbEUlT_E0_NS1_11comp_targetILNS1_3genE3ELNS1_11target_archE908ELNS1_3gpuE7ELNS1_3repE0EEENS1_30default_config_static_selectorELNS0_4arch9wavefront6targetE0EEEvSQ_
                                        ; -- End function
	.section	.AMDGPU.csdata,"",@progbits
; Kernel info:
; codeLenInByte = 0
; NumSgprs: 0
; NumVgprs: 0
; ScratchSize: 0
; MemoryBound: 0
; FloatMode: 240
; IeeeMode: 1
; LDSByteSize: 0 bytes/workgroup (compile time only)
; SGPRBlocks: 0
; VGPRBlocks: 0
; NumSGPRsForWavesPerEU: 1
; NumVGPRsForWavesPerEU: 1
; Occupancy: 16
; WaveLimiterHint : 0
; COMPUTE_PGM_RSRC2:SCRATCH_EN: 0
; COMPUTE_PGM_RSRC2:USER_SGPR: 15
; COMPUTE_PGM_RSRC2:TRAP_HANDLER: 0
; COMPUTE_PGM_RSRC2:TGID_X_EN: 1
; COMPUTE_PGM_RSRC2:TGID_Y_EN: 0
; COMPUTE_PGM_RSRC2:TGID_Z_EN: 0
; COMPUTE_PGM_RSRC2:TIDIG_COMP_CNT: 0
	.section	.text._ZN7rocprim17ROCPRIM_400000_NS6detail17trampoline_kernelINS0_14default_configENS1_22reduce_config_selectorIbEEZNS1_11reduce_implILb1ES3_N6hipcub16HIPCUB_304000_NS22TransformInputIteratorIbN2at6native12_GLOBAL__N_19NonZeroOpIiEEPKilEEPiiNS8_6detail34convert_binary_result_type_wrapperINS8_3SumESH_iEEEE10hipError_tPvRmT1_T2_T3_mT4_P12ihipStream_tbEUlT_E0_NS1_11comp_targetILNS1_3genE2ELNS1_11target_archE906ELNS1_3gpuE6ELNS1_3repE0EEENS1_30default_config_static_selectorELNS0_4arch9wavefront6targetE0EEEvSQ_,"axG",@progbits,_ZN7rocprim17ROCPRIM_400000_NS6detail17trampoline_kernelINS0_14default_configENS1_22reduce_config_selectorIbEEZNS1_11reduce_implILb1ES3_N6hipcub16HIPCUB_304000_NS22TransformInputIteratorIbN2at6native12_GLOBAL__N_19NonZeroOpIiEEPKilEEPiiNS8_6detail34convert_binary_result_type_wrapperINS8_3SumESH_iEEEE10hipError_tPvRmT1_T2_T3_mT4_P12ihipStream_tbEUlT_E0_NS1_11comp_targetILNS1_3genE2ELNS1_11target_archE906ELNS1_3gpuE6ELNS1_3repE0EEENS1_30default_config_static_selectorELNS0_4arch9wavefront6targetE0EEEvSQ_,comdat
	.globl	_ZN7rocprim17ROCPRIM_400000_NS6detail17trampoline_kernelINS0_14default_configENS1_22reduce_config_selectorIbEEZNS1_11reduce_implILb1ES3_N6hipcub16HIPCUB_304000_NS22TransformInputIteratorIbN2at6native12_GLOBAL__N_19NonZeroOpIiEEPKilEEPiiNS8_6detail34convert_binary_result_type_wrapperINS8_3SumESH_iEEEE10hipError_tPvRmT1_T2_T3_mT4_P12ihipStream_tbEUlT_E0_NS1_11comp_targetILNS1_3genE2ELNS1_11target_archE906ELNS1_3gpuE6ELNS1_3repE0EEENS1_30default_config_static_selectorELNS0_4arch9wavefront6targetE0EEEvSQ_ ; -- Begin function _ZN7rocprim17ROCPRIM_400000_NS6detail17trampoline_kernelINS0_14default_configENS1_22reduce_config_selectorIbEEZNS1_11reduce_implILb1ES3_N6hipcub16HIPCUB_304000_NS22TransformInputIteratorIbN2at6native12_GLOBAL__N_19NonZeroOpIiEEPKilEEPiiNS8_6detail34convert_binary_result_type_wrapperINS8_3SumESH_iEEEE10hipError_tPvRmT1_T2_T3_mT4_P12ihipStream_tbEUlT_E0_NS1_11comp_targetILNS1_3genE2ELNS1_11target_archE906ELNS1_3gpuE6ELNS1_3repE0EEENS1_30default_config_static_selectorELNS0_4arch9wavefront6targetE0EEEvSQ_
	.p2align	8
	.type	_ZN7rocprim17ROCPRIM_400000_NS6detail17trampoline_kernelINS0_14default_configENS1_22reduce_config_selectorIbEEZNS1_11reduce_implILb1ES3_N6hipcub16HIPCUB_304000_NS22TransformInputIteratorIbN2at6native12_GLOBAL__N_19NonZeroOpIiEEPKilEEPiiNS8_6detail34convert_binary_result_type_wrapperINS8_3SumESH_iEEEE10hipError_tPvRmT1_T2_T3_mT4_P12ihipStream_tbEUlT_E0_NS1_11comp_targetILNS1_3genE2ELNS1_11target_archE906ELNS1_3gpuE6ELNS1_3repE0EEENS1_30default_config_static_selectorELNS0_4arch9wavefront6targetE0EEEvSQ_,@function
_ZN7rocprim17ROCPRIM_400000_NS6detail17trampoline_kernelINS0_14default_configENS1_22reduce_config_selectorIbEEZNS1_11reduce_implILb1ES3_N6hipcub16HIPCUB_304000_NS22TransformInputIteratorIbN2at6native12_GLOBAL__N_19NonZeroOpIiEEPKilEEPiiNS8_6detail34convert_binary_result_type_wrapperINS8_3SumESH_iEEEE10hipError_tPvRmT1_T2_T3_mT4_P12ihipStream_tbEUlT_E0_NS1_11comp_targetILNS1_3genE2ELNS1_11target_archE906ELNS1_3gpuE6ELNS1_3repE0EEENS1_30default_config_static_selectorELNS0_4arch9wavefront6targetE0EEEvSQ_: ; @_ZN7rocprim17ROCPRIM_400000_NS6detail17trampoline_kernelINS0_14default_configENS1_22reduce_config_selectorIbEEZNS1_11reduce_implILb1ES3_N6hipcub16HIPCUB_304000_NS22TransformInputIteratorIbN2at6native12_GLOBAL__N_19NonZeroOpIiEEPKilEEPiiNS8_6detail34convert_binary_result_type_wrapperINS8_3SumESH_iEEEE10hipError_tPvRmT1_T2_T3_mT4_P12ihipStream_tbEUlT_E0_NS1_11comp_targetILNS1_3genE2ELNS1_11target_archE906ELNS1_3gpuE6ELNS1_3repE0EEENS1_30default_config_static_selectorELNS0_4arch9wavefront6targetE0EEEvSQ_
; %bb.0:
	.section	.rodata,"a",@progbits
	.p2align	6, 0x0
	.amdhsa_kernel _ZN7rocprim17ROCPRIM_400000_NS6detail17trampoline_kernelINS0_14default_configENS1_22reduce_config_selectorIbEEZNS1_11reduce_implILb1ES3_N6hipcub16HIPCUB_304000_NS22TransformInputIteratorIbN2at6native12_GLOBAL__N_19NonZeroOpIiEEPKilEEPiiNS8_6detail34convert_binary_result_type_wrapperINS8_3SumESH_iEEEE10hipError_tPvRmT1_T2_T3_mT4_P12ihipStream_tbEUlT_E0_NS1_11comp_targetILNS1_3genE2ELNS1_11target_archE906ELNS1_3gpuE6ELNS1_3repE0EEENS1_30default_config_static_selectorELNS0_4arch9wavefront6targetE0EEEvSQ_
		.amdhsa_group_segment_fixed_size 0
		.amdhsa_private_segment_fixed_size 0
		.amdhsa_kernarg_size 64
		.amdhsa_user_sgpr_count 15
		.amdhsa_user_sgpr_dispatch_ptr 0
		.amdhsa_user_sgpr_queue_ptr 0
		.amdhsa_user_sgpr_kernarg_segment_ptr 1
		.amdhsa_user_sgpr_dispatch_id 0
		.amdhsa_user_sgpr_private_segment_size 0
		.amdhsa_wavefront_size32 1
		.amdhsa_uses_dynamic_stack 0
		.amdhsa_enable_private_segment 0
		.amdhsa_system_sgpr_workgroup_id_x 1
		.amdhsa_system_sgpr_workgroup_id_y 0
		.amdhsa_system_sgpr_workgroup_id_z 0
		.amdhsa_system_sgpr_workgroup_info 0
		.amdhsa_system_vgpr_workitem_id 0
		.amdhsa_next_free_vgpr 1
		.amdhsa_next_free_sgpr 1
		.amdhsa_reserve_vcc 0
		.amdhsa_float_round_mode_32 0
		.amdhsa_float_round_mode_16_64 0
		.amdhsa_float_denorm_mode_32 3
		.amdhsa_float_denorm_mode_16_64 3
		.amdhsa_dx10_clamp 1
		.amdhsa_ieee_mode 1
		.amdhsa_fp16_overflow 0
		.amdhsa_workgroup_processor_mode 1
		.amdhsa_memory_ordered 1
		.amdhsa_forward_progress 0
		.amdhsa_shared_vgpr_count 0
		.amdhsa_exception_fp_ieee_invalid_op 0
		.amdhsa_exception_fp_denorm_src 0
		.amdhsa_exception_fp_ieee_div_zero 0
		.amdhsa_exception_fp_ieee_overflow 0
		.amdhsa_exception_fp_ieee_underflow 0
		.amdhsa_exception_fp_ieee_inexact 0
		.amdhsa_exception_int_div_zero 0
	.end_amdhsa_kernel
	.section	.text._ZN7rocprim17ROCPRIM_400000_NS6detail17trampoline_kernelINS0_14default_configENS1_22reduce_config_selectorIbEEZNS1_11reduce_implILb1ES3_N6hipcub16HIPCUB_304000_NS22TransformInputIteratorIbN2at6native12_GLOBAL__N_19NonZeroOpIiEEPKilEEPiiNS8_6detail34convert_binary_result_type_wrapperINS8_3SumESH_iEEEE10hipError_tPvRmT1_T2_T3_mT4_P12ihipStream_tbEUlT_E0_NS1_11comp_targetILNS1_3genE2ELNS1_11target_archE906ELNS1_3gpuE6ELNS1_3repE0EEENS1_30default_config_static_selectorELNS0_4arch9wavefront6targetE0EEEvSQ_,"axG",@progbits,_ZN7rocprim17ROCPRIM_400000_NS6detail17trampoline_kernelINS0_14default_configENS1_22reduce_config_selectorIbEEZNS1_11reduce_implILb1ES3_N6hipcub16HIPCUB_304000_NS22TransformInputIteratorIbN2at6native12_GLOBAL__N_19NonZeroOpIiEEPKilEEPiiNS8_6detail34convert_binary_result_type_wrapperINS8_3SumESH_iEEEE10hipError_tPvRmT1_T2_T3_mT4_P12ihipStream_tbEUlT_E0_NS1_11comp_targetILNS1_3genE2ELNS1_11target_archE906ELNS1_3gpuE6ELNS1_3repE0EEENS1_30default_config_static_selectorELNS0_4arch9wavefront6targetE0EEEvSQ_,comdat
.Lfunc_end172:
	.size	_ZN7rocprim17ROCPRIM_400000_NS6detail17trampoline_kernelINS0_14default_configENS1_22reduce_config_selectorIbEEZNS1_11reduce_implILb1ES3_N6hipcub16HIPCUB_304000_NS22TransformInputIteratorIbN2at6native12_GLOBAL__N_19NonZeroOpIiEEPKilEEPiiNS8_6detail34convert_binary_result_type_wrapperINS8_3SumESH_iEEEE10hipError_tPvRmT1_T2_T3_mT4_P12ihipStream_tbEUlT_E0_NS1_11comp_targetILNS1_3genE2ELNS1_11target_archE906ELNS1_3gpuE6ELNS1_3repE0EEENS1_30default_config_static_selectorELNS0_4arch9wavefront6targetE0EEEvSQ_, .Lfunc_end172-_ZN7rocprim17ROCPRIM_400000_NS6detail17trampoline_kernelINS0_14default_configENS1_22reduce_config_selectorIbEEZNS1_11reduce_implILb1ES3_N6hipcub16HIPCUB_304000_NS22TransformInputIteratorIbN2at6native12_GLOBAL__N_19NonZeroOpIiEEPKilEEPiiNS8_6detail34convert_binary_result_type_wrapperINS8_3SumESH_iEEEE10hipError_tPvRmT1_T2_T3_mT4_P12ihipStream_tbEUlT_E0_NS1_11comp_targetILNS1_3genE2ELNS1_11target_archE906ELNS1_3gpuE6ELNS1_3repE0EEENS1_30default_config_static_selectorELNS0_4arch9wavefront6targetE0EEEvSQ_
                                        ; -- End function
	.section	.AMDGPU.csdata,"",@progbits
; Kernel info:
; codeLenInByte = 0
; NumSgprs: 0
; NumVgprs: 0
; ScratchSize: 0
; MemoryBound: 0
; FloatMode: 240
; IeeeMode: 1
; LDSByteSize: 0 bytes/workgroup (compile time only)
; SGPRBlocks: 0
; VGPRBlocks: 0
; NumSGPRsForWavesPerEU: 1
; NumVGPRsForWavesPerEU: 1
; Occupancy: 16
; WaveLimiterHint : 0
; COMPUTE_PGM_RSRC2:SCRATCH_EN: 0
; COMPUTE_PGM_RSRC2:USER_SGPR: 15
; COMPUTE_PGM_RSRC2:TRAP_HANDLER: 0
; COMPUTE_PGM_RSRC2:TGID_X_EN: 1
; COMPUTE_PGM_RSRC2:TGID_Y_EN: 0
; COMPUTE_PGM_RSRC2:TGID_Z_EN: 0
; COMPUTE_PGM_RSRC2:TIDIG_COMP_CNT: 0
	.section	.text._ZN7rocprim17ROCPRIM_400000_NS6detail17trampoline_kernelINS0_14default_configENS1_22reduce_config_selectorIbEEZNS1_11reduce_implILb1ES3_N6hipcub16HIPCUB_304000_NS22TransformInputIteratorIbN2at6native12_GLOBAL__N_19NonZeroOpIiEEPKilEEPiiNS8_6detail34convert_binary_result_type_wrapperINS8_3SumESH_iEEEE10hipError_tPvRmT1_T2_T3_mT4_P12ihipStream_tbEUlT_E0_NS1_11comp_targetILNS1_3genE10ELNS1_11target_archE1201ELNS1_3gpuE5ELNS1_3repE0EEENS1_30default_config_static_selectorELNS0_4arch9wavefront6targetE0EEEvSQ_,"axG",@progbits,_ZN7rocprim17ROCPRIM_400000_NS6detail17trampoline_kernelINS0_14default_configENS1_22reduce_config_selectorIbEEZNS1_11reduce_implILb1ES3_N6hipcub16HIPCUB_304000_NS22TransformInputIteratorIbN2at6native12_GLOBAL__N_19NonZeroOpIiEEPKilEEPiiNS8_6detail34convert_binary_result_type_wrapperINS8_3SumESH_iEEEE10hipError_tPvRmT1_T2_T3_mT4_P12ihipStream_tbEUlT_E0_NS1_11comp_targetILNS1_3genE10ELNS1_11target_archE1201ELNS1_3gpuE5ELNS1_3repE0EEENS1_30default_config_static_selectorELNS0_4arch9wavefront6targetE0EEEvSQ_,comdat
	.globl	_ZN7rocprim17ROCPRIM_400000_NS6detail17trampoline_kernelINS0_14default_configENS1_22reduce_config_selectorIbEEZNS1_11reduce_implILb1ES3_N6hipcub16HIPCUB_304000_NS22TransformInputIteratorIbN2at6native12_GLOBAL__N_19NonZeroOpIiEEPKilEEPiiNS8_6detail34convert_binary_result_type_wrapperINS8_3SumESH_iEEEE10hipError_tPvRmT1_T2_T3_mT4_P12ihipStream_tbEUlT_E0_NS1_11comp_targetILNS1_3genE10ELNS1_11target_archE1201ELNS1_3gpuE5ELNS1_3repE0EEENS1_30default_config_static_selectorELNS0_4arch9wavefront6targetE0EEEvSQ_ ; -- Begin function _ZN7rocprim17ROCPRIM_400000_NS6detail17trampoline_kernelINS0_14default_configENS1_22reduce_config_selectorIbEEZNS1_11reduce_implILb1ES3_N6hipcub16HIPCUB_304000_NS22TransformInputIteratorIbN2at6native12_GLOBAL__N_19NonZeroOpIiEEPKilEEPiiNS8_6detail34convert_binary_result_type_wrapperINS8_3SumESH_iEEEE10hipError_tPvRmT1_T2_T3_mT4_P12ihipStream_tbEUlT_E0_NS1_11comp_targetILNS1_3genE10ELNS1_11target_archE1201ELNS1_3gpuE5ELNS1_3repE0EEENS1_30default_config_static_selectorELNS0_4arch9wavefront6targetE0EEEvSQ_
	.p2align	8
	.type	_ZN7rocprim17ROCPRIM_400000_NS6detail17trampoline_kernelINS0_14default_configENS1_22reduce_config_selectorIbEEZNS1_11reduce_implILb1ES3_N6hipcub16HIPCUB_304000_NS22TransformInputIteratorIbN2at6native12_GLOBAL__N_19NonZeroOpIiEEPKilEEPiiNS8_6detail34convert_binary_result_type_wrapperINS8_3SumESH_iEEEE10hipError_tPvRmT1_T2_T3_mT4_P12ihipStream_tbEUlT_E0_NS1_11comp_targetILNS1_3genE10ELNS1_11target_archE1201ELNS1_3gpuE5ELNS1_3repE0EEENS1_30default_config_static_selectorELNS0_4arch9wavefront6targetE0EEEvSQ_,@function
_ZN7rocprim17ROCPRIM_400000_NS6detail17trampoline_kernelINS0_14default_configENS1_22reduce_config_selectorIbEEZNS1_11reduce_implILb1ES3_N6hipcub16HIPCUB_304000_NS22TransformInputIteratorIbN2at6native12_GLOBAL__N_19NonZeroOpIiEEPKilEEPiiNS8_6detail34convert_binary_result_type_wrapperINS8_3SumESH_iEEEE10hipError_tPvRmT1_T2_T3_mT4_P12ihipStream_tbEUlT_E0_NS1_11comp_targetILNS1_3genE10ELNS1_11target_archE1201ELNS1_3gpuE5ELNS1_3repE0EEENS1_30default_config_static_selectorELNS0_4arch9wavefront6targetE0EEEvSQ_: ; @_ZN7rocprim17ROCPRIM_400000_NS6detail17trampoline_kernelINS0_14default_configENS1_22reduce_config_selectorIbEEZNS1_11reduce_implILb1ES3_N6hipcub16HIPCUB_304000_NS22TransformInputIteratorIbN2at6native12_GLOBAL__N_19NonZeroOpIiEEPKilEEPiiNS8_6detail34convert_binary_result_type_wrapperINS8_3SumESH_iEEEE10hipError_tPvRmT1_T2_T3_mT4_P12ihipStream_tbEUlT_E0_NS1_11comp_targetILNS1_3genE10ELNS1_11target_archE1201ELNS1_3gpuE5ELNS1_3repE0EEENS1_30default_config_static_selectorELNS0_4arch9wavefront6targetE0EEEvSQ_
; %bb.0:
	.section	.rodata,"a",@progbits
	.p2align	6, 0x0
	.amdhsa_kernel _ZN7rocprim17ROCPRIM_400000_NS6detail17trampoline_kernelINS0_14default_configENS1_22reduce_config_selectorIbEEZNS1_11reduce_implILb1ES3_N6hipcub16HIPCUB_304000_NS22TransformInputIteratorIbN2at6native12_GLOBAL__N_19NonZeroOpIiEEPKilEEPiiNS8_6detail34convert_binary_result_type_wrapperINS8_3SumESH_iEEEE10hipError_tPvRmT1_T2_T3_mT4_P12ihipStream_tbEUlT_E0_NS1_11comp_targetILNS1_3genE10ELNS1_11target_archE1201ELNS1_3gpuE5ELNS1_3repE0EEENS1_30default_config_static_selectorELNS0_4arch9wavefront6targetE0EEEvSQ_
		.amdhsa_group_segment_fixed_size 0
		.amdhsa_private_segment_fixed_size 0
		.amdhsa_kernarg_size 64
		.amdhsa_user_sgpr_count 15
		.amdhsa_user_sgpr_dispatch_ptr 0
		.amdhsa_user_sgpr_queue_ptr 0
		.amdhsa_user_sgpr_kernarg_segment_ptr 1
		.amdhsa_user_sgpr_dispatch_id 0
		.amdhsa_user_sgpr_private_segment_size 0
		.amdhsa_wavefront_size32 1
		.amdhsa_uses_dynamic_stack 0
		.amdhsa_enable_private_segment 0
		.amdhsa_system_sgpr_workgroup_id_x 1
		.amdhsa_system_sgpr_workgroup_id_y 0
		.amdhsa_system_sgpr_workgroup_id_z 0
		.amdhsa_system_sgpr_workgroup_info 0
		.amdhsa_system_vgpr_workitem_id 0
		.amdhsa_next_free_vgpr 1
		.amdhsa_next_free_sgpr 1
		.amdhsa_reserve_vcc 0
		.amdhsa_float_round_mode_32 0
		.amdhsa_float_round_mode_16_64 0
		.amdhsa_float_denorm_mode_32 3
		.amdhsa_float_denorm_mode_16_64 3
		.amdhsa_dx10_clamp 1
		.amdhsa_ieee_mode 1
		.amdhsa_fp16_overflow 0
		.amdhsa_workgroup_processor_mode 1
		.amdhsa_memory_ordered 1
		.amdhsa_forward_progress 0
		.amdhsa_shared_vgpr_count 0
		.amdhsa_exception_fp_ieee_invalid_op 0
		.amdhsa_exception_fp_denorm_src 0
		.amdhsa_exception_fp_ieee_div_zero 0
		.amdhsa_exception_fp_ieee_overflow 0
		.amdhsa_exception_fp_ieee_underflow 0
		.amdhsa_exception_fp_ieee_inexact 0
		.amdhsa_exception_int_div_zero 0
	.end_amdhsa_kernel
	.section	.text._ZN7rocprim17ROCPRIM_400000_NS6detail17trampoline_kernelINS0_14default_configENS1_22reduce_config_selectorIbEEZNS1_11reduce_implILb1ES3_N6hipcub16HIPCUB_304000_NS22TransformInputIteratorIbN2at6native12_GLOBAL__N_19NonZeroOpIiEEPKilEEPiiNS8_6detail34convert_binary_result_type_wrapperINS8_3SumESH_iEEEE10hipError_tPvRmT1_T2_T3_mT4_P12ihipStream_tbEUlT_E0_NS1_11comp_targetILNS1_3genE10ELNS1_11target_archE1201ELNS1_3gpuE5ELNS1_3repE0EEENS1_30default_config_static_selectorELNS0_4arch9wavefront6targetE0EEEvSQ_,"axG",@progbits,_ZN7rocprim17ROCPRIM_400000_NS6detail17trampoline_kernelINS0_14default_configENS1_22reduce_config_selectorIbEEZNS1_11reduce_implILb1ES3_N6hipcub16HIPCUB_304000_NS22TransformInputIteratorIbN2at6native12_GLOBAL__N_19NonZeroOpIiEEPKilEEPiiNS8_6detail34convert_binary_result_type_wrapperINS8_3SumESH_iEEEE10hipError_tPvRmT1_T2_T3_mT4_P12ihipStream_tbEUlT_E0_NS1_11comp_targetILNS1_3genE10ELNS1_11target_archE1201ELNS1_3gpuE5ELNS1_3repE0EEENS1_30default_config_static_selectorELNS0_4arch9wavefront6targetE0EEEvSQ_,comdat
.Lfunc_end173:
	.size	_ZN7rocprim17ROCPRIM_400000_NS6detail17trampoline_kernelINS0_14default_configENS1_22reduce_config_selectorIbEEZNS1_11reduce_implILb1ES3_N6hipcub16HIPCUB_304000_NS22TransformInputIteratorIbN2at6native12_GLOBAL__N_19NonZeroOpIiEEPKilEEPiiNS8_6detail34convert_binary_result_type_wrapperINS8_3SumESH_iEEEE10hipError_tPvRmT1_T2_T3_mT4_P12ihipStream_tbEUlT_E0_NS1_11comp_targetILNS1_3genE10ELNS1_11target_archE1201ELNS1_3gpuE5ELNS1_3repE0EEENS1_30default_config_static_selectorELNS0_4arch9wavefront6targetE0EEEvSQ_, .Lfunc_end173-_ZN7rocprim17ROCPRIM_400000_NS6detail17trampoline_kernelINS0_14default_configENS1_22reduce_config_selectorIbEEZNS1_11reduce_implILb1ES3_N6hipcub16HIPCUB_304000_NS22TransformInputIteratorIbN2at6native12_GLOBAL__N_19NonZeroOpIiEEPKilEEPiiNS8_6detail34convert_binary_result_type_wrapperINS8_3SumESH_iEEEE10hipError_tPvRmT1_T2_T3_mT4_P12ihipStream_tbEUlT_E0_NS1_11comp_targetILNS1_3genE10ELNS1_11target_archE1201ELNS1_3gpuE5ELNS1_3repE0EEENS1_30default_config_static_selectorELNS0_4arch9wavefront6targetE0EEEvSQ_
                                        ; -- End function
	.section	.AMDGPU.csdata,"",@progbits
; Kernel info:
; codeLenInByte = 0
; NumSgprs: 0
; NumVgprs: 0
; ScratchSize: 0
; MemoryBound: 0
; FloatMode: 240
; IeeeMode: 1
; LDSByteSize: 0 bytes/workgroup (compile time only)
; SGPRBlocks: 0
; VGPRBlocks: 0
; NumSGPRsForWavesPerEU: 1
; NumVGPRsForWavesPerEU: 1
; Occupancy: 16
; WaveLimiterHint : 0
; COMPUTE_PGM_RSRC2:SCRATCH_EN: 0
; COMPUTE_PGM_RSRC2:USER_SGPR: 15
; COMPUTE_PGM_RSRC2:TRAP_HANDLER: 0
; COMPUTE_PGM_RSRC2:TGID_X_EN: 1
; COMPUTE_PGM_RSRC2:TGID_Y_EN: 0
; COMPUTE_PGM_RSRC2:TGID_Z_EN: 0
; COMPUTE_PGM_RSRC2:TIDIG_COMP_CNT: 0
	.section	.text._ZN7rocprim17ROCPRIM_400000_NS6detail17trampoline_kernelINS0_14default_configENS1_22reduce_config_selectorIbEEZNS1_11reduce_implILb1ES3_N6hipcub16HIPCUB_304000_NS22TransformInputIteratorIbN2at6native12_GLOBAL__N_19NonZeroOpIiEEPKilEEPiiNS8_6detail34convert_binary_result_type_wrapperINS8_3SumESH_iEEEE10hipError_tPvRmT1_T2_T3_mT4_P12ihipStream_tbEUlT_E0_NS1_11comp_targetILNS1_3genE10ELNS1_11target_archE1200ELNS1_3gpuE4ELNS1_3repE0EEENS1_30default_config_static_selectorELNS0_4arch9wavefront6targetE0EEEvSQ_,"axG",@progbits,_ZN7rocprim17ROCPRIM_400000_NS6detail17trampoline_kernelINS0_14default_configENS1_22reduce_config_selectorIbEEZNS1_11reduce_implILb1ES3_N6hipcub16HIPCUB_304000_NS22TransformInputIteratorIbN2at6native12_GLOBAL__N_19NonZeroOpIiEEPKilEEPiiNS8_6detail34convert_binary_result_type_wrapperINS8_3SumESH_iEEEE10hipError_tPvRmT1_T2_T3_mT4_P12ihipStream_tbEUlT_E0_NS1_11comp_targetILNS1_3genE10ELNS1_11target_archE1200ELNS1_3gpuE4ELNS1_3repE0EEENS1_30default_config_static_selectorELNS0_4arch9wavefront6targetE0EEEvSQ_,comdat
	.globl	_ZN7rocprim17ROCPRIM_400000_NS6detail17trampoline_kernelINS0_14default_configENS1_22reduce_config_selectorIbEEZNS1_11reduce_implILb1ES3_N6hipcub16HIPCUB_304000_NS22TransformInputIteratorIbN2at6native12_GLOBAL__N_19NonZeroOpIiEEPKilEEPiiNS8_6detail34convert_binary_result_type_wrapperINS8_3SumESH_iEEEE10hipError_tPvRmT1_T2_T3_mT4_P12ihipStream_tbEUlT_E0_NS1_11comp_targetILNS1_3genE10ELNS1_11target_archE1200ELNS1_3gpuE4ELNS1_3repE0EEENS1_30default_config_static_selectorELNS0_4arch9wavefront6targetE0EEEvSQ_ ; -- Begin function _ZN7rocprim17ROCPRIM_400000_NS6detail17trampoline_kernelINS0_14default_configENS1_22reduce_config_selectorIbEEZNS1_11reduce_implILb1ES3_N6hipcub16HIPCUB_304000_NS22TransformInputIteratorIbN2at6native12_GLOBAL__N_19NonZeroOpIiEEPKilEEPiiNS8_6detail34convert_binary_result_type_wrapperINS8_3SumESH_iEEEE10hipError_tPvRmT1_T2_T3_mT4_P12ihipStream_tbEUlT_E0_NS1_11comp_targetILNS1_3genE10ELNS1_11target_archE1200ELNS1_3gpuE4ELNS1_3repE0EEENS1_30default_config_static_selectorELNS0_4arch9wavefront6targetE0EEEvSQ_
	.p2align	8
	.type	_ZN7rocprim17ROCPRIM_400000_NS6detail17trampoline_kernelINS0_14default_configENS1_22reduce_config_selectorIbEEZNS1_11reduce_implILb1ES3_N6hipcub16HIPCUB_304000_NS22TransformInputIteratorIbN2at6native12_GLOBAL__N_19NonZeroOpIiEEPKilEEPiiNS8_6detail34convert_binary_result_type_wrapperINS8_3SumESH_iEEEE10hipError_tPvRmT1_T2_T3_mT4_P12ihipStream_tbEUlT_E0_NS1_11comp_targetILNS1_3genE10ELNS1_11target_archE1200ELNS1_3gpuE4ELNS1_3repE0EEENS1_30default_config_static_selectorELNS0_4arch9wavefront6targetE0EEEvSQ_,@function
_ZN7rocprim17ROCPRIM_400000_NS6detail17trampoline_kernelINS0_14default_configENS1_22reduce_config_selectorIbEEZNS1_11reduce_implILb1ES3_N6hipcub16HIPCUB_304000_NS22TransformInputIteratorIbN2at6native12_GLOBAL__N_19NonZeroOpIiEEPKilEEPiiNS8_6detail34convert_binary_result_type_wrapperINS8_3SumESH_iEEEE10hipError_tPvRmT1_T2_T3_mT4_P12ihipStream_tbEUlT_E0_NS1_11comp_targetILNS1_3genE10ELNS1_11target_archE1200ELNS1_3gpuE4ELNS1_3repE0EEENS1_30default_config_static_selectorELNS0_4arch9wavefront6targetE0EEEvSQ_: ; @_ZN7rocprim17ROCPRIM_400000_NS6detail17trampoline_kernelINS0_14default_configENS1_22reduce_config_selectorIbEEZNS1_11reduce_implILb1ES3_N6hipcub16HIPCUB_304000_NS22TransformInputIteratorIbN2at6native12_GLOBAL__N_19NonZeroOpIiEEPKilEEPiiNS8_6detail34convert_binary_result_type_wrapperINS8_3SumESH_iEEEE10hipError_tPvRmT1_T2_T3_mT4_P12ihipStream_tbEUlT_E0_NS1_11comp_targetILNS1_3genE10ELNS1_11target_archE1200ELNS1_3gpuE4ELNS1_3repE0EEENS1_30default_config_static_selectorELNS0_4arch9wavefront6targetE0EEEvSQ_
; %bb.0:
	.section	.rodata,"a",@progbits
	.p2align	6, 0x0
	.amdhsa_kernel _ZN7rocprim17ROCPRIM_400000_NS6detail17trampoline_kernelINS0_14default_configENS1_22reduce_config_selectorIbEEZNS1_11reduce_implILb1ES3_N6hipcub16HIPCUB_304000_NS22TransformInputIteratorIbN2at6native12_GLOBAL__N_19NonZeroOpIiEEPKilEEPiiNS8_6detail34convert_binary_result_type_wrapperINS8_3SumESH_iEEEE10hipError_tPvRmT1_T2_T3_mT4_P12ihipStream_tbEUlT_E0_NS1_11comp_targetILNS1_3genE10ELNS1_11target_archE1200ELNS1_3gpuE4ELNS1_3repE0EEENS1_30default_config_static_selectorELNS0_4arch9wavefront6targetE0EEEvSQ_
		.amdhsa_group_segment_fixed_size 0
		.amdhsa_private_segment_fixed_size 0
		.amdhsa_kernarg_size 64
		.amdhsa_user_sgpr_count 15
		.amdhsa_user_sgpr_dispatch_ptr 0
		.amdhsa_user_sgpr_queue_ptr 0
		.amdhsa_user_sgpr_kernarg_segment_ptr 1
		.amdhsa_user_sgpr_dispatch_id 0
		.amdhsa_user_sgpr_private_segment_size 0
		.amdhsa_wavefront_size32 1
		.amdhsa_uses_dynamic_stack 0
		.amdhsa_enable_private_segment 0
		.amdhsa_system_sgpr_workgroup_id_x 1
		.amdhsa_system_sgpr_workgroup_id_y 0
		.amdhsa_system_sgpr_workgroup_id_z 0
		.amdhsa_system_sgpr_workgroup_info 0
		.amdhsa_system_vgpr_workitem_id 0
		.amdhsa_next_free_vgpr 1
		.amdhsa_next_free_sgpr 1
		.amdhsa_reserve_vcc 0
		.amdhsa_float_round_mode_32 0
		.amdhsa_float_round_mode_16_64 0
		.amdhsa_float_denorm_mode_32 3
		.amdhsa_float_denorm_mode_16_64 3
		.amdhsa_dx10_clamp 1
		.amdhsa_ieee_mode 1
		.amdhsa_fp16_overflow 0
		.amdhsa_workgroup_processor_mode 1
		.amdhsa_memory_ordered 1
		.amdhsa_forward_progress 0
		.amdhsa_shared_vgpr_count 0
		.amdhsa_exception_fp_ieee_invalid_op 0
		.amdhsa_exception_fp_denorm_src 0
		.amdhsa_exception_fp_ieee_div_zero 0
		.amdhsa_exception_fp_ieee_overflow 0
		.amdhsa_exception_fp_ieee_underflow 0
		.amdhsa_exception_fp_ieee_inexact 0
		.amdhsa_exception_int_div_zero 0
	.end_amdhsa_kernel
	.section	.text._ZN7rocprim17ROCPRIM_400000_NS6detail17trampoline_kernelINS0_14default_configENS1_22reduce_config_selectorIbEEZNS1_11reduce_implILb1ES3_N6hipcub16HIPCUB_304000_NS22TransformInputIteratorIbN2at6native12_GLOBAL__N_19NonZeroOpIiEEPKilEEPiiNS8_6detail34convert_binary_result_type_wrapperINS8_3SumESH_iEEEE10hipError_tPvRmT1_T2_T3_mT4_P12ihipStream_tbEUlT_E0_NS1_11comp_targetILNS1_3genE10ELNS1_11target_archE1200ELNS1_3gpuE4ELNS1_3repE0EEENS1_30default_config_static_selectorELNS0_4arch9wavefront6targetE0EEEvSQ_,"axG",@progbits,_ZN7rocprim17ROCPRIM_400000_NS6detail17trampoline_kernelINS0_14default_configENS1_22reduce_config_selectorIbEEZNS1_11reduce_implILb1ES3_N6hipcub16HIPCUB_304000_NS22TransformInputIteratorIbN2at6native12_GLOBAL__N_19NonZeroOpIiEEPKilEEPiiNS8_6detail34convert_binary_result_type_wrapperINS8_3SumESH_iEEEE10hipError_tPvRmT1_T2_T3_mT4_P12ihipStream_tbEUlT_E0_NS1_11comp_targetILNS1_3genE10ELNS1_11target_archE1200ELNS1_3gpuE4ELNS1_3repE0EEENS1_30default_config_static_selectorELNS0_4arch9wavefront6targetE0EEEvSQ_,comdat
.Lfunc_end174:
	.size	_ZN7rocprim17ROCPRIM_400000_NS6detail17trampoline_kernelINS0_14default_configENS1_22reduce_config_selectorIbEEZNS1_11reduce_implILb1ES3_N6hipcub16HIPCUB_304000_NS22TransformInputIteratorIbN2at6native12_GLOBAL__N_19NonZeroOpIiEEPKilEEPiiNS8_6detail34convert_binary_result_type_wrapperINS8_3SumESH_iEEEE10hipError_tPvRmT1_T2_T3_mT4_P12ihipStream_tbEUlT_E0_NS1_11comp_targetILNS1_3genE10ELNS1_11target_archE1200ELNS1_3gpuE4ELNS1_3repE0EEENS1_30default_config_static_selectorELNS0_4arch9wavefront6targetE0EEEvSQ_, .Lfunc_end174-_ZN7rocprim17ROCPRIM_400000_NS6detail17trampoline_kernelINS0_14default_configENS1_22reduce_config_selectorIbEEZNS1_11reduce_implILb1ES3_N6hipcub16HIPCUB_304000_NS22TransformInputIteratorIbN2at6native12_GLOBAL__N_19NonZeroOpIiEEPKilEEPiiNS8_6detail34convert_binary_result_type_wrapperINS8_3SumESH_iEEEE10hipError_tPvRmT1_T2_T3_mT4_P12ihipStream_tbEUlT_E0_NS1_11comp_targetILNS1_3genE10ELNS1_11target_archE1200ELNS1_3gpuE4ELNS1_3repE0EEENS1_30default_config_static_selectorELNS0_4arch9wavefront6targetE0EEEvSQ_
                                        ; -- End function
	.section	.AMDGPU.csdata,"",@progbits
; Kernel info:
; codeLenInByte = 0
; NumSgprs: 0
; NumVgprs: 0
; ScratchSize: 0
; MemoryBound: 0
; FloatMode: 240
; IeeeMode: 1
; LDSByteSize: 0 bytes/workgroup (compile time only)
; SGPRBlocks: 0
; VGPRBlocks: 0
; NumSGPRsForWavesPerEU: 1
; NumVGPRsForWavesPerEU: 1
; Occupancy: 16
; WaveLimiterHint : 0
; COMPUTE_PGM_RSRC2:SCRATCH_EN: 0
; COMPUTE_PGM_RSRC2:USER_SGPR: 15
; COMPUTE_PGM_RSRC2:TRAP_HANDLER: 0
; COMPUTE_PGM_RSRC2:TGID_X_EN: 1
; COMPUTE_PGM_RSRC2:TGID_Y_EN: 0
; COMPUTE_PGM_RSRC2:TGID_Z_EN: 0
; COMPUTE_PGM_RSRC2:TIDIG_COMP_CNT: 0
	.section	.text._ZN7rocprim17ROCPRIM_400000_NS6detail17trampoline_kernelINS0_14default_configENS1_22reduce_config_selectorIbEEZNS1_11reduce_implILb1ES3_N6hipcub16HIPCUB_304000_NS22TransformInputIteratorIbN2at6native12_GLOBAL__N_19NonZeroOpIiEEPKilEEPiiNS8_6detail34convert_binary_result_type_wrapperINS8_3SumESH_iEEEE10hipError_tPvRmT1_T2_T3_mT4_P12ihipStream_tbEUlT_E0_NS1_11comp_targetILNS1_3genE9ELNS1_11target_archE1100ELNS1_3gpuE3ELNS1_3repE0EEENS1_30default_config_static_selectorELNS0_4arch9wavefront6targetE0EEEvSQ_,"axG",@progbits,_ZN7rocprim17ROCPRIM_400000_NS6detail17trampoline_kernelINS0_14default_configENS1_22reduce_config_selectorIbEEZNS1_11reduce_implILb1ES3_N6hipcub16HIPCUB_304000_NS22TransformInputIteratorIbN2at6native12_GLOBAL__N_19NonZeroOpIiEEPKilEEPiiNS8_6detail34convert_binary_result_type_wrapperINS8_3SumESH_iEEEE10hipError_tPvRmT1_T2_T3_mT4_P12ihipStream_tbEUlT_E0_NS1_11comp_targetILNS1_3genE9ELNS1_11target_archE1100ELNS1_3gpuE3ELNS1_3repE0EEENS1_30default_config_static_selectorELNS0_4arch9wavefront6targetE0EEEvSQ_,comdat
	.globl	_ZN7rocprim17ROCPRIM_400000_NS6detail17trampoline_kernelINS0_14default_configENS1_22reduce_config_selectorIbEEZNS1_11reduce_implILb1ES3_N6hipcub16HIPCUB_304000_NS22TransformInputIteratorIbN2at6native12_GLOBAL__N_19NonZeroOpIiEEPKilEEPiiNS8_6detail34convert_binary_result_type_wrapperINS8_3SumESH_iEEEE10hipError_tPvRmT1_T2_T3_mT4_P12ihipStream_tbEUlT_E0_NS1_11comp_targetILNS1_3genE9ELNS1_11target_archE1100ELNS1_3gpuE3ELNS1_3repE0EEENS1_30default_config_static_selectorELNS0_4arch9wavefront6targetE0EEEvSQ_ ; -- Begin function _ZN7rocprim17ROCPRIM_400000_NS6detail17trampoline_kernelINS0_14default_configENS1_22reduce_config_selectorIbEEZNS1_11reduce_implILb1ES3_N6hipcub16HIPCUB_304000_NS22TransformInputIteratorIbN2at6native12_GLOBAL__N_19NonZeroOpIiEEPKilEEPiiNS8_6detail34convert_binary_result_type_wrapperINS8_3SumESH_iEEEE10hipError_tPvRmT1_T2_T3_mT4_P12ihipStream_tbEUlT_E0_NS1_11comp_targetILNS1_3genE9ELNS1_11target_archE1100ELNS1_3gpuE3ELNS1_3repE0EEENS1_30default_config_static_selectorELNS0_4arch9wavefront6targetE0EEEvSQ_
	.p2align	8
	.type	_ZN7rocprim17ROCPRIM_400000_NS6detail17trampoline_kernelINS0_14default_configENS1_22reduce_config_selectorIbEEZNS1_11reduce_implILb1ES3_N6hipcub16HIPCUB_304000_NS22TransformInputIteratorIbN2at6native12_GLOBAL__N_19NonZeroOpIiEEPKilEEPiiNS8_6detail34convert_binary_result_type_wrapperINS8_3SumESH_iEEEE10hipError_tPvRmT1_T2_T3_mT4_P12ihipStream_tbEUlT_E0_NS1_11comp_targetILNS1_3genE9ELNS1_11target_archE1100ELNS1_3gpuE3ELNS1_3repE0EEENS1_30default_config_static_selectorELNS0_4arch9wavefront6targetE0EEEvSQ_,@function
_ZN7rocprim17ROCPRIM_400000_NS6detail17trampoline_kernelINS0_14default_configENS1_22reduce_config_selectorIbEEZNS1_11reduce_implILb1ES3_N6hipcub16HIPCUB_304000_NS22TransformInputIteratorIbN2at6native12_GLOBAL__N_19NonZeroOpIiEEPKilEEPiiNS8_6detail34convert_binary_result_type_wrapperINS8_3SumESH_iEEEE10hipError_tPvRmT1_T2_T3_mT4_P12ihipStream_tbEUlT_E0_NS1_11comp_targetILNS1_3genE9ELNS1_11target_archE1100ELNS1_3gpuE3ELNS1_3repE0EEENS1_30default_config_static_selectorELNS0_4arch9wavefront6targetE0EEEvSQ_: ; @_ZN7rocprim17ROCPRIM_400000_NS6detail17trampoline_kernelINS0_14default_configENS1_22reduce_config_selectorIbEEZNS1_11reduce_implILb1ES3_N6hipcub16HIPCUB_304000_NS22TransformInputIteratorIbN2at6native12_GLOBAL__N_19NonZeroOpIiEEPKilEEPiiNS8_6detail34convert_binary_result_type_wrapperINS8_3SumESH_iEEEE10hipError_tPvRmT1_T2_T3_mT4_P12ihipStream_tbEUlT_E0_NS1_11comp_targetILNS1_3genE9ELNS1_11target_archE1100ELNS1_3gpuE3ELNS1_3repE0EEENS1_30default_config_static_selectorELNS0_4arch9wavefront6targetE0EEEvSQ_
; %bb.0:
	s_clause 0x2
	s_load_b256 s[16:23], s[0:1], 0x10
	s_load_b64 s[4:5], s[0:1], 0x0
	s_load_b64 s[26:27], s[0:1], 0x30
	s_mov_b32 s3, 0
	v_lshlrev_b32_e32 v18, 2, v0
	v_mbcnt_lo_u32_b32 v17, -1, 0
	s_mov_b32 s24, s15
	s_mov_b32 s25, s3
	s_waitcnt lgkmcnt(0)
	s_lshl_b64 s[6:7], s[16:17], 2
	s_delay_alu instid0(SALU_CYCLE_1) | instskip(SKIP_4) | instid1(SALU_CYCLE_1)
	s_add_u32 s8, s4, s6
	s_addc_u32 s9, s5, s7
	s_lshl_b32 s2, s15, 11
	s_lshr_b64 s[6:7], s[18:19], 11
	s_lshl_b64 s[4:5], s[2:3], 2
	s_add_u32 s16, s8, s4
	s_addc_u32 s17, s9, s5
	s_cmp_lg_u64 s[6:7], s[24:25]
	s_cbranch_scc0 .LBB175_6
; %bb.1:
	s_clause 0x5
	global_load_b32 v3, v18, s[16:17]
	global_load_b32 v4, v18, s[16:17] offset:512
	global_load_b32 v5, v18, s[16:17] offset:1024
	;; [unrolled: 1-line block ×5, first 2 shown]
	v_add_co_u32 v1, s3, s16, v18
	s_delay_alu instid0(VALU_DEP_1) | instskip(SKIP_1) | instid1(VALU_DEP_2)
	v_add_co_ci_u32_e64 v2, null, s17, 0, s3
	s_mov_b32 s3, exec_lo
	v_add_co_u32 v1, vcc_lo, 0x1000, v1
	s_delay_alu instid0(VALU_DEP_2)
	v_add_co_ci_u32_e32 v2, vcc_lo, 0, v2, vcc_lo
	s_clause 0x9
	global_load_b32 v9, v18, s[16:17] offset:2560
	global_load_b32 v10, v[1:2], off
	global_load_b32 v11, v18, s[16:17] offset:3584
	global_load_b32 v12, v[1:2], off offset:1024
	global_load_b32 v13, v[1:2], off offset:512
	;; [unrolled: 1-line block ×7, first 2 shown]
	s_waitcnt vmcnt(15)
	v_cmp_ne_u32_e32 vcc_lo, 0, v3
	v_cndmask_b32_e64 v2, 0, 1, vcc_lo
	s_waitcnt vmcnt(13)
	v_cmp_ne_u32_e32 vcc_lo, 0, v5
	v_cndmask_b32_e64 v3, 0, 1, vcc_lo
	v_cmp_ne_u32_e32 vcc_lo, 0, v4
	v_add_co_ci_u32_e32 v2, vcc_lo, 0, v2, vcc_lo
	s_waitcnt vmcnt(11)
	v_cmp_ne_u32_e32 vcc_lo, 0, v7
	v_cndmask_b32_e64 v4, 0, 1, vcc_lo
	v_cmp_ne_u32_e32 vcc_lo, 0, v6
	v_add_co_ci_u32_e32 v2, vcc_lo, v2, v3, vcc_lo
	s_waitcnt vmcnt(10)
	v_cmp_ne_u32_e32 vcc_lo, 0, v8
	v_cndmask_b32_e64 v3, 0, 1, vcc_lo
	s_waitcnt vmcnt(9)
	v_cmp_ne_u32_e32 vcc_lo, 0, v9
	v_add_co_ci_u32_e32 v2, vcc_lo, v2, v4, vcc_lo
	s_waitcnt vmcnt(8)
	v_cmp_ne_u32_e32 vcc_lo, 0, v10
	v_cndmask_b32_e64 v4, 0, 1, vcc_lo
	s_waitcnt vmcnt(7)
	;; [unrolled: 6-line block ×5, first 2 shown]
	v_cmp_ne_u32_e32 vcc_lo, 0, v19
	v_add_co_ci_u32_e32 v2, vcc_lo, v2, v4, vcc_lo
	s_waitcnt vmcnt(0)
	v_cmp_ne_u32_e32 vcc_lo, 0, v1
	s_delay_alu instid0(VALU_DEP_2) | instskip(SKIP_1) | instid1(VALU_DEP_2)
	v_add_co_ci_u32_e32 v1, vcc_lo, v2, v3, vcc_lo
	v_mov_b32_e32 v3, 0
	v_mov_b32_dpp v2, v1 quad_perm:[1,0,3,2] row_mask:0xf bank_mask:0xf
	s_delay_alu instid0(VALU_DEP_1) | instskip(NEXT) | instid1(VALU_DEP_1)
	v_add_nc_u32_e32 v1, v1, v2
	v_mov_b32_dpp v2, v1 quad_perm:[2,3,0,1] row_mask:0xf bank_mask:0xf
	s_delay_alu instid0(VALU_DEP_1) | instskip(NEXT) | instid1(VALU_DEP_1)
	v_add_nc_u32_e32 v1, v1, v2
	v_mov_b32_dpp v2, v1 row_ror:4 row_mask:0xf bank_mask:0xf
	s_delay_alu instid0(VALU_DEP_1) | instskip(NEXT) | instid1(VALU_DEP_1)
	v_add_nc_u32_e32 v1, v1, v2
	v_mov_b32_dpp v2, v1 row_ror:8 row_mask:0xf bank_mask:0xf
	s_delay_alu instid0(VALU_DEP_1)
	v_add_nc_u32_e32 v1, v1, v2
	ds_swizzle_b32 v2, v1 offset:swizzle(BROADCAST,32,15)
	s_waitcnt lgkmcnt(0)
	v_add_nc_u32_e32 v1, v1, v2
	ds_bpermute_b32 v1, v3, v1 offset:124
	v_cmpx_eq_u32_e32 0, v17
	s_cbranch_execz .LBB175_3
; %bb.2:
	v_lshrrev_b32_e32 v2, 3, v0
	s_delay_alu instid0(VALU_DEP_1)
	v_and_b32_e32 v2, 12, v2
	s_waitcnt lgkmcnt(0)
	ds_store_b32 v2, v1
.LBB175_3:
	s_or_b32 exec_lo, exec_lo, s3
	s_delay_alu instid0(SALU_CYCLE_1)
	s_mov_b32 s3, exec_lo
	s_waitcnt lgkmcnt(0)
	s_barrier
	buffer_gl0_inv
	v_cmpx_gt_u32_e32 32, v0
	s_cbranch_execz .LBB175_5
; %bb.4:
	v_and_b32_e32 v1, 3, v17
	s_delay_alu instid0(VALU_DEP_1) | instskip(SKIP_4) | instid1(VALU_DEP_2)
	v_lshlrev_b32_e32 v2, 2, v1
	v_cmp_ne_u32_e32 vcc_lo, 3, v1
	ds_load_b32 v2, v2
	v_add_co_ci_u32_e32 v3, vcc_lo, 0, v17, vcc_lo
	v_cmp_gt_u32_e32 vcc_lo, 2, v1
	v_lshlrev_b32_e32 v3, 2, v3
	v_cndmask_b32_e64 v1, 0, 1, vcc_lo
	s_delay_alu instid0(VALU_DEP_1) | instskip(NEXT) | instid1(VALU_DEP_1)
	v_lshlrev_b32_e32 v1, 1, v1
	v_add_lshl_u32 v1, v1, v17, 2
	s_waitcnt lgkmcnt(0)
	ds_bpermute_b32 v3, v3, v2
	s_waitcnt lgkmcnt(0)
	v_add_nc_u32_e32 v2, v3, v2
	ds_bpermute_b32 v1, v1, v2
	s_waitcnt lgkmcnt(0)
	v_add_nc_u32_e32 v1, v1, v2
.LBB175_5:
	s_or_b32 exec_lo, exec_lo, s3
	s_branch .LBB175_44
.LBB175_6:
                                        ; implicit-def: $vgpr1
	s_cbranch_execz .LBB175_44
; %bb.7:
	s_sub_i32 s28, s18, s2
	s_mov_b32 s2, exec_lo
                                        ; implicit-def: $vgpr1_vgpr2_vgpr3_vgpr4_vgpr5_vgpr6_vgpr7_vgpr8_vgpr9_vgpr10_vgpr11_vgpr12_vgpr13_vgpr14_vgpr15_vgpr16
	v_cmpx_gt_u32_e64 s28, v0
	s_cbranch_execz .LBB175_9
; %bb.8:
	global_load_b32 v1, v18, s[16:17]
	s_waitcnt vmcnt(0)
	v_cmp_ne_u32_e32 vcc_lo, 0, v1
	v_cndmask_b32_e64 v1, 0, 1, vcc_lo
.LBB175_9:
	s_or_b32 exec_lo, exec_lo, s2
	v_or_b32_e32 v19, 0x80, v0
	s_delay_alu instid0(VALU_DEP_1)
	v_cmp_gt_u32_e32 vcc_lo, s28, v19
	s_and_saveexec_b32 s3, vcc_lo
	s_cbranch_execz .LBB175_11
; %bb.10:
	global_load_b32 v2, v18, s[16:17] offset:512
	s_waitcnt vmcnt(0)
	v_cmp_ne_u32_e64 s2, 0, v2
	s_delay_alu instid0(VALU_DEP_1)
	v_cndmask_b32_e64 v2, 0, 1, s2
.LBB175_11:
	s_or_b32 exec_lo, exec_lo, s3
	v_or_b32_e32 v19, 0x100, v0
	s_delay_alu instid0(VALU_DEP_1) | instskip(NEXT) | instid1(VALU_DEP_1)
	v_cmp_gt_u32_e64 s2, s28, v19
	s_and_saveexec_b32 s4, s2
	s_cbranch_execz .LBB175_13
; %bb.12:
	global_load_b32 v3, v18, s[16:17] offset:1024
	s_waitcnt vmcnt(0)
	v_cmp_ne_u32_e64 s3, 0, v3
	s_delay_alu instid0(VALU_DEP_1)
	v_cndmask_b32_e64 v3, 0, 1, s3
.LBB175_13:
	s_or_b32 exec_lo, exec_lo, s4
	v_or_b32_e32 v19, 0x180, v0
	s_delay_alu instid0(VALU_DEP_1) | instskip(NEXT) | instid1(VALU_DEP_1)
	v_cmp_gt_u32_e64 s3, s28, v19
	s_and_saveexec_b32 s5, s3
	;; [unrolled: 13-line block ×7, first 2 shown]
	s_cbranch_execz .LBB175_25
; %bb.24:
	v_lshlrev_b32_e32 v9, 2, v18
	global_load_b32 v9, v9, s[16:17]
	s_waitcnt vmcnt(0)
	v_cmp_ne_u32_e64 s9, 0, v9
	s_delay_alu instid0(VALU_DEP_1)
	v_cndmask_b32_e64 v9, 0, 1, s9
.LBB175_25:
	s_or_b32 exec_lo, exec_lo, s10
	v_or_b32_e32 v18, 0x480, v0
	s_delay_alu instid0(VALU_DEP_1) | instskip(NEXT) | instid1(VALU_DEP_1)
	v_cmp_gt_u32_e64 s9, s28, v18
	s_and_saveexec_b32 s11, s9
	s_cbranch_execz .LBB175_27
; %bb.26:
	v_lshlrev_b32_e32 v10, 2, v18
	global_load_b32 v10, v10, s[16:17]
	s_waitcnt vmcnt(0)
	v_cmp_ne_u32_e64 s10, 0, v10
	s_delay_alu instid0(VALU_DEP_1)
	v_cndmask_b32_e64 v10, 0, 1, s10
.LBB175_27:
	s_or_b32 exec_lo, exec_lo, s11
	v_or_b32_e32 v18, 0x500, v0
	s_delay_alu instid0(VALU_DEP_1) | instskip(NEXT) | instid1(VALU_DEP_1)
	v_cmp_gt_u32_e64 s10, s28, v18
	s_and_saveexec_b32 s12, s10
	;; [unrolled: 14-line block ×7, first 2 shown]
	s_cbranch_execz .LBB175_39
; %bb.38:
	v_lshlrev_b32_e32 v16, 2, v18
	global_load_b32 v16, v16, s[16:17]
	s_waitcnt vmcnt(0)
	v_cmp_ne_u32_e64 s16, 0, v16
	s_delay_alu instid0(VALU_DEP_1)
	v_cndmask_b32_e64 v16, 0, 1, s16
.LBB175_39:
	s_or_b32 exec_lo, exec_lo, s29
	v_cndmask_b32_e32 v2, 0, v2, vcc_lo
	v_cndmask_b32_e64 v3, 0, v3, s2
	v_cndmask_b32_e64 v4, 0, v4, s3
	v_cmp_ne_u32_e32 vcc_lo, 31, v17
	s_min_u32 s2, s28, 0x80
	v_add_nc_u32_e32 v1, v2, v1
	v_cndmask_b32_e64 v2, 0, v5, s4
	v_cndmask_b32_e64 v5, 0, v6, s5
	;; [unrolled: 1-line block ×3, first 2 shown]
	s_mov_b32 s3, exec_lo
	v_add3_u32 v1, v1, v3, v4
	v_cndmask_b32_e64 v3, 0, v7, s6
	v_cndmask_b32_e64 v4, 0, v8, s7
	s_delay_alu instid0(VALU_DEP_3) | instskip(SKIP_2) | instid1(VALU_DEP_3)
	v_add3_u32 v1, v1, v2, v5
	v_cndmask_b32_e64 v2, 0, v9, s8
	v_cndmask_b32_e64 v5, 0, v10, s9
	v_add3_u32 v1, v1, v3, v4
	v_cndmask_b32_e64 v3, 0, v11, s10
	v_cndmask_b32_e64 v4, 0, v12, s11
	s_delay_alu instid0(VALU_DEP_3) | instskip(SKIP_2) | instid1(VALU_DEP_3)
	v_add3_u32 v1, v1, v2, v5
	v_cndmask_b32_e64 v2, 0, v13, s12
	v_cndmask_b32_e64 v5, 0, v14, s13
	v_add3_u32 v1, v1, v3, v4
	v_cndmask_b32_e64 v3, 0, v16, s15
	v_add_co_ci_u32_e32 v4, vcc_lo, 0, v17, vcc_lo
	v_cmp_gt_u32_e32 vcc_lo, 30, v17
	s_delay_alu instid0(VALU_DEP_4) | instskip(NEXT) | instid1(VALU_DEP_3)
	v_add3_u32 v1, v1, v2, v5
	v_lshlrev_b32_e32 v2, 2, v4
	v_add_nc_u32_e32 v4, 1, v17
	v_cndmask_b32_e64 v5, 0, 1, vcc_lo
	s_delay_alu instid0(VALU_DEP_4) | instskip(SKIP_1) | instid1(VALU_DEP_3)
	v_add3_u32 v1, v1, v6, v3
	v_and_b32_e32 v3, 0x60, v0
	v_lshlrev_b32_e32 v5, 1, v5
	ds_bpermute_b32 v2, v2, v1
	v_sub_nc_u32_e64 v3, s2, v3 clamp
	s_delay_alu instid0(VALU_DEP_1) | instskip(SKIP_4) | instid1(VALU_DEP_2)
	v_cmp_lt_u32_e32 vcc_lo, v4, v3
	v_add_lshl_u32 v4, v5, v17, 2
	s_waitcnt lgkmcnt(0)
	v_dual_cndmask_b32 v2, 0, v2 :: v_dual_add_nc_u32 v5, 2, v17
	v_cmp_gt_u32_e32 vcc_lo, 28, v17
	v_add_nc_u32_e32 v1, v1, v2
	ds_bpermute_b32 v2, v4, v1
	v_cndmask_b32_e64 v4, 0, 1, vcc_lo
	v_cmp_lt_u32_e32 vcc_lo, v5, v3
	v_add_nc_u32_e32 v5, 4, v17
	s_delay_alu instid0(VALU_DEP_3) | instskip(NEXT) | instid1(VALU_DEP_1)
	v_lshlrev_b32_e32 v4, 2, v4
	v_add_lshl_u32 v4, v4, v17, 2
	s_waitcnt lgkmcnt(0)
	v_cndmask_b32_e32 v2, 0, v2, vcc_lo
	v_cmp_gt_u32_e32 vcc_lo, 24, v17
	s_delay_alu instid0(VALU_DEP_2) | instskip(SKIP_4) | instid1(VALU_DEP_3)
	v_add_nc_u32_e32 v1, v1, v2
	ds_bpermute_b32 v2, v4, v1
	v_cndmask_b32_e64 v4, 0, 1, vcc_lo
	v_cmp_lt_u32_e32 vcc_lo, v5, v3
	v_add_nc_u32_e32 v5, 8, v17
	v_lshlrev_b32_e32 v4, 3, v4
	s_delay_alu instid0(VALU_DEP_1) | instskip(SKIP_3) | instid1(VALU_DEP_2)
	v_add_lshl_u32 v4, v4, v17, 2
	s_waitcnt lgkmcnt(0)
	v_cndmask_b32_e32 v2, 0, v2, vcc_lo
	v_cmp_gt_u32_e32 vcc_lo, 16, v17
	v_add_nc_u32_e32 v1, v1, v2
	ds_bpermute_b32 v2, v4, v1
	v_cndmask_b32_e64 v4, 0, 1, vcc_lo
	v_cmp_lt_u32_e32 vcc_lo, v5, v3
	s_delay_alu instid0(VALU_DEP_2) | instskip(NEXT) | instid1(VALU_DEP_1)
	v_lshlrev_b32_e32 v4, 4, v4
	v_add_lshl_u32 v4, v4, v17, 2
	s_waitcnt lgkmcnt(0)
	v_cndmask_b32_e32 v2, 0, v2, vcc_lo
	s_delay_alu instid0(VALU_DEP_1) | instskip(SKIP_2) | instid1(VALU_DEP_1)
	v_add_nc_u32_e32 v1, v1, v2
	ds_bpermute_b32 v2, v4, v1
	v_add_nc_u32_e32 v4, 16, v17
	v_cmp_lt_u32_e32 vcc_lo, v4, v3
	s_waitcnt lgkmcnt(0)
	v_cndmask_b32_e32 v2, 0, v2, vcc_lo
	s_delay_alu instid0(VALU_DEP_1)
	v_add_nc_u32_e32 v1, v1, v2
	v_cmpx_eq_u32_e32 0, v17
	s_cbranch_execz .LBB175_41
; %bb.40:
	v_lshrrev_b32_e32 v2, 3, v0
	s_delay_alu instid0(VALU_DEP_1)
	v_and_b32_e32 v2, 12, v2
	ds_store_b32 v2, v1 offset:16
.LBB175_41:
	s_or_b32 exec_lo, exec_lo, s3
	s_delay_alu instid0(SALU_CYCLE_1)
	s_mov_b32 s3, exec_lo
	s_waitcnt lgkmcnt(0)
	s_barrier
	buffer_gl0_inv
	v_cmpx_gt_u32_e32 4, v0
	s_cbranch_execz .LBB175_43
; %bb.42:
	v_lshlrev_b32_e32 v1, 2, v17
	v_and_b32_e32 v2, 3, v17
	s_add_i32 s2, s2, 31
	s_delay_alu instid0(SALU_CYCLE_1)
	s_lshr_b32 s2, s2, 5
	ds_load_b32 v1, v1 offset:16
	v_cmp_ne_u32_e32 vcc_lo, 3, v2
	v_add_nc_u32_e32 v4, 1, v2
	v_add_co_ci_u32_e32 v3, vcc_lo, 0, v17, vcc_lo
	v_cmp_gt_u32_e32 vcc_lo, 2, v2
	s_delay_alu instid0(VALU_DEP_2) | instskip(SKIP_2) | instid1(VALU_DEP_2)
	v_lshlrev_b32_e32 v3, 2, v3
	v_cndmask_b32_e64 v5, 0, 1, vcc_lo
	v_cmp_gt_u32_e32 vcc_lo, s2, v4
	v_lshlrev_b32_e32 v4, 1, v5
	s_waitcnt lgkmcnt(0)
	ds_bpermute_b32 v3, v3, v1
	s_waitcnt lgkmcnt(0)
	v_dual_cndmask_b32 v3, 0, v3 :: v_dual_add_nc_u32 v2, 2, v2
	s_delay_alu instid0(VALU_DEP_1) | instskip(SKIP_1) | instid1(VALU_DEP_3)
	v_add_nc_u32_e32 v1, v3, v1
	v_add_lshl_u32 v3, v4, v17, 2
	v_cmp_gt_u32_e32 vcc_lo, s2, v2
	ds_bpermute_b32 v3, v3, v1
	s_waitcnt lgkmcnt(0)
	v_cndmask_b32_e32 v2, 0, v3, vcc_lo
	s_delay_alu instid0(VALU_DEP_1)
	v_add_nc_u32_e32 v1, v1, v2
.LBB175_43:
	s_or_b32 exec_lo, exec_lo, s3
.LBB175_44:
	s_load_b32 s0, s[0:1], 0x38
	s_mov_b32 s1, exec_lo
	v_cmpx_eq_u32_e32 0, v0
	s_cbranch_execz .LBB175_46
; %bb.45:
	s_mul_i32 s1, s26, s23
	s_mul_hi_u32 s2, s26, s22
	s_mul_i32 s3, s27, s22
	s_add_i32 s1, s2, s1
	s_mul_i32 s2, s26, s22
	s_add_i32 s3, s1, s3
	s_delay_alu instid0(SALU_CYCLE_1) | instskip(NEXT) | instid1(SALU_CYCLE_1)
	s_lshl_b64 s[2:3], s[2:3], 2
	s_add_u32 s2, s20, s2
	s_addc_u32 s3, s21, s3
	s_cmp_eq_u64 s[18:19], 0
	s_cselect_b32 s1, -1, 0
	s_waitcnt lgkmcnt(0)
	v_cndmask_b32_e64 v0, v1, s0, s1
	s_lshl_b64 s[0:1], s[24:25], 2
	v_mov_b32_e32 v1, 0
	s_add_u32 s0, s2, s0
	s_addc_u32 s1, s3, s1
	global_store_b32 v1, v0, s[0:1]
.LBB175_46:
	s_nop 0
	s_sendmsg sendmsg(MSG_DEALLOC_VGPRS)
	s_endpgm
	.section	.rodata,"a",@progbits
	.p2align	6, 0x0
	.amdhsa_kernel _ZN7rocprim17ROCPRIM_400000_NS6detail17trampoline_kernelINS0_14default_configENS1_22reduce_config_selectorIbEEZNS1_11reduce_implILb1ES3_N6hipcub16HIPCUB_304000_NS22TransformInputIteratorIbN2at6native12_GLOBAL__N_19NonZeroOpIiEEPKilEEPiiNS8_6detail34convert_binary_result_type_wrapperINS8_3SumESH_iEEEE10hipError_tPvRmT1_T2_T3_mT4_P12ihipStream_tbEUlT_E0_NS1_11comp_targetILNS1_3genE9ELNS1_11target_archE1100ELNS1_3gpuE3ELNS1_3repE0EEENS1_30default_config_static_selectorELNS0_4arch9wavefront6targetE0EEEvSQ_
		.amdhsa_group_segment_fixed_size 32
		.amdhsa_private_segment_fixed_size 0
		.amdhsa_kernarg_size 64
		.amdhsa_user_sgpr_count 15
		.amdhsa_user_sgpr_dispatch_ptr 0
		.amdhsa_user_sgpr_queue_ptr 0
		.amdhsa_user_sgpr_kernarg_segment_ptr 1
		.amdhsa_user_sgpr_dispatch_id 0
		.amdhsa_user_sgpr_private_segment_size 0
		.amdhsa_wavefront_size32 1
		.amdhsa_uses_dynamic_stack 0
		.amdhsa_enable_private_segment 0
		.amdhsa_system_sgpr_workgroup_id_x 1
		.amdhsa_system_sgpr_workgroup_id_y 0
		.amdhsa_system_sgpr_workgroup_id_z 0
		.amdhsa_system_sgpr_workgroup_info 0
		.amdhsa_system_vgpr_workitem_id 0
		.amdhsa_next_free_vgpr 20
		.amdhsa_next_free_sgpr 30
		.amdhsa_reserve_vcc 1
		.amdhsa_float_round_mode_32 0
		.amdhsa_float_round_mode_16_64 0
		.amdhsa_float_denorm_mode_32 3
		.amdhsa_float_denorm_mode_16_64 3
		.amdhsa_dx10_clamp 1
		.amdhsa_ieee_mode 1
		.amdhsa_fp16_overflow 0
		.amdhsa_workgroup_processor_mode 1
		.amdhsa_memory_ordered 1
		.amdhsa_forward_progress 0
		.amdhsa_shared_vgpr_count 0
		.amdhsa_exception_fp_ieee_invalid_op 0
		.amdhsa_exception_fp_denorm_src 0
		.amdhsa_exception_fp_ieee_div_zero 0
		.amdhsa_exception_fp_ieee_overflow 0
		.amdhsa_exception_fp_ieee_underflow 0
		.amdhsa_exception_fp_ieee_inexact 0
		.amdhsa_exception_int_div_zero 0
	.end_amdhsa_kernel
	.section	.text._ZN7rocprim17ROCPRIM_400000_NS6detail17trampoline_kernelINS0_14default_configENS1_22reduce_config_selectorIbEEZNS1_11reduce_implILb1ES3_N6hipcub16HIPCUB_304000_NS22TransformInputIteratorIbN2at6native12_GLOBAL__N_19NonZeroOpIiEEPKilEEPiiNS8_6detail34convert_binary_result_type_wrapperINS8_3SumESH_iEEEE10hipError_tPvRmT1_T2_T3_mT4_P12ihipStream_tbEUlT_E0_NS1_11comp_targetILNS1_3genE9ELNS1_11target_archE1100ELNS1_3gpuE3ELNS1_3repE0EEENS1_30default_config_static_selectorELNS0_4arch9wavefront6targetE0EEEvSQ_,"axG",@progbits,_ZN7rocprim17ROCPRIM_400000_NS6detail17trampoline_kernelINS0_14default_configENS1_22reduce_config_selectorIbEEZNS1_11reduce_implILb1ES3_N6hipcub16HIPCUB_304000_NS22TransformInputIteratorIbN2at6native12_GLOBAL__N_19NonZeroOpIiEEPKilEEPiiNS8_6detail34convert_binary_result_type_wrapperINS8_3SumESH_iEEEE10hipError_tPvRmT1_T2_T3_mT4_P12ihipStream_tbEUlT_E0_NS1_11comp_targetILNS1_3genE9ELNS1_11target_archE1100ELNS1_3gpuE3ELNS1_3repE0EEENS1_30default_config_static_selectorELNS0_4arch9wavefront6targetE0EEEvSQ_,comdat
.Lfunc_end175:
	.size	_ZN7rocprim17ROCPRIM_400000_NS6detail17trampoline_kernelINS0_14default_configENS1_22reduce_config_selectorIbEEZNS1_11reduce_implILb1ES3_N6hipcub16HIPCUB_304000_NS22TransformInputIteratorIbN2at6native12_GLOBAL__N_19NonZeroOpIiEEPKilEEPiiNS8_6detail34convert_binary_result_type_wrapperINS8_3SumESH_iEEEE10hipError_tPvRmT1_T2_T3_mT4_P12ihipStream_tbEUlT_E0_NS1_11comp_targetILNS1_3genE9ELNS1_11target_archE1100ELNS1_3gpuE3ELNS1_3repE0EEENS1_30default_config_static_selectorELNS0_4arch9wavefront6targetE0EEEvSQ_, .Lfunc_end175-_ZN7rocprim17ROCPRIM_400000_NS6detail17trampoline_kernelINS0_14default_configENS1_22reduce_config_selectorIbEEZNS1_11reduce_implILb1ES3_N6hipcub16HIPCUB_304000_NS22TransformInputIteratorIbN2at6native12_GLOBAL__N_19NonZeroOpIiEEPKilEEPiiNS8_6detail34convert_binary_result_type_wrapperINS8_3SumESH_iEEEE10hipError_tPvRmT1_T2_T3_mT4_P12ihipStream_tbEUlT_E0_NS1_11comp_targetILNS1_3genE9ELNS1_11target_archE1100ELNS1_3gpuE3ELNS1_3repE0EEENS1_30default_config_static_selectorELNS0_4arch9wavefront6targetE0EEEvSQ_
                                        ; -- End function
	.section	.AMDGPU.csdata,"",@progbits
; Kernel info:
; codeLenInByte = 2620
; NumSgprs: 32
; NumVgprs: 20
; ScratchSize: 0
; MemoryBound: 0
; FloatMode: 240
; IeeeMode: 1
; LDSByteSize: 32 bytes/workgroup (compile time only)
; SGPRBlocks: 3
; VGPRBlocks: 2
; NumSGPRsForWavesPerEU: 32
; NumVGPRsForWavesPerEU: 20
; Occupancy: 16
; WaveLimiterHint : 1
; COMPUTE_PGM_RSRC2:SCRATCH_EN: 0
; COMPUTE_PGM_RSRC2:USER_SGPR: 15
; COMPUTE_PGM_RSRC2:TRAP_HANDLER: 0
; COMPUTE_PGM_RSRC2:TGID_X_EN: 1
; COMPUTE_PGM_RSRC2:TGID_Y_EN: 0
; COMPUTE_PGM_RSRC2:TGID_Z_EN: 0
; COMPUTE_PGM_RSRC2:TIDIG_COMP_CNT: 0
	.section	.text._ZN7rocprim17ROCPRIM_400000_NS6detail17trampoline_kernelINS0_14default_configENS1_22reduce_config_selectorIbEEZNS1_11reduce_implILb1ES3_N6hipcub16HIPCUB_304000_NS22TransformInputIteratorIbN2at6native12_GLOBAL__N_19NonZeroOpIiEEPKilEEPiiNS8_6detail34convert_binary_result_type_wrapperINS8_3SumESH_iEEEE10hipError_tPvRmT1_T2_T3_mT4_P12ihipStream_tbEUlT_E0_NS1_11comp_targetILNS1_3genE8ELNS1_11target_archE1030ELNS1_3gpuE2ELNS1_3repE0EEENS1_30default_config_static_selectorELNS0_4arch9wavefront6targetE0EEEvSQ_,"axG",@progbits,_ZN7rocprim17ROCPRIM_400000_NS6detail17trampoline_kernelINS0_14default_configENS1_22reduce_config_selectorIbEEZNS1_11reduce_implILb1ES3_N6hipcub16HIPCUB_304000_NS22TransformInputIteratorIbN2at6native12_GLOBAL__N_19NonZeroOpIiEEPKilEEPiiNS8_6detail34convert_binary_result_type_wrapperINS8_3SumESH_iEEEE10hipError_tPvRmT1_T2_T3_mT4_P12ihipStream_tbEUlT_E0_NS1_11comp_targetILNS1_3genE8ELNS1_11target_archE1030ELNS1_3gpuE2ELNS1_3repE0EEENS1_30default_config_static_selectorELNS0_4arch9wavefront6targetE0EEEvSQ_,comdat
	.globl	_ZN7rocprim17ROCPRIM_400000_NS6detail17trampoline_kernelINS0_14default_configENS1_22reduce_config_selectorIbEEZNS1_11reduce_implILb1ES3_N6hipcub16HIPCUB_304000_NS22TransformInputIteratorIbN2at6native12_GLOBAL__N_19NonZeroOpIiEEPKilEEPiiNS8_6detail34convert_binary_result_type_wrapperINS8_3SumESH_iEEEE10hipError_tPvRmT1_T2_T3_mT4_P12ihipStream_tbEUlT_E0_NS1_11comp_targetILNS1_3genE8ELNS1_11target_archE1030ELNS1_3gpuE2ELNS1_3repE0EEENS1_30default_config_static_selectorELNS0_4arch9wavefront6targetE0EEEvSQ_ ; -- Begin function _ZN7rocprim17ROCPRIM_400000_NS6detail17trampoline_kernelINS0_14default_configENS1_22reduce_config_selectorIbEEZNS1_11reduce_implILb1ES3_N6hipcub16HIPCUB_304000_NS22TransformInputIteratorIbN2at6native12_GLOBAL__N_19NonZeroOpIiEEPKilEEPiiNS8_6detail34convert_binary_result_type_wrapperINS8_3SumESH_iEEEE10hipError_tPvRmT1_T2_T3_mT4_P12ihipStream_tbEUlT_E0_NS1_11comp_targetILNS1_3genE8ELNS1_11target_archE1030ELNS1_3gpuE2ELNS1_3repE0EEENS1_30default_config_static_selectorELNS0_4arch9wavefront6targetE0EEEvSQ_
	.p2align	8
	.type	_ZN7rocprim17ROCPRIM_400000_NS6detail17trampoline_kernelINS0_14default_configENS1_22reduce_config_selectorIbEEZNS1_11reduce_implILb1ES3_N6hipcub16HIPCUB_304000_NS22TransformInputIteratorIbN2at6native12_GLOBAL__N_19NonZeroOpIiEEPKilEEPiiNS8_6detail34convert_binary_result_type_wrapperINS8_3SumESH_iEEEE10hipError_tPvRmT1_T2_T3_mT4_P12ihipStream_tbEUlT_E0_NS1_11comp_targetILNS1_3genE8ELNS1_11target_archE1030ELNS1_3gpuE2ELNS1_3repE0EEENS1_30default_config_static_selectorELNS0_4arch9wavefront6targetE0EEEvSQ_,@function
_ZN7rocprim17ROCPRIM_400000_NS6detail17trampoline_kernelINS0_14default_configENS1_22reduce_config_selectorIbEEZNS1_11reduce_implILb1ES3_N6hipcub16HIPCUB_304000_NS22TransformInputIteratorIbN2at6native12_GLOBAL__N_19NonZeroOpIiEEPKilEEPiiNS8_6detail34convert_binary_result_type_wrapperINS8_3SumESH_iEEEE10hipError_tPvRmT1_T2_T3_mT4_P12ihipStream_tbEUlT_E0_NS1_11comp_targetILNS1_3genE8ELNS1_11target_archE1030ELNS1_3gpuE2ELNS1_3repE0EEENS1_30default_config_static_selectorELNS0_4arch9wavefront6targetE0EEEvSQ_: ; @_ZN7rocprim17ROCPRIM_400000_NS6detail17trampoline_kernelINS0_14default_configENS1_22reduce_config_selectorIbEEZNS1_11reduce_implILb1ES3_N6hipcub16HIPCUB_304000_NS22TransformInputIteratorIbN2at6native12_GLOBAL__N_19NonZeroOpIiEEPKilEEPiiNS8_6detail34convert_binary_result_type_wrapperINS8_3SumESH_iEEEE10hipError_tPvRmT1_T2_T3_mT4_P12ihipStream_tbEUlT_E0_NS1_11comp_targetILNS1_3genE8ELNS1_11target_archE1030ELNS1_3gpuE2ELNS1_3repE0EEENS1_30default_config_static_selectorELNS0_4arch9wavefront6targetE0EEEvSQ_
; %bb.0:
	.section	.rodata,"a",@progbits
	.p2align	6, 0x0
	.amdhsa_kernel _ZN7rocprim17ROCPRIM_400000_NS6detail17trampoline_kernelINS0_14default_configENS1_22reduce_config_selectorIbEEZNS1_11reduce_implILb1ES3_N6hipcub16HIPCUB_304000_NS22TransformInputIteratorIbN2at6native12_GLOBAL__N_19NonZeroOpIiEEPKilEEPiiNS8_6detail34convert_binary_result_type_wrapperINS8_3SumESH_iEEEE10hipError_tPvRmT1_T2_T3_mT4_P12ihipStream_tbEUlT_E0_NS1_11comp_targetILNS1_3genE8ELNS1_11target_archE1030ELNS1_3gpuE2ELNS1_3repE0EEENS1_30default_config_static_selectorELNS0_4arch9wavefront6targetE0EEEvSQ_
		.amdhsa_group_segment_fixed_size 0
		.amdhsa_private_segment_fixed_size 0
		.amdhsa_kernarg_size 64
		.amdhsa_user_sgpr_count 15
		.amdhsa_user_sgpr_dispatch_ptr 0
		.amdhsa_user_sgpr_queue_ptr 0
		.amdhsa_user_sgpr_kernarg_segment_ptr 1
		.amdhsa_user_sgpr_dispatch_id 0
		.amdhsa_user_sgpr_private_segment_size 0
		.amdhsa_wavefront_size32 1
		.amdhsa_uses_dynamic_stack 0
		.amdhsa_enable_private_segment 0
		.amdhsa_system_sgpr_workgroup_id_x 1
		.amdhsa_system_sgpr_workgroup_id_y 0
		.amdhsa_system_sgpr_workgroup_id_z 0
		.amdhsa_system_sgpr_workgroup_info 0
		.amdhsa_system_vgpr_workitem_id 0
		.amdhsa_next_free_vgpr 1
		.amdhsa_next_free_sgpr 1
		.amdhsa_reserve_vcc 0
		.amdhsa_float_round_mode_32 0
		.amdhsa_float_round_mode_16_64 0
		.amdhsa_float_denorm_mode_32 3
		.amdhsa_float_denorm_mode_16_64 3
		.amdhsa_dx10_clamp 1
		.amdhsa_ieee_mode 1
		.amdhsa_fp16_overflow 0
		.amdhsa_workgroup_processor_mode 1
		.amdhsa_memory_ordered 1
		.amdhsa_forward_progress 0
		.amdhsa_shared_vgpr_count 0
		.amdhsa_exception_fp_ieee_invalid_op 0
		.amdhsa_exception_fp_denorm_src 0
		.amdhsa_exception_fp_ieee_div_zero 0
		.amdhsa_exception_fp_ieee_overflow 0
		.amdhsa_exception_fp_ieee_underflow 0
		.amdhsa_exception_fp_ieee_inexact 0
		.amdhsa_exception_int_div_zero 0
	.end_amdhsa_kernel
	.section	.text._ZN7rocprim17ROCPRIM_400000_NS6detail17trampoline_kernelINS0_14default_configENS1_22reduce_config_selectorIbEEZNS1_11reduce_implILb1ES3_N6hipcub16HIPCUB_304000_NS22TransformInputIteratorIbN2at6native12_GLOBAL__N_19NonZeroOpIiEEPKilEEPiiNS8_6detail34convert_binary_result_type_wrapperINS8_3SumESH_iEEEE10hipError_tPvRmT1_T2_T3_mT4_P12ihipStream_tbEUlT_E0_NS1_11comp_targetILNS1_3genE8ELNS1_11target_archE1030ELNS1_3gpuE2ELNS1_3repE0EEENS1_30default_config_static_selectorELNS0_4arch9wavefront6targetE0EEEvSQ_,"axG",@progbits,_ZN7rocprim17ROCPRIM_400000_NS6detail17trampoline_kernelINS0_14default_configENS1_22reduce_config_selectorIbEEZNS1_11reduce_implILb1ES3_N6hipcub16HIPCUB_304000_NS22TransformInputIteratorIbN2at6native12_GLOBAL__N_19NonZeroOpIiEEPKilEEPiiNS8_6detail34convert_binary_result_type_wrapperINS8_3SumESH_iEEEE10hipError_tPvRmT1_T2_T3_mT4_P12ihipStream_tbEUlT_E0_NS1_11comp_targetILNS1_3genE8ELNS1_11target_archE1030ELNS1_3gpuE2ELNS1_3repE0EEENS1_30default_config_static_selectorELNS0_4arch9wavefront6targetE0EEEvSQ_,comdat
.Lfunc_end176:
	.size	_ZN7rocprim17ROCPRIM_400000_NS6detail17trampoline_kernelINS0_14default_configENS1_22reduce_config_selectorIbEEZNS1_11reduce_implILb1ES3_N6hipcub16HIPCUB_304000_NS22TransformInputIteratorIbN2at6native12_GLOBAL__N_19NonZeroOpIiEEPKilEEPiiNS8_6detail34convert_binary_result_type_wrapperINS8_3SumESH_iEEEE10hipError_tPvRmT1_T2_T3_mT4_P12ihipStream_tbEUlT_E0_NS1_11comp_targetILNS1_3genE8ELNS1_11target_archE1030ELNS1_3gpuE2ELNS1_3repE0EEENS1_30default_config_static_selectorELNS0_4arch9wavefront6targetE0EEEvSQ_, .Lfunc_end176-_ZN7rocprim17ROCPRIM_400000_NS6detail17trampoline_kernelINS0_14default_configENS1_22reduce_config_selectorIbEEZNS1_11reduce_implILb1ES3_N6hipcub16HIPCUB_304000_NS22TransformInputIteratorIbN2at6native12_GLOBAL__N_19NonZeroOpIiEEPKilEEPiiNS8_6detail34convert_binary_result_type_wrapperINS8_3SumESH_iEEEE10hipError_tPvRmT1_T2_T3_mT4_P12ihipStream_tbEUlT_E0_NS1_11comp_targetILNS1_3genE8ELNS1_11target_archE1030ELNS1_3gpuE2ELNS1_3repE0EEENS1_30default_config_static_selectorELNS0_4arch9wavefront6targetE0EEEvSQ_
                                        ; -- End function
	.section	.AMDGPU.csdata,"",@progbits
; Kernel info:
; codeLenInByte = 0
; NumSgprs: 0
; NumVgprs: 0
; ScratchSize: 0
; MemoryBound: 0
; FloatMode: 240
; IeeeMode: 1
; LDSByteSize: 0 bytes/workgroup (compile time only)
; SGPRBlocks: 0
; VGPRBlocks: 0
; NumSGPRsForWavesPerEU: 1
; NumVGPRsForWavesPerEU: 1
; Occupancy: 16
; WaveLimiterHint : 0
; COMPUTE_PGM_RSRC2:SCRATCH_EN: 0
; COMPUTE_PGM_RSRC2:USER_SGPR: 15
; COMPUTE_PGM_RSRC2:TRAP_HANDLER: 0
; COMPUTE_PGM_RSRC2:TGID_X_EN: 1
; COMPUTE_PGM_RSRC2:TGID_Y_EN: 0
; COMPUTE_PGM_RSRC2:TGID_Z_EN: 0
; COMPUTE_PGM_RSRC2:TIDIG_COMP_CNT: 0
	.section	.text._ZN7rocprim17ROCPRIM_400000_NS6detail17trampoline_kernelINS0_14default_configENS1_22reduce_config_selectorIbEEZNS1_11reduce_implILb1ES3_N6hipcub16HIPCUB_304000_NS22TransformInputIteratorIbN2at6native12_GLOBAL__N_19NonZeroOpIiEEPKilEEPiiNS8_6detail34convert_binary_result_type_wrapperINS8_3SumESH_iEEEE10hipError_tPvRmT1_T2_T3_mT4_P12ihipStream_tbEUlT_E1_NS1_11comp_targetILNS1_3genE0ELNS1_11target_archE4294967295ELNS1_3gpuE0ELNS1_3repE0EEENS1_30default_config_static_selectorELNS0_4arch9wavefront6targetE0EEEvSQ_,"axG",@progbits,_ZN7rocprim17ROCPRIM_400000_NS6detail17trampoline_kernelINS0_14default_configENS1_22reduce_config_selectorIbEEZNS1_11reduce_implILb1ES3_N6hipcub16HIPCUB_304000_NS22TransformInputIteratorIbN2at6native12_GLOBAL__N_19NonZeroOpIiEEPKilEEPiiNS8_6detail34convert_binary_result_type_wrapperINS8_3SumESH_iEEEE10hipError_tPvRmT1_T2_T3_mT4_P12ihipStream_tbEUlT_E1_NS1_11comp_targetILNS1_3genE0ELNS1_11target_archE4294967295ELNS1_3gpuE0ELNS1_3repE0EEENS1_30default_config_static_selectorELNS0_4arch9wavefront6targetE0EEEvSQ_,comdat
	.globl	_ZN7rocprim17ROCPRIM_400000_NS6detail17trampoline_kernelINS0_14default_configENS1_22reduce_config_selectorIbEEZNS1_11reduce_implILb1ES3_N6hipcub16HIPCUB_304000_NS22TransformInputIteratorIbN2at6native12_GLOBAL__N_19NonZeroOpIiEEPKilEEPiiNS8_6detail34convert_binary_result_type_wrapperINS8_3SumESH_iEEEE10hipError_tPvRmT1_T2_T3_mT4_P12ihipStream_tbEUlT_E1_NS1_11comp_targetILNS1_3genE0ELNS1_11target_archE4294967295ELNS1_3gpuE0ELNS1_3repE0EEENS1_30default_config_static_selectorELNS0_4arch9wavefront6targetE0EEEvSQ_ ; -- Begin function _ZN7rocprim17ROCPRIM_400000_NS6detail17trampoline_kernelINS0_14default_configENS1_22reduce_config_selectorIbEEZNS1_11reduce_implILb1ES3_N6hipcub16HIPCUB_304000_NS22TransformInputIteratorIbN2at6native12_GLOBAL__N_19NonZeroOpIiEEPKilEEPiiNS8_6detail34convert_binary_result_type_wrapperINS8_3SumESH_iEEEE10hipError_tPvRmT1_T2_T3_mT4_P12ihipStream_tbEUlT_E1_NS1_11comp_targetILNS1_3genE0ELNS1_11target_archE4294967295ELNS1_3gpuE0ELNS1_3repE0EEENS1_30default_config_static_selectorELNS0_4arch9wavefront6targetE0EEEvSQ_
	.p2align	8
	.type	_ZN7rocprim17ROCPRIM_400000_NS6detail17trampoline_kernelINS0_14default_configENS1_22reduce_config_selectorIbEEZNS1_11reduce_implILb1ES3_N6hipcub16HIPCUB_304000_NS22TransformInputIteratorIbN2at6native12_GLOBAL__N_19NonZeroOpIiEEPKilEEPiiNS8_6detail34convert_binary_result_type_wrapperINS8_3SumESH_iEEEE10hipError_tPvRmT1_T2_T3_mT4_P12ihipStream_tbEUlT_E1_NS1_11comp_targetILNS1_3genE0ELNS1_11target_archE4294967295ELNS1_3gpuE0ELNS1_3repE0EEENS1_30default_config_static_selectorELNS0_4arch9wavefront6targetE0EEEvSQ_,@function
_ZN7rocprim17ROCPRIM_400000_NS6detail17trampoline_kernelINS0_14default_configENS1_22reduce_config_selectorIbEEZNS1_11reduce_implILb1ES3_N6hipcub16HIPCUB_304000_NS22TransformInputIteratorIbN2at6native12_GLOBAL__N_19NonZeroOpIiEEPKilEEPiiNS8_6detail34convert_binary_result_type_wrapperINS8_3SumESH_iEEEE10hipError_tPvRmT1_T2_T3_mT4_P12ihipStream_tbEUlT_E1_NS1_11comp_targetILNS1_3genE0ELNS1_11target_archE4294967295ELNS1_3gpuE0ELNS1_3repE0EEENS1_30default_config_static_selectorELNS0_4arch9wavefront6targetE0EEEvSQ_: ; @_ZN7rocprim17ROCPRIM_400000_NS6detail17trampoline_kernelINS0_14default_configENS1_22reduce_config_selectorIbEEZNS1_11reduce_implILb1ES3_N6hipcub16HIPCUB_304000_NS22TransformInputIteratorIbN2at6native12_GLOBAL__N_19NonZeroOpIiEEPKilEEPiiNS8_6detail34convert_binary_result_type_wrapperINS8_3SumESH_iEEEE10hipError_tPvRmT1_T2_T3_mT4_P12ihipStream_tbEUlT_E1_NS1_11comp_targetILNS1_3genE0ELNS1_11target_archE4294967295ELNS1_3gpuE0ELNS1_3repE0EEENS1_30default_config_static_selectorELNS0_4arch9wavefront6targetE0EEEvSQ_
; %bb.0:
	.section	.rodata,"a",@progbits
	.p2align	6, 0x0
	.amdhsa_kernel _ZN7rocprim17ROCPRIM_400000_NS6detail17trampoline_kernelINS0_14default_configENS1_22reduce_config_selectorIbEEZNS1_11reduce_implILb1ES3_N6hipcub16HIPCUB_304000_NS22TransformInputIteratorIbN2at6native12_GLOBAL__N_19NonZeroOpIiEEPKilEEPiiNS8_6detail34convert_binary_result_type_wrapperINS8_3SumESH_iEEEE10hipError_tPvRmT1_T2_T3_mT4_P12ihipStream_tbEUlT_E1_NS1_11comp_targetILNS1_3genE0ELNS1_11target_archE4294967295ELNS1_3gpuE0ELNS1_3repE0EEENS1_30default_config_static_selectorELNS0_4arch9wavefront6targetE0EEEvSQ_
		.amdhsa_group_segment_fixed_size 0
		.amdhsa_private_segment_fixed_size 0
		.amdhsa_kernarg_size 48
		.amdhsa_user_sgpr_count 15
		.amdhsa_user_sgpr_dispatch_ptr 0
		.amdhsa_user_sgpr_queue_ptr 0
		.amdhsa_user_sgpr_kernarg_segment_ptr 1
		.amdhsa_user_sgpr_dispatch_id 0
		.amdhsa_user_sgpr_private_segment_size 0
		.amdhsa_wavefront_size32 1
		.amdhsa_uses_dynamic_stack 0
		.amdhsa_enable_private_segment 0
		.amdhsa_system_sgpr_workgroup_id_x 1
		.amdhsa_system_sgpr_workgroup_id_y 0
		.amdhsa_system_sgpr_workgroup_id_z 0
		.amdhsa_system_sgpr_workgroup_info 0
		.amdhsa_system_vgpr_workitem_id 0
		.amdhsa_next_free_vgpr 1
		.amdhsa_next_free_sgpr 1
		.amdhsa_reserve_vcc 0
		.amdhsa_float_round_mode_32 0
		.amdhsa_float_round_mode_16_64 0
		.amdhsa_float_denorm_mode_32 3
		.amdhsa_float_denorm_mode_16_64 3
		.amdhsa_dx10_clamp 1
		.amdhsa_ieee_mode 1
		.amdhsa_fp16_overflow 0
		.amdhsa_workgroup_processor_mode 1
		.amdhsa_memory_ordered 1
		.amdhsa_forward_progress 0
		.amdhsa_shared_vgpr_count 0
		.amdhsa_exception_fp_ieee_invalid_op 0
		.amdhsa_exception_fp_denorm_src 0
		.amdhsa_exception_fp_ieee_div_zero 0
		.amdhsa_exception_fp_ieee_overflow 0
		.amdhsa_exception_fp_ieee_underflow 0
		.amdhsa_exception_fp_ieee_inexact 0
		.amdhsa_exception_int_div_zero 0
	.end_amdhsa_kernel
	.section	.text._ZN7rocprim17ROCPRIM_400000_NS6detail17trampoline_kernelINS0_14default_configENS1_22reduce_config_selectorIbEEZNS1_11reduce_implILb1ES3_N6hipcub16HIPCUB_304000_NS22TransformInputIteratorIbN2at6native12_GLOBAL__N_19NonZeroOpIiEEPKilEEPiiNS8_6detail34convert_binary_result_type_wrapperINS8_3SumESH_iEEEE10hipError_tPvRmT1_T2_T3_mT4_P12ihipStream_tbEUlT_E1_NS1_11comp_targetILNS1_3genE0ELNS1_11target_archE4294967295ELNS1_3gpuE0ELNS1_3repE0EEENS1_30default_config_static_selectorELNS0_4arch9wavefront6targetE0EEEvSQ_,"axG",@progbits,_ZN7rocprim17ROCPRIM_400000_NS6detail17trampoline_kernelINS0_14default_configENS1_22reduce_config_selectorIbEEZNS1_11reduce_implILb1ES3_N6hipcub16HIPCUB_304000_NS22TransformInputIteratorIbN2at6native12_GLOBAL__N_19NonZeroOpIiEEPKilEEPiiNS8_6detail34convert_binary_result_type_wrapperINS8_3SumESH_iEEEE10hipError_tPvRmT1_T2_T3_mT4_P12ihipStream_tbEUlT_E1_NS1_11comp_targetILNS1_3genE0ELNS1_11target_archE4294967295ELNS1_3gpuE0ELNS1_3repE0EEENS1_30default_config_static_selectorELNS0_4arch9wavefront6targetE0EEEvSQ_,comdat
.Lfunc_end177:
	.size	_ZN7rocprim17ROCPRIM_400000_NS6detail17trampoline_kernelINS0_14default_configENS1_22reduce_config_selectorIbEEZNS1_11reduce_implILb1ES3_N6hipcub16HIPCUB_304000_NS22TransformInputIteratorIbN2at6native12_GLOBAL__N_19NonZeroOpIiEEPKilEEPiiNS8_6detail34convert_binary_result_type_wrapperINS8_3SumESH_iEEEE10hipError_tPvRmT1_T2_T3_mT4_P12ihipStream_tbEUlT_E1_NS1_11comp_targetILNS1_3genE0ELNS1_11target_archE4294967295ELNS1_3gpuE0ELNS1_3repE0EEENS1_30default_config_static_selectorELNS0_4arch9wavefront6targetE0EEEvSQ_, .Lfunc_end177-_ZN7rocprim17ROCPRIM_400000_NS6detail17trampoline_kernelINS0_14default_configENS1_22reduce_config_selectorIbEEZNS1_11reduce_implILb1ES3_N6hipcub16HIPCUB_304000_NS22TransformInputIteratorIbN2at6native12_GLOBAL__N_19NonZeroOpIiEEPKilEEPiiNS8_6detail34convert_binary_result_type_wrapperINS8_3SumESH_iEEEE10hipError_tPvRmT1_T2_T3_mT4_P12ihipStream_tbEUlT_E1_NS1_11comp_targetILNS1_3genE0ELNS1_11target_archE4294967295ELNS1_3gpuE0ELNS1_3repE0EEENS1_30default_config_static_selectorELNS0_4arch9wavefront6targetE0EEEvSQ_
                                        ; -- End function
	.section	.AMDGPU.csdata,"",@progbits
; Kernel info:
; codeLenInByte = 0
; NumSgprs: 0
; NumVgprs: 0
; ScratchSize: 0
; MemoryBound: 0
; FloatMode: 240
; IeeeMode: 1
; LDSByteSize: 0 bytes/workgroup (compile time only)
; SGPRBlocks: 0
; VGPRBlocks: 0
; NumSGPRsForWavesPerEU: 1
; NumVGPRsForWavesPerEU: 1
; Occupancy: 16
; WaveLimiterHint : 0
; COMPUTE_PGM_RSRC2:SCRATCH_EN: 0
; COMPUTE_PGM_RSRC2:USER_SGPR: 15
; COMPUTE_PGM_RSRC2:TRAP_HANDLER: 0
; COMPUTE_PGM_RSRC2:TGID_X_EN: 1
; COMPUTE_PGM_RSRC2:TGID_Y_EN: 0
; COMPUTE_PGM_RSRC2:TGID_Z_EN: 0
; COMPUTE_PGM_RSRC2:TIDIG_COMP_CNT: 0
	.section	.text._ZN7rocprim17ROCPRIM_400000_NS6detail17trampoline_kernelINS0_14default_configENS1_22reduce_config_selectorIbEEZNS1_11reduce_implILb1ES3_N6hipcub16HIPCUB_304000_NS22TransformInputIteratorIbN2at6native12_GLOBAL__N_19NonZeroOpIiEEPKilEEPiiNS8_6detail34convert_binary_result_type_wrapperINS8_3SumESH_iEEEE10hipError_tPvRmT1_T2_T3_mT4_P12ihipStream_tbEUlT_E1_NS1_11comp_targetILNS1_3genE5ELNS1_11target_archE942ELNS1_3gpuE9ELNS1_3repE0EEENS1_30default_config_static_selectorELNS0_4arch9wavefront6targetE0EEEvSQ_,"axG",@progbits,_ZN7rocprim17ROCPRIM_400000_NS6detail17trampoline_kernelINS0_14default_configENS1_22reduce_config_selectorIbEEZNS1_11reduce_implILb1ES3_N6hipcub16HIPCUB_304000_NS22TransformInputIteratorIbN2at6native12_GLOBAL__N_19NonZeroOpIiEEPKilEEPiiNS8_6detail34convert_binary_result_type_wrapperINS8_3SumESH_iEEEE10hipError_tPvRmT1_T2_T3_mT4_P12ihipStream_tbEUlT_E1_NS1_11comp_targetILNS1_3genE5ELNS1_11target_archE942ELNS1_3gpuE9ELNS1_3repE0EEENS1_30default_config_static_selectorELNS0_4arch9wavefront6targetE0EEEvSQ_,comdat
	.globl	_ZN7rocprim17ROCPRIM_400000_NS6detail17trampoline_kernelINS0_14default_configENS1_22reduce_config_selectorIbEEZNS1_11reduce_implILb1ES3_N6hipcub16HIPCUB_304000_NS22TransformInputIteratorIbN2at6native12_GLOBAL__N_19NonZeroOpIiEEPKilEEPiiNS8_6detail34convert_binary_result_type_wrapperINS8_3SumESH_iEEEE10hipError_tPvRmT1_T2_T3_mT4_P12ihipStream_tbEUlT_E1_NS1_11comp_targetILNS1_3genE5ELNS1_11target_archE942ELNS1_3gpuE9ELNS1_3repE0EEENS1_30default_config_static_selectorELNS0_4arch9wavefront6targetE0EEEvSQ_ ; -- Begin function _ZN7rocprim17ROCPRIM_400000_NS6detail17trampoline_kernelINS0_14default_configENS1_22reduce_config_selectorIbEEZNS1_11reduce_implILb1ES3_N6hipcub16HIPCUB_304000_NS22TransformInputIteratorIbN2at6native12_GLOBAL__N_19NonZeroOpIiEEPKilEEPiiNS8_6detail34convert_binary_result_type_wrapperINS8_3SumESH_iEEEE10hipError_tPvRmT1_T2_T3_mT4_P12ihipStream_tbEUlT_E1_NS1_11comp_targetILNS1_3genE5ELNS1_11target_archE942ELNS1_3gpuE9ELNS1_3repE0EEENS1_30default_config_static_selectorELNS0_4arch9wavefront6targetE0EEEvSQ_
	.p2align	8
	.type	_ZN7rocprim17ROCPRIM_400000_NS6detail17trampoline_kernelINS0_14default_configENS1_22reduce_config_selectorIbEEZNS1_11reduce_implILb1ES3_N6hipcub16HIPCUB_304000_NS22TransformInputIteratorIbN2at6native12_GLOBAL__N_19NonZeroOpIiEEPKilEEPiiNS8_6detail34convert_binary_result_type_wrapperINS8_3SumESH_iEEEE10hipError_tPvRmT1_T2_T3_mT4_P12ihipStream_tbEUlT_E1_NS1_11comp_targetILNS1_3genE5ELNS1_11target_archE942ELNS1_3gpuE9ELNS1_3repE0EEENS1_30default_config_static_selectorELNS0_4arch9wavefront6targetE0EEEvSQ_,@function
_ZN7rocprim17ROCPRIM_400000_NS6detail17trampoline_kernelINS0_14default_configENS1_22reduce_config_selectorIbEEZNS1_11reduce_implILb1ES3_N6hipcub16HIPCUB_304000_NS22TransformInputIteratorIbN2at6native12_GLOBAL__N_19NonZeroOpIiEEPKilEEPiiNS8_6detail34convert_binary_result_type_wrapperINS8_3SumESH_iEEEE10hipError_tPvRmT1_T2_T3_mT4_P12ihipStream_tbEUlT_E1_NS1_11comp_targetILNS1_3genE5ELNS1_11target_archE942ELNS1_3gpuE9ELNS1_3repE0EEENS1_30default_config_static_selectorELNS0_4arch9wavefront6targetE0EEEvSQ_: ; @_ZN7rocprim17ROCPRIM_400000_NS6detail17trampoline_kernelINS0_14default_configENS1_22reduce_config_selectorIbEEZNS1_11reduce_implILb1ES3_N6hipcub16HIPCUB_304000_NS22TransformInputIteratorIbN2at6native12_GLOBAL__N_19NonZeroOpIiEEPKilEEPiiNS8_6detail34convert_binary_result_type_wrapperINS8_3SumESH_iEEEE10hipError_tPvRmT1_T2_T3_mT4_P12ihipStream_tbEUlT_E1_NS1_11comp_targetILNS1_3genE5ELNS1_11target_archE942ELNS1_3gpuE9ELNS1_3repE0EEENS1_30default_config_static_selectorELNS0_4arch9wavefront6targetE0EEEvSQ_
; %bb.0:
	.section	.rodata,"a",@progbits
	.p2align	6, 0x0
	.amdhsa_kernel _ZN7rocprim17ROCPRIM_400000_NS6detail17trampoline_kernelINS0_14default_configENS1_22reduce_config_selectorIbEEZNS1_11reduce_implILb1ES3_N6hipcub16HIPCUB_304000_NS22TransformInputIteratorIbN2at6native12_GLOBAL__N_19NonZeroOpIiEEPKilEEPiiNS8_6detail34convert_binary_result_type_wrapperINS8_3SumESH_iEEEE10hipError_tPvRmT1_T2_T3_mT4_P12ihipStream_tbEUlT_E1_NS1_11comp_targetILNS1_3genE5ELNS1_11target_archE942ELNS1_3gpuE9ELNS1_3repE0EEENS1_30default_config_static_selectorELNS0_4arch9wavefront6targetE0EEEvSQ_
		.amdhsa_group_segment_fixed_size 0
		.amdhsa_private_segment_fixed_size 0
		.amdhsa_kernarg_size 48
		.amdhsa_user_sgpr_count 15
		.amdhsa_user_sgpr_dispatch_ptr 0
		.amdhsa_user_sgpr_queue_ptr 0
		.amdhsa_user_sgpr_kernarg_segment_ptr 1
		.amdhsa_user_sgpr_dispatch_id 0
		.amdhsa_user_sgpr_private_segment_size 0
		.amdhsa_wavefront_size32 1
		.amdhsa_uses_dynamic_stack 0
		.amdhsa_enable_private_segment 0
		.amdhsa_system_sgpr_workgroup_id_x 1
		.amdhsa_system_sgpr_workgroup_id_y 0
		.amdhsa_system_sgpr_workgroup_id_z 0
		.amdhsa_system_sgpr_workgroup_info 0
		.amdhsa_system_vgpr_workitem_id 0
		.amdhsa_next_free_vgpr 1
		.amdhsa_next_free_sgpr 1
		.amdhsa_reserve_vcc 0
		.amdhsa_float_round_mode_32 0
		.amdhsa_float_round_mode_16_64 0
		.amdhsa_float_denorm_mode_32 3
		.amdhsa_float_denorm_mode_16_64 3
		.amdhsa_dx10_clamp 1
		.amdhsa_ieee_mode 1
		.amdhsa_fp16_overflow 0
		.amdhsa_workgroup_processor_mode 1
		.amdhsa_memory_ordered 1
		.amdhsa_forward_progress 0
		.amdhsa_shared_vgpr_count 0
		.amdhsa_exception_fp_ieee_invalid_op 0
		.amdhsa_exception_fp_denorm_src 0
		.amdhsa_exception_fp_ieee_div_zero 0
		.amdhsa_exception_fp_ieee_overflow 0
		.amdhsa_exception_fp_ieee_underflow 0
		.amdhsa_exception_fp_ieee_inexact 0
		.amdhsa_exception_int_div_zero 0
	.end_amdhsa_kernel
	.section	.text._ZN7rocprim17ROCPRIM_400000_NS6detail17trampoline_kernelINS0_14default_configENS1_22reduce_config_selectorIbEEZNS1_11reduce_implILb1ES3_N6hipcub16HIPCUB_304000_NS22TransformInputIteratorIbN2at6native12_GLOBAL__N_19NonZeroOpIiEEPKilEEPiiNS8_6detail34convert_binary_result_type_wrapperINS8_3SumESH_iEEEE10hipError_tPvRmT1_T2_T3_mT4_P12ihipStream_tbEUlT_E1_NS1_11comp_targetILNS1_3genE5ELNS1_11target_archE942ELNS1_3gpuE9ELNS1_3repE0EEENS1_30default_config_static_selectorELNS0_4arch9wavefront6targetE0EEEvSQ_,"axG",@progbits,_ZN7rocprim17ROCPRIM_400000_NS6detail17trampoline_kernelINS0_14default_configENS1_22reduce_config_selectorIbEEZNS1_11reduce_implILb1ES3_N6hipcub16HIPCUB_304000_NS22TransformInputIteratorIbN2at6native12_GLOBAL__N_19NonZeroOpIiEEPKilEEPiiNS8_6detail34convert_binary_result_type_wrapperINS8_3SumESH_iEEEE10hipError_tPvRmT1_T2_T3_mT4_P12ihipStream_tbEUlT_E1_NS1_11comp_targetILNS1_3genE5ELNS1_11target_archE942ELNS1_3gpuE9ELNS1_3repE0EEENS1_30default_config_static_selectorELNS0_4arch9wavefront6targetE0EEEvSQ_,comdat
.Lfunc_end178:
	.size	_ZN7rocprim17ROCPRIM_400000_NS6detail17trampoline_kernelINS0_14default_configENS1_22reduce_config_selectorIbEEZNS1_11reduce_implILb1ES3_N6hipcub16HIPCUB_304000_NS22TransformInputIteratorIbN2at6native12_GLOBAL__N_19NonZeroOpIiEEPKilEEPiiNS8_6detail34convert_binary_result_type_wrapperINS8_3SumESH_iEEEE10hipError_tPvRmT1_T2_T3_mT4_P12ihipStream_tbEUlT_E1_NS1_11comp_targetILNS1_3genE5ELNS1_11target_archE942ELNS1_3gpuE9ELNS1_3repE0EEENS1_30default_config_static_selectorELNS0_4arch9wavefront6targetE0EEEvSQ_, .Lfunc_end178-_ZN7rocprim17ROCPRIM_400000_NS6detail17trampoline_kernelINS0_14default_configENS1_22reduce_config_selectorIbEEZNS1_11reduce_implILb1ES3_N6hipcub16HIPCUB_304000_NS22TransformInputIteratorIbN2at6native12_GLOBAL__N_19NonZeroOpIiEEPKilEEPiiNS8_6detail34convert_binary_result_type_wrapperINS8_3SumESH_iEEEE10hipError_tPvRmT1_T2_T3_mT4_P12ihipStream_tbEUlT_E1_NS1_11comp_targetILNS1_3genE5ELNS1_11target_archE942ELNS1_3gpuE9ELNS1_3repE0EEENS1_30default_config_static_selectorELNS0_4arch9wavefront6targetE0EEEvSQ_
                                        ; -- End function
	.section	.AMDGPU.csdata,"",@progbits
; Kernel info:
; codeLenInByte = 0
; NumSgprs: 0
; NumVgprs: 0
; ScratchSize: 0
; MemoryBound: 0
; FloatMode: 240
; IeeeMode: 1
; LDSByteSize: 0 bytes/workgroup (compile time only)
; SGPRBlocks: 0
; VGPRBlocks: 0
; NumSGPRsForWavesPerEU: 1
; NumVGPRsForWavesPerEU: 1
; Occupancy: 16
; WaveLimiterHint : 0
; COMPUTE_PGM_RSRC2:SCRATCH_EN: 0
; COMPUTE_PGM_RSRC2:USER_SGPR: 15
; COMPUTE_PGM_RSRC2:TRAP_HANDLER: 0
; COMPUTE_PGM_RSRC2:TGID_X_EN: 1
; COMPUTE_PGM_RSRC2:TGID_Y_EN: 0
; COMPUTE_PGM_RSRC2:TGID_Z_EN: 0
; COMPUTE_PGM_RSRC2:TIDIG_COMP_CNT: 0
	.section	.text._ZN7rocprim17ROCPRIM_400000_NS6detail17trampoline_kernelINS0_14default_configENS1_22reduce_config_selectorIbEEZNS1_11reduce_implILb1ES3_N6hipcub16HIPCUB_304000_NS22TransformInputIteratorIbN2at6native12_GLOBAL__N_19NonZeroOpIiEEPKilEEPiiNS8_6detail34convert_binary_result_type_wrapperINS8_3SumESH_iEEEE10hipError_tPvRmT1_T2_T3_mT4_P12ihipStream_tbEUlT_E1_NS1_11comp_targetILNS1_3genE4ELNS1_11target_archE910ELNS1_3gpuE8ELNS1_3repE0EEENS1_30default_config_static_selectorELNS0_4arch9wavefront6targetE0EEEvSQ_,"axG",@progbits,_ZN7rocprim17ROCPRIM_400000_NS6detail17trampoline_kernelINS0_14default_configENS1_22reduce_config_selectorIbEEZNS1_11reduce_implILb1ES3_N6hipcub16HIPCUB_304000_NS22TransformInputIteratorIbN2at6native12_GLOBAL__N_19NonZeroOpIiEEPKilEEPiiNS8_6detail34convert_binary_result_type_wrapperINS8_3SumESH_iEEEE10hipError_tPvRmT1_T2_T3_mT4_P12ihipStream_tbEUlT_E1_NS1_11comp_targetILNS1_3genE4ELNS1_11target_archE910ELNS1_3gpuE8ELNS1_3repE0EEENS1_30default_config_static_selectorELNS0_4arch9wavefront6targetE0EEEvSQ_,comdat
	.globl	_ZN7rocprim17ROCPRIM_400000_NS6detail17trampoline_kernelINS0_14default_configENS1_22reduce_config_selectorIbEEZNS1_11reduce_implILb1ES3_N6hipcub16HIPCUB_304000_NS22TransformInputIteratorIbN2at6native12_GLOBAL__N_19NonZeroOpIiEEPKilEEPiiNS8_6detail34convert_binary_result_type_wrapperINS8_3SumESH_iEEEE10hipError_tPvRmT1_T2_T3_mT4_P12ihipStream_tbEUlT_E1_NS1_11comp_targetILNS1_3genE4ELNS1_11target_archE910ELNS1_3gpuE8ELNS1_3repE0EEENS1_30default_config_static_selectorELNS0_4arch9wavefront6targetE0EEEvSQ_ ; -- Begin function _ZN7rocprim17ROCPRIM_400000_NS6detail17trampoline_kernelINS0_14default_configENS1_22reduce_config_selectorIbEEZNS1_11reduce_implILb1ES3_N6hipcub16HIPCUB_304000_NS22TransformInputIteratorIbN2at6native12_GLOBAL__N_19NonZeroOpIiEEPKilEEPiiNS8_6detail34convert_binary_result_type_wrapperINS8_3SumESH_iEEEE10hipError_tPvRmT1_T2_T3_mT4_P12ihipStream_tbEUlT_E1_NS1_11comp_targetILNS1_3genE4ELNS1_11target_archE910ELNS1_3gpuE8ELNS1_3repE0EEENS1_30default_config_static_selectorELNS0_4arch9wavefront6targetE0EEEvSQ_
	.p2align	8
	.type	_ZN7rocprim17ROCPRIM_400000_NS6detail17trampoline_kernelINS0_14default_configENS1_22reduce_config_selectorIbEEZNS1_11reduce_implILb1ES3_N6hipcub16HIPCUB_304000_NS22TransformInputIteratorIbN2at6native12_GLOBAL__N_19NonZeroOpIiEEPKilEEPiiNS8_6detail34convert_binary_result_type_wrapperINS8_3SumESH_iEEEE10hipError_tPvRmT1_T2_T3_mT4_P12ihipStream_tbEUlT_E1_NS1_11comp_targetILNS1_3genE4ELNS1_11target_archE910ELNS1_3gpuE8ELNS1_3repE0EEENS1_30default_config_static_selectorELNS0_4arch9wavefront6targetE0EEEvSQ_,@function
_ZN7rocprim17ROCPRIM_400000_NS6detail17trampoline_kernelINS0_14default_configENS1_22reduce_config_selectorIbEEZNS1_11reduce_implILb1ES3_N6hipcub16HIPCUB_304000_NS22TransformInputIteratorIbN2at6native12_GLOBAL__N_19NonZeroOpIiEEPKilEEPiiNS8_6detail34convert_binary_result_type_wrapperINS8_3SumESH_iEEEE10hipError_tPvRmT1_T2_T3_mT4_P12ihipStream_tbEUlT_E1_NS1_11comp_targetILNS1_3genE4ELNS1_11target_archE910ELNS1_3gpuE8ELNS1_3repE0EEENS1_30default_config_static_selectorELNS0_4arch9wavefront6targetE0EEEvSQ_: ; @_ZN7rocprim17ROCPRIM_400000_NS6detail17trampoline_kernelINS0_14default_configENS1_22reduce_config_selectorIbEEZNS1_11reduce_implILb1ES3_N6hipcub16HIPCUB_304000_NS22TransformInputIteratorIbN2at6native12_GLOBAL__N_19NonZeroOpIiEEPKilEEPiiNS8_6detail34convert_binary_result_type_wrapperINS8_3SumESH_iEEEE10hipError_tPvRmT1_T2_T3_mT4_P12ihipStream_tbEUlT_E1_NS1_11comp_targetILNS1_3genE4ELNS1_11target_archE910ELNS1_3gpuE8ELNS1_3repE0EEENS1_30default_config_static_selectorELNS0_4arch9wavefront6targetE0EEEvSQ_
; %bb.0:
	.section	.rodata,"a",@progbits
	.p2align	6, 0x0
	.amdhsa_kernel _ZN7rocprim17ROCPRIM_400000_NS6detail17trampoline_kernelINS0_14default_configENS1_22reduce_config_selectorIbEEZNS1_11reduce_implILb1ES3_N6hipcub16HIPCUB_304000_NS22TransformInputIteratorIbN2at6native12_GLOBAL__N_19NonZeroOpIiEEPKilEEPiiNS8_6detail34convert_binary_result_type_wrapperINS8_3SumESH_iEEEE10hipError_tPvRmT1_T2_T3_mT4_P12ihipStream_tbEUlT_E1_NS1_11comp_targetILNS1_3genE4ELNS1_11target_archE910ELNS1_3gpuE8ELNS1_3repE0EEENS1_30default_config_static_selectorELNS0_4arch9wavefront6targetE0EEEvSQ_
		.amdhsa_group_segment_fixed_size 0
		.amdhsa_private_segment_fixed_size 0
		.amdhsa_kernarg_size 48
		.amdhsa_user_sgpr_count 15
		.amdhsa_user_sgpr_dispatch_ptr 0
		.amdhsa_user_sgpr_queue_ptr 0
		.amdhsa_user_sgpr_kernarg_segment_ptr 1
		.amdhsa_user_sgpr_dispatch_id 0
		.amdhsa_user_sgpr_private_segment_size 0
		.amdhsa_wavefront_size32 1
		.amdhsa_uses_dynamic_stack 0
		.amdhsa_enable_private_segment 0
		.amdhsa_system_sgpr_workgroup_id_x 1
		.amdhsa_system_sgpr_workgroup_id_y 0
		.amdhsa_system_sgpr_workgroup_id_z 0
		.amdhsa_system_sgpr_workgroup_info 0
		.amdhsa_system_vgpr_workitem_id 0
		.amdhsa_next_free_vgpr 1
		.amdhsa_next_free_sgpr 1
		.amdhsa_reserve_vcc 0
		.amdhsa_float_round_mode_32 0
		.amdhsa_float_round_mode_16_64 0
		.amdhsa_float_denorm_mode_32 3
		.amdhsa_float_denorm_mode_16_64 3
		.amdhsa_dx10_clamp 1
		.amdhsa_ieee_mode 1
		.amdhsa_fp16_overflow 0
		.amdhsa_workgroup_processor_mode 1
		.amdhsa_memory_ordered 1
		.amdhsa_forward_progress 0
		.amdhsa_shared_vgpr_count 0
		.amdhsa_exception_fp_ieee_invalid_op 0
		.amdhsa_exception_fp_denorm_src 0
		.amdhsa_exception_fp_ieee_div_zero 0
		.amdhsa_exception_fp_ieee_overflow 0
		.amdhsa_exception_fp_ieee_underflow 0
		.amdhsa_exception_fp_ieee_inexact 0
		.amdhsa_exception_int_div_zero 0
	.end_amdhsa_kernel
	.section	.text._ZN7rocprim17ROCPRIM_400000_NS6detail17trampoline_kernelINS0_14default_configENS1_22reduce_config_selectorIbEEZNS1_11reduce_implILb1ES3_N6hipcub16HIPCUB_304000_NS22TransformInputIteratorIbN2at6native12_GLOBAL__N_19NonZeroOpIiEEPKilEEPiiNS8_6detail34convert_binary_result_type_wrapperINS8_3SumESH_iEEEE10hipError_tPvRmT1_T2_T3_mT4_P12ihipStream_tbEUlT_E1_NS1_11comp_targetILNS1_3genE4ELNS1_11target_archE910ELNS1_3gpuE8ELNS1_3repE0EEENS1_30default_config_static_selectorELNS0_4arch9wavefront6targetE0EEEvSQ_,"axG",@progbits,_ZN7rocprim17ROCPRIM_400000_NS6detail17trampoline_kernelINS0_14default_configENS1_22reduce_config_selectorIbEEZNS1_11reduce_implILb1ES3_N6hipcub16HIPCUB_304000_NS22TransformInputIteratorIbN2at6native12_GLOBAL__N_19NonZeroOpIiEEPKilEEPiiNS8_6detail34convert_binary_result_type_wrapperINS8_3SumESH_iEEEE10hipError_tPvRmT1_T2_T3_mT4_P12ihipStream_tbEUlT_E1_NS1_11comp_targetILNS1_3genE4ELNS1_11target_archE910ELNS1_3gpuE8ELNS1_3repE0EEENS1_30default_config_static_selectorELNS0_4arch9wavefront6targetE0EEEvSQ_,comdat
.Lfunc_end179:
	.size	_ZN7rocprim17ROCPRIM_400000_NS6detail17trampoline_kernelINS0_14default_configENS1_22reduce_config_selectorIbEEZNS1_11reduce_implILb1ES3_N6hipcub16HIPCUB_304000_NS22TransformInputIteratorIbN2at6native12_GLOBAL__N_19NonZeroOpIiEEPKilEEPiiNS8_6detail34convert_binary_result_type_wrapperINS8_3SumESH_iEEEE10hipError_tPvRmT1_T2_T3_mT4_P12ihipStream_tbEUlT_E1_NS1_11comp_targetILNS1_3genE4ELNS1_11target_archE910ELNS1_3gpuE8ELNS1_3repE0EEENS1_30default_config_static_selectorELNS0_4arch9wavefront6targetE0EEEvSQ_, .Lfunc_end179-_ZN7rocprim17ROCPRIM_400000_NS6detail17trampoline_kernelINS0_14default_configENS1_22reduce_config_selectorIbEEZNS1_11reduce_implILb1ES3_N6hipcub16HIPCUB_304000_NS22TransformInputIteratorIbN2at6native12_GLOBAL__N_19NonZeroOpIiEEPKilEEPiiNS8_6detail34convert_binary_result_type_wrapperINS8_3SumESH_iEEEE10hipError_tPvRmT1_T2_T3_mT4_P12ihipStream_tbEUlT_E1_NS1_11comp_targetILNS1_3genE4ELNS1_11target_archE910ELNS1_3gpuE8ELNS1_3repE0EEENS1_30default_config_static_selectorELNS0_4arch9wavefront6targetE0EEEvSQ_
                                        ; -- End function
	.section	.AMDGPU.csdata,"",@progbits
; Kernel info:
; codeLenInByte = 0
; NumSgprs: 0
; NumVgprs: 0
; ScratchSize: 0
; MemoryBound: 0
; FloatMode: 240
; IeeeMode: 1
; LDSByteSize: 0 bytes/workgroup (compile time only)
; SGPRBlocks: 0
; VGPRBlocks: 0
; NumSGPRsForWavesPerEU: 1
; NumVGPRsForWavesPerEU: 1
; Occupancy: 16
; WaveLimiterHint : 0
; COMPUTE_PGM_RSRC2:SCRATCH_EN: 0
; COMPUTE_PGM_RSRC2:USER_SGPR: 15
; COMPUTE_PGM_RSRC2:TRAP_HANDLER: 0
; COMPUTE_PGM_RSRC2:TGID_X_EN: 1
; COMPUTE_PGM_RSRC2:TGID_Y_EN: 0
; COMPUTE_PGM_RSRC2:TGID_Z_EN: 0
; COMPUTE_PGM_RSRC2:TIDIG_COMP_CNT: 0
	.section	.text._ZN7rocprim17ROCPRIM_400000_NS6detail17trampoline_kernelINS0_14default_configENS1_22reduce_config_selectorIbEEZNS1_11reduce_implILb1ES3_N6hipcub16HIPCUB_304000_NS22TransformInputIteratorIbN2at6native12_GLOBAL__N_19NonZeroOpIiEEPKilEEPiiNS8_6detail34convert_binary_result_type_wrapperINS8_3SumESH_iEEEE10hipError_tPvRmT1_T2_T3_mT4_P12ihipStream_tbEUlT_E1_NS1_11comp_targetILNS1_3genE3ELNS1_11target_archE908ELNS1_3gpuE7ELNS1_3repE0EEENS1_30default_config_static_selectorELNS0_4arch9wavefront6targetE0EEEvSQ_,"axG",@progbits,_ZN7rocprim17ROCPRIM_400000_NS6detail17trampoline_kernelINS0_14default_configENS1_22reduce_config_selectorIbEEZNS1_11reduce_implILb1ES3_N6hipcub16HIPCUB_304000_NS22TransformInputIteratorIbN2at6native12_GLOBAL__N_19NonZeroOpIiEEPKilEEPiiNS8_6detail34convert_binary_result_type_wrapperINS8_3SumESH_iEEEE10hipError_tPvRmT1_T2_T3_mT4_P12ihipStream_tbEUlT_E1_NS1_11comp_targetILNS1_3genE3ELNS1_11target_archE908ELNS1_3gpuE7ELNS1_3repE0EEENS1_30default_config_static_selectorELNS0_4arch9wavefront6targetE0EEEvSQ_,comdat
	.globl	_ZN7rocprim17ROCPRIM_400000_NS6detail17trampoline_kernelINS0_14default_configENS1_22reduce_config_selectorIbEEZNS1_11reduce_implILb1ES3_N6hipcub16HIPCUB_304000_NS22TransformInputIteratorIbN2at6native12_GLOBAL__N_19NonZeroOpIiEEPKilEEPiiNS8_6detail34convert_binary_result_type_wrapperINS8_3SumESH_iEEEE10hipError_tPvRmT1_T2_T3_mT4_P12ihipStream_tbEUlT_E1_NS1_11comp_targetILNS1_3genE3ELNS1_11target_archE908ELNS1_3gpuE7ELNS1_3repE0EEENS1_30default_config_static_selectorELNS0_4arch9wavefront6targetE0EEEvSQ_ ; -- Begin function _ZN7rocprim17ROCPRIM_400000_NS6detail17trampoline_kernelINS0_14default_configENS1_22reduce_config_selectorIbEEZNS1_11reduce_implILb1ES3_N6hipcub16HIPCUB_304000_NS22TransformInputIteratorIbN2at6native12_GLOBAL__N_19NonZeroOpIiEEPKilEEPiiNS8_6detail34convert_binary_result_type_wrapperINS8_3SumESH_iEEEE10hipError_tPvRmT1_T2_T3_mT4_P12ihipStream_tbEUlT_E1_NS1_11comp_targetILNS1_3genE3ELNS1_11target_archE908ELNS1_3gpuE7ELNS1_3repE0EEENS1_30default_config_static_selectorELNS0_4arch9wavefront6targetE0EEEvSQ_
	.p2align	8
	.type	_ZN7rocprim17ROCPRIM_400000_NS6detail17trampoline_kernelINS0_14default_configENS1_22reduce_config_selectorIbEEZNS1_11reduce_implILb1ES3_N6hipcub16HIPCUB_304000_NS22TransformInputIteratorIbN2at6native12_GLOBAL__N_19NonZeroOpIiEEPKilEEPiiNS8_6detail34convert_binary_result_type_wrapperINS8_3SumESH_iEEEE10hipError_tPvRmT1_T2_T3_mT4_P12ihipStream_tbEUlT_E1_NS1_11comp_targetILNS1_3genE3ELNS1_11target_archE908ELNS1_3gpuE7ELNS1_3repE0EEENS1_30default_config_static_selectorELNS0_4arch9wavefront6targetE0EEEvSQ_,@function
_ZN7rocprim17ROCPRIM_400000_NS6detail17trampoline_kernelINS0_14default_configENS1_22reduce_config_selectorIbEEZNS1_11reduce_implILb1ES3_N6hipcub16HIPCUB_304000_NS22TransformInputIteratorIbN2at6native12_GLOBAL__N_19NonZeroOpIiEEPKilEEPiiNS8_6detail34convert_binary_result_type_wrapperINS8_3SumESH_iEEEE10hipError_tPvRmT1_T2_T3_mT4_P12ihipStream_tbEUlT_E1_NS1_11comp_targetILNS1_3genE3ELNS1_11target_archE908ELNS1_3gpuE7ELNS1_3repE0EEENS1_30default_config_static_selectorELNS0_4arch9wavefront6targetE0EEEvSQ_: ; @_ZN7rocprim17ROCPRIM_400000_NS6detail17trampoline_kernelINS0_14default_configENS1_22reduce_config_selectorIbEEZNS1_11reduce_implILb1ES3_N6hipcub16HIPCUB_304000_NS22TransformInputIteratorIbN2at6native12_GLOBAL__N_19NonZeroOpIiEEPKilEEPiiNS8_6detail34convert_binary_result_type_wrapperINS8_3SumESH_iEEEE10hipError_tPvRmT1_T2_T3_mT4_P12ihipStream_tbEUlT_E1_NS1_11comp_targetILNS1_3genE3ELNS1_11target_archE908ELNS1_3gpuE7ELNS1_3repE0EEENS1_30default_config_static_selectorELNS0_4arch9wavefront6targetE0EEEvSQ_
; %bb.0:
	.section	.rodata,"a",@progbits
	.p2align	6, 0x0
	.amdhsa_kernel _ZN7rocprim17ROCPRIM_400000_NS6detail17trampoline_kernelINS0_14default_configENS1_22reduce_config_selectorIbEEZNS1_11reduce_implILb1ES3_N6hipcub16HIPCUB_304000_NS22TransformInputIteratorIbN2at6native12_GLOBAL__N_19NonZeroOpIiEEPKilEEPiiNS8_6detail34convert_binary_result_type_wrapperINS8_3SumESH_iEEEE10hipError_tPvRmT1_T2_T3_mT4_P12ihipStream_tbEUlT_E1_NS1_11comp_targetILNS1_3genE3ELNS1_11target_archE908ELNS1_3gpuE7ELNS1_3repE0EEENS1_30default_config_static_selectorELNS0_4arch9wavefront6targetE0EEEvSQ_
		.amdhsa_group_segment_fixed_size 0
		.amdhsa_private_segment_fixed_size 0
		.amdhsa_kernarg_size 48
		.amdhsa_user_sgpr_count 15
		.amdhsa_user_sgpr_dispatch_ptr 0
		.amdhsa_user_sgpr_queue_ptr 0
		.amdhsa_user_sgpr_kernarg_segment_ptr 1
		.amdhsa_user_sgpr_dispatch_id 0
		.amdhsa_user_sgpr_private_segment_size 0
		.amdhsa_wavefront_size32 1
		.amdhsa_uses_dynamic_stack 0
		.amdhsa_enable_private_segment 0
		.amdhsa_system_sgpr_workgroup_id_x 1
		.amdhsa_system_sgpr_workgroup_id_y 0
		.amdhsa_system_sgpr_workgroup_id_z 0
		.amdhsa_system_sgpr_workgroup_info 0
		.amdhsa_system_vgpr_workitem_id 0
		.amdhsa_next_free_vgpr 1
		.amdhsa_next_free_sgpr 1
		.amdhsa_reserve_vcc 0
		.amdhsa_float_round_mode_32 0
		.amdhsa_float_round_mode_16_64 0
		.amdhsa_float_denorm_mode_32 3
		.amdhsa_float_denorm_mode_16_64 3
		.amdhsa_dx10_clamp 1
		.amdhsa_ieee_mode 1
		.amdhsa_fp16_overflow 0
		.amdhsa_workgroup_processor_mode 1
		.amdhsa_memory_ordered 1
		.amdhsa_forward_progress 0
		.amdhsa_shared_vgpr_count 0
		.amdhsa_exception_fp_ieee_invalid_op 0
		.amdhsa_exception_fp_denorm_src 0
		.amdhsa_exception_fp_ieee_div_zero 0
		.amdhsa_exception_fp_ieee_overflow 0
		.amdhsa_exception_fp_ieee_underflow 0
		.amdhsa_exception_fp_ieee_inexact 0
		.amdhsa_exception_int_div_zero 0
	.end_amdhsa_kernel
	.section	.text._ZN7rocprim17ROCPRIM_400000_NS6detail17trampoline_kernelINS0_14default_configENS1_22reduce_config_selectorIbEEZNS1_11reduce_implILb1ES3_N6hipcub16HIPCUB_304000_NS22TransformInputIteratorIbN2at6native12_GLOBAL__N_19NonZeroOpIiEEPKilEEPiiNS8_6detail34convert_binary_result_type_wrapperINS8_3SumESH_iEEEE10hipError_tPvRmT1_T2_T3_mT4_P12ihipStream_tbEUlT_E1_NS1_11comp_targetILNS1_3genE3ELNS1_11target_archE908ELNS1_3gpuE7ELNS1_3repE0EEENS1_30default_config_static_selectorELNS0_4arch9wavefront6targetE0EEEvSQ_,"axG",@progbits,_ZN7rocprim17ROCPRIM_400000_NS6detail17trampoline_kernelINS0_14default_configENS1_22reduce_config_selectorIbEEZNS1_11reduce_implILb1ES3_N6hipcub16HIPCUB_304000_NS22TransformInputIteratorIbN2at6native12_GLOBAL__N_19NonZeroOpIiEEPKilEEPiiNS8_6detail34convert_binary_result_type_wrapperINS8_3SumESH_iEEEE10hipError_tPvRmT1_T2_T3_mT4_P12ihipStream_tbEUlT_E1_NS1_11comp_targetILNS1_3genE3ELNS1_11target_archE908ELNS1_3gpuE7ELNS1_3repE0EEENS1_30default_config_static_selectorELNS0_4arch9wavefront6targetE0EEEvSQ_,comdat
.Lfunc_end180:
	.size	_ZN7rocprim17ROCPRIM_400000_NS6detail17trampoline_kernelINS0_14default_configENS1_22reduce_config_selectorIbEEZNS1_11reduce_implILb1ES3_N6hipcub16HIPCUB_304000_NS22TransformInputIteratorIbN2at6native12_GLOBAL__N_19NonZeroOpIiEEPKilEEPiiNS8_6detail34convert_binary_result_type_wrapperINS8_3SumESH_iEEEE10hipError_tPvRmT1_T2_T3_mT4_P12ihipStream_tbEUlT_E1_NS1_11comp_targetILNS1_3genE3ELNS1_11target_archE908ELNS1_3gpuE7ELNS1_3repE0EEENS1_30default_config_static_selectorELNS0_4arch9wavefront6targetE0EEEvSQ_, .Lfunc_end180-_ZN7rocprim17ROCPRIM_400000_NS6detail17trampoline_kernelINS0_14default_configENS1_22reduce_config_selectorIbEEZNS1_11reduce_implILb1ES3_N6hipcub16HIPCUB_304000_NS22TransformInputIteratorIbN2at6native12_GLOBAL__N_19NonZeroOpIiEEPKilEEPiiNS8_6detail34convert_binary_result_type_wrapperINS8_3SumESH_iEEEE10hipError_tPvRmT1_T2_T3_mT4_P12ihipStream_tbEUlT_E1_NS1_11comp_targetILNS1_3genE3ELNS1_11target_archE908ELNS1_3gpuE7ELNS1_3repE0EEENS1_30default_config_static_selectorELNS0_4arch9wavefront6targetE0EEEvSQ_
                                        ; -- End function
	.section	.AMDGPU.csdata,"",@progbits
; Kernel info:
; codeLenInByte = 0
; NumSgprs: 0
; NumVgprs: 0
; ScratchSize: 0
; MemoryBound: 0
; FloatMode: 240
; IeeeMode: 1
; LDSByteSize: 0 bytes/workgroup (compile time only)
; SGPRBlocks: 0
; VGPRBlocks: 0
; NumSGPRsForWavesPerEU: 1
; NumVGPRsForWavesPerEU: 1
; Occupancy: 16
; WaveLimiterHint : 0
; COMPUTE_PGM_RSRC2:SCRATCH_EN: 0
; COMPUTE_PGM_RSRC2:USER_SGPR: 15
; COMPUTE_PGM_RSRC2:TRAP_HANDLER: 0
; COMPUTE_PGM_RSRC2:TGID_X_EN: 1
; COMPUTE_PGM_RSRC2:TGID_Y_EN: 0
; COMPUTE_PGM_RSRC2:TGID_Z_EN: 0
; COMPUTE_PGM_RSRC2:TIDIG_COMP_CNT: 0
	.section	.text._ZN7rocprim17ROCPRIM_400000_NS6detail17trampoline_kernelINS0_14default_configENS1_22reduce_config_selectorIbEEZNS1_11reduce_implILb1ES3_N6hipcub16HIPCUB_304000_NS22TransformInputIteratorIbN2at6native12_GLOBAL__N_19NonZeroOpIiEEPKilEEPiiNS8_6detail34convert_binary_result_type_wrapperINS8_3SumESH_iEEEE10hipError_tPvRmT1_T2_T3_mT4_P12ihipStream_tbEUlT_E1_NS1_11comp_targetILNS1_3genE2ELNS1_11target_archE906ELNS1_3gpuE6ELNS1_3repE0EEENS1_30default_config_static_selectorELNS0_4arch9wavefront6targetE0EEEvSQ_,"axG",@progbits,_ZN7rocprim17ROCPRIM_400000_NS6detail17trampoline_kernelINS0_14default_configENS1_22reduce_config_selectorIbEEZNS1_11reduce_implILb1ES3_N6hipcub16HIPCUB_304000_NS22TransformInputIteratorIbN2at6native12_GLOBAL__N_19NonZeroOpIiEEPKilEEPiiNS8_6detail34convert_binary_result_type_wrapperINS8_3SumESH_iEEEE10hipError_tPvRmT1_T2_T3_mT4_P12ihipStream_tbEUlT_E1_NS1_11comp_targetILNS1_3genE2ELNS1_11target_archE906ELNS1_3gpuE6ELNS1_3repE0EEENS1_30default_config_static_selectorELNS0_4arch9wavefront6targetE0EEEvSQ_,comdat
	.globl	_ZN7rocprim17ROCPRIM_400000_NS6detail17trampoline_kernelINS0_14default_configENS1_22reduce_config_selectorIbEEZNS1_11reduce_implILb1ES3_N6hipcub16HIPCUB_304000_NS22TransformInputIteratorIbN2at6native12_GLOBAL__N_19NonZeroOpIiEEPKilEEPiiNS8_6detail34convert_binary_result_type_wrapperINS8_3SumESH_iEEEE10hipError_tPvRmT1_T2_T3_mT4_P12ihipStream_tbEUlT_E1_NS1_11comp_targetILNS1_3genE2ELNS1_11target_archE906ELNS1_3gpuE6ELNS1_3repE0EEENS1_30default_config_static_selectorELNS0_4arch9wavefront6targetE0EEEvSQ_ ; -- Begin function _ZN7rocprim17ROCPRIM_400000_NS6detail17trampoline_kernelINS0_14default_configENS1_22reduce_config_selectorIbEEZNS1_11reduce_implILb1ES3_N6hipcub16HIPCUB_304000_NS22TransformInputIteratorIbN2at6native12_GLOBAL__N_19NonZeroOpIiEEPKilEEPiiNS8_6detail34convert_binary_result_type_wrapperINS8_3SumESH_iEEEE10hipError_tPvRmT1_T2_T3_mT4_P12ihipStream_tbEUlT_E1_NS1_11comp_targetILNS1_3genE2ELNS1_11target_archE906ELNS1_3gpuE6ELNS1_3repE0EEENS1_30default_config_static_selectorELNS0_4arch9wavefront6targetE0EEEvSQ_
	.p2align	8
	.type	_ZN7rocprim17ROCPRIM_400000_NS6detail17trampoline_kernelINS0_14default_configENS1_22reduce_config_selectorIbEEZNS1_11reduce_implILb1ES3_N6hipcub16HIPCUB_304000_NS22TransformInputIteratorIbN2at6native12_GLOBAL__N_19NonZeroOpIiEEPKilEEPiiNS8_6detail34convert_binary_result_type_wrapperINS8_3SumESH_iEEEE10hipError_tPvRmT1_T2_T3_mT4_P12ihipStream_tbEUlT_E1_NS1_11comp_targetILNS1_3genE2ELNS1_11target_archE906ELNS1_3gpuE6ELNS1_3repE0EEENS1_30default_config_static_selectorELNS0_4arch9wavefront6targetE0EEEvSQ_,@function
_ZN7rocprim17ROCPRIM_400000_NS6detail17trampoline_kernelINS0_14default_configENS1_22reduce_config_selectorIbEEZNS1_11reduce_implILb1ES3_N6hipcub16HIPCUB_304000_NS22TransformInputIteratorIbN2at6native12_GLOBAL__N_19NonZeroOpIiEEPKilEEPiiNS8_6detail34convert_binary_result_type_wrapperINS8_3SumESH_iEEEE10hipError_tPvRmT1_T2_T3_mT4_P12ihipStream_tbEUlT_E1_NS1_11comp_targetILNS1_3genE2ELNS1_11target_archE906ELNS1_3gpuE6ELNS1_3repE0EEENS1_30default_config_static_selectorELNS0_4arch9wavefront6targetE0EEEvSQ_: ; @_ZN7rocprim17ROCPRIM_400000_NS6detail17trampoline_kernelINS0_14default_configENS1_22reduce_config_selectorIbEEZNS1_11reduce_implILb1ES3_N6hipcub16HIPCUB_304000_NS22TransformInputIteratorIbN2at6native12_GLOBAL__N_19NonZeroOpIiEEPKilEEPiiNS8_6detail34convert_binary_result_type_wrapperINS8_3SumESH_iEEEE10hipError_tPvRmT1_T2_T3_mT4_P12ihipStream_tbEUlT_E1_NS1_11comp_targetILNS1_3genE2ELNS1_11target_archE906ELNS1_3gpuE6ELNS1_3repE0EEENS1_30default_config_static_selectorELNS0_4arch9wavefront6targetE0EEEvSQ_
; %bb.0:
	.section	.rodata,"a",@progbits
	.p2align	6, 0x0
	.amdhsa_kernel _ZN7rocprim17ROCPRIM_400000_NS6detail17trampoline_kernelINS0_14default_configENS1_22reduce_config_selectorIbEEZNS1_11reduce_implILb1ES3_N6hipcub16HIPCUB_304000_NS22TransformInputIteratorIbN2at6native12_GLOBAL__N_19NonZeroOpIiEEPKilEEPiiNS8_6detail34convert_binary_result_type_wrapperINS8_3SumESH_iEEEE10hipError_tPvRmT1_T2_T3_mT4_P12ihipStream_tbEUlT_E1_NS1_11comp_targetILNS1_3genE2ELNS1_11target_archE906ELNS1_3gpuE6ELNS1_3repE0EEENS1_30default_config_static_selectorELNS0_4arch9wavefront6targetE0EEEvSQ_
		.amdhsa_group_segment_fixed_size 0
		.amdhsa_private_segment_fixed_size 0
		.amdhsa_kernarg_size 48
		.amdhsa_user_sgpr_count 15
		.amdhsa_user_sgpr_dispatch_ptr 0
		.amdhsa_user_sgpr_queue_ptr 0
		.amdhsa_user_sgpr_kernarg_segment_ptr 1
		.amdhsa_user_sgpr_dispatch_id 0
		.amdhsa_user_sgpr_private_segment_size 0
		.amdhsa_wavefront_size32 1
		.amdhsa_uses_dynamic_stack 0
		.amdhsa_enable_private_segment 0
		.amdhsa_system_sgpr_workgroup_id_x 1
		.amdhsa_system_sgpr_workgroup_id_y 0
		.amdhsa_system_sgpr_workgroup_id_z 0
		.amdhsa_system_sgpr_workgroup_info 0
		.amdhsa_system_vgpr_workitem_id 0
		.amdhsa_next_free_vgpr 1
		.amdhsa_next_free_sgpr 1
		.amdhsa_reserve_vcc 0
		.amdhsa_float_round_mode_32 0
		.amdhsa_float_round_mode_16_64 0
		.amdhsa_float_denorm_mode_32 3
		.amdhsa_float_denorm_mode_16_64 3
		.amdhsa_dx10_clamp 1
		.amdhsa_ieee_mode 1
		.amdhsa_fp16_overflow 0
		.amdhsa_workgroup_processor_mode 1
		.amdhsa_memory_ordered 1
		.amdhsa_forward_progress 0
		.amdhsa_shared_vgpr_count 0
		.amdhsa_exception_fp_ieee_invalid_op 0
		.amdhsa_exception_fp_denorm_src 0
		.amdhsa_exception_fp_ieee_div_zero 0
		.amdhsa_exception_fp_ieee_overflow 0
		.amdhsa_exception_fp_ieee_underflow 0
		.amdhsa_exception_fp_ieee_inexact 0
		.amdhsa_exception_int_div_zero 0
	.end_amdhsa_kernel
	.section	.text._ZN7rocprim17ROCPRIM_400000_NS6detail17trampoline_kernelINS0_14default_configENS1_22reduce_config_selectorIbEEZNS1_11reduce_implILb1ES3_N6hipcub16HIPCUB_304000_NS22TransformInputIteratorIbN2at6native12_GLOBAL__N_19NonZeroOpIiEEPKilEEPiiNS8_6detail34convert_binary_result_type_wrapperINS8_3SumESH_iEEEE10hipError_tPvRmT1_T2_T3_mT4_P12ihipStream_tbEUlT_E1_NS1_11comp_targetILNS1_3genE2ELNS1_11target_archE906ELNS1_3gpuE6ELNS1_3repE0EEENS1_30default_config_static_selectorELNS0_4arch9wavefront6targetE0EEEvSQ_,"axG",@progbits,_ZN7rocprim17ROCPRIM_400000_NS6detail17trampoline_kernelINS0_14default_configENS1_22reduce_config_selectorIbEEZNS1_11reduce_implILb1ES3_N6hipcub16HIPCUB_304000_NS22TransformInputIteratorIbN2at6native12_GLOBAL__N_19NonZeroOpIiEEPKilEEPiiNS8_6detail34convert_binary_result_type_wrapperINS8_3SumESH_iEEEE10hipError_tPvRmT1_T2_T3_mT4_P12ihipStream_tbEUlT_E1_NS1_11comp_targetILNS1_3genE2ELNS1_11target_archE906ELNS1_3gpuE6ELNS1_3repE0EEENS1_30default_config_static_selectorELNS0_4arch9wavefront6targetE0EEEvSQ_,comdat
.Lfunc_end181:
	.size	_ZN7rocprim17ROCPRIM_400000_NS6detail17trampoline_kernelINS0_14default_configENS1_22reduce_config_selectorIbEEZNS1_11reduce_implILb1ES3_N6hipcub16HIPCUB_304000_NS22TransformInputIteratorIbN2at6native12_GLOBAL__N_19NonZeroOpIiEEPKilEEPiiNS8_6detail34convert_binary_result_type_wrapperINS8_3SumESH_iEEEE10hipError_tPvRmT1_T2_T3_mT4_P12ihipStream_tbEUlT_E1_NS1_11comp_targetILNS1_3genE2ELNS1_11target_archE906ELNS1_3gpuE6ELNS1_3repE0EEENS1_30default_config_static_selectorELNS0_4arch9wavefront6targetE0EEEvSQ_, .Lfunc_end181-_ZN7rocprim17ROCPRIM_400000_NS6detail17trampoline_kernelINS0_14default_configENS1_22reduce_config_selectorIbEEZNS1_11reduce_implILb1ES3_N6hipcub16HIPCUB_304000_NS22TransformInputIteratorIbN2at6native12_GLOBAL__N_19NonZeroOpIiEEPKilEEPiiNS8_6detail34convert_binary_result_type_wrapperINS8_3SumESH_iEEEE10hipError_tPvRmT1_T2_T3_mT4_P12ihipStream_tbEUlT_E1_NS1_11comp_targetILNS1_3genE2ELNS1_11target_archE906ELNS1_3gpuE6ELNS1_3repE0EEENS1_30default_config_static_selectorELNS0_4arch9wavefront6targetE0EEEvSQ_
                                        ; -- End function
	.section	.AMDGPU.csdata,"",@progbits
; Kernel info:
; codeLenInByte = 0
; NumSgprs: 0
; NumVgprs: 0
; ScratchSize: 0
; MemoryBound: 0
; FloatMode: 240
; IeeeMode: 1
; LDSByteSize: 0 bytes/workgroup (compile time only)
; SGPRBlocks: 0
; VGPRBlocks: 0
; NumSGPRsForWavesPerEU: 1
; NumVGPRsForWavesPerEU: 1
; Occupancy: 16
; WaveLimiterHint : 0
; COMPUTE_PGM_RSRC2:SCRATCH_EN: 0
; COMPUTE_PGM_RSRC2:USER_SGPR: 15
; COMPUTE_PGM_RSRC2:TRAP_HANDLER: 0
; COMPUTE_PGM_RSRC2:TGID_X_EN: 1
; COMPUTE_PGM_RSRC2:TGID_Y_EN: 0
; COMPUTE_PGM_RSRC2:TGID_Z_EN: 0
; COMPUTE_PGM_RSRC2:TIDIG_COMP_CNT: 0
	.section	.text._ZN7rocprim17ROCPRIM_400000_NS6detail17trampoline_kernelINS0_14default_configENS1_22reduce_config_selectorIbEEZNS1_11reduce_implILb1ES3_N6hipcub16HIPCUB_304000_NS22TransformInputIteratorIbN2at6native12_GLOBAL__N_19NonZeroOpIiEEPKilEEPiiNS8_6detail34convert_binary_result_type_wrapperINS8_3SumESH_iEEEE10hipError_tPvRmT1_T2_T3_mT4_P12ihipStream_tbEUlT_E1_NS1_11comp_targetILNS1_3genE10ELNS1_11target_archE1201ELNS1_3gpuE5ELNS1_3repE0EEENS1_30default_config_static_selectorELNS0_4arch9wavefront6targetE0EEEvSQ_,"axG",@progbits,_ZN7rocprim17ROCPRIM_400000_NS6detail17trampoline_kernelINS0_14default_configENS1_22reduce_config_selectorIbEEZNS1_11reduce_implILb1ES3_N6hipcub16HIPCUB_304000_NS22TransformInputIteratorIbN2at6native12_GLOBAL__N_19NonZeroOpIiEEPKilEEPiiNS8_6detail34convert_binary_result_type_wrapperINS8_3SumESH_iEEEE10hipError_tPvRmT1_T2_T3_mT4_P12ihipStream_tbEUlT_E1_NS1_11comp_targetILNS1_3genE10ELNS1_11target_archE1201ELNS1_3gpuE5ELNS1_3repE0EEENS1_30default_config_static_selectorELNS0_4arch9wavefront6targetE0EEEvSQ_,comdat
	.globl	_ZN7rocprim17ROCPRIM_400000_NS6detail17trampoline_kernelINS0_14default_configENS1_22reduce_config_selectorIbEEZNS1_11reduce_implILb1ES3_N6hipcub16HIPCUB_304000_NS22TransformInputIteratorIbN2at6native12_GLOBAL__N_19NonZeroOpIiEEPKilEEPiiNS8_6detail34convert_binary_result_type_wrapperINS8_3SumESH_iEEEE10hipError_tPvRmT1_T2_T3_mT4_P12ihipStream_tbEUlT_E1_NS1_11comp_targetILNS1_3genE10ELNS1_11target_archE1201ELNS1_3gpuE5ELNS1_3repE0EEENS1_30default_config_static_selectorELNS0_4arch9wavefront6targetE0EEEvSQ_ ; -- Begin function _ZN7rocprim17ROCPRIM_400000_NS6detail17trampoline_kernelINS0_14default_configENS1_22reduce_config_selectorIbEEZNS1_11reduce_implILb1ES3_N6hipcub16HIPCUB_304000_NS22TransformInputIteratorIbN2at6native12_GLOBAL__N_19NonZeroOpIiEEPKilEEPiiNS8_6detail34convert_binary_result_type_wrapperINS8_3SumESH_iEEEE10hipError_tPvRmT1_T2_T3_mT4_P12ihipStream_tbEUlT_E1_NS1_11comp_targetILNS1_3genE10ELNS1_11target_archE1201ELNS1_3gpuE5ELNS1_3repE0EEENS1_30default_config_static_selectorELNS0_4arch9wavefront6targetE0EEEvSQ_
	.p2align	8
	.type	_ZN7rocprim17ROCPRIM_400000_NS6detail17trampoline_kernelINS0_14default_configENS1_22reduce_config_selectorIbEEZNS1_11reduce_implILb1ES3_N6hipcub16HIPCUB_304000_NS22TransformInputIteratorIbN2at6native12_GLOBAL__N_19NonZeroOpIiEEPKilEEPiiNS8_6detail34convert_binary_result_type_wrapperINS8_3SumESH_iEEEE10hipError_tPvRmT1_T2_T3_mT4_P12ihipStream_tbEUlT_E1_NS1_11comp_targetILNS1_3genE10ELNS1_11target_archE1201ELNS1_3gpuE5ELNS1_3repE0EEENS1_30default_config_static_selectorELNS0_4arch9wavefront6targetE0EEEvSQ_,@function
_ZN7rocprim17ROCPRIM_400000_NS6detail17trampoline_kernelINS0_14default_configENS1_22reduce_config_selectorIbEEZNS1_11reduce_implILb1ES3_N6hipcub16HIPCUB_304000_NS22TransformInputIteratorIbN2at6native12_GLOBAL__N_19NonZeroOpIiEEPKilEEPiiNS8_6detail34convert_binary_result_type_wrapperINS8_3SumESH_iEEEE10hipError_tPvRmT1_T2_T3_mT4_P12ihipStream_tbEUlT_E1_NS1_11comp_targetILNS1_3genE10ELNS1_11target_archE1201ELNS1_3gpuE5ELNS1_3repE0EEENS1_30default_config_static_selectorELNS0_4arch9wavefront6targetE0EEEvSQ_: ; @_ZN7rocprim17ROCPRIM_400000_NS6detail17trampoline_kernelINS0_14default_configENS1_22reduce_config_selectorIbEEZNS1_11reduce_implILb1ES3_N6hipcub16HIPCUB_304000_NS22TransformInputIteratorIbN2at6native12_GLOBAL__N_19NonZeroOpIiEEPKilEEPiiNS8_6detail34convert_binary_result_type_wrapperINS8_3SumESH_iEEEE10hipError_tPvRmT1_T2_T3_mT4_P12ihipStream_tbEUlT_E1_NS1_11comp_targetILNS1_3genE10ELNS1_11target_archE1201ELNS1_3gpuE5ELNS1_3repE0EEENS1_30default_config_static_selectorELNS0_4arch9wavefront6targetE0EEEvSQ_
; %bb.0:
	.section	.rodata,"a",@progbits
	.p2align	6, 0x0
	.amdhsa_kernel _ZN7rocprim17ROCPRIM_400000_NS6detail17trampoline_kernelINS0_14default_configENS1_22reduce_config_selectorIbEEZNS1_11reduce_implILb1ES3_N6hipcub16HIPCUB_304000_NS22TransformInputIteratorIbN2at6native12_GLOBAL__N_19NonZeroOpIiEEPKilEEPiiNS8_6detail34convert_binary_result_type_wrapperINS8_3SumESH_iEEEE10hipError_tPvRmT1_T2_T3_mT4_P12ihipStream_tbEUlT_E1_NS1_11comp_targetILNS1_3genE10ELNS1_11target_archE1201ELNS1_3gpuE5ELNS1_3repE0EEENS1_30default_config_static_selectorELNS0_4arch9wavefront6targetE0EEEvSQ_
		.amdhsa_group_segment_fixed_size 0
		.amdhsa_private_segment_fixed_size 0
		.amdhsa_kernarg_size 48
		.amdhsa_user_sgpr_count 15
		.amdhsa_user_sgpr_dispatch_ptr 0
		.amdhsa_user_sgpr_queue_ptr 0
		.amdhsa_user_sgpr_kernarg_segment_ptr 1
		.amdhsa_user_sgpr_dispatch_id 0
		.amdhsa_user_sgpr_private_segment_size 0
		.amdhsa_wavefront_size32 1
		.amdhsa_uses_dynamic_stack 0
		.amdhsa_enable_private_segment 0
		.amdhsa_system_sgpr_workgroup_id_x 1
		.amdhsa_system_sgpr_workgroup_id_y 0
		.amdhsa_system_sgpr_workgroup_id_z 0
		.amdhsa_system_sgpr_workgroup_info 0
		.amdhsa_system_vgpr_workitem_id 0
		.amdhsa_next_free_vgpr 1
		.amdhsa_next_free_sgpr 1
		.amdhsa_reserve_vcc 0
		.amdhsa_float_round_mode_32 0
		.amdhsa_float_round_mode_16_64 0
		.amdhsa_float_denorm_mode_32 3
		.amdhsa_float_denorm_mode_16_64 3
		.amdhsa_dx10_clamp 1
		.amdhsa_ieee_mode 1
		.amdhsa_fp16_overflow 0
		.amdhsa_workgroup_processor_mode 1
		.amdhsa_memory_ordered 1
		.amdhsa_forward_progress 0
		.amdhsa_shared_vgpr_count 0
		.amdhsa_exception_fp_ieee_invalid_op 0
		.amdhsa_exception_fp_denorm_src 0
		.amdhsa_exception_fp_ieee_div_zero 0
		.amdhsa_exception_fp_ieee_overflow 0
		.amdhsa_exception_fp_ieee_underflow 0
		.amdhsa_exception_fp_ieee_inexact 0
		.amdhsa_exception_int_div_zero 0
	.end_amdhsa_kernel
	.section	.text._ZN7rocprim17ROCPRIM_400000_NS6detail17trampoline_kernelINS0_14default_configENS1_22reduce_config_selectorIbEEZNS1_11reduce_implILb1ES3_N6hipcub16HIPCUB_304000_NS22TransformInputIteratorIbN2at6native12_GLOBAL__N_19NonZeroOpIiEEPKilEEPiiNS8_6detail34convert_binary_result_type_wrapperINS8_3SumESH_iEEEE10hipError_tPvRmT1_T2_T3_mT4_P12ihipStream_tbEUlT_E1_NS1_11comp_targetILNS1_3genE10ELNS1_11target_archE1201ELNS1_3gpuE5ELNS1_3repE0EEENS1_30default_config_static_selectorELNS0_4arch9wavefront6targetE0EEEvSQ_,"axG",@progbits,_ZN7rocprim17ROCPRIM_400000_NS6detail17trampoline_kernelINS0_14default_configENS1_22reduce_config_selectorIbEEZNS1_11reduce_implILb1ES3_N6hipcub16HIPCUB_304000_NS22TransformInputIteratorIbN2at6native12_GLOBAL__N_19NonZeroOpIiEEPKilEEPiiNS8_6detail34convert_binary_result_type_wrapperINS8_3SumESH_iEEEE10hipError_tPvRmT1_T2_T3_mT4_P12ihipStream_tbEUlT_E1_NS1_11comp_targetILNS1_3genE10ELNS1_11target_archE1201ELNS1_3gpuE5ELNS1_3repE0EEENS1_30default_config_static_selectorELNS0_4arch9wavefront6targetE0EEEvSQ_,comdat
.Lfunc_end182:
	.size	_ZN7rocprim17ROCPRIM_400000_NS6detail17trampoline_kernelINS0_14default_configENS1_22reduce_config_selectorIbEEZNS1_11reduce_implILb1ES3_N6hipcub16HIPCUB_304000_NS22TransformInputIteratorIbN2at6native12_GLOBAL__N_19NonZeroOpIiEEPKilEEPiiNS8_6detail34convert_binary_result_type_wrapperINS8_3SumESH_iEEEE10hipError_tPvRmT1_T2_T3_mT4_P12ihipStream_tbEUlT_E1_NS1_11comp_targetILNS1_3genE10ELNS1_11target_archE1201ELNS1_3gpuE5ELNS1_3repE0EEENS1_30default_config_static_selectorELNS0_4arch9wavefront6targetE0EEEvSQ_, .Lfunc_end182-_ZN7rocprim17ROCPRIM_400000_NS6detail17trampoline_kernelINS0_14default_configENS1_22reduce_config_selectorIbEEZNS1_11reduce_implILb1ES3_N6hipcub16HIPCUB_304000_NS22TransformInputIteratorIbN2at6native12_GLOBAL__N_19NonZeroOpIiEEPKilEEPiiNS8_6detail34convert_binary_result_type_wrapperINS8_3SumESH_iEEEE10hipError_tPvRmT1_T2_T3_mT4_P12ihipStream_tbEUlT_E1_NS1_11comp_targetILNS1_3genE10ELNS1_11target_archE1201ELNS1_3gpuE5ELNS1_3repE0EEENS1_30default_config_static_selectorELNS0_4arch9wavefront6targetE0EEEvSQ_
                                        ; -- End function
	.section	.AMDGPU.csdata,"",@progbits
; Kernel info:
; codeLenInByte = 0
; NumSgprs: 0
; NumVgprs: 0
; ScratchSize: 0
; MemoryBound: 0
; FloatMode: 240
; IeeeMode: 1
; LDSByteSize: 0 bytes/workgroup (compile time only)
; SGPRBlocks: 0
; VGPRBlocks: 0
; NumSGPRsForWavesPerEU: 1
; NumVGPRsForWavesPerEU: 1
; Occupancy: 16
; WaveLimiterHint : 0
; COMPUTE_PGM_RSRC2:SCRATCH_EN: 0
; COMPUTE_PGM_RSRC2:USER_SGPR: 15
; COMPUTE_PGM_RSRC2:TRAP_HANDLER: 0
; COMPUTE_PGM_RSRC2:TGID_X_EN: 1
; COMPUTE_PGM_RSRC2:TGID_Y_EN: 0
; COMPUTE_PGM_RSRC2:TGID_Z_EN: 0
; COMPUTE_PGM_RSRC2:TIDIG_COMP_CNT: 0
	.section	.text._ZN7rocprim17ROCPRIM_400000_NS6detail17trampoline_kernelINS0_14default_configENS1_22reduce_config_selectorIbEEZNS1_11reduce_implILb1ES3_N6hipcub16HIPCUB_304000_NS22TransformInputIteratorIbN2at6native12_GLOBAL__N_19NonZeroOpIiEEPKilEEPiiNS8_6detail34convert_binary_result_type_wrapperINS8_3SumESH_iEEEE10hipError_tPvRmT1_T2_T3_mT4_P12ihipStream_tbEUlT_E1_NS1_11comp_targetILNS1_3genE10ELNS1_11target_archE1200ELNS1_3gpuE4ELNS1_3repE0EEENS1_30default_config_static_selectorELNS0_4arch9wavefront6targetE0EEEvSQ_,"axG",@progbits,_ZN7rocprim17ROCPRIM_400000_NS6detail17trampoline_kernelINS0_14default_configENS1_22reduce_config_selectorIbEEZNS1_11reduce_implILb1ES3_N6hipcub16HIPCUB_304000_NS22TransformInputIteratorIbN2at6native12_GLOBAL__N_19NonZeroOpIiEEPKilEEPiiNS8_6detail34convert_binary_result_type_wrapperINS8_3SumESH_iEEEE10hipError_tPvRmT1_T2_T3_mT4_P12ihipStream_tbEUlT_E1_NS1_11comp_targetILNS1_3genE10ELNS1_11target_archE1200ELNS1_3gpuE4ELNS1_3repE0EEENS1_30default_config_static_selectorELNS0_4arch9wavefront6targetE0EEEvSQ_,comdat
	.globl	_ZN7rocprim17ROCPRIM_400000_NS6detail17trampoline_kernelINS0_14default_configENS1_22reduce_config_selectorIbEEZNS1_11reduce_implILb1ES3_N6hipcub16HIPCUB_304000_NS22TransformInputIteratorIbN2at6native12_GLOBAL__N_19NonZeroOpIiEEPKilEEPiiNS8_6detail34convert_binary_result_type_wrapperINS8_3SumESH_iEEEE10hipError_tPvRmT1_T2_T3_mT4_P12ihipStream_tbEUlT_E1_NS1_11comp_targetILNS1_3genE10ELNS1_11target_archE1200ELNS1_3gpuE4ELNS1_3repE0EEENS1_30default_config_static_selectorELNS0_4arch9wavefront6targetE0EEEvSQ_ ; -- Begin function _ZN7rocprim17ROCPRIM_400000_NS6detail17trampoline_kernelINS0_14default_configENS1_22reduce_config_selectorIbEEZNS1_11reduce_implILb1ES3_N6hipcub16HIPCUB_304000_NS22TransformInputIteratorIbN2at6native12_GLOBAL__N_19NonZeroOpIiEEPKilEEPiiNS8_6detail34convert_binary_result_type_wrapperINS8_3SumESH_iEEEE10hipError_tPvRmT1_T2_T3_mT4_P12ihipStream_tbEUlT_E1_NS1_11comp_targetILNS1_3genE10ELNS1_11target_archE1200ELNS1_3gpuE4ELNS1_3repE0EEENS1_30default_config_static_selectorELNS0_4arch9wavefront6targetE0EEEvSQ_
	.p2align	8
	.type	_ZN7rocprim17ROCPRIM_400000_NS6detail17trampoline_kernelINS0_14default_configENS1_22reduce_config_selectorIbEEZNS1_11reduce_implILb1ES3_N6hipcub16HIPCUB_304000_NS22TransformInputIteratorIbN2at6native12_GLOBAL__N_19NonZeroOpIiEEPKilEEPiiNS8_6detail34convert_binary_result_type_wrapperINS8_3SumESH_iEEEE10hipError_tPvRmT1_T2_T3_mT4_P12ihipStream_tbEUlT_E1_NS1_11comp_targetILNS1_3genE10ELNS1_11target_archE1200ELNS1_3gpuE4ELNS1_3repE0EEENS1_30default_config_static_selectorELNS0_4arch9wavefront6targetE0EEEvSQ_,@function
_ZN7rocprim17ROCPRIM_400000_NS6detail17trampoline_kernelINS0_14default_configENS1_22reduce_config_selectorIbEEZNS1_11reduce_implILb1ES3_N6hipcub16HIPCUB_304000_NS22TransformInputIteratorIbN2at6native12_GLOBAL__N_19NonZeroOpIiEEPKilEEPiiNS8_6detail34convert_binary_result_type_wrapperINS8_3SumESH_iEEEE10hipError_tPvRmT1_T2_T3_mT4_P12ihipStream_tbEUlT_E1_NS1_11comp_targetILNS1_3genE10ELNS1_11target_archE1200ELNS1_3gpuE4ELNS1_3repE0EEENS1_30default_config_static_selectorELNS0_4arch9wavefront6targetE0EEEvSQ_: ; @_ZN7rocprim17ROCPRIM_400000_NS6detail17trampoline_kernelINS0_14default_configENS1_22reduce_config_selectorIbEEZNS1_11reduce_implILb1ES3_N6hipcub16HIPCUB_304000_NS22TransformInputIteratorIbN2at6native12_GLOBAL__N_19NonZeroOpIiEEPKilEEPiiNS8_6detail34convert_binary_result_type_wrapperINS8_3SumESH_iEEEE10hipError_tPvRmT1_T2_T3_mT4_P12ihipStream_tbEUlT_E1_NS1_11comp_targetILNS1_3genE10ELNS1_11target_archE1200ELNS1_3gpuE4ELNS1_3repE0EEENS1_30default_config_static_selectorELNS0_4arch9wavefront6targetE0EEEvSQ_
; %bb.0:
	.section	.rodata,"a",@progbits
	.p2align	6, 0x0
	.amdhsa_kernel _ZN7rocprim17ROCPRIM_400000_NS6detail17trampoline_kernelINS0_14default_configENS1_22reduce_config_selectorIbEEZNS1_11reduce_implILb1ES3_N6hipcub16HIPCUB_304000_NS22TransformInputIteratorIbN2at6native12_GLOBAL__N_19NonZeroOpIiEEPKilEEPiiNS8_6detail34convert_binary_result_type_wrapperINS8_3SumESH_iEEEE10hipError_tPvRmT1_T2_T3_mT4_P12ihipStream_tbEUlT_E1_NS1_11comp_targetILNS1_3genE10ELNS1_11target_archE1200ELNS1_3gpuE4ELNS1_3repE0EEENS1_30default_config_static_selectorELNS0_4arch9wavefront6targetE0EEEvSQ_
		.amdhsa_group_segment_fixed_size 0
		.amdhsa_private_segment_fixed_size 0
		.amdhsa_kernarg_size 48
		.amdhsa_user_sgpr_count 15
		.amdhsa_user_sgpr_dispatch_ptr 0
		.amdhsa_user_sgpr_queue_ptr 0
		.amdhsa_user_sgpr_kernarg_segment_ptr 1
		.amdhsa_user_sgpr_dispatch_id 0
		.amdhsa_user_sgpr_private_segment_size 0
		.amdhsa_wavefront_size32 1
		.amdhsa_uses_dynamic_stack 0
		.amdhsa_enable_private_segment 0
		.amdhsa_system_sgpr_workgroup_id_x 1
		.amdhsa_system_sgpr_workgroup_id_y 0
		.amdhsa_system_sgpr_workgroup_id_z 0
		.amdhsa_system_sgpr_workgroup_info 0
		.amdhsa_system_vgpr_workitem_id 0
		.amdhsa_next_free_vgpr 1
		.amdhsa_next_free_sgpr 1
		.amdhsa_reserve_vcc 0
		.amdhsa_float_round_mode_32 0
		.amdhsa_float_round_mode_16_64 0
		.amdhsa_float_denorm_mode_32 3
		.amdhsa_float_denorm_mode_16_64 3
		.amdhsa_dx10_clamp 1
		.amdhsa_ieee_mode 1
		.amdhsa_fp16_overflow 0
		.amdhsa_workgroup_processor_mode 1
		.amdhsa_memory_ordered 1
		.amdhsa_forward_progress 0
		.amdhsa_shared_vgpr_count 0
		.amdhsa_exception_fp_ieee_invalid_op 0
		.amdhsa_exception_fp_denorm_src 0
		.amdhsa_exception_fp_ieee_div_zero 0
		.amdhsa_exception_fp_ieee_overflow 0
		.amdhsa_exception_fp_ieee_underflow 0
		.amdhsa_exception_fp_ieee_inexact 0
		.amdhsa_exception_int_div_zero 0
	.end_amdhsa_kernel
	.section	.text._ZN7rocprim17ROCPRIM_400000_NS6detail17trampoline_kernelINS0_14default_configENS1_22reduce_config_selectorIbEEZNS1_11reduce_implILb1ES3_N6hipcub16HIPCUB_304000_NS22TransformInputIteratorIbN2at6native12_GLOBAL__N_19NonZeroOpIiEEPKilEEPiiNS8_6detail34convert_binary_result_type_wrapperINS8_3SumESH_iEEEE10hipError_tPvRmT1_T2_T3_mT4_P12ihipStream_tbEUlT_E1_NS1_11comp_targetILNS1_3genE10ELNS1_11target_archE1200ELNS1_3gpuE4ELNS1_3repE0EEENS1_30default_config_static_selectorELNS0_4arch9wavefront6targetE0EEEvSQ_,"axG",@progbits,_ZN7rocprim17ROCPRIM_400000_NS6detail17trampoline_kernelINS0_14default_configENS1_22reduce_config_selectorIbEEZNS1_11reduce_implILb1ES3_N6hipcub16HIPCUB_304000_NS22TransformInputIteratorIbN2at6native12_GLOBAL__N_19NonZeroOpIiEEPKilEEPiiNS8_6detail34convert_binary_result_type_wrapperINS8_3SumESH_iEEEE10hipError_tPvRmT1_T2_T3_mT4_P12ihipStream_tbEUlT_E1_NS1_11comp_targetILNS1_3genE10ELNS1_11target_archE1200ELNS1_3gpuE4ELNS1_3repE0EEENS1_30default_config_static_selectorELNS0_4arch9wavefront6targetE0EEEvSQ_,comdat
.Lfunc_end183:
	.size	_ZN7rocprim17ROCPRIM_400000_NS6detail17trampoline_kernelINS0_14default_configENS1_22reduce_config_selectorIbEEZNS1_11reduce_implILb1ES3_N6hipcub16HIPCUB_304000_NS22TransformInputIteratorIbN2at6native12_GLOBAL__N_19NonZeroOpIiEEPKilEEPiiNS8_6detail34convert_binary_result_type_wrapperINS8_3SumESH_iEEEE10hipError_tPvRmT1_T2_T3_mT4_P12ihipStream_tbEUlT_E1_NS1_11comp_targetILNS1_3genE10ELNS1_11target_archE1200ELNS1_3gpuE4ELNS1_3repE0EEENS1_30default_config_static_selectorELNS0_4arch9wavefront6targetE0EEEvSQ_, .Lfunc_end183-_ZN7rocprim17ROCPRIM_400000_NS6detail17trampoline_kernelINS0_14default_configENS1_22reduce_config_selectorIbEEZNS1_11reduce_implILb1ES3_N6hipcub16HIPCUB_304000_NS22TransformInputIteratorIbN2at6native12_GLOBAL__N_19NonZeroOpIiEEPKilEEPiiNS8_6detail34convert_binary_result_type_wrapperINS8_3SumESH_iEEEE10hipError_tPvRmT1_T2_T3_mT4_P12ihipStream_tbEUlT_E1_NS1_11comp_targetILNS1_3genE10ELNS1_11target_archE1200ELNS1_3gpuE4ELNS1_3repE0EEENS1_30default_config_static_selectorELNS0_4arch9wavefront6targetE0EEEvSQ_
                                        ; -- End function
	.section	.AMDGPU.csdata,"",@progbits
; Kernel info:
; codeLenInByte = 0
; NumSgprs: 0
; NumVgprs: 0
; ScratchSize: 0
; MemoryBound: 0
; FloatMode: 240
; IeeeMode: 1
; LDSByteSize: 0 bytes/workgroup (compile time only)
; SGPRBlocks: 0
; VGPRBlocks: 0
; NumSGPRsForWavesPerEU: 1
; NumVGPRsForWavesPerEU: 1
; Occupancy: 16
; WaveLimiterHint : 0
; COMPUTE_PGM_RSRC2:SCRATCH_EN: 0
; COMPUTE_PGM_RSRC2:USER_SGPR: 15
; COMPUTE_PGM_RSRC2:TRAP_HANDLER: 0
; COMPUTE_PGM_RSRC2:TGID_X_EN: 1
; COMPUTE_PGM_RSRC2:TGID_Y_EN: 0
; COMPUTE_PGM_RSRC2:TGID_Z_EN: 0
; COMPUTE_PGM_RSRC2:TIDIG_COMP_CNT: 0
	.section	.text._ZN7rocprim17ROCPRIM_400000_NS6detail17trampoline_kernelINS0_14default_configENS1_22reduce_config_selectorIbEEZNS1_11reduce_implILb1ES3_N6hipcub16HIPCUB_304000_NS22TransformInputIteratorIbN2at6native12_GLOBAL__N_19NonZeroOpIiEEPKilEEPiiNS8_6detail34convert_binary_result_type_wrapperINS8_3SumESH_iEEEE10hipError_tPvRmT1_T2_T3_mT4_P12ihipStream_tbEUlT_E1_NS1_11comp_targetILNS1_3genE9ELNS1_11target_archE1100ELNS1_3gpuE3ELNS1_3repE0EEENS1_30default_config_static_selectorELNS0_4arch9wavefront6targetE0EEEvSQ_,"axG",@progbits,_ZN7rocprim17ROCPRIM_400000_NS6detail17trampoline_kernelINS0_14default_configENS1_22reduce_config_selectorIbEEZNS1_11reduce_implILb1ES3_N6hipcub16HIPCUB_304000_NS22TransformInputIteratorIbN2at6native12_GLOBAL__N_19NonZeroOpIiEEPKilEEPiiNS8_6detail34convert_binary_result_type_wrapperINS8_3SumESH_iEEEE10hipError_tPvRmT1_T2_T3_mT4_P12ihipStream_tbEUlT_E1_NS1_11comp_targetILNS1_3genE9ELNS1_11target_archE1100ELNS1_3gpuE3ELNS1_3repE0EEENS1_30default_config_static_selectorELNS0_4arch9wavefront6targetE0EEEvSQ_,comdat
	.globl	_ZN7rocprim17ROCPRIM_400000_NS6detail17trampoline_kernelINS0_14default_configENS1_22reduce_config_selectorIbEEZNS1_11reduce_implILb1ES3_N6hipcub16HIPCUB_304000_NS22TransformInputIteratorIbN2at6native12_GLOBAL__N_19NonZeroOpIiEEPKilEEPiiNS8_6detail34convert_binary_result_type_wrapperINS8_3SumESH_iEEEE10hipError_tPvRmT1_T2_T3_mT4_P12ihipStream_tbEUlT_E1_NS1_11comp_targetILNS1_3genE9ELNS1_11target_archE1100ELNS1_3gpuE3ELNS1_3repE0EEENS1_30default_config_static_selectorELNS0_4arch9wavefront6targetE0EEEvSQ_ ; -- Begin function _ZN7rocprim17ROCPRIM_400000_NS6detail17trampoline_kernelINS0_14default_configENS1_22reduce_config_selectorIbEEZNS1_11reduce_implILb1ES3_N6hipcub16HIPCUB_304000_NS22TransformInputIteratorIbN2at6native12_GLOBAL__N_19NonZeroOpIiEEPKilEEPiiNS8_6detail34convert_binary_result_type_wrapperINS8_3SumESH_iEEEE10hipError_tPvRmT1_T2_T3_mT4_P12ihipStream_tbEUlT_E1_NS1_11comp_targetILNS1_3genE9ELNS1_11target_archE1100ELNS1_3gpuE3ELNS1_3repE0EEENS1_30default_config_static_selectorELNS0_4arch9wavefront6targetE0EEEvSQ_
	.p2align	8
	.type	_ZN7rocprim17ROCPRIM_400000_NS6detail17trampoline_kernelINS0_14default_configENS1_22reduce_config_selectorIbEEZNS1_11reduce_implILb1ES3_N6hipcub16HIPCUB_304000_NS22TransformInputIteratorIbN2at6native12_GLOBAL__N_19NonZeroOpIiEEPKilEEPiiNS8_6detail34convert_binary_result_type_wrapperINS8_3SumESH_iEEEE10hipError_tPvRmT1_T2_T3_mT4_P12ihipStream_tbEUlT_E1_NS1_11comp_targetILNS1_3genE9ELNS1_11target_archE1100ELNS1_3gpuE3ELNS1_3repE0EEENS1_30default_config_static_selectorELNS0_4arch9wavefront6targetE0EEEvSQ_,@function
_ZN7rocprim17ROCPRIM_400000_NS6detail17trampoline_kernelINS0_14default_configENS1_22reduce_config_selectorIbEEZNS1_11reduce_implILb1ES3_N6hipcub16HIPCUB_304000_NS22TransformInputIteratorIbN2at6native12_GLOBAL__N_19NonZeroOpIiEEPKilEEPiiNS8_6detail34convert_binary_result_type_wrapperINS8_3SumESH_iEEEE10hipError_tPvRmT1_T2_T3_mT4_P12ihipStream_tbEUlT_E1_NS1_11comp_targetILNS1_3genE9ELNS1_11target_archE1100ELNS1_3gpuE3ELNS1_3repE0EEENS1_30default_config_static_selectorELNS0_4arch9wavefront6targetE0EEEvSQ_: ; @_ZN7rocprim17ROCPRIM_400000_NS6detail17trampoline_kernelINS0_14default_configENS1_22reduce_config_selectorIbEEZNS1_11reduce_implILb1ES3_N6hipcub16HIPCUB_304000_NS22TransformInputIteratorIbN2at6native12_GLOBAL__N_19NonZeroOpIiEEPKilEEPiiNS8_6detail34convert_binary_result_type_wrapperINS8_3SumESH_iEEEE10hipError_tPvRmT1_T2_T3_mT4_P12ihipStream_tbEUlT_E1_NS1_11comp_targetILNS1_3genE9ELNS1_11target_archE1100ELNS1_3gpuE3ELNS1_3repE0EEENS1_30default_config_static_selectorELNS0_4arch9wavefront6targetE0EEEvSQ_
; %bb.0:
	s_clause 0x2
	s_load_b32 s26, s[0:1], 0x4
	s_load_b64 s[24:25], s[0:1], 0x8
	s_load_b128 s[20:23], s[0:1], 0x18
	s_mov_b32 s18, s15
	s_waitcnt lgkmcnt(0)
	s_cmp_lt_i32 s26, 16
	s_cbranch_scc1 .LBB184_12
; %bb.1:
	s_cmp_gt_i32 s26, 63
	s_cbranch_scc0 .LBB184_13
; %bb.2:
	s_cmpk_gt_i32 s26, 0x7f
	s_cbranch_scc0 .LBB184_22
; %bb.3:
	s_cmpk_eq_i32 s26, 0x80
	s_mov_b32 s6, 0
	s_cbranch_scc0 .LBB184_23
; %bb.4:
	s_mov_b32 s19, 0
	s_lshl_b32 s4, s18, 14
	s_mov_b32 s5, s19
	s_lshr_b64 s[8:9], s[20:21], 14
	s_lshl_b64 s[2:3], s[4:5], 2
	s_delay_alu instid0(SALU_CYCLE_1)
	s_add_u32 s2, s24, s2
	s_addc_u32 s3, s25, s3
	s_cmp_lg_u64 s[8:9], s[18:19]
	s_cbranch_scc0 .LBB184_34
; %bb.5:
	v_lshlrev_b32_e32 v5, 2, v0
	s_clause 0x6
	global_load_b32 v7, v5, s[2:3]
	global_load_b32 v8, v5, s[2:3] offset:512
	global_load_b32 v9, v5, s[2:3] offset:1024
	;; [unrolled: 1-line block ×6, first 2 shown]
	v_add_co_u32 v10, s5, s2, v5
	s_delay_alu instid0(VALU_DEP_1) | instskip(SKIP_1) | instid1(VALU_DEP_2)
	v_add_co_ci_u32_e64 v11, null, s3, 0, s5
	s_mov_b32 s5, exec_lo
	v_add_co_u32 v1, vcc_lo, v10, 0x2000
	s_delay_alu instid0(VALU_DEP_2)
	v_add_co_ci_u32_e32 v2, vcc_lo, 0, v11, vcc_lo
	v_add_co_u32 v3, vcc_lo, 0x1000, v10
	v_add_co_ci_u32_e32 v4, vcc_lo, 0, v11, vcc_lo
	s_clause 0x7
	global_load_b32 v16, v[1:2], off offset:-4096
	global_load_b32 v17, v5, s[2:3] offset:3584
	global_load_b32 v18, v[3:4], off offset:1024
	global_load_b32 v19, v[3:4], off offset:512
	;; [unrolled: 1-line block ×6, first 2 shown]
	v_add_co_u32 v5, vcc_lo, 0x2000, v10
	v_add_co_ci_u32_e32 v6, vcc_lo, 0, v11, vcc_lo
	s_clause 0x7
	global_load_b32 v24, v[1:2], off
	global_load_b32 v25, v[3:4], off offset:3584
	global_load_b32 v26, v[5:6], off offset:1024
	;; [unrolled: 1-line block ×7, first 2 shown]
	v_add_co_u32 v1, vcc_lo, v10, 0x4000
	v_add_co_ci_u32_e32 v2, vcc_lo, 0, v11, vcc_lo
	v_add_co_u32 v3, vcc_lo, 0x3000, v10
	v_add_co_ci_u32_e32 v4, vcc_lo, 0, v11, vcc_lo
	s_clause 0x7
	global_load_b32 v32, v[1:2], off offset:-4096
	global_load_b32 v33, v[5:6], off offset:3584
	global_load_b32 v34, v[3:4], off offset:1024
	;; [unrolled: 1-line block ×7, first 2 shown]
	v_add_co_u32 v5, vcc_lo, 0x4000, v10
	v_add_co_ci_u32_e32 v6, vcc_lo, 0, v11, vcc_lo
	s_clause 0x7
	global_load_b32 v40, v[1:2], off
	global_load_b32 v41, v[3:4], off offset:3584
	global_load_b32 v42, v[5:6], off offset:1024
	global_load_b32 v43, v[5:6], off offset:512
	global_load_b32 v44, v[5:6], off offset:1536
	global_load_b32 v45, v[5:6], off offset:2048
	global_load_b32 v46, v[5:6], off offset:2560
	global_load_b32 v47, v[5:6], off offset:3072
	v_add_co_u32 v1, vcc_lo, v10, 0x6000
	v_add_co_ci_u32_e32 v2, vcc_lo, 0, v11, vcc_lo
	v_add_co_u32 v3, vcc_lo, 0x5000, v10
	v_add_co_ci_u32_e32 v4, vcc_lo, 0, v11, vcc_lo
	s_clause 0x7
	global_load_b32 v48, v[1:2], off offset:-4096
	global_load_b32 v49, v[5:6], off offset:3584
	global_load_b32 v50, v[3:4], off offset:1024
	global_load_b32 v51, v[3:4], off offset:512
	global_load_b32 v52, v[3:4], off offset:2048
	global_load_b32 v53, v[3:4], off offset:1536
	global_load_b32 v54, v[3:4], off offset:2560
	global_load_b32 v55, v[3:4], off offset:3072
	v_add_co_u32 v5, vcc_lo, 0x6000, v10
	v_add_co_ci_u32_e32 v6, vcc_lo, 0, v11, vcc_lo
	s_clause 0x5
	global_load_b32 v56, v[1:2], off
	global_load_b32 v57, v[3:4], off offset:3584
	global_load_b32 v58, v[5:6], off offset:1024
	global_load_b32 v59, v[5:6], off offset:512
	global_load_b32 v60, v[5:6], off offset:1536
	global_load_b32 v61, v[5:6], off offset:2048
	v_add_co_u32 v1, vcc_lo, v10, 0x8000
	v_add_co_ci_u32_e32 v2, vcc_lo, 0, v11, vcc_lo
	v_add_co_u32 v3, vcc_lo, 0x7000, v10
	v_add_co_ci_u32_e32 v4, vcc_lo, 0, v11, vcc_lo
	s_clause 0x9
	global_load_b32 v62, v[5:6], off offset:2560
	global_load_b32 v63, v[5:6], off offset:3072
	global_load_b32 v64, v[1:2], off offset:-4096
	global_load_b32 v65, v[5:6], off offset:3584
	global_load_b32 v66, v[3:4], off offset:1024
	global_load_b32 v67, v[3:4], off offset:512
	global_load_b32 v68, v[3:4], off offset:2048
	global_load_b32 v69, v[3:4], off offset:1536
	global_load_b32 v70, v[3:4], off offset:2560
	global_load_b32 v71, v[3:4], off offset:3072
	v_add_co_u32 v5, vcc_lo, 0x8000, v10
	v_add_co_ci_u32_e32 v6, vcc_lo, 0, v11, vcc_lo
	s_clause 0x5
	global_load_b32 v72, v[1:2], off
	global_load_b32 v73, v[3:4], off offset:3584
	global_load_b32 v74, v[5:6], off offset:1024
	global_load_b32 v75, v[5:6], off offset:512
	global_load_b32 v76, v[5:6], off offset:1536
	global_load_b32 v77, v[5:6], off offset:2048
	v_add_co_u32 v1, vcc_lo, v10, 0xa000
	v_add_co_ci_u32_e32 v2, vcc_lo, 0, v11, vcc_lo
	v_add_co_u32 v3, vcc_lo, 0x9000, v10
	v_add_co_ci_u32_e32 v4, vcc_lo, 0, v11, vcc_lo
	s_clause 0x9
	global_load_b32 v78, v[5:6], off offset:2560
	global_load_b32 v79, v[5:6], off offset:3072
	;; [unrolled: 24-line block ×4, first 2 shown]
	global_load_b32 v112, v[1:2], off offset:-4096
	global_load_b32 v113, v[5:6], off offset:3584
	global_load_b32 v114, v[3:4], off offset:1024
	;; [unrolled: 1-line block ×7, first 2 shown]
	v_add_co_u32 v5, vcc_lo, 0xe000, v10
	v_add_co_ci_u32_e32 v6, vcc_lo, 0, v11, vcc_lo
	s_clause 0x5
	global_load_b32 v120, v[1:2], off
	global_load_b32 v3, v[3:4], off offset:3584
	global_load_b32 v4, v[5:6], off offset:1024
	;; [unrolled: 1-line block ×5, first 2 shown]
	v_add_co_u32 v1, vcc_lo, 0xf000, v10
	v_add_co_ci_u32_e32 v2, vcc_lo, 0, v11, vcc_lo
	s_clause 0xa
	global_load_b32 v10, v[5:6], off offset:3072
	global_load_b32 v11, v[5:6], off offset:2560
	global_load_b32 v124, v[1:2], off
	global_load_b32 v5, v[5:6], off offset:3584
	global_load_b32 v6, v[1:2], off offset:1024
	;; [unrolled: 1-line block ×8, first 2 shown]
	s_waitcnt vmcnt(62)
	v_cmp_ne_u32_e32 vcc_lo, 0, v7
	v_cndmask_b32_e64 v2, 0, 1, vcc_lo
	v_cmp_ne_u32_e32 vcc_lo, 0, v9
	v_cndmask_b32_e64 v7, 0, 1, vcc_lo
	v_cmp_ne_u32_e32 vcc_lo, 0, v8
	s_delay_alu instid0(VALU_DEP_4) | instskip(SKIP_3) | instid1(VALU_DEP_4)
	v_add_co_ci_u32_e32 v2, vcc_lo, 0, v2, vcc_lo
	v_cmp_ne_u32_e32 vcc_lo, 0, v13
	v_cndmask_b32_e64 v8, 0, 1, vcc_lo
	v_cmp_ne_u32_e32 vcc_lo, 0, v12
	v_add_co_ci_u32_e32 v2, vcc_lo, v2, v7, vcc_lo
	v_cmp_ne_u32_e32 vcc_lo, 0, v15
	v_cndmask_b32_e64 v7, 0, 1, vcc_lo
	v_cmp_ne_u32_e32 vcc_lo, 0, v14
	s_delay_alu instid0(VALU_DEP_4) | instskip(SKIP_3) | instid1(VALU_DEP_4)
	v_add_co_ci_u32_e32 v2, vcc_lo, v2, v8, vcc_lo
	v_cmp_ne_u32_e32 vcc_lo, 0, v16
	v_cndmask_b32_e64 v8, 0, 1, vcc_lo
	v_cmp_ne_u32_e32 vcc_lo, 0, v17
	v_add_co_ci_u32_e32 v2, vcc_lo, v2, v7, vcc_lo
	;; [unrolled: 9-line block ×16, first 2 shown]
	v_cmp_ne_u32_e32 vcc_lo, 0, v74
	v_cndmask_b32_e64 v7, 0, 1, vcc_lo
	s_waitcnt vmcnt(61)
	v_cmp_ne_u32_e32 vcc_lo, 0, v75
	v_add_co_ci_u32_e32 v2, vcc_lo, v2, v8, vcc_lo
	s_waitcnt vmcnt(59)
	v_cmp_ne_u32_e32 vcc_lo, 0, v77
	v_cndmask_b32_e64 v8, 0, 1, vcc_lo
	v_cmp_ne_u32_e32 vcc_lo, 0, v76
	v_add_co_ci_u32_e32 v2, vcc_lo, v2, v7, vcc_lo
	s_waitcnt vmcnt(57)
	v_cmp_ne_u32_e32 vcc_lo, 0, v79
	v_cndmask_b32_e64 v7, 0, 1, vcc_lo
	v_cmp_ne_u32_e32 vcc_lo, 0, v78
	v_add_co_ci_u32_e32 v2, vcc_lo, v2, v8, vcc_lo
	s_waitcnt vmcnt(56)
	v_cmp_ne_u32_e32 vcc_lo, 0, v80
	v_cndmask_b32_e64 v8, 0, 1, vcc_lo
	s_waitcnt vmcnt(55)
	v_cmp_ne_u32_e32 vcc_lo, 0, v81
	v_add_co_ci_u32_e32 v2, vcc_lo, v2, v7, vcc_lo
	s_waitcnt vmcnt(54)
	v_cmp_ne_u32_e32 vcc_lo, 0, v82
	v_cndmask_b32_e64 v7, 0, 1, vcc_lo
	s_waitcnt vmcnt(53)
	v_cmp_ne_u32_e32 vcc_lo, 0, v83
	v_add_co_ci_u32_e32 v2, vcc_lo, v2, v8, vcc_lo
	s_waitcnt vmcnt(52)
	v_cmp_ne_u32_e32 vcc_lo, 0, v84
	v_cndmask_b32_e64 v8, 0, 1, vcc_lo
	s_waitcnt vmcnt(51)
	v_cmp_ne_u32_e32 vcc_lo, 0, v85
	v_add_co_ci_u32_e32 v2, vcc_lo, v2, v7, vcc_lo
	s_waitcnt vmcnt(49)
	v_cmp_ne_u32_e32 vcc_lo, 0, v87
	v_cndmask_b32_e64 v7, 0, 1, vcc_lo
	v_cmp_ne_u32_e32 vcc_lo, 0, v86
	v_add_co_ci_u32_e32 v2, vcc_lo, v2, v8, vcc_lo
	s_waitcnt vmcnt(48)
	v_cmp_ne_u32_e32 vcc_lo, 0, v88
	v_cndmask_b32_e64 v8, 0, 1, vcc_lo
	s_waitcnt vmcnt(47)
	v_cmp_ne_u32_e32 vcc_lo, 0, v89
	v_add_co_ci_u32_e32 v2, vcc_lo, v2, v7, vcc_lo
	s_waitcnt vmcnt(46)
	v_cmp_ne_u32_e32 vcc_lo, 0, v90
	v_cndmask_b32_e64 v7, 0, 1, vcc_lo
	s_waitcnt vmcnt(45)
	v_cmp_ne_u32_e32 vcc_lo, 0, v91
	v_add_co_ci_u32_e32 v2, vcc_lo, v2, v8, vcc_lo
	s_waitcnt vmcnt(43)
	v_cmp_ne_u32_e32 vcc_lo, 0, v93
	v_cndmask_b32_e64 v8, 0, 1, vcc_lo
	v_cmp_ne_u32_e32 vcc_lo, 0, v92
	v_add_co_ci_u32_e32 v2, vcc_lo, v2, v7, vcc_lo
	s_waitcnt vmcnt(41)
	v_cmp_ne_u32_e32 vcc_lo, 0, v95
	v_cndmask_b32_e64 v7, 0, 1, vcc_lo
	v_cmp_ne_u32_e32 vcc_lo, 0, v94
	v_add_co_ci_u32_e32 v2, vcc_lo, v2, v8, vcc_lo
	s_waitcnt vmcnt(40)
	v_cmp_ne_u32_e32 vcc_lo, 0, v96
	v_cndmask_b32_e64 v8, 0, 1, vcc_lo
	s_waitcnt vmcnt(39)
	v_cmp_ne_u32_e32 vcc_lo, 0, v97
	v_add_co_ci_u32_e32 v2, vcc_lo, v2, v7, vcc_lo
	s_waitcnt vmcnt(38)
	v_cmp_ne_u32_e32 vcc_lo, 0, v98
	v_cndmask_b32_e64 v7, 0, 1, vcc_lo
	s_waitcnt vmcnt(37)
	v_cmp_ne_u32_e32 vcc_lo, 0, v99
	v_add_co_ci_u32_e32 v2, vcc_lo, v2, v8, vcc_lo
	s_waitcnt vmcnt(36)
	v_cmp_ne_u32_e32 vcc_lo, 0, v100
	v_cndmask_b32_e64 v8, 0, 1, vcc_lo
	s_waitcnt vmcnt(35)
	v_cmp_ne_u32_e32 vcc_lo, 0, v101
	v_add_co_ci_u32_e32 v2, vcc_lo, v2, v7, vcc_lo
	s_waitcnt vmcnt(33)
	v_cmp_ne_u32_e32 vcc_lo, 0, v103
	v_cndmask_b32_e64 v7, 0, 1, vcc_lo
	v_cmp_ne_u32_e32 vcc_lo, 0, v102
	v_add_co_ci_u32_e32 v2, vcc_lo, v2, v8, vcc_lo
	s_waitcnt vmcnt(32)
	v_cmp_ne_u32_e32 vcc_lo, 0, v104
	v_cndmask_b32_e64 v8, 0, 1, vcc_lo
	s_waitcnt vmcnt(31)
	v_cmp_ne_u32_e32 vcc_lo, 0, v105
	v_add_co_ci_u32_e32 v2, vcc_lo, v2, v7, vcc_lo
	s_waitcnt vmcnt(30)
	;; [unrolled: 45-line block ×3, first 2 shown]
	v_cmp_ne_u32_e32 vcc_lo, 0, v4
	v_cndmask_b32_e64 v3, 0, 1, vcc_lo
	s_waitcnt vmcnt(13)
	v_cmp_ne_u32_e32 vcc_lo, 0, v121
	v_add_co_ci_u32_e32 v2, vcc_lo, v2, v8, vcc_lo
	s_waitcnt vmcnt(11)
	v_cmp_ne_u32_e32 vcc_lo, 0, v123
	v_cndmask_b32_e64 v4, 0, 1, vcc_lo
	v_cmp_ne_u32_e32 vcc_lo, 0, v122
	v_add_co_ci_u32_e32 v2, vcc_lo, v2, v3, vcc_lo
	s_waitcnt vmcnt(10)
	v_cmp_ne_u32_e32 vcc_lo, 0, v10
	v_cndmask_b32_e64 v3, 0, 1, vcc_lo
	s_waitcnt vmcnt(9)
	v_cmp_ne_u32_e32 vcc_lo, 0, v11
	v_add_co_ci_u32_e32 v2, vcc_lo, v2, v4, vcc_lo
	s_waitcnt vmcnt(8)
	v_cmp_ne_u32_e32 vcc_lo, 0, v124
	v_cndmask_b32_e64 v4, 0, 1, vcc_lo
	s_waitcnt vmcnt(7)
	;; [unrolled: 6-line block ×5, first 2 shown]
	v_cmp_ne_u32_e32 vcc_lo, 0, v129
	v_add_co_ci_u32_e32 v2, vcc_lo, v2, v4, vcc_lo
	s_waitcnt vmcnt(0)
	v_cmp_ne_u32_e32 vcc_lo, 0, v1
	s_delay_alu instid0(VALU_DEP_2) | instskip(SKIP_1) | instid1(VALU_DEP_2)
	v_add_co_ci_u32_e32 v1, vcc_lo, v2, v3, vcc_lo
	v_mov_b32_e32 v3, 0
	v_mov_b32_dpp v2, v1 quad_perm:[1,0,3,2] row_mask:0xf bank_mask:0xf
	s_delay_alu instid0(VALU_DEP_1) | instskip(NEXT) | instid1(VALU_DEP_1)
	v_add_nc_u32_e32 v1, v1, v2
	v_mov_b32_dpp v2, v1 quad_perm:[2,3,0,1] row_mask:0xf bank_mask:0xf
	s_delay_alu instid0(VALU_DEP_1) | instskip(NEXT) | instid1(VALU_DEP_1)
	v_add_nc_u32_e32 v1, v1, v2
	v_mov_b32_dpp v2, v1 row_ror:4 row_mask:0xf bank_mask:0xf
	s_delay_alu instid0(VALU_DEP_1) | instskip(NEXT) | instid1(VALU_DEP_1)
	v_add_nc_u32_e32 v1, v1, v2
	v_mov_b32_dpp v2, v1 row_ror:8 row_mask:0xf bank_mask:0xf
	s_delay_alu instid0(VALU_DEP_1)
	v_add_nc_u32_e32 v1, v1, v2
	ds_swizzle_b32 v2, v1 offset:swizzle(BROADCAST,32,15)
	s_waitcnt lgkmcnt(0)
	v_add_nc_u32_e32 v1, v1, v2
	v_mbcnt_lo_u32_b32 v2, -1, 0
	ds_bpermute_b32 v1, v3, v1 offset:124
	v_cmpx_eq_u32_e32 0, v2
	s_cbranch_execz .LBB184_7
; %bb.6:
	v_lshrrev_b32_e32 v3, 3, v0
	s_delay_alu instid0(VALU_DEP_1)
	v_and_b32_e32 v3, 12, v3
	s_waitcnt lgkmcnt(0)
	ds_store_b32 v3, v1
.LBB184_7:
	s_or_b32 exec_lo, exec_lo, s5
	s_delay_alu instid0(SALU_CYCLE_1)
	s_mov_b32 s5, exec_lo
	s_waitcnt lgkmcnt(0)
	s_barrier
	buffer_gl0_inv
	v_cmpx_gt_u32_e32 32, v0
	s_cbranch_execz .LBB184_9
; %bb.8:
	v_and_b32_e32 v1, 3, v2
	s_delay_alu instid0(VALU_DEP_1) | instskip(SKIP_4) | instid1(VALU_DEP_2)
	v_lshlrev_b32_e32 v3, 2, v1
	v_cmp_ne_u32_e32 vcc_lo, 3, v1
	ds_load_b32 v3, v3
	v_add_co_ci_u32_e32 v4, vcc_lo, 0, v2, vcc_lo
	v_cmp_gt_u32_e32 vcc_lo, 2, v1
	v_lshlrev_b32_e32 v4, 2, v4
	v_cndmask_b32_e64 v1, 0, 1, vcc_lo
	s_delay_alu instid0(VALU_DEP_1) | instskip(NEXT) | instid1(VALU_DEP_1)
	v_lshlrev_b32_e32 v1, 1, v1
	v_add_lshl_u32 v1, v1, v2, 2
	s_waitcnt lgkmcnt(0)
	ds_bpermute_b32 v4, v4, v3
	s_waitcnt lgkmcnt(0)
	v_add_nc_u32_e32 v3, v4, v3
	ds_bpermute_b32 v1, v1, v3
	s_waitcnt lgkmcnt(0)
	v_add_nc_u32_e32 v1, v1, v3
.LBB184_9:
	s_or_b32 exec_lo, exec_lo, s5
.LBB184_10:
	v_cmp_eq_u32_e64 s2, 0, v0
	s_and_b32 vcc_lo, exec_lo, s6
	s_cbranch_vccnz .LBB184_24
.LBB184_11:
	s_branch .LBB184_512
.LBB184_12:
	s_mov_b32 s2, 0
                                        ; implicit-def: $vgpr1
	s_cbranch_execz .LBB184_623
	s_branch .LBB184_513
.LBB184_13:
	s_mov_b32 s2, 0
                                        ; implicit-def: $vgpr1
	s_cbranch_execz .LBB184_512
; %bb.14:
	s_cmp_gt_i32 s26, 31
	s_cbranch_scc0 .LBB184_31
; %bb.15:
	s_cmp_eq_u32 s26, 32
	s_cbranch_scc0 .LBB184_32
; %bb.16:
	s_mov_b32 s19, 0
	s_lshl_b32 s4, s18, 12
	s_mov_b32 s5, s19
	s_lshr_b64 s[6:7], s[20:21], 12
	s_lshl_b64 s[2:3], s[4:5], 2
	s_delay_alu instid0(SALU_CYCLE_1)
	s_add_u32 s2, s24, s2
	s_addc_u32 s3, s25, s3
	s_cmp_lg_u64 s[6:7], s[18:19]
	s_cbranch_scc0 .LBB184_296
; %bb.17:
	v_lshlrev_b32_e32 v5, 2, v0
	s_clause 0x6
	global_load_b32 v7, v5, s[2:3]
	global_load_b32 v8, v5, s[2:3] offset:512
	global_load_b32 v9, v5, s[2:3] offset:1024
	;; [unrolled: 1-line block ×6, first 2 shown]
	v_add_co_u32 v10, s5, s2, v5
	s_delay_alu instid0(VALU_DEP_1) | instskip(SKIP_1) | instid1(VALU_DEP_2)
	v_add_co_ci_u32_e64 v11, null, s3, 0, s5
	s_mov_b32 s5, exec_lo
	v_add_co_u32 v1, vcc_lo, v10, 0x2000
	s_delay_alu instid0(VALU_DEP_2)
	v_add_co_ci_u32_e32 v2, vcc_lo, 0, v11, vcc_lo
	v_add_co_u32 v3, vcc_lo, 0x1000, v10
	v_add_co_ci_u32_e32 v4, vcc_lo, 0, v11, vcc_lo
	s_clause 0x7
	global_load_b32 v16, v[1:2], off offset:-4096
	global_load_b32 v17, v5, s[2:3] offset:3584
	global_load_b32 v18, v[3:4], off offset:1024
	global_load_b32 v19, v[3:4], off offset:512
	;; [unrolled: 1-line block ×6, first 2 shown]
	v_add_co_u32 v5, vcc_lo, 0x2000, v10
	v_add_co_ci_u32_e32 v6, vcc_lo, 0, v11, vcc_lo
	s_clause 0x5
	global_load_b32 v24, v[1:2], off
	global_load_b32 v3, v[3:4], off offset:3584
	global_load_b32 v4, v[5:6], off offset:1024
	;; [unrolled: 1-line block ×5, first 2 shown]
	v_add_co_u32 v1, vcc_lo, 0x3000, v10
	v_add_co_ci_u32_e32 v2, vcc_lo, 0, v11, vcc_lo
	s_clause 0xa
	global_load_b32 v10, v[5:6], off offset:3072
	global_load_b32 v11, v[5:6], off offset:2560
	global_load_b32 v28, v[1:2], off
	global_load_b32 v5, v[5:6], off offset:3584
	global_load_b32 v6, v[1:2], off offset:1024
	;; [unrolled: 1-line block ×8, first 2 shown]
	s_waitcnt vmcnt(31)
	v_cmp_ne_u32_e32 vcc_lo, 0, v7
	v_cndmask_b32_e64 v2, 0, 1, vcc_lo
	s_waitcnt vmcnt(29)
	v_cmp_ne_u32_e32 vcc_lo, 0, v9
	v_cndmask_b32_e64 v7, 0, 1, vcc_lo
	v_cmp_ne_u32_e32 vcc_lo, 0, v8
	v_add_co_ci_u32_e32 v2, vcc_lo, 0, v2, vcc_lo
	s_waitcnt vmcnt(27)
	v_cmp_ne_u32_e32 vcc_lo, 0, v13
	v_cndmask_b32_e64 v8, 0, 1, vcc_lo
	v_cmp_ne_u32_e32 vcc_lo, 0, v12
	v_add_co_ci_u32_e32 v2, vcc_lo, v2, v7, vcc_lo
	s_waitcnt vmcnt(25)
	v_cmp_ne_u32_e32 vcc_lo, 0, v15
	v_cndmask_b32_e64 v7, 0, 1, vcc_lo
	v_cmp_ne_u32_e32 vcc_lo, 0, v14
	v_add_co_ci_u32_e32 v2, vcc_lo, v2, v8, vcc_lo
	s_waitcnt vmcnt(24)
	v_cmp_ne_u32_e32 vcc_lo, 0, v16
	v_cndmask_b32_e64 v8, 0, 1, vcc_lo
	s_waitcnt vmcnt(23)
	v_cmp_ne_u32_e32 vcc_lo, 0, v17
	v_add_co_ci_u32_e32 v2, vcc_lo, v2, v7, vcc_lo
	s_waitcnt vmcnt(22)
	v_cmp_ne_u32_e32 vcc_lo, 0, v18
	v_cndmask_b32_e64 v7, 0, 1, vcc_lo
	s_waitcnt vmcnt(21)
	v_cmp_ne_u32_e32 vcc_lo, 0, v19
	v_add_co_ci_u32_e32 v2, vcc_lo, v2, v8, vcc_lo
	;; [unrolled: 6-line block ×3, first 2 shown]
	s_waitcnt vmcnt(17)
	v_cmp_ne_u32_e32 vcc_lo, 0, v23
	v_cndmask_b32_e64 v7, 0, 1, vcc_lo
	v_cmp_ne_u32_e32 vcc_lo, 0, v22
	v_add_co_ci_u32_e32 v2, vcc_lo, v2, v8, vcc_lo
	s_waitcnt vmcnt(16)
	v_cmp_ne_u32_e32 vcc_lo, 0, v24
	v_cndmask_b32_e64 v8, 0, 1, vcc_lo
	s_waitcnt vmcnt(15)
	v_cmp_ne_u32_e32 vcc_lo, 0, v3
	v_add_co_ci_u32_e32 v2, vcc_lo, v2, v7, vcc_lo
	s_waitcnt vmcnt(14)
	v_cmp_ne_u32_e32 vcc_lo, 0, v4
	v_cndmask_b32_e64 v3, 0, 1, vcc_lo
	s_waitcnt vmcnt(13)
	v_cmp_ne_u32_e32 vcc_lo, 0, v25
	v_add_co_ci_u32_e32 v2, vcc_lo, v2, v8, vcc_lo
	s_waitcnt vmcnt(11)
	v_cmp_ne_u32_e32 vcc_lo, 0, v27
	v_cndmask_b32_e64 v4, 0, 1, vcc_lo
	v_cmp_ne_u32_e32 vcc_lo, 0, v26
	v_add_co_ci_u32_e32 v2, vcc_lo, v2, v3, vcc_lo
	s_waitcnt vmcnt(10)
	v_cmp_ne_u32_e32 vcc_lo, 0, v10
	v_cndmask_b32_e64 v3, 0, 1, vcc_lo
	s_waitcnt vmcnt(9)
	v_cmp_ne_u32_e32 vcc_lo, 0, v11
	v_add_co_ci_u32_e32 v2, vcc_lo, v2, v4, vcc_lo
	s_waitcnt vmcnt(8)
	v_cmp_ne_u32_e32 vcc_lo, 0, v28
	v_cndmask_b32_e64 v4, 0, 1, vcc_lo
	s_waitcnt vmcnt(7)
	;; [unrolled: 6-line block ×5, first 2 shown]
	v_cmp_ne_u32_e32 vcc_lo, 0, v33
	v_add_co_ci_u32_e32 v2, vcc_lo, v2, v4, vcc_lo
	s_waitcnt vmcnt(0)
	v_cmp_ne_u32_e32 vcc_lo, 0, v1
	s_delay_alu instid0(VALU_DEP_2) | instskip(SKIP_1) | instid1(VALU_DEP_2)
	v_add_co_ci_u32_e32 v1, vcc_lo, v2, v3, vcc_lo
	v_mov_b32_e32 v3, 0
	v_mov_b32_dpp v2, v1 quad_perm:[1,0,3,2] row_mask:0xf bank_mask:0xf
	s_delay_alu instid0(VALU_DEP_1) | instskip(NEXT) | instid1(VALU_DEP_1)
	v_add_nc_u32_e32 v1, v1, v2
	v_mov_b32_dpp v2, v1 quad_perm:[2,3,0,1] row_mask:0xf bank_mask:0xf
	s_delay_alu instid0(VALU_DEP_1) | instskip(NEXT) | instid1(VALU_DEP_1)
	v_add_nc_u32_e32 v1, v1, v2
	v_mov_b32_dpp v2, v1 row_ror:4 row_mask:0xf bank_mask:0xf
	s_delay_alu instid0(VALU_DEP_1) | instskip(NEXT) | instid1(VALU_DEP_1)
	v_add_nc_u32_e32 v1, v1, v2
	v_mov_b32_dpp v2, v1 row_ror:8 row_mask:0xf bank_mask:0xf
	s_delay_alu instid0(VALU_DEP_1)
	v_add_nc_u32_e32 v1, v1, v2
	ds_swizzle_b32 v2, v1 offset:swizzle(BROADCAST,32,15)
	s_waitcnt lgkmcnt(0)
	v_add_nc_u32_e32 v1, v1, v2
	v_mbcnt_lo_u32_b32 v2, -1, 0
	ds_bpermute_b32 v1, v3, v1 offset:124
	v_cmpx_eq_u32_e32 0, v2
	s_cbranch_execz .LBB184_19
; %bb.18:
	v_lshrrev_b32_e32 v3, 3, v0
	s_delay_alu instid0(VALU_DEP_1)
	v_and_b32_e32 v3, 12, v3
	s_waitcnt lgkmcnt(0)
	ds_store_b32 v3, v1 offset:64
.LBB184_19:
	s_or_b32 exec_lo, exec_lo, s5
	s_delay_alu instid0(SALU_CYCLE_1)
	s_mov_b32 s5, exec_lo
	s_waitcnt lgkmcnt(0)
	s_barrier
	buffer_gl0_inv
	v_cmpx_gt_u32_e32 32, v0
	s_cbranch_execz .LBB184_21
; %bb.20:
	v_and_b32_e32 v1, 3, v2
	s_delay_alu instid0(VALU_DEP_1) | instskip(SKIP_4) | instid1(VALU_DEP_2)
	v_lshlrev_b32_e32 v3, 2, v1
	v_cmp_ne_u32_e32 vcc_lo, 3, v1
	ds_load_b32 v3, v3 offset:64
	v_add_co_ci_u32_e32 v4, vcc_lo, 0, v2, vcc_lo
	v_cmp_gt_u32_e32 vcc_lo, 2, v1
	v_lshlrev_b32_e32 v4, 2, v4
	v_cndmask_b32_e64 v1, 0, 1, vcc_lo
	s_delay_alu instid0(VALU_DEP_1) | instskip(NEXT) | instid1(VALU_DEP_1)
	v_lshlrev_b32_e32 v1, 1, v1
	v_add_lshl_u32 v1, v1, v2, 2
	s_waitcnt lgkmcnt(0)
	ds_bpermute_b32 v4, v4, v3
	s_waitcnt lgkmcnt(0)
	v_add_nc_u32_e32 v3, v4, v3
	ds_bpermute_b32 v1, v1, v3
	s_waitcnt lgkmcnt(0)
	v_add_nc_u32_e32 v1, v1, v3
.LBB184_21:
	s_or_b32 exec_lo, exec_lo, s5
	s_mov_b32 s5, 0
	s_branch .LBB184_297
.LBB184_22:
	s_mov_b32 s6, -1
.LBB184_23:
	s_mov_b32 s2, 0
                                        ; implicit-def: $vgpr1
	s_and_b32 vcc_lo, exec_lo, s6
	s_cbranch_vccz .LBB184_11
.LBB184_24:
	s_cmp_eq_u32 s26, 64
	s_cbranch_scc0 .LBB184_33
; %bb.25:
	s_mov_b32 s19, 0
	s_lshl_b32 s4, s18, 13
	s_mov_b32 s5, s19
	s_lshr_b64 s[6:7], s[20:21], 13
	s_lshl_b64 s[2:3], s[4:5], 2
	s_delay_alu instid0(SALU_CYCLE_1)
	s_add_u32 s2, s24, s2
	s_addc_u32 s3, s25, s3
	s_cmp_lg_u64 s[6:7], s[18:19]
	s_cbranch_scc0 .LBB184_376
; %bb.26:
	v_lshlrev_b32_e32 v5, 2, v0
	s_clause 0x6
	global_load_b32 v7, v5, s[2:3]
	global_load_b32 v8, v5, s[2:3] offset:512
	global_load_b32 v9, v5, s[2:3] offset:1024
	;; [unrolled: 1-line block ×6, first 2 shown]
	v_add_co_u32 v10, s5, s2, v5
	s_delay_alu instid0(VALU_DEP_1) | instskip(SKIP_1) | instid1(VALU_DEP_2)
	v_add_co_ci_u32_e64 v11, null, s3, 0, s5
	s_mov_b32 s5, exec_lo
	v_add_co_u32 v1, vcc_lo, v10, 0x2000
	s_delay_alu instid0(VALU_DEP_2)
	v_add_co_ci_u32_e32 v2, vcc_lo, 0, v11, vcc_lo
	v_add_co_u32 v3, vcc_lo, 0x1000, v10
	v_add_co_ci_u32_e32 v4, vcc_lo, 0, v11, vcc_lo
	s_clause 0x7
	global_load_b32 v16, v[1:2], off offset:-4096
	global_load_b32 v17, v5, s[2:3] offset:3584
	global_load_b32 v18, v[3:4], off offset:1024
	global_load_b32 v19, v[3:4], off offset:512
	;; [unrolled: 1-line block ×6, first 2 shown]
	v_add_co_u32 v5, vcc_lo, 0x2000, v10
	v_add_co_ci_u32_e32 v6, vcc_lo, 0, v11, vcc_lo
	s_clause 0x7
	global_load_b32 v24, v[1:2], off
	global_load_b32 v25, v[3:4], off offset:3584
	global_load_b32 v26, v[5:6], off offset:1024
	;; [unrolled: 1-line block ×7, first 2 shown]
	v_add_co_u32 v1, vcc_lo, v10, 0x4000
	v_add_co_ci_u32_e32 v2, vcc_lo, 0, v11, vcc_lo
	v_add_co_u32 v3, vcc_lo, 0x3000, v10
	v_add_co_ci_u32_e32 v4, vcc_lo, 0, v11, vcc_lo
	s_clause 0x7
	global_load_b32 v32, v[1:2], off offset:-4096
	global_load_b32 v33, v[5:6], off offset:3584
	global_load_b32 v34, v[3:4], off offset:1024
	;; [unrolled: 1-line block ×7, first 2 shown]
	v_add_co_u32 v5, vcc_lo, 0x4000, v10
	v_add_co_ci_u32_e32 v6, vcc_lo, 0, v11, vcc_lo
	s_clause 0x7
	global_load_b32 v40, v[1:2], off
	global_load_b32 v41, v[3:4], off offset:3584
	global_load_b32 v42, v[5:6], off offset:1024
	;; [unrolled: 1-line block ×7, first 2 shown]
	v_add_co_u32 v1, vcc_lo, v10, 0x6000
	v_add_co_ci_u32_e32 v2, vcc_lo, 0, v11, vcc_lo
	v_add_co_u32 v3, vcc_lo, 0x5000, v10
	v_add_co_ci_u32_e32 v4, vcc_lo, 0, v11, vcc_lo
	s_clause 0x7
	global_load_b32 v48, v[1:2], off offset:-4096
	global_load_b32 v49, v[5:6], off offset:3584
	global_load_b32 v50, v[3:4], off offset:1024
	;; [unrolled: 1-line block ×7, first 2 shown]
	v_add_co_u32 v5, vcc_lo, 0x6000, v10
	v_add_co_ci_u32_e32 v6, vcc_lo, 0, v11, vcc_lo
	s_clause 0x5
	global_load_b32 v56, v[1:2], off
	global_load_b32 v3, v[3:4], off offset:3584
	global_load_b32 v4, v[5:6], off offset:1024
	;; [unrolled: 1-line block ×5, first 2 shown]
	v_add_co_u32 v1, vcc_lo, 0x7000, v10
	v_add_co_ci_u32_e32 v2, vcc_lo, 0, v11, vcc_lo
	s_clause 0xa
	global_load_b32 v10, v[5:6], off offset:3072
	global_load_b32 v11, v[5:6], off offset:2560
	global_load_b32 v60, v[1:2], off
	global_load_b32 v5, v[5:6], off offset:3584
	global_load_b32 v6, v[1:2], off offset:1024
	;; [unrolled: 1-line block ×8, first 2 shown]
	s_waitcnt vmcnt(62)
	v_cmp_ne_u32_e32 vcc_lo, 0, v7
	v_cndmask_b32_e64 v2, 0, 1, vcc_lo
	s_waitcnt vmcnt(61)
	v_cmp_ne_u32_e32 vcc_lo, 0, v9
	v_cndmask_b32_e64 v7, 0, 1, vcc_lo
	v_cmp_ne_u32_e32 vcc_lo, 0, v8
	v_add_co_ci_u32_e32 v2, vcc_lo, 0, v2, vcc_lo
	s_waitcnt vmcnt(59)
	v_cmp_ne_u32_e32 vcc_lo, 0, v13
	v_cndmask_b32_e64 v8, 0, 1, vcc_lo
	v_cmp_ne_u32_e32 vcc_lo, 0, v12
	v_add_co_ci_u32_e32 v2, vcc_lo, v2, v7, vcc_lo
	;; [unrolled: 5-line block ×3, first 2 shown]
	s_waitcnt vmcnt(56)
	v_cmp_ne_u32_e32 vcc_lo, 0, v16
	v_cndmask_b32_e64 v8, 0, 1, vcc_lo
	s_waitcnt vmcnt(55)
	v_cmp_ne_u32_e32 vcc_lo, 0, v17
	v_add_co_ci_u32_e32 v2, vcc_lo, v2, v7, vcc_lo
	s_waitcnt vmcnt(54)
	v_cmp_ne_u32_e32 vcc_lo, 0, v18
	v_cndmask_b32_e64 v7, 0, 1, vcc_lo
	s_waitcnt vmcnt(53)
	v_cmp_ne_u32_e32 vcc_lo, 0, v19
	v_add_co_ci_u32_e32 v2, vcc_lo, v2, v8, vcc_lo
	;; [unrolled: 6-line block ×3, first 2 shown]
	s_waitcnt vmcnt(49)
	v_cmp_ne_u32_e32 vcc_lo, 0, v23
	v_cndmask_b32_e64 v7, 0, 1, vcc_lo
	v_cmp_ne_u32_e32 vcc_lo, 0, v22
	v_add_co_ci_u32_e32 v2, vcc_lo, v2, v8, vcc_lo
	s_waitcnt vmcnt(48)
	v_cmp_ne_u32_e32 vcc_lo, 0, v24
	v_cndmask_b32_e64 v8, 0, 1, vcc_lo
	s_waitcnt vmcnt(47)
	v_cmp_ne_u32_e32 vcc_lo, 0, v25
	v_add_co_ci_u32_e32 v2, vcc_lo, v2, v7, vcc_lo
	s_waitcnt vmcnt(46)
	v_cmp_ne_u32_e32 vcc_lo, 0, v26
	v_cndmask_b32_e64 v7, 0, 1, vcc_lo
	s_waitcnt vmcnt(45)
	v_cmp_ne_u32_e32 vcc_lo, 0, v27
	v_add_co_ci_u32_e32 v2, vcc_lo, v2, v8, vcc_lo
	s_waitcnt vmcnt(43)
	v_cmp_ne_u32_e32 vcc_lo, 0, v29
	v_cndmask_b32_e64 v8, 0, 1, vcc_lo
	v_cmp_ne_u32_e32 vcc_lo, 0, v28
	v_add_co_ci_u32_e32 v2, vcc_lo, v2, v7, vcc_lo
	s_waitcnt vmcnt(41)
	v_cmp_ne_u32_e32 vcc_lo, 0, v31
	v_cndmask_b32_e64 v7, 0, 1, vcc_lo
	v_cmp_ne_u32_e32 vcc_lo, 0, v30
	v_add_co_ci_u32_e32 v2, vcc_lo, v2, v8, vcc_lo
	s_waitcnt vmcnt(40)
	v_cmp_ne_u32_e32 vcc_lo, 0, v32
	v_cndmask_b32_e64 v8, 0, 1, vcc_lo
	s_waitcnt vmcnt(39)
	v_cmp_ne_u32_e32 vcc_lo, 0, v33
	v_add_co_ci_u32_e32 v2, vcc_lo, v2, v7, vcc_lo
	s_waitcnt vmcnt(38)
	v_cmp_ne_u32_e32 vcc_lo, 0, v34
	v_cndmask_b32_e64 v7, 0, 1, vcc_lo
	s_waitcnt vmcnt(37)
	v_cmp_ne_u32_e32 vcc_lo, 0, v35
	v_add_co_ci_u32_e32 v2, vcc_lo, v2, v8, vcc_lo
	s_waitcnt vmcnt(36)
	v_cmp_ne_u32_e32 vcc_lo, 0, v36
	v_cndmask_b32_e64 v8, 0, 1, vcc_lo
	;; [unrolled: 6-line block ×3, first 2 shown]
	v_cmp_ne_u32_e32 vcc_lo, 0, v38
	v_add_co_ci_u32_e32 v2, vcc_lo, v2, v8, vcc_lo
	s_waitcnt vmcnt(32)
	v_cmp_ne_u32_e32 vcc_lo, 0, v40
	v_cndmask_b32_e64 v8, 0, 1, vcc_lo
	s_waitcnt vmcnt(31)
	v_cmp_ne_u32_e32 vcc_lo, 0, v41
	v_add_co_ci_u32_e32 v2, vcc_lo, v2, v7, vcc_lo
	s_waitcnt vmcnt(30)
	v_cmp_ne_u32_e32 vcc_lo, 0, v42
	v_cndmask_b32_e64 v7, 0, 1, vcc_lo
	s_waitcnt vmcnt(29)
	v_cmp_ne_u32_e32 vcc_lo, 0, v43
	v_add_co_ci_u32_e32 v2, vcc_lo, v2, v8, vcc_lo
	s_waitcnt vmcnt(27)
	v_cmp_ne_u32_e32 vcc_lo, 0, v45
	v_cndmask_b32_e64 v8, 0, 1, vcc_lo
	v_cmp_ne_u32_e32 vcc_lo, 0, v44
	v_add_co_ci_u32_e32 v2, vcc_lo, v2, v7, vcc_lo
	s_waitcnt vmcnt(25)
	v_cmp_ne_u32_e32 vcc_lo, 0, v47
	v_cndmask_b32_e64 v7, 0, 1, vcc_lo
	;; [unrolled: 5-line block ×3, first 2 shown]
	s_waitcnt vmcnt(23)
	v_cmp_ne_u32_e32 vcc_lo, 0, v49
	v_add_co_ci_u32_e32 v2, vcc_lo, v2, v7, vcc_lo
	s_waitcnt vmcnt(22)
	v_cmp_ne_u32_e32 vcc_lo, 0, v50
	v_cndmask_b32_e64 v7, 0, 1, vcc_lo
	s_waitcnt vmcnt(21)
	v_cmp_ne_u32_e32 vcc_lo, 0, v51
	v_add_co_ci_u32_e32 v2, vcc_lo, v2, v8, vcc_lo
	s_waitcnt vmcnt(20)
	v_cmp_ne_u32_e32 vcc_lo, 0, v52
	v_cndmask_b32_e64 v8, 0, 1, vcc_lo
	;; [unrolled: 6-line block ×3, first 2 shown]
	v_cmp_ne_u32_e32 vcc_lo, 0, v54
	v_add_co_ci_u32_e32 v2, vcc_lo, v2, v8, vcc_lo
	s_waitcnt vmcnt(16)
	v_cmp_ne_u32_e32 vcc_lo, 0, v56
	v_cndmask_b32_e64 v8, 0, 1, vcc_lo
	s_waitcnt vmcnt(15)
	v_cmp_ne_u32_e32 vcc_lo, 0, v3
	v_add_co_ci_u32_e32 v2, vcc_lo, v2, v7, vcc_lo
	s_waitcnt vmcnt(14)
	v_cmp_ne_u32_e32 vcc_lo, 0, v4
	v_cndmask_b32_e64 v3, 0, 1, vcc_lo
	s_waitcnt vmcnt(13)
	v_cmp_ne_u32_e32 vcc_lo, 0, v57
	v_add_co_ci_u32_e32 v2, vcc_lo, v2, v8, vcc_lo
	s_waitcnt vmcnt(11)
	v_cmp_ne_u32_e32 vcc_lo, 0, v59
	v_cndmask_b32_e64 v4, 0, 1, vcc_lo
	v_cmp_ne_u32_e32 vcc_lo, 0, v58
	v_add_co_ci_u32_e32 v2, vcc_lo, v2, v3, vcc_lo
	s_waitcnt vmcnt(10)
	v_cmp_ne_u32_e32 vcc_lo, 0, v10
	v_cndmask_b32_e64 v3, 0, 1, vcc_lo
	s_waitcnt vmcnt(9)
	v_cmp_ne_u32_e32 vcc_lo, 0, v11
	v_add_co_ci_u32_e32 v2, vcc_lo, v2, v4, vcc_lo
	s_waitcnt vmcnt(8)
	v_cmp_ne_u32_e32 vcc_lo, 0, v60
	v_cndmask_b32_e64 v4, 0, 1, vcc_lo
	s_waitcnt vmcnt(7)
	;; [unrolled: 6-line block ×5, first 2 shown]
	v_cmp_ne_u32_e32 vcc_lo, 0, v65
	v_add_co_ci_u32_e32 v2, vcc_lo, v2, v4, vcc_lo
	s_waitcnt vmcnt(0)
	v_cmp_ne_u32_e32 vcc_lo, 0, v1
	s_delay_alu instid0(VALU_DEP_2) | instskip(SKIP_1) | instid1(VALU_DEP_2)
	v_add_co_ci_u32_e32 v1, vcc_lo, v2, v3, vcc_lo
	v_mov_b32_e32 v3, 0
	v_mov_b32_dpp v2, v1 quad_perm:[1,0,3,2] row_mask:0xf bank_mask:0xf
	s_delay_alu instid0(VALU_DEP_1) | instskip(NEXT) | instid1(VALU_DEP_1)
	v_add_nc_u32_e32 v1, v1, v2
	v_mov_b32_dpp v2, v1 quad_perm:[2,3,0,1] row_mask:0xf bank_mask:0xf
	s_delay_alu instid0(VALU_DEP_1) | instskip(NEXT) | instid1(VALU_DEP_1)
	v_add_nc_u32_e32 v1, v1, v2
	v_mov_b32_dpp v2, v1 row_ror:4 row_mask:0xf bank_mask:0xf
	s_delay_alu instid0(VALU_DEP_1) | instskip(NEXT) | instid1(VALU_DEP_1)
	v_add_nc_u32_e32 v1, v1, v2
	v_mov_b32_dpp v2, v1 row_ror:8 row_mask:0xf bank_mask:0xf
	s_delay_alu instid0(VALU_DEP_1)
	v_add_nc_u32_e32 v1, v1, v2
	ds_swizzle_b32 v2, v1 offset:swizzle(BROADCAST,32,15)
	s_waitcnt lgkmcnt(0)
	v_add_nc_u32_e32 v1, v1, v2
	v_mbcnt_lo_u32_b32 v2, -1, 0
	ds_bpermute_b32 v1, v3, v1 offset:124
	v_cmpx_eq_u32_e32 0, v2
	s_cbranch_execz .LBB184_28
; %bb.27:
	v_lshrrev_b32_e32 v3, 3, v0
	s_delay_alu instid0(VALU_DEP_1)
	v_and_b32_e32 v3, 12, v3
	s_waitcnt lgkmcnt(0)
	ds_store_b32 v3, v1 offset:96
.LBB184_28:
	s_or_b32 exec_lo, exec_lo, s5
	s_delay_alu instid0(SALU_CYCLE_1)
	s_mov_b32 s5, exec_lo
	s_waitcnt lgkmcnt(0)
	s_barrier
	buffer_gl0_inv
	v_cmpx_gt_u32_e32 32, v0
	s_cbranch_execz .LBB184_30
; %bb.29:
	v_and_b32_e32 v1, 3, v2
	s_delay_alu instid0(VALU_DEP_1) | instskip(SKIP_4) | instid1(VALU_DEP_2)
	v_lshlrev_b32_e32 v3, 2, v1
	v_cmp_ne_u32_e32 vcc_lo, 3, v1
	ds_load_b32 v3, v3 offset:96
	v_add_co_ci_u32_e32 v4, vcc_lo, 0, v2, vcc_lo
	v_cmp_gt_u32_e32 vcc_lo, 2, v1
	v_lshlrev_b32_e32 v4, 2, v4
	v_cndmask_b32_e64 v1, 0, 1, vcc_lo
	s_delay_alu instid0(VALU_DEP_1) | instskip(NEXT) | instid1(VALU_DEP_1)
	v_lshlrev_b32_e32 v1, 1, v1
	v_add_lshl_u32 v1, v1, v2, 2
	s_waitcnt lgkmcnt(0)
	ds_bpermute_b32 v4, v4, v3
	s_waitcnt lgkmcnt(0)
	v_add_nc_u32_e32 v3, v4, v3
	ds_bpermute_b32 v1, v1, v3
	s_waitcnt lgkmcnt(0)
	v_add_nc_u32_e32 v1, v1, v3
.LBB184_30:
	s_or_b32 exec_lo, exec_lo, s5
	s_mov_b32 s5, 0
	s_branch .LBB184_377
.LBB184_31:
                                        ; implicit-def: $vgpr1
	s_cbranch_execz .LBB184_512
	s_branch .LBB184_368
.LBB184_32:
                                        ; implicit-def: $vgpr1
	s_branch .LBB184_512
.LBB184_33:
                                        ; implicit-def: $vgpr1
	s_branch .LBB184_512
.LBB184_34:
                                        ; implicit-def: $vgpr1
	s_cbranch_execz .LBB184_10
; %bb.35:
	s_sub_i32 s4, s20, s4
	s_mov_b32 s5, exec_lo
                                        ; implicit-def: $vgpr1
	v_cmpx_gt_u32_e64 s4, v0
	s_cbranch_execz .LBB184_37
; %bb.36:
	v_lshlrev_b32_e32 v1, 2, v0
	global_load_b32 v1, v1, s[2:3]
	s_waitcnt vmcnt(0)
	v_cmp_ne_u32_e32 vcc_lo, 0, v1
	v_cndmask_b32_e64 v1, 0, 1, vcc_lo
.LBB184_37:
	s_or_b32 exec_lo, exec_lo, s5
	v_or_b32_e32 v3, 0x80, v0
	v_mov_b32_e32 v2, 0
	s_delay_alu instid0(VALU_DEP_2)
	v_cmp_gt_u32_e32 vcc_lo, s4, v3
	v_mov_b32_e32 v3, 0
	s_and_saveexec_b32 s5, vcc_lo
	s_cbranch_execz .LBB184_39
; %bb.38:
	v_lshlrev_b32_e32 v3, 2, v0
	global_load_b32 v3, v3, s[2:3] offset:512
	s_waitcnt vmcnt(0)
	v_cmp_ne_u32_e32 vcc_lo, 0, v3
	v_cndmask_b32_e64 v3, 0, 1, vcc_lo
.LBB184_39:
	s_or_b32 exec_lo, exec_lo, s5
	v_or_b32_e32 v4, 0x100, v0
	s_mov_b32 s5, exec_lo
	s_delay_alu instid0(VALU_DEP_1)
	v_cmpx_gt_u32_e64 s4, v4
	s_cbranch_execz .LBB184_41
; %bb.40:
	v_lshlrev_b32_e32 v2, 2, v0
	global_load_b32 v2, v2, s[2:3] offset:1024
	s_waitcnt vmcnt(0)
	v_cmp_ne_u32_e32 vcc_lo, 0, v2
	v_cndmask_b32_e64 v2, 0, 1, vcc_lo
.LBB184_41:
	s_or_b32 exec_lo, exec_lo, s5
	v_or_b32_e32 v5, 0x180, v0
	v_mov_b32_e32 v4, 0
	s_delay_alu instid0(VALU_DEP_2)
	v_cmp_gt_u32_e32 vcc_lo, s4, v5
	v_mov_b32_e32 v5, 0
	s_and_saveexec_b32 s5, vcc_lo
	s_cbranch_execz .LBB184_43
; %bb.42:
	v_lshlrev_b32_e32 v5, 2, v0
	global_load_b32 v5, v5, s[2:3] offset:1536
	s_waitcnt vmcnt(0)
	v_cmp_ne_u32_e32 vcc_lo, 0, v5
	v_cndmask_b32_e64 v5, 0, 1, vcc_lo
.LBB184_43:
	s_or_b32 exec_lo, exec_lo, s5
	v_or_b32_e32 v6, 0x200, v0
	s_mov_b32 s5, exec_lo
	s_delay_alu instid0(VALU_DEP_1)
	v_cmpx_gt_u32_e64 s4, v6
	s_cbranch_execz .LBB184_45
; %bb.44:
	v_lshlrev_b32_e32 v4, 2, v0
	global_load_b32 v4, v4, s[2:3] offset:2048
	s_waitcnt vmcnt(0)
	v_cmp_ne_u32_e32 vcc_lo, 0, v4
	v_cndmask_b32_e64 v4, 0, 1, vcc_lo
.LBB184_45:
	;; [unrolled: 28-line block ×3, first 2 shown]
	s_or_b32 exec_lo, exec_lo, s5
	v_or_b32_e32 v9, 0x380, v0
	v_mov_b32_e32 v8, 0
	s_delay_alu instid0(VALU_DEP_2)
	v_cmp_gt_u32_e32 vcc_lo, s4, v9
	v_mov_b32_e32 v9, 0
	s_and_saveexec_b32 s5, vcc_lo
	s_cbranch_execz .LBB184_51
; %bb.50:
	v_lshlrev_b32_e32 v9, 2, v0
	global_load_b32 v9, v9, s[2:3] offset:3584
	s_waitcnt vmcnt(0)
	v_cmp_ne_u32_e32 vcc_lo, 0, v9
	v_cndmask_b32_e64 v9, 0, 1, vcc_lo
.LBB184_51:
	s_or_b32 exec_lo, exec_lo, s5
	v_or_b32_e32 v10, 0x400, v0
	s_mov_b32 s5, exec_lo
	s_delay_alu instid0(VALU_DEP_1)
	v_cmpx_gt_u32_e64 s4, v10
	s_cbranch_execz .LBB184_53
; %bb.52:
	v_lshlrev_b32_e32 v8, 2, v10
	global_load_b32 v8, v8, s[2:3]
	s_waitcnt vmcnt(0)
	v_cmp_ne_u32_e32 vcc_lo, 0, v8
	v_cndmask_b32_e64 v8, 0, 1, vcc_lo
.LBB184_53:
	s_or_b32 exec_lo, exec_lo, s5
	v_or_b32_e32 v12, 0x480, v0
	v_dual_mov_b32 v10, 0 :: v_dual_mov_b32 v11, 0
	s_mov_b32 s5, exec_lo
	s_delay_alu instid0(VALU_DEP_2)
	v_cmpx_gt_u32_e64 s4, v12
	s_cbranch_execz .LBB184_55
; %bb.54:
	v_lshlrev_b32_e32 v11, 2, v12
	global_load_b32 v11, v11, s[2:3]
	s_waitcnt vmcnt(0)
	v_cmp_ne_u32_e32 vcc_lo, 0, v11
	v_cndmask_b32_e64 v11, 0, 1, vcc_lo
.LBB184_55:
	s_or_b32 exec_lo, exec_lo, s5
	v_or_b32_e32 v12, 0x500, v0
	s_mov_b32 s5, exec_lo
	s_delay_alu instid0(VALU_DEP_1)
	v_cmpx_gt_u32_e64 s4, v12
	s_cbranch_execz .LBB184_57
; %bb.56:
	v_lshlrev_b32_e32 v10, 2, v12
	global_load_b32 v10, v10, s[2:3]
	s_waitcnt vmcnt(0)
	v_cmp_ne_u32_e32 vcc_lo, 0, v10
	v_cndmask_b32_e64 v10, 0, 1, vcc_lo
.LBB184_57:
	s_or_b32 exec_lo, exec_lo, s5
	v_or_b32_e32 v14, 0x580, v0
	v_dual_mov_b32 v12, 0 :: v_dual_mov_b32 v13, 0
	s_mov_b32 s5, exec_lo
	s_delay_alu instid0(VALU_DEP_2)
	v_cmpx_gt_u32_e64 s4, v14
	s_cbranch_execz .LBB184_59
; %bb.58:
	v_lshlrev_b32_e32 v13, 2, v14
	global_load_b32 v13, v13, s[2:3]
	s_waitcnt vmcnt(0)
	v_cmp_ne_u32_e32 vcc_lo, 0, v13
	v_cndmask_b32_e64 v13, 0, 1, vcc_lo
.LBB184_59:
	;; [unrolled: 27-line block ×59, first 2 shown]
	s_or_b32 exec_lo, exec_lo, s5
	v_or_b32_e32 v128, 0x3f00, v0
	s_mov_b32 s5, exec_lo
	s_delay_alu instid0(VALU_DEP_1)
	v_cmpx_gt_u32_e64 s4, v128
	s_cbranch_execz .LBB184_289
; %bb.288:
	v_lshlrev_b32_e32 v126, 2, v128
	global_load_b32 v126, v126, s[2:3]
	s_waitcnt vmcnt(0)
	v_cmp_ne_u32_e32 vcc_lo, 0, v126
	v_cndmask_b32_e64 v126, 0, 1, vcc_lo
.LBB184_289:
	s_or_b32 exec_lo, exec_lo, s5
	v_or_b32_e32 v129, 0x3f80, v0
	v_mov_b32_e32 v128, 0
	s_mov_b32 s5, exec_lo
	s_delay_alu instid0(VALU_DEP_2)
	v_cmpx_gt_u32_e64 s4, v129
	s_cbranch_execz .LBB184_291
; %bb.290:
	v_lshlrev_b32_e32 v128, 2, v129
	global_load_b32 v128, v128, s[2:3]
	s_waitcnt vmcnt(0)
	v_cmp_ne_u32_e32 vcc_lo, 0, v128
	v_cndmask_b32_e64 v128, 0, 1, vcc_lo
.LBB184_291:
	s_or_b32 exec_lo, exec_lo, s5
	v_add_nc_u32_e32 v1, v3, v1
	s_min_u32 s2, s4, 0x80
	s_mov_b32 s3, exec_lo
	s_delay_alu instid0(VALU_DEP_1) | instskip(SKIP_1) | instid1(VALU_DEP_2)
	v_add3_u32 v1, v1, v2, v5
	v_mbcnt_lo_u32_b32 v2, -1, 0
	v_add3_u32 v1, v1, v4, v7
	s_delay_alu instid0(VALU_DEP_2) | instskip(NEXT) | instid1(VALU_DEP_2)
	v_cmp_ne_u32_e32 vcc_lo, 31, v2
	v_add3_u32 v1, v1, v6, v9
	v_add_co_ci_u32_e32 v3, vcc_lo, 0, v2, vcc_lo
	v_cmp_gt_u32_e32 vcc_lo, 30, v2
	v_add_nc_u32_e32 v6, 1, v2
	s_delay_alu instid0(VALU_DEP_4) | instskip(NEXT) | instid1(VALU_DEP_4)
	v_add3_u32 v1, v1, v8, v11
	v_lshlrev_b32_e32 v3, 2, v3
	v_cndmask_b32_e64 v5, 0, 1, vcc_lo
	s_delay_alu instid0(VALU_DEP_3) | instskip(NEXT) | instid1(VALU_DEP_2)
	v_add3_u32 v1, v1, v10, v13
	v_lshlrev_b32_e32 v5, 1, v5
	s_delay_alu instid0(VALU_DEP_2) | instskip(NEXT) | instid1(VALU_DEP_2)
	v_add3_u32 v1, v1, v12, v15
	v_add_lshl_u32 v5, v5, v2, 2
	s_delay_alu instid0(VALU_DEP_2) | instskip(NEXT) | instid1(VALU_DEP_1)
	v_add3_u32 v1, v1, v14, v17
	v_add3_u32 v1, v1, v16, v19
	s_delay_alu instid0(VALU_DEP_1) | instskip(NEXT) | instid1(VALU_DEP_1)
	v_add3_u32 v1, v1, v18, v21
	v_add3_u32 v1, v1, v20, v23
	s_delay_alu instid0(VALU_DEP_1) | instskip(NEXT) | instid1(VALU_DEP_1)
	;; [unrolled: 3-line block ×27, first 2 shown]
	v_add3_u32 v1, v1, v122, v125
	v_add3_u32 v1, v1, v124, v127
	s_delay_alu instid0(VALU_DEP_1) | instskip(SKIP_2) | instid1(VALU_DEP_1)
	v_add3_u32 v1, v1, v126, v128
	ds_bpermute_b32 v3, v3, v1
	v_and_b32_e32 v4, 0x60, v0
	v_sub_nc_u32_e64 v4, s2, v4 clamp
	s_delay_alu instid0(VALU_DEP_1) | instskip(SKIP_3) | instid1(VALU_DEP_2)
	v_cmp_lt_u32_e32 vcc_lo, v6, v4
	s_waitcnt lgkmcnt(0)
	v_dual_cndmask_b32 v3, 0, v3 :: v_dual_add_nc_u32 v6, 2, v2
	v_cmp_gt_u32_e32 vcc_lo, 28, v2
	v_add_nc_u32_e32 v1, v3, v1
	ds_bpermute_b32 v3, v5, v1
	v_cndmask_b32_e64 v5, 0, 1, vcc_lo
	v_cmp_lt_u32_e32 vcc_lo, v6, v4
	v_add_nc_u32_e32 v6, 4, v2
	s_delay_alu instid0(VALU_DEP_3) | instskip(NEXT) | instid1(VALU_DEP_1)
	v_lshlrev_b32_e32 v5, 2, v5
	v_add_lshl_u32 v5, v5, v2, 2
	s_waitcnt lgkmcnt(0)
	v_cndmask_b32_e32 v3, 0, v3, vcc_lo
	v_cmp_gt_u32_e32 vcc_lo, 24, v2
	s_delay_alu instid0(VALU_DEP_2) | instskip(SKIP_4) | instid1(VALU_DEP_3)
	v_add_nc_u32_e32 v1, v1, v3
	ds_bpermute_b32 v3, v5, v1
	v_cndmask_b32_e64 v5, 0, 1, vcc_lo
	v_cmp_lt_u32_e32 vcc_lo, v6, v4
	v_add_nc_u32_e32 v6, 8, v2
	v_lshlrev_b32_e32 v5, 3, v5
	s_delay_alu instid0(VALU_DEP_1) | instskip(SKIP_3) | instid1(VALU_DEP_2)
	v_add_lshl_u32 v5, v5, v2, 2
	s_waitcnt lgkmcnt(0)
	v_cndmask_b32_e32 v3, 0, v3, vcc_lo
	v_cmp_gt_u32_e32 vcc_lo, 16, v2
	v_add_nc_u32_e32 v1, v1, v3
	ds_bpermute_b32 v3, v5, v1
	v_cndmask_b32_e64 v5, 0, 1, vcc_lo
	v_cmp_lt_u32_e32 vcc_lo, v6, v4
	s_delay_alu instid0(VALU_DEP_2) | instskip(NEXT) | instid1(VALU_DEP_1)
	v_lshlrev_b32_e32 v5, 4, v5
	v_add_lshl_u32 v5, v5, v2, 2
	s_waitcnt lgkmcnt(0)
	v_cndmask_b32_e32 v3, 0, v3, vcc_lo
	s_delay_alu instid0(VALU_DEP_1) | instskip(SKIP_2) | instid1(VALU_DEP_1)
	v_add_nc_u32_e32 v1, v1, v3
	ds_bpermute_b32 v3, v5, v1
	v_add_nc_u32_e32 v5, 16, v2
	v_cmp_lt_u32_e32 vcc_lo, v5, v4
	s_waitcnt lgkmcnt(0)
	v_cndmask_b32_e32 v3, 0, v3, vcc_lo
	s_delay_alu instid0(VALU_DEP_1)
	v_add_nc_u32_e32 v1, v1, v3
	v_cmpx_eq_u32_e32 0, v2
	s_cbranch_execz .LBB184_293
; %bb.292:
	v_lshrrev_b32_e32 v3, 3, v0
	s_delay_alu instid0(VALU_DEP_1)
	v_and_b32_e32 v3, 12, v3
	ds_store_b32 v3, v1 offset:128
.LBB184_293:
	s_or_b32 exec_lo, exec_lo, s3
	s_delay_alu instid0(SALU_CYCLE_1)
	s_mov_b32 s3, exec_lo
	s_waitcnt lgkmcnt(0)
	s_barrier
	buffer_gl0_inv
	v_cmpx_gt_u32_e32 4, v0
	s_cbranch_execz .LBB184_295
; %bb.294:
	v_and_b32_e32 v3, 3, v2
	s_add_i32 s2, s2, 31
	s_delay_alu instid0(SALU_CYCLE_1) | instskip(NEXT) | instid1(VALU_DEP_1)
	s_lshr_b32 s2, s2, 5
	v_cmp_ne_u32_e32 vcc_lo, 3, v3
	v_add_nc_u32_e32 v5, 1, v3
	v_add_co_ci_u32_e32 v4, vcc_lo, 0, v2, vcc_lo
	v_cmp_gt_u32_e32 vcc_lo, 2, v3
	v_add_nc_u32_e32 v3, 2, v3
	s_delay_alu instid0(VALU_DEP_3) | instskip(SKIP_3) | instid1(VALU_DEP_3)
	v_lshlrev_b32_e32 v4, 2, v4
	v_cndmask_b32_e64 v6, 0, 1, vcc_lo
	v_cmp_gt_u32_e32 vcc_lo, s2, v5
	v_lshlrev_b32_e32 v1, 2, v2
	v_lshlrev_b32_e32 v5, 1, v6
	ds_load_b32 v1, v1 offset:128
	v_add_lshl_u32 v2, v5, v2, 2
	s_waitcnt lgkmcnt(0)
	ds_bpermute_b32 v4, v4, v1
	s_waitcnt lgkmcnt(0)
	v_cndmask_b32_e32 v4, 0, v4, vcc_lo
	v_cmp_gt_u32_e32 vcc_lo, s2, v3
	s_delay_alu instid0(VALU_DEP_2) | instskip(SKIP_3) | instid1(VALU_DEP_1)
	v_add_nc_u32_e32 v1, v4, v1
	ds_bpermute_b32 v2, v2, v1
	s_waitcnt lgkmcnt(0)
	v_cndmask_b32_e32 v2, 0, v2, vcc_lo
	v_add_nc_u32_e32 v1, v1, v2
.LBB184_295:
	s_or_b32 exec_lo, exec_lo, s3
	v_cmp_eq_u32_e64 s2, 0, v0
	s_and_b32 vcc_lo, exec_lo, s6
	s_cbranch_vccnz .LBB184_24
	s_branch .LBB184_11
.LBB184_296:
	s_mov_b32 s5, -1
                                        ; implicit-def: $vgpr1
.LBB184_297:
	s_delay_alu instid0(SALU_CYCLE_1)
	s_and_b32 vcc_lo, exec_lo, s5
	s_cbranch_vccz .LBB184_367
; %bb.298:
	s_sub_i32 s4, s20, s4
	s_mov_b32 s5, exec_lo
                                        ; implicit-def: $vgpr1
	v_cmpx_gt_u32_e64 s4, v0
	s_cbranch_execz .LBB184_300
; %bb.299:
	v_lshlrev_b32_e32 v1, 2, v0
	global_load_b32 v1, v1, s[2:3]
	s_waitcnt vmcnt(0)
	v_cmp_ne_u32_e32 vcc_lo, 0, v1
	v_cndmask_b32_e64 v1, 0, 1, vcc_lo
.LBB184_300:
	s_or_b32 exec_lo, exec_lo, s5
	v_or_b32_e32 v3, 0x80, v0
	v_mov_b32_e32 v2, 0
	s_delay_alu instid0(VALU_DEP_2)
	v_cmp_gt_u32_e32 vcc_lo, s4, v3
	v_mov_b32_e32 v3, 0
	s_and_saveexec_b32 s5, vcc_lo
	s_cbranch_execz .LBB184_302
; %bb.301:
	v_lshlrev_b32_e32 v3, 2, v0
	global_load_b32 v3, v3, s[2:3] offset:512
	s_waitcnt vmcnt(0)
	v_cmp_ne_u32_e32 vcc_lo, 0, v3
	v_cndmask_b32_e64 v3, 0, 1, vcc_lo
.LBB184_302:
	s_or_b32 exec_lo, exec_lo, s5
	v_or_b32_e32 v4, 0x100, v0
	s_mov_b32 s5, exec_lo
	s_delay_alu instid0(VALU_DEP_1)
	v_cmpx_gt_u32_e64 s4, v4
	s_cbranch_execz .LBB184_304
; %bb.303:
	v_lshlrev_b32_e32 v2, 2, v0
	global_load_b32 v2, v2, s[2:3] offset:1024
	s_waitcnt vmcnt(0)
	v_cmp_ne_u32_e32 vcc_lo, 0, v2
	v_cndmask_b32_e64 v2, 0, 1, vcc_lo
.LBB184_304:
	s_or_b32 exec_lo, exec_lo, s5
	v_or_b32_e32 v5, 0x180, v0
	v_mov_b32_e32 v4, 0
	s_delay_alu instid0(VALU_DEP_2)
	v_cmp_gt_u32_e32 vcc_lo, s4, v5
	v_mov_b32_e32 v5, 0
	s_and_saveexec_b32 s5, vcc_lo
	s_cbranch_execz .LBB184_306
; %bb.305:
	v_lshlrev_b32_e32 v5, 2, v0
	global_load_b32 v5, v5, s[2:3] offset:1536
	s_waitcnt vmcnt(0)
	v_cmp_ne_u32_e32 vcc_lo, 0, v5
	v_cndmask_b32_e64 v5, 0, 1, vcc_lo
.LBB184_306:
	s_or_b32 exec_lo, exec_lo, s5
	v_or_b32_e32 v6, 0x200, v0
	s_mov_b32 s5, exec_lo
	s_delay_alu instid0(VALU_DEP_1)
	v_cmpx_gt_u32_e64 s4, v6
	s_cbranch_execz .LBB184_308
; %bb.307:
	v_lshlrev_b32_e32 v4, 2, v0
	global_load_b32 v4, v4, s[2:3] offset:2048
	s_waitcnt vmcnt(0)
	v_cmp_ne_u32_e32 vcc_lo, 0, v4
	v_cndmask_b32_e64 v4, 0, 1, vcc_lo
.LBB184_308:
	;; [unrolled: 28-line block ×3, first 2 shown]
	s_or_b32 exec_lo, exec_lo, s5
	v_or_b32_e32 v9, 0x380, v0
	v_mov_b32_e32 v8, 0
	s_delay_alu instid0(VALU_DEP_2)
	v_cmp_gt_u32_e32 vcc_lo, s4, v9
	v_mov_b32_e32 v9, 0
	s_and_saveexec_b32 s5, vcc_lo
	s_cbranch_execz .LBB184_314
; %bb.313:
	v_lshlrev_b32_e32 v9, 2, v0
	global_load_b32 v9, v9, s[2:3] offset:3584
	s_waitcnt vmcnt(0)
	v_cmp_ne_u32_e32 vcc_lo, 0, v9
	v_cndmask_b32_e64 v9, 0, 1, vcc_lo
.LBB184_314:
	s_or_b32 exec_lo, exec_lo, s5
	v_or_b32_e32 v10, 0x400, v0
	s_mov_b32 s5, exec_lo
	s_delay_alu instid0(VALU_DEP_1)
	v_cmpx_gt_u32_e64 s4, v10
	s_cbranch_execz .LBB184_316
; %bb.315:
	v_lshlrev_b32_e32 v8, 2, v10
	global_load_b32 v8, v8, s[2:3]
	s_waitcnt vmcnt(0)
	v_cmp_ne_u32_e32 vcc_lo, 0, v8
	v_cndmask_b32_e64 v8, 0, 1, vcc_lo
.LBB184_316:
	s_or_b32 exec_lo, exec_lo, s5
	v_or_b32_e32 v12, 0x480, v0
	v_dual_mov_b32 v10, 0 :: v_dual_mov_b32 v11, 0
	s_mov_b32 s5, exec_lo
	s_delay_alu instid0(VALU_DEP_2)
	v_cmpx_gt_u32_e64 s4, v12
	s_cbranch_execz .LBB184_318
; %bb.317:
	v_lshlrev_b32_e32 v11, 2, v12
	global_load_b32 v11, v11, s[2:3]
	s_waitcnt vmcnt(0)
	v_cmp_ne_u32_e32 vcc_lo, 0, v11
	v_cndmask_b32_e64 v11, 0, 1, vcc_lo
.LBB184_318:
	s_or_b32 exec_lo, exec_lo, s5
	v_or_b32_e32 v12, 0x500, v0
	s_mov_b32 s5, exec_lo
	s_delay_alu instid0(VALU_DEP_1)
	v_cmpx_gt_u32_e64 s4, v12
	s_cbranch_execz .LBB184_320
; %bb.319:
	v_lshlrev_b32_e32 v10, 2, v12
	global_load_b32 v10, v10, s[2:3]
	s_waitcnt vmcnt(0)
	v_cmp_ne_u32_e32 vcc_lo, 0, v10
	v_cndmask_b32_e64 v10, 0, 1, vcc_lo
.LBB184_320:
	s_or_b32 exec_lo, exec_lo, s5
	v_or_b32_e32 v14, 0x580, v0
	v_dual_mov_b32 v12, 0 :: v_dual_mov_b32 v13, 0
	s_mov_b32 s5, exec_lo
	s_delay_alu instid0(VALU_DEP_2)
	v_cmpx_gt_u32_e64 s4, v14
	s_cbranch_execz .LBB184_322
; %bb.321:
	v_lshlrev_b32_e32 v13, 2, v14
	global_load_b32 v13, v13, s[2:3]
	s_waitcnt vmcnt(0)
	v_cmp_ne_u32_e32 vcc_lo, 0, v13
	v_cndmask_b32_e64 v13, 0, 1, vcc_lo
.LBB184_322:
	;; [unrolled: 27-line block ×11, first 2 shown]
	s_or_b32 exec_lo, exec_lo, s5
	v_or_b32_e32 v32, 0xf00, v0
	s_mov_b32 s5, exec_lo
	s_delay_alu instid0(VALU_DEP_1)
	v_cmpx_gt_u32_e64 s4, v32
	s_cbranch_execz .LBB184_360
; %bb.359:
	v_lshlrev_b32_e32 v30, 2, v32
	global_load_b32 v30, v30, s[2:3]
	s_waitcnt vmcnt(0)
	v_cmp_ne_u32_e32 vcc_lo, 0, v30
	v_cndmask_b32_e64 v30, 0, 1, vcc_lo
.LBB184_360:
	s_or_b32 exec_lo, exec_lo, s5
	v_or_b32_e32 v33, 0xf80, v0
	v_mov_b32_e32 v32, 0
	s_mov_b32 s5, exec_lo
	s_delay_alu instid0(VALU_DEP_2)
	v_cmpx_gt_u32_e64 s4, v33
	s_cbranch_execz .LBB184_362
; %bb.361:
	v_lshlrev_b32_e32 v32, 2, v33
	global_load_b32 v32, v32, s[2:3]
	s_waitcnt vmcnt(0)
	v_cmp_ne_u32_e32 vcc_lo, 0, v32
	v_cndmask_b32_e64 v32, 0, 1, vcc_lo
.LBB184_362:
	s_or_b32 exec_lo, exec_lo, s5
	v_add_nc_u32_e32 v1, v3, v1
	s_min_u32 s2, s4, 0x80
	s_mov_b32 s3, exec_lo
	s_delay_alu instid0(VALU_DEP_1) | instskip(SKIP_1) | instid1(VALU_DEP_2)
	v_add3_u32 v1, v1, v2, v5
	v_mbcnt_lo_u32_b32 v2, -1, 0
	v_add3_u32 v1, v1, v4, v7
	s_delay_alu instid0(VALU_DEP_2) | instskip(NEXT) | instid1(VALU_DEP_2)
	v_cmp_ne_u32_e32 vcc_lo, 31, v2
	v_add3_u32 v1, v1, v6, v9
	v_add_co_ci_u32_e32 v3, vcc_lo, 0, v2, vcc_lo
	v_cmp_gt_u32_e32 vcc_lo, 30, v2
	v_add_nc_u32_e32 v6, 1, v2
	s_delay_alu instid0(VALU_DEP_4) | instskip(NEXT) | instid1(VALU_DEP_4)
	v_add3_u32 v1, v1, v8, v11
	v_lshlrev_b32_e32 v3, 2, v3
	v_cndmask_b32_e64 v5, 0, 1, vcc_lo
	s_delay_alu instid0(VALU_DEP_3) | instskip(NEXT) | instid1(VALU_DEP_2)
	v_add3_u32 v1, v1, v10, v13
	v_lshlrev_b32_e32 v5, 1, v5
	s_delay_alu instid0(VALU_DEP_2) | instskip(NEXT) | instid1(VALU_DEP_2)
	v_add3_u32 v1, v1, v12, v15
	v_add_lshl_u32 v5, v5, v2, 2
	s_delay_alu instid0(VALU_DEP_2) | instskip(NEXT) | instid1(VALU_DEP_1)
	v_add3_u32 v1, v1, v14, v17
	v_add3_u32 v1, v1, v16, v19
	s_delay_alu instid0(VALU_DEP_1) | instskip(NEXT) | instid1(VALU_DEP_1)
	v_add3_u32 v1, v1, v18, v21
	v_add3_u32 v1, v1, v20, v23
	s_delay_alu instid0(VALU_DEP_1) | instskip(NEXT) | instid1(VALU_DEP_1)
	;; [unrolled: 3-line block ×3, first 2 shown]
	v_add3_u32 v1, v1, v26, v29
	v_add3_u32 v1, v1, v28, v31
	s_delay_alu instid0(VALU_DEP_1) | instskip(SKIP_2) | instid1(VALU_DEP_1)
	v_add3_u32 v1, v1, v30, v32
	ds_bpermute_b32 v3, v3, v1
	v_and_b32_e32 v4, 0x60, v0
	v_sub_nc_u32_e64 v4, s2, v4 clamp
	s_delay_alu instid0(VALU_DEP_1) | instskip(SKIP_3) | instid1(VALU_DEP_2)
	v_cmp_lt_u32_e32 vcc_lo, v6, v4
	s_waitcnt lgkmcnt(0)
	v_dual_cndmask_b32 v3, 0, v3 :: v_dual_add_nc_u32 v6, 2, v2
	v_cmp_gt_u32_e32 vcc_lo, 28, v2
	v_add_nc_u32_e32 v1, v3, v1
	ds_bpermute_b32 v3, v5, v1
	v_cndmask_b32_e64 v5, 0, 1, vcc_lo
	v_cmp_lt_u32_e32 vcc_lo, v6, v4
	v_add_nc_u32_e32 v6, 4, v2
	s_delay_alu instid0(VALU_DEP_3) | instskip(NEXT) | instid1(VALU_DEP_1)
	v_lshlrev_b32_e32 v5, 2, v5
	v_add_lshl_u32 v5, v5, v2, 2
	s_waitcnt lgkmcnt(0)
	v_cndmask_b32_e32 v3, 0, v3, vcc_lo
	v_cmp_gt_u32_e32 vcc_lo, 24, v2
	s_delay_alu instid0(VALU_DEP_2) | instskip(SKIP_4) | instid1(VALU_DEP_3)
	v_add_nc_u32_e32 v1, v1, v3
	ds_bpermute_b32 v3, v5, v1
	v_cndmask_b32_e64 v5, 0, 1, vcc_lo
	v_cmp_lt_u32_e32 vcc_lo, v6, v4
	v_add_nc_u32_e32 v6, 8, v2
	v_lshlrev_b32_e32 v5, 3, v5
	s_delay_alu instid0(VALU_DEP_1) | instskip(SKIP_3) | instid1(VALU_DEP_2)
	v_add_lshl_u32 v5, v5, v2, 2
	s_waitcnt lgkmcnt(0)
	v_cndmask_b32_e32 v3, 0, v3, vcc_lo
	v_cmp_gt_u32_e32 vcc_lo, 16, v2
	v_add_nc_u32_e32 v1, v1, v3
	ds_bpermute_b32 v3, v5, v1
	v_cndmask_b32_e64 v5, 0, 1, vcc_lo
	v_cmp_lt_u32_e32 vcc_lo, v6, v4
	s_delay_alu instid0(VALU_DEP_2) | instskip(NEXT) | instid1(VALU_DEP_1)
	v_lshlrev_b32_e32 v5, 4, v5
	v_add_lshl_u32 v5, v5, v2, 2
	s_waitcnt lgkmcnt(0)
	v_cndmask_b32_e32 v3, 0, v3, vcc_lo
	s_delay_alu instid0(VALU_DEP_1) | instskip(SKIP_2) | instid1(VALU_DEP_1)
	v_add_nc_u32_e32 v1, v1, v3
	ds_bpermute_b32 v3, v5, v1
	v_add_nc_u32_e32 v5, 16, v2
	v_cmp_lt_u32_e32 vcc_lo, v5, v4
	s_waitcnt lgkmcnt(0)
	v_cndmask_b32_e32 v3, 0, v3, vcc_lo
	s_delay_alu instid0(VALU_DEP_1)
	v_add_nc_u32_e32 v1, v1, v3
	v_cmpx_eq_u32_e32 0, v2
	s_cbranch_execz .LBB184_364
; %bb.363:
	v_lshrrev_b32_e32 v3, 3, v0
	s_delay_alu instid0(VALU_DEP_1)
	v_and_b32_e32 v3, 12, v3
	ds_store_b32 v3, v1 offset:128
.LBB184_364:
	s_or_b32 exec_lo, exec_lo, s3
	s_delay_alu instid0(SALU_CYCLE_1)
	s_mov_b32 s3, exec_lo
	s_waitcnt lgkmcnt(0)
	s_barrier
	buffer_gl0_inv
	v_cmpx_gt_u32_e32 4, v0
	s_cbranch_execz .LBB184_366
; %bb.365:
	v_and_b32_e32 v3, 3, v2
	s_add_i32 s2, s2, 31
	s_delay_alu instid0(SALU_CYCLE_1) | instskip(NEXT) | instid1(VALU_DEP_1)
	s_lshr_b32 s2, s2, 5
	v_cmp_ne_u32_e32 vcc_lo, 3, v3
	v_add_nc_u32_e32 v5, 1, v3
	v_add_co_ci_u32_e32 v4, vcc_lo, 0, v2, vcc_lo
	v_cmp_gt_u32_e32 vcc_lo, 2, v3
	v_add_nc_u32_e32 v3, 2, v3
	s_delay_alu instid0(VALU_DEP_3) | instskip(SKIP_3) | instid1(VALU_DEP_3)
	v_lshlrev_b32_e32 v4, 2, v4
	v_cndmask_b32_e64 v6, 0, 1, vcc_lo
	v_cmp_gt_u32_e32 vcc_lo, s2, v5
	v_lshlrev_b32_e32 v1, 2, v2
	v_lshlrev_b32_e32 v5, 1, v6
	ds_load_b32 v1, v1 offset:128
	v_add_lshl_u32 v2, v5, v2, 2
	s_waitcnt lgkmcnt(0)
	ds_bpermute_b32 v4, v4, v1
	s_waitcnt lgkmcnt(0)
	v_cndmask_b32_e32 v4, 0, v4, vcc_lo
	v_cmp_gt_u32_e32 vcc_lo, s2, v3
	s_delay_alu instid0(VALU_DEP_2) | instskip(SKIP_3) | instid1(VALU_DEP_1)
	v_add_nc_u32_e32 v1, v4, v1
	ds_bpermute_b32 v2, v2, v1
	s_waitcnt lgkmcnt(0)
	v_cndmask_b32_e32 v2, 0, v2, vcc_lo
	v_add_nc_u32_e32 v1, v1, v2
.LBB184_366:
	s_or_b32 exec_lo, exec_lo, s3
.LBB184_367:
	v_cmp_eq_u32_e64 s2, 0, v0
	s_branch .LBB184_512
.LBB184_368:
	s_cmp_eq_u32 s26, 16
	s_cbranch_scc0 .LBB184_375
; %bb.369:
	s_mov_b32 s19, 0
	s_lshl_b32 s2, s18, 11
	s_mov_b32 s3, s19
	s_lshr_b64 s[6:7], s[20:21], 11
	s_lshl_b64 s[4:5], s[2:3], 2
	s_delay_alu instid0(SALU_CYCLE_1)
	s_add_u32 s16, s24, s4
	s_addc_u32 s17, s25, s5
	s_cmp_lg_u64 s[6:7], s[18:19]
	s_cbranch_scc0 .LBB184_533
; %bb.370:
	v_lshlrev_b32_e32 v3, 2, v0
	s_clause 0x5
	global_load_b32 v4, v3, s[16:17]
	global_load_b32 v5, v3, s[16:17] offset:512
	global_load_b32 v6, v3, s[16:17] offset:1024
	;; [unrolled: 1-line block ×5, first 2 shown]
	v_add_co_u32 v1, s3, s16, v3
	s_delay_alu instid0(VALU_DEP_1) | instskip(SKIP_1) | instid1(VALU_DEP_2)
	v_add_co_ci_u32_e64 v2, null, s17, 0, s3
	s_mov_b32 s3, exec_lo
	v_add_co_u32 v1, vcc_lo, 0x1000, v1
	s_delay_alu instid0(VALU_DEP_2)
	v_add_co_ci_u32_e32 v2, vcc_lo, 0, v2, vcc_lo
	s_clause 0x9
	global_load_b32 v10, v3, s[16:17] offset:2560
	global_load_b32 v11, v[1:2], off
	global_load_b32 v3, v3, s[16:17] offset:3584
	global_load_b32 v12, v[1:2], off offset:1024
	global_load_b32 v13, v[1:2], off offset:512
	;; [unrolled: 1-line block ×7, first 2 shown]
	s_waitcnt vmcnt(15)
	v_cmp_ne_u32_e32 vcc_lo, 0, v4
	v_cndmask_b32_e64 v2, 0, 1, vcc_lo
	s_waitcnt vmcnt(13)
	v_cmp_ne_u32_e32 vcc_lo, 0, v6
	v_cndmask_b32_e64 v4, 0, 1, vcc_lo
	v_cmp_ne_u32_e32 vcc_lo, 0, v5
	v_add_co_ci_u32_e32 v2, vcc_lo, 0, v2, vcc_lo
	s_waitcnt vmcnt(11)
	v_cmp_ne_u32_e32 vcc_lo, 0, v8
	v_cndmask_b32_e64 v5, 0, 1, vcc_lo
	v_cmp_ne_u32_e32 vcc_lo, 0, v7
	v_add_co_ci_u32_e32 v2, vcc_lo, v2, v4, vcc_lo
	s_waitcnt vmcnt(10)
	v_cmp_ne_u32_e32 vcc_lo, 0, v9
	v_cndmask_b32_e64 v4, 0, 1, vcc_lo
	s_waitcnt vmcnt(9)
	v_cmp_ne_u32_e32 vcc_lo, 0, v10
	v_add_co_ci_u32_e32 v2, vcc_lo, v2, v5, vcc_lo
	s_waitcnt vmcnt(8)
	v_cmp_ne_u32_e32 vcc_lo, 0, v11
	v_cndmask_b32_e64 v5, 0, 1, vcc_lo
	s_waitcnt vmcnt(7)
	v_cmp_ne_u32_e32 vcc_lo, 0, v3
	v_add_co_ci_u32_e32 v2, vcc_lo, v2, v4, vcc_lo
	s_waitcnt vmcnt(6)
	v_cmp_ne_u32_e32 vcc_lo, 0, v12
	v_cndmask_b32_e64 v3, 0, 1, vcc_lo
	s_waitcnt vmcnt(5)
	v_cmp_ne_u32_e32 vcc_lo, 0, v13
	v_add_co_ci_u32_e32 v2, vcc_lo, v2, v5, vcc_lo
	s_waitcnt vmcnt(4)
	v_cmp_ne_u32_e32 vcc_lo, 0, v14
	v_cndmask_b32_e64 v4, 0, 1, vcc_lo
	s_waitcnt vmcnt(3)
	v_cmp_ne_u32_e32 vcc_lo, 0, v15
	v_add_co_ci_u32_e32 v2, vcc_lo, v2, v3, vcc_lo
	s_waitcnt vmcnt(2)
	v_cmp_ne_u32_e32 vcc_lo, 0, v16
	v_cndmask_b32_e64 v3, 0, 1, vcc_lo
	s_waitcnt vmcnt(1)
	v_cmp_ne_u32_e32 vcc_lo, 0, v17
	v_add_co_ci_u32_e32 v2, vcc_lo, v2, v4, vcc_lo
	s_waitcnt vmcnt(0)
	v_cmp_ne_u32_e32 vcc_lo, 0, v1
	s_delay_alu instid0(VALU_DEP_2) | instskip(SKIP_1) | instid1(VALU_DEP_2)
	v_add_co_ci_u32_e32 v1, vcc_lo, v2, v3, vcc_lo
	v_mov_b32_e32 v3, 0
	v_mov_b32_dpp v2, v1 quad_perm:[1,0,3,2] row_mask:0xf bank_mask:0xf
	s_delay_alu instid0(VALU_DEP_1) | instskip(NEXT) | instid1(VALU_DEP_1)
	v_add_nc_u32_e32 v1, v1, v2
	v_mov_b32_dpp v2, v1 quad_perm:[2,3,0,1] row_mask:0xf bank_mask:0xf
	s_delay_alu instid0(VALU_DEP_1) | instskip(NEXT) | instid1(VALU_DEP_1)
	v_add_nc_u32_e32 v1, v1, v2
	v_mov_b32_dpp v2, v1 row_ror:4 row_mask:0xf bank_mask:0xf
	s_delay_alu instid0(VALU_DEP_1) | instskip(NEXT) | instid1(VALU_DEP_1)
	v_add_nc_u32_e32 v1, v1, v2
	v_mov_b32_dpp v2, v1 row_ror:8 row_mask:0xf bank_mask:0xf
	s_delay_alu instid0(VALU_DEP_1)
	v_add_nc_u32_e32 v1, v1, v2
	ds_swizzle_b32 v2, v1 offset:swizzle(BROADCAST,32,15)
	s_waitcnt lgkmcnt(0)
	v_add_nc_u32_e32 v1, v1, v2
	v_mbcnt_lo_u32_b32 v2, -1, 0
	ds_bpermute_b32 v1, v3, v1 offset:124
	v_cmpx_eq_u32_e32 0, v2
	s_cbranch_execz .LBB184_372
; %bb.371:
	v_lshrrev_b32_e32 v3, 3, v0
	s_delay_alu instid0(VALU_DEP_1)
	v_and_b32_e32 v3, 12, v3
	s_waitcnt lgkmcnt(0)
	ds_store_b32 v3, v1 offset:16
.LBB184_372:
	s_or_b32 exec_lo, exec_lo, s3
	s_delay_alu instid0(SALU_CYCLE_1)
	s_mov_b32 s3, exec_lo
	s_waitcnt lgkmcnt(0)
	s_barrier
	buffer_gl0_inv
	v_cmpx_gt_u32_e32 32, v0
	s_cbranch_execz .LBB184_374
; %bb.373:
	v_and_b32_e32 v1, 3, v2
	s_delay_alu instid0(VALU_DEP_1) | instskip(SKIP_4) | instid1(VALU_DEP_2)
	v_lshlrev_b32_e32 v3, 2, v1
	v_cmp_ne_u32_e32 vcc_lo, 3, v1
	ds_load_b32 v3, v3 offset:16
	v_add_co_ci_u32_e32 v4, vcc_lo, 0, v2, vcc_lo
	v_cmp_gt_u32_e32 vcc_lo, 2, v1
	v_lshlrev_b32_e32 v4, 2, v4
	v_cndmask_b32_e64 v1, 0, 1, vcc_lo
	s_delay_alu instid0(VALU_DEP_1) | instskip(NEXT) | instid1(VALU_DEP_1)
	v_lshlrev_b32_e32 v1, 1, v1
	v_add_lshl_u32 v1, v1, v2, 2
	s_waitcnt lgkmcnt(0)
	ds_bpermute_b32 v4, v4, v3
	s_waitcnt lgkmcnt(0)
	v_add_nc_u32_e32 v3, v4, v3
	ds_bpermute_b32 v1, v1, v3
	s_waitcnt lgkmcnt(0)
	v_add_nc_u32_e32 v1, v1, v3
.LBB184_374:
	s_or_b32 exec_lo, exec_lo, s3
	s_mov_b32 s3, 0
	s_branch .LBB184_534
.LBB184_375:
                                        ; implicit-def: $vgpr1
	s_branch .LBB184_623
.LBB184_376:
	s_mov_b32 s5, -1
                                        ; implicit-def: $vgpr1
.LBB184_377:
	s_delay_alu instid0(SALU_CYCLE_1)
	s_and_b32 vcc_lo, exec_lo, s5
	s_cbranch_vccz .LBB184_511
; %bb.378:
	s_sub_i32 s4, s20, s4
	s_mov_b32 s5, exec_lo
                                        ; implicit-def: $vgpr1
	v_cmpx_gt_u32_e64 s4, v0
	s_cbranch_execz .LBB184_380
; %bb.379:
	v_lshlrev_b32_e32 v1, 2, v0
	global_load_b32 v1, v1, s[2:3]
	s_waitcnt vmcnt(0)
	v_cmp_ne_u32_e32 vcc_lo, 0, v1
	v_cndmask_b32_e64 v1, 0, 1, vcc_lo
.LBB184_380:
	s_or_b32 exec_lo, exec_lo, s5
	v_or_b32_e32 v3, 0x80, v0
	v_mov_b32_e32 v2, 0
	s_delay_alu instid0(VALU_DEP_2)
	v_cmp_gt_u32_e32 vcc_lo, s4, v3
	v_mov_b32_e32 v3, 0
	s_and_saveexec_b32 s5, vcc_lo
	s_cbranch_execz .LBB184_382
; %bb.381:
	v_lshlrev_b32_e32 v3, 2, v0
	global_load_b32 v3, v3, s[2:3] offset:512
	s_waitcnt vmcnt(0)
	v_cmp_ne_u32_e32 vcc_lo, 0, v3
	v_cndmask_b32_e64 v3, 0, 1, vcc_lo
.LBB184_382:
	s_or_b32 exec_lo, exec_lo, s5
	v_or_b32_e32 v4, 0x100, v0
	s_mov_b32 s5, exec_lo
	s_delay_alu instid0(VALU_DEP_1)
	v_cmpx_gt_u32_e64 s4, v4
	s_cbranch_execz .LBB184_384
; %bb.383:
	v_lshlrev_b32_e32 v2, 2, v0
	global_load_b32 v2, v2, s[2:3] offset:1024
	s_waitcnt vmcnt(0)
	v_cmp_ne_u32_e32 vcc_lo, 0, v2
	v_cndmask_b32_e64 v2, 0, 1, vcc_lo
.LBB184_384:
	s_or_b32 exec_lo, exec_lo, s5
	v_or_b32_e32 v5, 0x180, v0
	v_mov_b32_e32 v4, 0
	s_delay_alu instid0(VALU_DEP_2)
	v_cmp_gt_u32_e32 vcc_lo, s4, v5
	v_mov_b32_e32 v5, 0
	s_and_saveexec_b32 s5, vcc_lo
	s_cbranch_execz .LBB184_386
; %bb.385:
	v_lshlrev_b32_e32 v5, 2, v0
	global_load_b32 v5, v5, s[2:3] offset:1536
	s_waitcnt vmcnt(0)
	v_cmp_ne_u32_e32 vcc_lo, 0, v5
	v_cndmask_b32_e64 v5, 0, 1, vcc_lo
.LBB184_386:
	s_or_b32 exec_lo, exec_lo, s5
	v_or_b32_e32 v6, 0x200, v0
	s_mov_b32 s5, exec_lo
	s_delay_alu instid0(VALU_DEP_1)
	v_cmpx_gt_u32_e64 s4, v6
	s_cbranch_execz .LBB184_388
; %bb.387:
	v_lshlrev_b32_e32 v4, 2, v0
	global_load_b32 v4, v4, s[2:3] offset:2048
	s_waitcnt vmcnt(0)
	v_cmp_ne_u32_e32 vcc_lo, 0, v4
	v_cndmask_b32_e64 v4, 0, 1, vcc_lo
.LBB184_388:
	;; [unrolled: 28-line block ×3, first 2 shown]
	s_or_b32 exec_lo, exec_lo, s5
	v_or_b32_e32 v9, 0x380, v0
	v_mov_b32_e32 v8, 0
	s_delay_alu instid0(VALU_DEP_2)
	v_cmp_gt_u32_e32 vcc_lo, s4, v9
	v_mov_b32_e32 v9, 0
	s_and_saveexec_b32 s5, vcc_lo
	s_cbranch_execz .LBB184_394
; %bb.393:
	v_lshlrev_b32_e32 v9, 2, v0
	global_load_b32 v9, v9, s[2:3] offset:3584
	s_waitcnt vmcnt(0)
	v_cmp_ne_u32_e32 vcc_lo, 0, v9
	v_cndmask_b32_e64 v9, 0, 1, vcc_lo
.LBB184_394:
	s_or_b32 exec_lo, exec_lo, s5
	v_or_b32_e32 v10, 0x400, v0
	s_mov_b32 s5, exec_lo
	s_delay_alu instid0(VALU_DEP_1)
	v_cmpx_gt_u32_e64 s4, v10
	s_cbranch_execz .LBB184_396
; %bb.395:
	v_lshlrev_b32_e32 v8, 2, v10
	global_load_b32 v8, v8, s[2:3]
	s_waitcnt vmcnt(0)
	v_cmp_ne_u32_e32 vcc_lo, 0, v8
	v_cndmask_b32_e64 v8, 0, 1, vcc_lo
.LBB184_396:
	s_or_b32 exec_lo, exec_lo, s5
	v_or_b32_e32 v12, 0x480, v0
	v_dual_mov_b32 v10, 0 :: v_dual_mov_b32 v11, 0
	s_mov_b32 s5, exec_lo
	s_delay_alu instid0(VALU_DEP_2)
	v_cmpx_gt_u32_e64 s4, v12
	s_cbranch_execz .LBB184_398
; %bb.397:
	v_lshlrev_b32_e32 v11, 2, v12
	global_load_b32 v11, v11, s[2:3]
	s_waitcnt vmcnt(0)
	v_cmp_ne_u32_e32 vcc_lo, 0, v11
	v_cndmask_b32_e64 v11, 0, 1, vcc_lo
.LBB184_398:
	s_or_b32 exec_lo, exec_lo, s5
	v_or_b32_e32 v12, 0x500, v0
	s_mov_b32 s5, exec_lo
	s_delay_alu instid0(VALU_DEP_1)
	v_cmpx_gt_u32_e64 s4, v12
	s_cbranch_execz .LBB184_400
; %bb.399:
	v_lshlrev_b32_e32 v10, 2, v12
	global_load_b32 v10, v10, s[2:3]
	s_waitcnt vmcnt(0)
	v_cmp_ne_u32_e32 vcc_lo, 0, v10
	v_cndmask_b32_e64 v10, 0, 1, vcc_lo
.LBB184_400:
	s_or_b32 exec_lo, exec_lo, s5
	v_or_b32_e32 v14, 0x580, v0
	v_dual_mov_b32 v12, 0 :: v_dual_mov_b32 v13, 0
	s_mov_b32 s5, exec_lo
	s_delay_alu instid0(VALU_DEP_2)
	v_cmpx_gt_u32_e64 s4, v14
	s_cbranch_execz .LBB184_402
; %bb.401:
	v_lshlrev_b32_e32 v13, 2, v14
	global_load_b32 v13, v13, s[2:3]
	s_waitcnt vmcnt(0)
	v_cmp_ne_u32_e32 vcc_lo, 0, v13
	v_cndmask_b32_e64 v13, 0, 1, vcc_lo
.LBB184_402:
	;; [unrolled: 27-line block ×27, first 2 shown]
	s_or_b32 exec_lo, exec_lo, s5
	v_or_b32_e32 v64, 0x1f00, v0
	s_mov_b32 s5, exec_lo
	s_delay_alu instid0(VALU_DEP_1)
	v_cmpx_gt_u32_e64 s4, v64
	s_cbranch_execz .LBB184_504
; %bb.503:
	v_lshlrev_b32_e32 v62, 2, v64
	global_load_b32 v62, v62, s[2:3]
	s_waitcnt vmcnt(0)
	v_cmp_ne_u32_e32 vcc_lo, 0, v62
	v_cndmask_b32_e64 v62, 0, 1, vcc_lo
.LBB184_504:
	s_or_b32 exec_lo, exec_lo, s5
	v_or_b32_e32 v65, 0x1f80, v0
	v_mov_b32_e32 v64, 0
	s_mov_b32 s5, exec_lo
	s_delay_alu instid0(VALU_DEP_2)
	v_cmpx_gt_u32_e64 s4, v65
	s_cbranch_execz .LBB184_506
; %bb.505:
	v_lshlrev_b32_e32 v64, 2, v65
	global_load_b32 v64, v64, s[2:3]
	s_waitcnt vmcnt(0)
	v_cmp_ne_u32_e32 vcc_lo, 0, v64
	v_cndmask_b32_e64 v64, 0, 1, vcc_lo
.LBB184_506:
	s_or_b32 exec_lo, exec_lo, s5
	v_add_nc_u32_e32 v1, v3, v1
	s_min_u32 s2, s4, 0x80
	s_mov_b32 s3, exec_lo
	s_delay_alu instid0(VALU_DEP_1) | instskip(SKIP_1) | instid1(VALU_DEP_2)
	v_add3_u32 v1, v1, v2, v5
	v_mbcnt_lo_u32_b32 v2, -1, 0
	v_add3_u32 v1, v1, v4, v7
	s_delay_alu instid0(VALU_DEP_2) | instskip(NEXT) | instid1(VALU_DEP_2)
	v_cmp_ne_u32_e32 vcc_lo, 31, v2
	v_add3_u32 v1, v1, v6, v9
	v_add_co_ci_u32_e32 v3, vcc_lo, 0, v2, vcc_lo
	v_cmp_gt_u32_e32 vcc_lo, 30, v2
	v_add_nc_u32_e32 v6, 1, v2
	s_delay_alu instid0(VALU_DEP_4) | instskip(NEXT) | instid1(VALU_DEP_4)
	v_add3_u32 v1, v1, v8, v11
	v_lshlrev_b32_e32 v3, 2, v3
	v_cndmask_b32_e64 v5, 0, 1, vcc_lo
	s_delay_alu instid0(VALU_DEP_3) | instskip(NEXT) | instid1(VALU_DEP_2)
	v_add3_u32 v1, v1, v10, v13
	v_lshlrev_b32_e32 v5, 1, v5
	s_delay_alu instid0(VALU_DEP_2) | instskip(NEXT) | instid1(VALU_DEP_2)
	v_add3_u32 v1, v1, v12, v15
	v_add_lshl_u32 v5, v5, v2, 2
	s_delay_alu instid0(VALU_DEP_2) | instskip(NEXT) | instid1(VALU_DEP_1)
	v_add3_u32 v1, v1, v14, v17
	v_add3_u32 v1, v1, v16, v19
	s_delay_alu instid0(VALU_DEP_1) | instskip(NEXT) | instid1(VALU_DEP_1)
	v_add3_u32 v1, v1, v18, v21
	v_add3_u32 v1, v1, v20, v23
	s_delay_alu instid0(VALU_DEP_1) | instskip(NEXT) | instid1(VALU_DEP_1)
	;; [unrolled: 3-line block ×11, first 2 shown]
	v_add3_u32 v1, v1, v58, v61
	v_add3_u32 v1, v1, v60, v63
	s_delay_alu instid0(VALU_DEP_1) | instskip(SKIP_2) | instid1(VALU_DEP_1)
	v_add3_u32 v1, v1, v62, v64
	ds_bpermute_b32 v3, v3, v1
	v_and_b32_e32 v4, 0x60, v0
	v_sub_nc_u32_e64 v4, s2, v4 clamp
	s_delay_alu instid0(VALU_DEP_1) | instskip(SKIP_3) | instid1(VALU_DEP_2)
	v_cmp_lt_u32_e32 vcc_lo, v6, v4
	s_waitcnt lgkmcnt(0)
	v_dual_cndmask_b32 v3, 0, v3 :: v_dual_add_nc_u32 v6, 2, v2
	v_cmp_gt_u32_e32 vcc_lo, 28, v2
	v_add_nc_u32_e32 v1, v3, v1
	ds_bpermute_b32 v3, v5, v1
	v_cndmask_b32_e64 v5, 0, 1, vcc_lo
	v_cmp_lt_u32_e32 vcc_lo, v6, v4
	v_add_nc_u32_e32 v6, 4, v2
	s_delay_alu instid0(VALU_DEP_3) | instskip(NEXT) | instid1(VALU_DEP_1)
	v_lshlrev_b32_e32 v5, 2, v5
	v_add_lshl_u32 v5, v5, v2, 2
	s_waitcnt lgkmcnt(0)
	v_cndmask_b32_e32 v3, 0, v3, vcc_lo
	v_cmp_gt_u32_e32 vcc_lo, 24, v2
	s_delay_alu instid0(VALU_DEP_2) | instskip(SKIP_4) | instid1(VALU_DEP_3)
	v_add_nc_u32_e32 v1, v1, v3
	ds_bpermute_b32 v3, v5, v1
	v_cndmask_b32_e64 v5, 0, 1, vcc_lo
	v_cmp_lt_u32_e32 vcc_lo, v6, v4
	v_add_nc_u32_e32 v6, 8, v2
	v_lshlrev_b32_e32 v5, 3, v5
	s_delay_alu instid0(VALU_DEP_1) | instskip(SKIP_3) | instid1(VALU_DEP_2)
	v_add_lshl_u32 v5, v5, v2, 2
	s_waitcnt lgkmcnt(0)
	v_cndmask_b32_e32 v3, 0, v3, vcc_lo
	v_cmp_gt_u32_e32 vcc_lo, 16, v2
	v_add_nc_u32_e32 v1, v1, v3
	ds_bpermute_b32 v3, v5, v1
	v_cndmask_b32_e64 v5, 0, 1, vcc_lo
	v_cmp_lt_u32_e32 vcc_lo, v6, v4
	s_delay_alu instid0(VALU_DEP_2) | instskip(NEXT) | instid1(VALU_DEP_1)
	v_lshlrev_b32_e32 v5, 4, v5
	v_add_lshl_u32 v5, v5, v2, 2
	s_waitcnt lgkmcnt(0)
	v_cndmask_b32_e32 v3, 0, v3, vcc_lo
	s_delay_alu instid0(VALU_DEP_1) | instskip(SKIP_2) | instid1(VALU_DEP_1)
	v_add_nc_u32_e32 v1, v1, v3
	ds_bpermute_b32 v3, v5, v1
	v_add_nc_u32_e32 v5, 16, v2
	v_cmp_lt_u32_e32 vcc_lo, v5, v4
	s_waitcnt lgkmcnt(0)
	v_cndmask_b32_e32 v3, 0, v3, vcc_lo
	s_delay_alu instid0(VALU_DEP_1)
	v_add_nc_u32_e32 v1, v1, v3
	v_cmpx_eq_u32_e32 0, v2
	s_cbranch_execz .LBB184_508
; %bb.507:
	v_lshrrev_b32_e32 v3, 3, v0
	s_delay_alu instid0(VALU_DEP_1)
	v_and_b32_e32 v3, 12, v3
	ds_store_b32 v3, v1 offset:128
.LBB184_508:
	s_or_b32 exec_lo, exec_lo, s3
	s_delay_alu instid0(SALU_CYCLE_1)
	s_mov_b32 s3, exec_lo
	s_waitcnt lgkmcnt(0)
	s_barrier
	buffer_gl0_inv
	v_cmpx_gt_u32_e32 4, v0
	s_cbranch_execz .LBB184_510
; %bb.509:
	v_and_b32_e32 v3, 3, v2
	s_add_i32 s2, s2, 31
	s_delay_alu instid0(SALU_CYCLE_1) | instskip(NEXT) | instid1(VALU_DEP_1)
	s_lshr_b32 s2, s2, 5
	v_cmp_ne_u32_e32 vcc_lo, 3, v3
	v_add_nc_u32_e32 v5, 1, v3
	v_add_co_ci_u32_e32 v4, vcc_lo, 0, v2, vcc_lo
	v_cmp_gt_u32_e32 vcc_lo, 2, v3
	v_add_nc_u32_e32 v3, 2, v3
	s_delay_alu instid0(VALU_DEP_3) | instskip(SKIP_3) | instid1(VALU_DEP_3)
	v_lshlrev_b32_e32 v4, 2, v4
	v_cndmask_b32_e64 v6, 0, 1, vcc_lo
	v_cmp_gt_u32_e32 vcc_lo, s2, v5
	v_lshlrev_b32_e32 v1, 2, v2
	v_lshlrev_b32_e32 v5, 1, v6
	ds_load_b32 v1, v1 offset:128
	v_add_lshl_u32 v2, v5, v2, 2
	s_waitcnt lgkmcnt(0)
	ds_bpermute_b32 v4, v4, v1
	s_waitcnt lgkmcnt(0)
	v_cndmask_b32_e32 v4, 0, v4, vcc_lo
	v_cmp_gt_u32_e32 vcc_lo, s2, v3
	s_delay_alu instid0(VALU_DEP_2) | instskip(SKIP_3) | instid1(VALU_DEP_1)
	v_add_nc_u32_e32 v1, v4, v1
	ds_bpermute_b32 v2, v2, v1
	s_waitcnt lgkmcnt(0)
	v_cndmask_b32_e32 v2, 0, v2, vcc_lo
	v_add_nc_u32_e32 v1, v1, v2
.LBB184_510:
	s_or_b32 exec_lo, exec_lo, s3
.LBB184_511:
	v_cmp_eq_u32_e64 s2, 0, v0
.LBB184_512:
	s_branch .LBB184_623
.LBB184_513:
	s_cmp_gt_i32 s26, 3
	s_cbranch_scc0 .LBB184_522
; %bb.514:
	s_cmp_gt_i32 s26, 7
	s_cbranch_scc0 .LBB184_523
; %bb.515:
	s_cmp_eq_u32 s26, 8
	s_cbranch_scc0 .LBB184_531
; %bb.516:
	s_mov_b32 s19, 0
	s_lshl_b32 s2, s18, 10
	s_mov_b32 s3, s19
	s_lshr_b64 s[6:7], s[20:21], 10
	s_lshl_b64 s[4:5], s[2:3], 2
	s_delay_alu instid0(SALU_CYCLE_1)
	s_add_u32 s8, s24, s4
	s_addc_u32 s9, s25, s5
	s_cmp_lg_u64 s[6:7], s[18:19]
	s_cbranch_scc0 .LBB184_573
; %bb.517:
	v_lshlrev_b32_e32 v1, 2, v0
	s_mov_b32 s3, exec_lo
	s_clause 0x7
	global_load_b32 v2, v1, s[8:9]
	global_load_b32 v3, v1, s[8:9] offset:1024
	global_load_b32 v4, v1, s[8:9] offset:512
	;; [unrolled: 1-line block ×7, first 2 shown]
	s_waitcnt vmcnt(7)
	v_cmp_ne_u32_e32 vcc_lo, 0, v2
	v_cndmask_b32_e64 v2, 0, 1, vcc_lo
	s_waitcnt vmcnt(6)
	v_cmp_ne_u32_e32 vcc_lo, 0, v3
	v_cndmask_b32_e64 v3, 0, 1, vcc_lo
	s_waitcnt vmcnt(5)
	v_cmp_ne_u32_e32 vcc_lo, 0, v4
	v_add_co_ci_u32_e32 v2, vcc_lo, 0, v2, vcc_lo
	s_waitcnt vmcnt(4)
	v_cmp_ne_u32_e32 vcc_lo, 0, v5
	v_cndmask_b32_e64 v4, 0, 1, vcc_lo
	s_waitcnt vmcnt(3)
	v_cmp_ne_u32_e32 vcc_lo, 0, v6
	v_add_co_ci_u32_e32 v2, vcc_lo, v2, v3, vcc_lo
	;; [unrolled: 6-line block ×3, first 2 shown]
	s_waitcnt vmcnt(0)
	v_cmp_ne_u32_e32 vcc_lo, 0, v1
	s_delay_alu instid0(VALU_DEP_2) | instskip(NEXT) | instid1(VALU_DEP_1)
	v_add_co_ci_u32_e32 v1, vcc_lo, v2, v3, vcc_lo
	v_mov_b32_dpp v2, v1 quad_perm:[1,0,3,2] row_mask:0xf bank_mask:0xf
	s_delay_alu instid0(VALU_DEP_1) | instskip(NEXT) | instid1(VALU_DEP_1)
	v_add_nc_u32_e32 v1, v1, v2
	v_mov_b32_dpp v2, v1 quad_perm:[2,3,0,1] row_mask:0xf bank_mask:0xf
	s_delay_alu instid0(VALU_DEP_1) | instskip(NEXT) | instid1(VALU_DEP_1)
	v_add_nc_u32_e32 v1, v1, v2
	v_mov_b32_dpp v2, v1 row_ror:4 row_mask:0xf bank_mask:0xf
	s_delay_alu instid0(VALU_DEP_1) | instskip(NEXT) | instid1(VALU_DEP_1)
	v_add_nc_u32_e32 v1, v1, v2
	v_mov_b32_dpp v2, v1 row_ror:8 row_mask:0xf bank_mask:0xf
	s_delay_alu instid0(VALU_DEP_1)
	v_add_nc_u32_e32 v1, v1, v2
	ds_swizzle_b32 v2, v1 offset:swizzle(BROADCAST,32,15)
	s_waitcnt lgkmcnt(0)
	v_dual_mov_b32 v2, 0 :: v_dual_add_nc_u32 v1, v1, v2
	ds_bpermute_b32 v1, v2, v1 offset:124
	v_mbcnt_lo_u32_b32 v2, -1, 0
	s_delay_alu instid0(VALU_DEP_1)
	v_cmpx_eq_u32_e32 0, v2
	s_cbranch_execz .LBB184_519
; %bb.518:
	v_lshrrev_b32_e32 v3, 3, v0
	s_delay_alu instid0(VALU_DEP_1)
	v_and_b32_e32 v3, 12, v3
	s_waitcnt lgkmcnt(0)
	ds_store_b32 v3, v1 offset:112
.LBB184_519:
	s_or_b32 exec_lo, exec_lo, s3
	s_delay_alu instid0(SALU_CYCLE_1)
	s_mov_b32 s3, exec_lo
	s_waitcnt lgkmcnt(0)
	s_barrier
	buffer_gl0_inv
	v_cmpx_gt_u32_e32 32, v0
	s_cbranch_execz .LBB184_521
; %bb.520:
	v_lshl_or_b32 v1, v2, 2, 0x70
	v_and_b32_e32 v3, 3, v2
	ds_load_b32 v1, v1
	v_cmp_ne_u32_e32 vcc_lo, 3, v3
	v_add_co_ci_u32_e32 v4, vcc_lo, 0, v2, vcc_lo
	v_cmp_gt_u32_e32 vcc_lo, 2, v3
	s_delay_alu instid0(VALU_DEP_2) | instskip(SKIP_1) | instid1(VALU_DEP_1)
	v_lshlrev_b32_e32 v4, 2, v4
	v_cndmask_b32_e64 v3, 0, 1, vcc_lo
	v_lshlrev_b32_e32 v3, 1, v3
	s_waitcnt lgkmcnt(0)
	ds_bpermute_b32 v4, v4, v1
	v_add_lshl_u32 v2, v3, v2, 2
	s_waitcnt lgkmcnt(0)
	v_add_nc_u32_e32 v1, v4, v1
	ds_bpermute_b32 v2, v2, v1
	s_waitcnt lgkmcnt(0)
	v_add_nc_u32_e32 v1, v2, v1
.LBB184_521:
	s_or_b32 exec_lo, exec_lo, s3
	s_mov_b32 s3, 0
	s_branch .LBB184_574
.LBB184_522:
                                        ; implicit-def: $vgpr1
	s_cbranch_execnz .LBB184_614
	s_branch .LBB184_623
.LBB184_523:
                                        ; implicit-def: $vgpr1
	s_cbranch_execz .LBB184_597
; %bb.524:
	s_cmp_eq_u32 s26, 4
	s_cbranch_scc0 .LBB184_532
; %bb.525:
	s_mov_b32 s19, 0
	s_lshl_b32 s2, s18, 9
	s_mov_b32 s3, s19
	s_lshr_b64 s[6:7], s[20:21], 9
	s_lshl_b64 s[4:5], s[2:3], 2
	s_delay_alu instid0(SALU_CYCLE_1)
	s_add_u32 s4, s24, s4
	s_addc_u32 s5, s25, s5
	s_cmp_lg_u64 s[6:7], s[18:19]
	s_cbranch_scc0 .LBB184_598
; %bb.526:
	v_lshlrev_b32_e32 v1, 2, v0
	s_mov_b32 s3, exec_lo
	s_clause 0x3
	global_load_b32 v2, v1, s[4:5]
	global_load_b32 v3, v1, s[4:5] offset:1024
	global_load_b32 v4, v1, s[4:5] offset:512
	;; [unrolled: 1-line block ×3, first 2 shown]
	s_waitcnt vmcnt(3)
	v_cmp_ne_u32_e32 vcc_lo, 0, v2
	v_cndmask_b32_e64 v2, 0, 1, vcc_lo
	s_waitcnt vmcnt(2)
	v_cmp_ne_u32_e32 vcc_lo, 0, v3
	v_cndmask_b32_e64 v3, 0, 1, vcc_lo
	s_waitcnt vmcnt(1)
	v_cmp_ne_u32_e32 vcc_lo, 0, v4
	v_add_co_ci_u32_e32 v2, vcc_lo, 0, v2, vcc_lo
	s_waitcnt vmcnt(0)
	v_cmp_ne_u32_e32 vcc_lo, 0, v1
	s_delay_alu instid0(VALU_DEP_2) | instskip(NEXT) | instid1(VALU_DEP_1)
	v_add_co_ci_u32_e32 v1, vcc_lo, v2, v3, vcc_lo
	v_mov_b32_dpp v2, v1 quad_perm:[1,0,3,2] row_mask:0xf bank_mask:0xf
	s_delay_alu instid0(VALU_DEP_1) | instskip(NEXT) | instid1(VALU_DEP_1)
	v_add_nc_u32_e32 v1, v1, v2
	v_mov_b32_dpp v2, v1 quad_perm:[2,3,0,1] row_mask:0xf bank_mask:0xf
	s_delay_alu instid0(VALU_DEP_1) | instskip(NEXT) | instid1(VALU_DEP_1)
	v_add_nc_u32_e32 v1, v1, v2
	v_mov_b32_dpp v2, v1 row_ror:4 row_mask:0xf bank_mask:0xf
	s_delay_alu instid0(VALU_DEP_1) | instskip(NEXT) | instid1(VALU_DEP_1)
	v_add_nc_u32_e32 v1, v1, v2
	v_mov_b32_dpp v2, v1 row_ror:8 row_mask:0xf bank_mask:0xf
	s_delay_alu instid0(VALU_DEP_1)
	v_add_nc_u32_e32 v1, v1, v2
	ds_swizzle_b32 v2, v1 offset:swizzle(BROADCAST,32,15)
	s_waitcnt lgkmcnt(0)
	v_dual_mov_b32 v2, 0 :: v_dual_add_nc_u32 v1, v1, v2
	ds_bpermute_b32 v1, v2, v1 offset:124
	v_mbcnt_lo_u32_b32 v2, -1, 0
	s_delay_alu instid0(VALU_DEP_1)
	v_cmpx_eq_u32_e32 0, v2
	s_cbranch_execz .LBB184_528
; %bb.527:
	v_lshrrev_b32_e32 v3, 3, v0
	s_delay_alu instid0(VALU_DEP_1)
	v_and_b32_e32 v3, 12, v3
	s_waitcnt lgkmcnt(0)
	ds_store_b32 v3, v1 offset:80
.LBB184_528:
	s_or_b32 exec_lo, exec_lo, s3
	s_delay_alu instid0(SALU_CYCLE_1)
	s_mov_b32 s3, exec_lo
	s_waitcnt lgkmcnt(0)
	s_barrier
	buffer_gl0_inv
	v_cmpx_gt_u32_e32 32, v0
	s_cbranch_execz .LBB184_530
; %bb.529:
	v_and_b32_e32 v1, 3, v2
	s_delay_alu instid0(VALU_DEP_1) | instskip(SKIP_4) | instid1(VALU_DEP_2)
	v_lshlrev_b32_e32 v3, 2, v1
	v_cmp_ne_u32_e32 vcc_lo, 3, v1
	ds_load_b32 v3, v3 offset:80
	v_add_co_ci_u32_e32 v4, vcc_lo, 0, v2, vcc_lo
	v_cmp_gt_u32_e32 vcc_lo, 2, v1
	v_lshlrev_b32_e32 v4, 2, v4
	v_cndmask_b32_e64 v1, 0, 1, vcc_lo
	s_delay_alu instid0(VALU_DEP_1) | instskip(NEXT) | instid1(VALU_DEP_1)
	v_lshlrev_b32_e32 v1, 1, v1
	v_add_lshl_u32 v1, v1, v2, 2
	s_waitcnt lgkmcnt(0)
	ds_bpermute_b32 v4, v4, v3
	s_waitcnt lgkmcnt(0)
	v_add_nc_u32_e32 v3, v4, v3
	ds_bpermute_b32 v1, v1, v3
	s_waitcnt lgkmcnt(0)
	v_add_nc_u32_e32 v1, v1, v3
.LBB184_530:
	s_or_b32 exec_lo, exec_lo, s3
	s_mov_b32 s3, 0
	s_branch .LBB184_599
.LBB184_531:
                                        ; implicit-def: $vgpr1
	s_branch .LBB184_597
.LBB184_532:
                                        ; implicit-def: $vgpr1
	s_branch .LBB184_623
.LBB184_533:
	s_mov_b32 s3, -1
                                        ; implicit-def: $vgpr1
.LBB184_534:
	s_delay_alu instid0(SALU_CYCLE_1)
	s_and_b32 vcc_lo, exec_lo, s3
	s_cbranch_vccz .LBB184_572
; %bb.535:
	s_sub_i32 s27, s20, s2
	s_mov_b32 s2, exec_lo
                                        ; implicit-def: $vgpr1_vgpr2_vgpr3_vgpr4_vgpr5_vgpr6_vgpr7_vgpr8_vgpr9_vgpr10_vgpr11_vgpr12_vgpr13_vgpr14_vgpr15_vgpr16
	v_cmpx_gt_u32_e64 s27, v0
	s_cbranch_execz .LBB184_537
; %bb.536:
	v_lshlrev_b32_e32 v1, 2, v0
	global_load_b32 v1, v1, s[16:17]
	s_waitcnt vmcnt(0)
	v_cmp_ne_u32_e32 vcc_lo, 0, v1
	v_cndmask_b32_e64 v1, 0, 1, vcc_lo
.LBB184_537:
	s_or_b32 exec_lo, exec_lo, s2
	v_or_b32_e32 v17, 0x80, v0
	s_delay_alu instid0(VALU_DEP_1)
	v_cmp_gt_u32_e32 vcc_lo, s27, v17
	s_and_saveexec_b32 s3, vcc_lo
	s_cbranch_execz .LBB184_539
; %bb.538:
	v_lshlrev_b32_e32 v2, 2, v0
	global_load_b32 v2, v2, s[16:17] offset:512
	s_waitcnt vmcnt(0)
	v_cmp_ne_u32_e64 s2, 0, v2
	s_delay_alu instid0(VALU_DEP_1)
	v_cndmask_b32_e64 v2, 0, 1, s2
.LBB184_539:
	s_or_b32 exec_lo, exec_lo, s3
	v_or_b32_e32 v17, 0x100, v0
	s_delay_alu instid0(VALU_DEP_1) | instskip(NEXT) | instid1(VALU_DEP_1)
	v_cmp_gt_u32_e64 s2, s27, v17
	s_and_saveexec_b32 s4, s2
	s_cbranch_execz .LBB184_541
; %bb.540:
	v_lshlrev_b32_e32 v3, 2, v0
	global_load_b32 v3, v3, s[16:17] offset:1024
	s_waitcnt vmcnt(0)
	v_cmp_ne_u32_e64 s3, 0, v3
	s_delay_alu instid0(VALU_DEP_1)
	v_cndmask_b32_e64 v3, 0, 1, s3
.LBB184_541:
	s_or_b32 exec_lo, exec_lo, s4
	v_or_b32_e32 v17, 0x180, v0
	s_delay_alu instid0(VALU_DEP_1) | instskip(NEXT) | instid1(VALU_DEP_1)
	v_cmp_gt_u32_e64 s3, s27, v17
	s_and_saveexec_b32 s5, s3
	;; [unrolled: 14-line block ×7, first 2 shown]
	s_cbranch_execz .LBB184_553
; %bb.552:
	v_lshlrev_b32_e32 v9, 2, v17
	global_load_b32 v9, v9, s[16:17]
	s_waitcnt vmcnt(0)
	v_cmp_ne_u32_e64 s9, 0, v9
	s_delay_alu instid0(VALU_DEP_1)
	v_cndmask_b32_e64 v9, 0, 1, s9
.LBB184_553:
	s_or_b32 exec_lo, exec_lo, s10
	v_or_b32_e32 v17, 0x480, v0
	s_delay_alu instid0(VALU_DEP_1) | instskip(NEXT) | instid1(VALU_DEP_1)
	v_cmp_gt_u32_e64 s9, s27, v17
	s_and_saveexec_b32 s11, s9
	s_cbranch_execz .LBB184_555
; %bb.554:
	v_lshlrev_b32_e32 v10, 2, v17
	global_load_b32 v10, v10, s[16:17]
	s_waitcnt vmcnt(0)
	v_cmp_ne_u32_e64 s10, 0, v10
	s_delay_alu instid0(VALU_DEP_1)
	v_cndmask_b32_e64 v10, 0, 1, s10
.LBB184_555:
	s_or_b32 exec_lo, exec_lo, s11
	v_or_b32_e32 v17, 0x500, v0
	s_delay_alu instid0(VALU_DEP_1) | instskip(NEXT) | instid1(VALU_DEP_1)
	v_cmp_gt_u32_e64 s10, s27, v17
	s_and_saveexec_b32 s12, s10
	;; [unrolled: 14-line block ×7, first 2 shown]
	s_cbranch_execz .LBB184_567
; %bb.566:
	v_lshlrev_b32_e32 v16, 2, v17
	global_load_b32 v16, v16, s[16:17]
	s_waitcnt vmcnt(0)
	v_cmp_ne_u32_e64 s16, 0, v16
	s_delay_alu instid0(VALU_DEP_1)
	v_cndmask_b32_e64 v16, 0, 1, s16
.LBB184_567:
	s_or_b32 exec_lo, exec_lo, s28
	v_cndmask_b32_e32 v2, 0, v2, vcc_lo
	v_cndmask_b32_e64 v3, 0, v3, s2
	v_cndmask_b32_e64 v4, 0, v4, s3
	s_min_u32 s2, s27, 0x80
	s_mov_b32 s3, exec_lo
	v_add_nc_u32_e32 v1, v2, v1
	v_cndmask_b32_e64 v2, 0, v5, s4
	v_cndmask_b32_e64 v5, 0, v6, s5
	;; [unrolled: 1-line block ×3, first 2 shown]
	s_delay_alu instid0(VALU_DEP_4) | instskip(SKIP_3) | instid1(VALU_DEP_4)
	v_add3_u32 v1, v1, v3, v4
	v_cndmask_b32_e64 v3, 0, v7, s6
	v_cndmask_b32_e64 v4, 0, v8, s7
	;; [unrolled: 1-line block ×3, first 2 shown]
	v_add3_u32 v1, v1, v2, v5
	v_cndmask_b32_e64 v2, 0, v9, s8
	v_cndmask_b32_e64 v5, 0, v10, s9
	s_delay_alu instid0(VALU_DEP_3) | instskip(SKIP_2) | instid1(VALU_DEP_3)
	v_add3_u32 v1, v1, v3, v4
	v_cndmask_b32_e64 v3, 0, v11, s10
	v_cndmask_b32_e64 v4, 0, v12, s11
	v_add3_u32 v1, v1, v2, v5
	v_mbcnt_lo_u32_b32 v2, -1, 0
	v_cndmask_b32_e64 v5, 0, v13, s12
	s_delay_alu instid0(VALU_DEP_3) | instskip(NEXT) | instid1(VALU_DEP_3)
	v_add3_u32 v1, v1, v3, v4
	v_cmp_ne_u32_e32 vcc_lo, 31, v2
	v_cndmask_b32_e64 v3, 0, v16, s15
	s_delay_alu instid0(VALU_DEP_3) | instskip(SKIP_3) | instid1(VALU_DEP_4)
	v_add3_u32 v1, v1, v5, v6
	v_add_co_ci_u32_e32 v4, vcc_lo, 0, v2, vcc_lo
	v_cmp_gt_u32_e32 vcc_lo, 30, v2
	v_add_nc_u32_e32 v6, 1, v2
	v_add3_u32 v1, v1, v7, v3
	s_delay_alu instid0(VALU_DEP_4) | instskip(SKIP_4) | instid1(VALU_DEP_2)
	v_lshlrev_b32_e32 v4, 2, v4
	v_cndmask_b32_e64 v5, 0, 1, vcc_lo
	ds_bpermute_b32 v3, v4, v1
	v_and_b32_e32 v4, 0x60, v0
	v_lshlrev_b32_e32 v5, 1, v5
	v_sub_nc_u32_e64 v4, s2, v4 clamp
	s_delay_alu instid0(VALU_DEP_2) | instskip(NEXT) | instid1(VALU_DEP_2)
	v_add_lshl_u32 v5, v5, v2, 2
	v_cmp_lt_u32_e32 vcc_lo, v6, v4
	s_waitcnt lgkmcnt(0)
	v_dual_cndmask_b32 v3, 0, v3 :: v_dual_add_nc_u32 v6, 2, v2
	v_cmp_gt_u32_e32 vcc_lo, 28, v2
	s_delay_alu instid0(VALU_DEP_2) | instskip(SKIP_4) | instid1(VALU_DEP_3)
	v_add_nc_u32_e32 v1, v1, v3
	ds_bpermute_b32 v3, v5, v1
	v_cndmask_b32_e64 v5, 0, 1, vcc_lo
	v_cmp_lt_u32_e32 vcc_lo, v6, v4
	v_add_nc_u32_e32 v6, 4, v2
	v_lshlrev_b32_e32 v5, 2, v5
	s_delay_alu instid0(VALU_DEP_1) | instskip(SKIP_3) | instid1(VALU_DEP_2)
	v_add_lshl_u32 v5, v5, v2, 2
	s_waitcnt lgkmcnt(0)
	v_cndmask_b32_e32 v3, 0, v3, vcc_lo
	v_cmp_gt_u32_e32 vcc_lo, 24, v2
	v_add_nc_u32_e32 v1, v1, v3
	ds_bpermute_b32 v3, v5, v1
	v_cndmask_b32_e64 v5, 0, 1, vcc_lo
	v_cmp_lt_u32_e32 vcc_lo, v6, v4
	v_add_nc_u32_e32 v6, 8, v2
	s_delay_alu instid0(VALU_DEP_3) | instskip(NEXT) | instid1(VALU_DEP_1)
	v_lshlrev_b32_e32 v5, 3, v5
	v_add_lshl_u32 v5, v5, v2, 2
	s_waitcnt lgkmcnt(0)
	v_cndmask_b32_e32 v3, 0, v3, vcc_lo
	v_cmp_gt_u32_e32 vcc_lo, 16, v2
	s_delay_alu instid0(VALU_DEP_2) | instskip(SKIP_3) | instid1(VALU_DEP_2)
	v_add_nc_u32_e32 v1, v1, v3
	ds_bpermute_b32 v3, v5, v1
	v_cndmask_b32_e64 v5, 0, 1, vcc_lo
	v_cmp_lt_u32_e32 vcc_lo, v6, v4
	v_lshlrev_b32_e32 v5, 4, v5
	s_delay_alu instid0(VALU_DEP_1) | instskip(SKIP_2) | instid1(VALU_DEP_1)
	v_add_lshl_u32 v5, v5, v2, 2
	s_waitcnt lgkmcnt(0)
	v_cndmask_b32_e32 v3, 0, v3, vcc_lo
	v_add_nc_u32_e32 v1, v1, v3
	ds_bpermute_b32 v3, v5, v1
	v_add_nc_u32_e32 v5, 16, v2
	s_delay_alu instid0(VALU_DEP_1) | instskip(SKIP_2) | instid1(VALU_DEP_1)
	v_cmp_lt_u32_e32 vcc_lo, v5, v4
	s_waitcnt lgkmcnt(0)
	v_cndmask_b32_e32 v3, 0, v3, vcc_lo
	v_add_nc_u32_e32 v1, v1, v3
	v_cmpx_eq_u32_e32 0, v2
	s_cbranch_execz .LBB184_569
; %bb.568:
	v_lshrrev_b32_e32 v3, 3, v0
	s_delay_alu instid0(VALU_DEP_1)
	v_and_b32_e32 v3, 12, v3
	ds_store_b32 v3, v1 offset:128
.LBB184_569:
	s_or_b32 exec_lo, exec_lo, s3
	s_delay_alu instid0(SALU_CYCLE_1)
	s_mov_b32 s3, exec_lo
	s_waitcnt lgkmcnt(0)
	s_barrier
	buffer_gl0_inv
	v_cmpx_gt_u32_e32 4, v0
	s_cbranch_execz .LBB184_571
; %bb.570:
	v_and_b32_e32 v3, 3, v2
	s_add_i32 s2, s2, 31
	s_delay_alu instid0(SALU_CYCLE_1) | instskip(NEXT) | instid1(VALU_DEP_1)
	s_lshr_b32 s2, s2, 5
	v_cmp_ne_u32_e32 vcc_lo, 3, v3
	v_add_nc_u32_e32 v5, 1, v3
	v_add_co_ci_u32_e32 v4, vcc_lo, 0, v2, vcc_lo
	v_cmp_gt_u32_e32 vcc_lo, 2, v3
	v_add_nc_u32_e32 v3, 2, v3
	s_delay_alu instid0(VALU_DEP_3) | instskip(SKIP_3) | instid1(VALU_DEP_3)
	v_lshlrev_b32_e32 v4, 2, v4
	v_cndmask_b32_e64 v6, 0, 1, vcc_lo
	v_cmp_gt_u32_e32 vcc_lo, s2, v5
	v_lshlrev_b32_e32 v1, 2, v2
	v_lshlrev_b32_e32 v5, 1, v6
	ds_load_b32 v1, v1 offset:128
	v_add_lshl_u32 v2, v5, v2, 2
	s_waitcnt lgkmcnt(0)
	ds_bpermute_b32 v4, v4, v1
	s_waitcnt lgkmcnt(0)
	v_cndmask_b32_e32 v4, 0, v4, vcc_lo
	v_cmp_gt_u32_e32 vcc_lo, s2, v3
	s_delay_alu instid0(VALU_DEP_2) | instskip(SKIP_3) | instid1(VALU_DEP_1)
	v_add_nc_u32_e32 v1, v4, v1
	ds_bpermute_b32 v2, v2, v1
	s_waitcnt lgkmcnt(0)
	v_cndmask_b32_e32 v2, 0, v2, vcc_lo
	v_add_nc_u32_e32 v1, v1, v2
.LBB184_571:
	s_or_b32 exec_lo, exec_lo, s3
.LBB184_572:
	v_cmp_eq_u32_e64 s2, 0, v0
	s_branch .LBB184_623
.LBB184_573:
	s_mov_b32 s3, -1
                                        ; implicit-def: $vgpr1
.LBB184_574:
	s_delay_alu instid0(SALU_CYCLE_1)
	s_and_b32 vcc_lo, exec_lo, s3
	s_cbranch_vccz .LBB184_596
; %bb.575:
	s_sub_i32 s10, s20, s2
	s_mov_b32 s2, exec_lo
                                        ; implicit-def: $vgpr1_vgpr2_vgpr3_vgpr4_vgpr5_vgpr6_vgpr7_vgpr8
	v_cmpx_gt_u32_e64 s10, v0
	s_cbranch_execz .LBB184_577
; %bb.576:
	v_lshlrev_b32_e32 v1, 2, v0
	global_load_b32 v1, v1, s[8:9]
	s_waitcnt vmcnt(0)
	v_cmp_ne_u32_e32 vcc_lo, 0, v1
	v_cndmask_b32_e64 v1, 0, 1, vcc_lo
.LBB184_577:
	s_or_b32 exec_lo, exec_lo, s2
	v_or_b32_e32 v9, 0x80, v0
	s_delay_alu instid0(VALU_DEP_1)
	v_cmp_gt_u32_e32 vcc_lo, s10, v9
	s_and_saveexec_b32 s3, vcc_lo
	s_cbranch_execz .LBB184_579
; %bb.578:
	v_lshlrev_b32_e32 v2, 2, v0
	global_load_b32 v2, v2, s[8:9] offset:512
	s_waitcnt vmcnt(0)
	v_cmp_ne_u32_e64 s2, 0, v2
	s_delay_alu instid0(VALU_DEP_1)
	v_cndmask_b32_e64 v2, 0, 1, s2
.LBB184_579:
	s_or_b32 exec_lo, exec_lo, s3
	v_or_b32_e32 v9, 0x100, v0
	s_delay_alu instid0(VALU_DEP_1) | instskip(NEXT) | instid1(VALU_DEP_1)
	v_cmp_gt_u32_e64 s2, s10, v9
	s_and_saveexec_b32 s4, s2
	s_cbranch_execz .LBB184_581
; %bb.580:
	v_lshlrev_b32_e32 v3, 2, v0
	global_load_b32 v3, v3, s[8:9] offset:1024
	s_waitcnt vmcnt(0)
	v_cmp_ne_u32_e64 s3, 0, v3
	s_delay_alu instid0(VALU_DEP_1)
	v_cndmask_b32_e64 v3, 0, 1, s3
.LBB184_581:
	s_or_b32 exec_lo, exec_lo, s4
	v_or_b32_e32 v9, 0x180, v0
	s_delay_alu instid0(VALU_DEP_1) | instskip(NEXT) | instid1(VALU_DEP_1)
	v_cmp_gt_u32_e64 s3, s10, v9
	s_and_saveexec_b32 s5, s3
	;; [unrolled: 14-line block ×6, first 2 shown]
	s_cbranch_execz .LBB184_591
; %bb.590:
	v_lshlrev_b32_e32 v8, 2, v0
	global_load_b32 v8, v8, s[8:9] offset:3584
	s_waitcnt vmcnt(0)
	v_cmp_ne_u32_e64 s8, 0, v8
	s_delay_alu instid0(VALU_DEP_1)
	v_cndmask_b32_e64 v8, 0, 1, s8
.LBB184_591:
	s_or_b32 exec_lo, exec_lo, s11
	v_cndmask_b32_e32 v2, 0, v2, vcc_lo
	v_cndmask_b32_e64 v3, 0, v3, s2
	v_cndmask_b32_e64 v4, 0, v4, s3
	;; [unrolled: 1-line block ×4, first 2 shown]
	v_add_nc_u32_e32 v1, v2, v1
	v_mbcnt_lo_u32_b32 v2, -1, 0
	v_cndmask_b32_e64 v7, 0, v7, s6
	s_min_u32 s2, s10, 0x80
	s_mov_b32 s3, exec_lo
	v_add3_u32 v1, v1, v3, v4
	v_cmp_ne_u32_e32 vcc_lo, 31, v2
	v_cndmask_b32_e64 v3, 0, v8, s7
	s_delay_alu instid0(VALU_DEP_3) | instskip(SKIP_3) | instid1(VALU_DEP_4)
	v_add3_u32 v1, v1, v5, v6
	v_add_co_ci_u32_e32 v4, vcc_lo, 0, v2, vcc_lo
	v_cmp_gt_u32_e32 vcc_lo, 30, v2
	v_add_nc_u32_e32 v6, 1, v2
	v_add3_u32 v1, v1, v7, v3
	s_delay_alu instid0(VALU_DEP_4) | instskip(SKIP_4) | instid1(VALU_DEP_2)
	v_lshlrev_b32_e32 v4, 2, v4
	v_cndmask_b32_e64 v5, 0, 1, vcc_lo
	ds_bpermute_b32 v3, v4, v1
	v_and_b32_e32 v4, 0x60, v0
	v_lshlrev_b32_e32 v5, 1, v5
	v_sub_nc_u32_e64 v4, s2, v4 clamp
	s_delay_alu instid0(VALU_DEP_2) | instskip(NEXT) | instid1(VALU_DEP_2)
	v_add_lshl_u32 v5, v5, v2, 2
	v_cmp_lt_u32_e32 vcc_lo, v6, v4
	s_waitcnt lgkmcnt(0)
	v_dual_cndmask_b32 v3, 0, v3 :: v_dual_add_nc_u32 v6, 2, v2
	v_cmp_gt_u32_e32 vcc_lo, 28, v2
	s_delay_alu instid0(VALU_DEP_2) | instskip(SKIP_4) | instid1(VALU_DEP_3)
	v_add_nc_u32_e32 v1, v1, v3
	ds_bpermute_b32 v3, v5, v1
	v_cndmask_b32_e64 v5, 0, 1, vcc_lo
	v_cmp_lt_u32_e32 vcc_lo, v6, v4
	v_add_nc_u32_e32 v6, 4, v2
	v_lshlrev_b32_e32 v5, 2, v5
	s_delay_alu instid0(VALU_DEP_1) | instskip(SKIP_3) | instid1(VALU_DEP_2)
	v_add_lshl_u32 v5, v5, v2, 2
	s_waitcnt lgkmcnt(0)
	v_cndmask_b32_e32 v3, 0, v3, vcc_lo
	v_cmp_gt_u32_e32 vcc_lo, 24, v2
	v_add_nc_u32_e32 v1, v1, v3
	ds_bpermute_b32 v3, v5, v1
	v_cndmask_b32_e64 v5, 0, 1, vcc_lo
	v_cmp_lt_u32_e32 vcc_lo, v6, v4
	v_add_nc_u32_e32 v6, 8, v2
	s_delay_alu instid0(VALU_DEP_3) | instskip(NEXT) | instid1(VALU_DEP_1)
	v_lshlrev_b32_e32 v5, 3, v5
	v_add_lshl_u32 v5, v5, v2, 2
	s_waitcnt lgkmcnt(0)
	v_cndmask_b32_e32 v3, 0, v3, vcc_lo
	v_cmp_gt_u32_e32 vcc_lo, 16, v2
	s_delay_alu instid0(VALU_DEP_2) | instskip(SKIP_3) | instid1(VALU_DEP_2)
	v_add_nc_u32_e32 v1, v1, v3
	ds_bpermute_b32 v3, v5, v1
	v_cndmask_b32_e64 v5, 0, 1, vcc_lo
	v_cmp_lt_u32_e32 vcc_lo, v6, v4
	v_lshlrev_b32_e32 v5, 4, v5
	s_delay_alu instid0(VALU_DEP_1) | instskip(SKIP_2) | instid1(VALU_DEP_1)
	v_add_lshl_u32 v5, v5, v2, 2
	s_waitcnt lgkmcnt(0)
	v_cndmask_b32_e32 v3, 0, v3, vcc_lo
	v_add_nc_u32_e32 v1, v1, v3
	ds_bpermute_b32 v3, v5, v1
	v_add_nc_u32_e32 v5, 16, v2
	s_delay_alu instid0(VALU_DEP_1) | instskip(SKIP_2) | instid1(VALU_DEP_1)
	v_cmp_lt_u32_e32 vcc_lo, v5, v4
	s_waitcnt lgkmcnt(0)
	v_cndmask_b32_e32 v3, 0, v3, vcc_lo
	v_add_nc_u32_e32 v1, v1, v3
	v_cmpx_eq_u32_e32 0, v2
	s_cbranch_execz .LBB184_593
; %bb.592:
	v_lshrrev_b32_e32 v3, 3, v0
	s_delay_alu instid0(VALU_DEP_1)
	v_and_b32_e32 v3, 12, v3
	ds_store_b32 v3, v1 offset:128
.LBB184_593:
	s_or_b32 exec_lo, exec_lo, s3
	s_delay_alu instid0(SALU_CYCLE_1)
	s_mov_b32 s3, exec_lo
	s_waitcnt lgkmcnt(0)
	s_barrier
	buffer_gl0_inv
	v_cmpx_gt_u32_e32 4, v0
	s_cbranch_execz .LBB184_595
; %bb.594:
	v_and_b32_e32 v3, 3, v2
	s_add_i32 s2, s2, 31
	s_delay_alu instid0(SALU_CYCLE_1) | instskip(NEXT) | instid1(VALU_DEP_1)
	s_lshr_b32 s2, s2, 5
	v_cmp_ne_u32_e32 vcc_lo, 3, v3
	v_add_nc_u32_e32 v5, 1, v3
	v_add_co_ci_u32_e32 v4, vcc_lo, 0, v2, vcc_lo
	v_cmp_gt_u32_e32 vcc_lo, 2, v3
	v_add_nc_u32_e32 v3, 2, v3
	s_delay_alu instid0(VALU_DEP_3) | instskip(SKIP_3) | instid1(VALU_DEP_3)
	v_lshlrev_b32_e32 v4, 2, v4
	v_cndmask_b32_e64 v6, 0, 1, vcc_lo
	v_cmp_gt_u32_e32 vcc_lo, s2, v5
	v_lshlrev_b32_e32 v1, 2, v2
	v_lshlrev_b32_e32 v5, 1, v6
	ds_load_b32 v1, v1 offset:128
	v_add_lshl_u32 v2, v5, v2, 2
	s_waitcnt lgkmcnt(0)
	ds_bpermute_b32 v4, v4, v1
	s_waitcnt lgkmcnt(0)
	v_cndmask_b32_e32 v4, 0, v4, vcc_lo
	v_cmp_gt_u32_e32 vcc_lo, s2, v3
	s_delay_alu instid0(VALU_DEP_2) | instskip(SKIP_3) | instid1(VALU_DEP_1)
	v_add_nc_u32_e32 v1, v4, v1
	ds_bpermute_b32 v2, v2, v1
	s_waitcnt lgkmcnt(0)
	v_cndmask_b32_e32 v2, 0, v2, vcc_lo
	v_add_nc_u32_e32 v1, v1, v2
.LBB184_595:
	s_or_b32 exec_lo, exec_lo, s3
.LBB184_596:
	v_cmp_eq_u32_e64 s2, 0, v0
.LBB184_597:
	s_branch .LBB184_623
.LBB184_598:
	s_mov_b32 s3, -1
                                        ; implicit-def: $vgpr1
.LBB184_599:
	s_delay_alu instid0(SALU_CYCLE_1)
	s_and_b32 vcc_lo, exec_lo, s3
	s_cbranch_vccz .LBB184_613
; %bb.600:
	s_sub_i32 s6, s20, s2
	s_mov_b32 s2, exec_lo
                                        ; implicit-def: $vgpr1_vgpr2_vgpr3_vgpr4
	v_cmpx_gt_u32_e64 s6, v0
	s_cbranch_execz .LBB184_602
; %bb.601:
	v_lshlrev_b32_e32 v1, 2, v0
	global_load_b32 v1, v1, s[4:5]
	s_waitcnt vmcnt(0)
	v_cmp_ne_u32_e32 vcc_lo, 0, v1
	v_cndmask_b32_e64 v1, 0, 1, vcc_lo
.LBB184_602:
	s_or_b32 exec_lo, exec_lo, s2
	v_or_b32_e32 v5, 0x80, v0
	s_delay_alu instid0(VALU_DEP_1)
	v_cmp_gt_u32_e32 vcc_lo, s6, v5
	s_and_saveexec_b32 s3, vcc_lo
	s_cbranch_execz .LBB184_604
; %bb.603:
	v_lshlrev_b32_e32 v2, 2, v0
	global_load_b32 v2, v2, s[4:5] offset:512
	s_waitcnt vmcnt(0)
	v_cmp_ne_u32_e64 s2, 0, v2
	s_delay_alu instid0(VALU_DEP_1)
	v_cndmask_b32_e64 v2, 0, 1, s2
.LBB184_604:
	s_or_b32 exec_lo, exec_lo, s3
	v_or_b32_e32 v5, 0x100, v0
	s_delay_alu instid0(VALU_DEP_1) | instskip(NEXT) | instid1(VALU_DEP_1)
	v_cmp_gt_u32_e64 s2, s6, v5
	s_and_saveexec_b32 s7, s2
	s_cbranch_execz .LBB184_606
; %bb.605:
	v_lshlrev_b32_e32 v3, 2, v0
	global_load_b32 v3, v3, s[4:5] offset:1024
	s_waitcnt vmcnt(0)
	v_cmp_ne_u32_e64 s3, 0, v3
	s_delay_alu instid0(VALU_DEP_1)
	v_cndmask_b32_e64 v3, 0, 1, s3
.LBB184_606:
	s_or_b32 exec_lo, exec_lo, s7
	v_or_b32_e32 v5, 0x180, v0
	s_delay_alu instid0(VALU_DEP_1) | instskip(NEXT) | instid1(VALU_DEP_1)
	v_cmp_gt_u32_e64 s3, s6, v5
	s_and_saveexec_b32 s7, s3
	s_cbranch_execz .LBB184_608
; %bb.607:
	v_lshlrev_b32_e32 v4, 2, v0
	global_load_b32 v4, v4, s[4:5] offset:1536
	s_waitcnt vmcnt(0)
	v_cmp_ne_u32_e64 s4, 0, v4
	s_delay_alu instid0(VALU_DEP_1)
	v_cndmask_b32_e64 v4, 0, 1, s4
.LBB184_608:
	s_or_b32 exec_lo, exec_lo, s7
	v_cndmask_b32_e32 v5, 0, v2, vcc_lo
	v_mbcnt_lo_u32_b32 v2, -1, 0
	v_cndmask_b32_e64 v3, 0, v3, s2
	v_cndmask_b32_e64 v4, 0, v4, s3
	s_min_u32 s2, s6, 0x80
	v_add_nc_u32_e32 v1, v5, v1
	v_cmp_ne_u32_e32 vcc_lo, 31, v2
	s_mov_b32 s3, exec_lo
	s_delay_alu instid0(VALU_DEP_2) | instskip(SKIP_3) | instid1(VALU_DEP_3)
	v_add3_u32 v1, v1, v3, v4
	v_and_b32_e32 v4, 0x60, v0
	v_add_co_ci_u32_e32 v5, vcc_lo, 0, v2, vcc_lo
	v_cmp_gt_u32_e32 vcc_lo, 30, v2
	v_sub_nc_u32_e64 v4, s2, v4 clamp
	s_delay_alu instid0(VALU_DEP_3) | instskip(SKIP_4) | instid1(VALU_DEP_2)
	v_lshlrev_b32_e32 v3, 2, v5
	v_cndmask_b32_e64 v5, 0, 1, vcc_lo
	ds_bpermute_b32 v3, v3, v1
	v_add_nc_u32_e32 v6, 1, v2
	v_lshlrev_b32_e32 v5, 1, v5
	v_cmp_lt_u32_e32 vcc_lo, v6, v4
	s_delay_alu instid0(VALU_DEP_2) | instskip(SKIP_3) | instid1(VALU_DEP_2)
	v_add_lshl_u32 v5, v5, v2, 2
	s_waitcnt lgkmcnt(0)
	v_cndmask_b32_e32 v3, 0, v3, vcc_lo
	v_cmp_gt_u32_e32 vcc_lo, 28, v2
	v_add_nc_u32_e32 v1, v3, v1
	ds_bpermute_b32 v3, v5, v1
	v_add_nc_u32_e32 v6, 2, v2
	v_cndmask_b32_e64 v5, 0, 1, vcc_lo
	s_delay_alu instid0(VALU_DEP_2) | instskip(NEXT) | instid1(VALU_DEP_2)
	v_cmp_lt_u32_e32 vcc_lo, v6, v4
	v_lshlrev_b32_e32 v5, 2, v5
	s_delay_alu instid0(VALU_DEP_1) | instskip(SKIP_3) | instid1(VALU_DEP_2)
	v_add_lshl_u32 v5, v5, v2, 2
	s_waitcnt lgkmcnt(0)
	v_cndmask_b32_e32 v3, 0, v3, vcc_lo
	v_cmp_gt_u32_e32 vcc_lo, 24, v2
	v_add_nc_u32_e32 v1, v1, v3
	ds_bpermute_b32 v3, v5, v1
	v_add_nc_u32_e32 v6, 4, v2
	v_cndmask_b32_e64 v5, 0, 1, vcc_lo
	s_delay_alu instid0(VALU_DEP_2) | instskip(NEXT) | instid1(VALU_DEP_2)
	v_cmp_lt_u32_e32 vcc_lo, v6, v4
	v_lshlrev_b32_e32 v5, 3, v5
	s_delay_alu instid0(VALU_DEP_1) | instskip(SKIP_3) | instid1(VALU_DEP_2)
	v_add_lshl_u32 v5, v5, v2, 2
	s_waitcnt lgkmcnt(0)
	v_cndmask_b32_e32 v3, 0, v3, vcc_lo
	v_cmp_gt_u32_e32 vcc_lo, 16, v2
	v_add_nc_u32_e32 v1, v1, v3
	ds_bpermute_b32 v3, v5, v1
	v_add_nc_u32_e32 v6, 8, v2
	v_cndmask_b32_e64 v5, 0, 1, vcc_lo
	s_delay_alu instid0(VALU_DEP_2) | instskip(NEXT) | instid1(VALU_DEP_2)
	v_cmp_lt_u32_e32 vcc_lo, v6, v4
	v_lshlrev_b32_e32 v5, 4, v5
	s_delay_alu instid0(VALU_DEP_1) | instskip(SKIP_2) | instid1(VALU_DEP_1)
	v_add_lshl_u32 v5, v5, v2, 2
	s_waitcnt lgkmcnt(0)
	v_cndmask_b32_e32 v3, 0, v3, vcc_lo
	v_add_nc_u32_e32 v1, v1, v3
	ds_bpermute_b32 v3, v5, v1
	v_add_nc_u32_e32 v5, 16, v2
	s_delay_alu instid0(VALU_DEP_1) | instskip(SKIP_2) | instid1(VALU_DEP_1)
	v_cmp_lt_u32_e32 vcc_lo, v5, v4
	s_waitcnt lgkmcnt(0)
	v_cndmask_b32_e32 v3, 0, v3, vcc_lo
	v_add_nc_u32_e32 v1, v1, v3
	v_cmpx_eq_u32_e32 0, v2
	s_cbranch_execz .LBB184_610
; %bb.609:
	v_lshrrev_b32_e32 v3, 3, v0
	s_delay_alu instid0(VALU_DEP_1)
	v_and_b32_e32 v3, 12, v3
	ds_store_b32 v3, v1 offset:128
.LBB184_610:
	s_or_b32 exec_lo, exec_lo, s3
	s_delay_alu instid0(SALU_CYCLE_1)
	s_mov_b32 s3, exec_lo
	s_waitcnt lgkmcnt(0)
	s_barrier
	buffer_gl0_inv
	v_cmpx_gt_u32_e32 4, v0
	s_cbranch_execz .LBB184_612
; %bb.611:
	v_and_b32_e32 v3, 3, v2
	s_add_i32 s2, s2, 31
	s_delay_alu instid0(SALU_CYCLE_1) | instskip(NEXT) | instid1(VALU_DEP_1)
	s_lshr_b32 s2, s2, 5
	v_cmp_ne_u32_e32 vcc_lo, 3, v3
	v_add_nc_u32_e32 v5, 1, v3
	v_add_co_ci_u32_e32 v4, vcc_lo, 0, v2, vcc_lo
	v_cmp_gt_u32_e32 vcc_lo, 2, v3
	v_add_nc_u32_e32 v3, 2, v3
	s_delay_alu instid0(VALU_DEP_3) | instskip(SKIP_3) | instid1(VALU_DEP_3)
	v_lshlrev_b32_e32 v4, 2, v4
	v_cndmask_b32_e64 v6, 0, 1, vcc_lo
	v_cmp_gt_u32_e32 vcc_lo, s2, v5
	v_lshlrev_b32_e32 v1, 2, v2
	v_lshlrev_b32_e32 v5, 1, v6
	ds_load_b32 v1, v1 offset:128
	v_add_lshl_u32 v2, v5, v2, 2
	s_waitcnt lgkmcnt(0)
	ds_bpermute_b32 v4, v4, v1
	s_waitcnt lgkmcnt(0)
	v_cndmask_b32_e32 v4, 0, v4, vcc_lo
	v_cmp_gt_u32_e32 vcc_lo, s2, v3
	s_delay_alu instid0(VALU_DEP_2) | instskip(SKIP_3) | instid1(VALU_DEP_1)
	v_add_nc_u32_e32 v1, v4, v1
	ds_bpermute_b32 v2, v2, v1
	s_waitcnt lgkmcnt(0)
	v_cndmask_b32_e32 v2, 0, v2, vcc_lo
	v_add_nc_u32_e32 v1, v1, v2
.LBB184_612:
	s_or_b32 exec_lo, exec_lo, s3
.LBB184_613:
	v_cmp_eq_u32_e64 s2, 0, v0
	s_branch .LBB184_623
.LBB184_614:
	s_cmp_gt_i32 s26, 1
	s_cbranch_scc0 .LBB184_622
; %bb.615:
	s_cmp_eq_u32 s26, 2
	s_cbranch_scc0 .LBB184_626
; %bb.616:
	s_mov_b32 s19, 0
	s_lshl_b32 s6, s18, 8
	s_mov_b32 s7, s19
	s_lshr_b64 s[8:9], s[20:21], 8
	s_lshl_b64 s[2:3], s[6:7], 2
	s_delay_alu instid0(SALU_CYCLE_1)
	s_add_u32 s4, s24, s2
	s_addc_u32 s5, s25, s3
	s_cmp_lg_u64 s[8:9], s[18:19]
	s_cbranch_scc0 .LBB184_627
; %bb.617:
	v_lshlrev_b32_e32 v1, 2, v0
	s_clause 0x1
	global_load_b32 v2, v1, s[4:5]
	global_load_b32 v1, v1, s[4:5] offset:512
	s_waitcnt vmcnt(1)
	v_cmp_ne_u32_e32 vcc_lo, 0, v2
	v_cndmask_b32_e64 v2, 0, 1, vcc_lo
	s_waitcnt vmcnt(0)
	v_cmp_ne_u32_e32 vcc_lo, 0, v1
	s_delay_alu instid0(VALU_DEP_2) | instskip(SKIP_1) | instid1(VALU_DEP_1)
	v_add_co_ci_u32_e64 v1, s2, 0, v2, vcc_lo
	s_mov_b32 s2, exec_lo
	v_mov_b32_dpp v1, v1 quad_perm:[1,0,3,2] row_mask:0xf bank_mask:0xf
	s_delay_alu instid0(VALU_DEP_1) | instskip(NEXT) | instid1(VALU_DEP_1)
	v_add_co_ci_u32_e32 v1, vcc_lo, v1, v2, vcc_lo
	v_mov_b32_dpp v2, v1 quad_perm:[2,3,0,1] row_mask:0xf bank_mask:0xf
	s_delay_alu instid0(VALU_DEP_1) | instskip(NEXT) | instid1(VALU_DEP_1)
	v_add_nc_u32_e32 v1, v1, v2
	v_mov_b32_dpp v2, v1 row_ror:4 row_mask:0xf bank_mask:0xf
	s_delay_alu instid0(VALU_DEP_1) | instskip(NEXT) | instid1(VALU_DEP_1)
	v_add_nc_u32_e32 v1, v1, v2
	v_mov_b32_dpp v2, v1 row_ror:8 row_mask:0xf bank_mask:0xf
	s_delay_alu instid0(VALU_DEP_1)
	v_add_nc_u32_e32 v1, v1, v2
	ds_swizzle_b32 v2, v1 offset:swizzle(BROADCAST,32,15)
	s_waitcnt lgkmcnt(0)
	v_dual_mov_b32 v2, 0 :: v_dual_add_nc_u32 v1, v1, v2
	ds_bpermute_b32 v1, v2, v1 offset:124
	v_mbcnt_lo_u32_b32 v2, -1, 0
	s_delay_alu instid0(VALU_DEP_1)
	v_cmpx_eq_u32_e32 0, v2
	s_cbranch_execz .LBB184_619
; %bb.618:
	v_lshrrev_b32_e32 v3, 3, v0
	s_delay_alu instid0(VALU_DEP_1)
	v_and_b32_e32 v3, 12, v3
	s_waitcnt lgkmcnt(0)
	ds_store_b32 v3, v1 offset:48
.LBB184_619:
	s_or_b32 exec_lo, exec_lo, s2
	s_delay_alu instid0(SALU_CYCLE_1)
	s_mov_b32 s2, exec_lo
	s_waitcnt lgkmcnt(0)
	s_barrier
	buffer_gl0_inv
	v_cmpx_gt_u32_e32 32, v0
	s_cbranch_execz .LBB184_621
; %bb.620:
	v_and_b32_e32 v1, 3, v2
	s_delay_alu instid0(VALU_DEP_1) | instskip(SKIP_4) | instid1(VALU_DEP_2)
	v_lshlrev_b32_e32 v3, 2, v1
	v_cmp_ne_u32_e32 vcc_lo, 3, v1
	ds_load_b32 v3, v3 offset:48
	v_add_co_ci_u32_e32 v4, vcc_lo, 0, v2, vcc_lo
	v_cmp_gt_u32_e32 vcc_lo, 2, v1
	v_lshlrev_b32_e32 v4, 2, v4
	v_cndmask_b32_e64 v1, 0, 1, vcc_lo
	s_delay_alu instid0(VALU_DEP_1) | instskip(NEXT) | instid1(VALU_DEP_1)
	v_lshlrev_b32_e32 v1, 1, v1
	v_add_lshl_u32 v1, v1, v2, 2
	s_waitcnt lgkmcnt(0)
	ds_bpermute_b32 v4, v4, v3
	s_waitcnt lgkmcnt(0)
	v_add_nc_u32_e32 v3, v4, v3
	ds_bpermute_b32 v1, v1, v3
	s_waitcnt lgkmcnt(0)
	v_add_nc_u32_e32 v1, v1, v3
.LBB184_621:
	s_or_b32 exec_lo, exec_lo, s2
	s_mov_b32 s2, 0
	s_branch .LBB184_628
.LBB184_622:
                                        ; implicit-def: $vgpr1
	s_cbranch_execnz .LBB184_639
.LBB184_623:
	s_delay_alu instid0(VALU_DEP_1)
	s_and_saveexec_b32 s3, s2
	s_cbranch_execz .LBB184_625
.LBB184_624:
	s_load_b32 s2, s[0:1], 0x28
	s_cmp_lg_u64 s[20:21], 0
	s_cselect_b32 vcc_lo, -1, 0
	s_lshl_b64 s[0:1], s[18:19], 2
	v_dual_cndmask_b32 v0, 0, v1 :: v_dual_mov_b32 v1, 0
	s_add_u32 s0, s22, s0
	s_addc_u32 s1, s23, s1
	s_waitcnt lgkmcnt(0)
	s_delay_alu instid0(VALU_DEP_1)
	v_add_nc_u32_e32 v0, s2, v0
	global_store_b32 v1, v0, s[0:1]
.LBB184_625:
	s_nop 0
	s_sendmsg sendmsg(MSG_DEALLOC_VGPRS)
	s_endpgm
.LBB184_626:
                                        ; implicit-def: $vgpr1
	s_branch .LBB184_623
.LBB184_627:
	s_mov_b32 s2, -1
                                        ; implicit-def: $vgpr1
.LBB184_628:
	s_delay_alu instid0(SALU_CYCLE_1)
	s_and_b32 vcc_lo, exec_lo, s2
	s_cbranch_vccz .LBB184_638
; %bb.629:
	s_sub_i32 s3, s20, s6
	s_mov_b32 s2, exec_lo
                                        ; implicit-def: $vgpr1_vgpr2
	v_cmpx_gt_u32_e64 s3, v0
	s_cbranch_execz .LBB184_631
; %bb.630:
	v_lshlrev_b32_e32 v1, 2, v0
	global_load_b32 v1, v1, s[4:5]
	s_waitcnt vmcnt(0)
	v_cmp_ne_u32_e32 vcc_lo, 0, v1
	v_cndmask_b32_e64 v1, 0, 1, vcc_lo
.LBB184_631:
	s_or_b32 exec_lo, exec_lo, s2
	v_or_b32_e32 v3, 0x80, v0
	s_delay_alu instid0(VALU_DEP_1)
	v_cmp_gt_u32_e32 vcc_lo, s3, v3
	s_and_saveexec_b32 s6, vcc_lo
	s_cbranch_execz .LBB184_633
; %bb.632:
	v_lshlrev_b32_e32 v2, 2, v0
	global_load_b32 v2, v2, s[4:5] offset:512
	s_waitcnt vmcnt(0)
	v_cmp_ne_u32_e64 s2, 0, v2
	s_delay_alu instid0(VALU_DEP_1)
	v_cndmask_b32_e64 v2, 0, 1, s2
.LBB184_633:
	s_or_b32 exec_lo, exec_lo, s6
	v_mbcnt_lo_u32_b32 v3, -1, 0
	s_delay_alu instid0(VALU_DEP_2) | instskip(SKIP_2) | instid1(VALU_DEP_2)
	v_cndmask_b32_e32 v2, 0, v2, vcc_lo
	s_min_u32 s2, s3, 0x80
	s_mov_b32 s3, exec_lo
	v_cmp_ne_u32_e32 vcc_lo, 31, v3
	v_add_nc_u32_e32 v6, 1, v3
	v_add_co_ci_u32_e32 v4, vcc_lo, 0, v3, vcc_lo
	v_cmp_gt_u32_e32 vcc_lo, 30, v3
	v_cndmask_b32_e64 v5, 0, 1, vcc_lo
	s_delay_alu instid0(VALU_DEP_1) | instskip(SKIP_3) | instid1(VALU_DEP_4)
	v_lshlrev_b32_e32 v5, 1, v5
	v_add_nc_u32_e32 v1, v2, v1
	v_lshlrev_b32_e32 v2, 2, v4
	v_and_b32_e32 v4, 0x60, v0
	v_add_lshl_u32 v5, v5, v3, 2
	ds_bpermute_b32 v2, v2, v1
	v_sub_nc_u32_e64 v4, s2, v4 clamp
	s_delay_alu instid0(VALU_DEP_1) | instskip(SKIP_4) | instid1(VALU_DEP_2)
	v_cmp_lt_u32_e32 vcc_lo, v6, v4
	v_add_nc_u32_e32 v6, 2, v3
	s_waitcnt lgkmcnt(0)
	v_cndmask_b32_e32 v2, 0, v2, vcc_lo
	v_cmp_gt_u32_e32 vcc_lo, 28, v3
	v_add_nc_u32_e32 v1, v2, v1
	ds_bpermute_b32 v2, v5, v1
	v_cndmask_b32_e64 v5, 0, 1, vcc_lo
	v_cmp_lt_u32_e32 vcc_lo, v6, v4
	v_add_nc_u32_e32 v6, 4, v3
	s_delay_alu instid0(VALU_DEP_3) | instskip(NEXT) | instid1(VALU_DEP_1)
	v_lshlrev_b32_e32 v5, 2, v5
	v_add_lshl_u32 v5, v5, v3, 2
	s_waitcnt lgkmcnt(0)
	v_cndmask_b32_e32 v2, 0, v2, vcc_lo
	v_cmp_gt_u32_e32 vcc_lo, 24, v3
	s_delay_alu instid0(VALU_DEP_2) | instskip(SKIP_4) | instid1(VALU_DEP_3)
	v_add_nc_u32_e32 v1, v1, v2
	ds_bpermute_b32 v2, v5, v1
	v_cndmask_b32_e64 v5, 0, 1, vcc_lo
	v_cmp_lt_u32_e32 vcc_lo, v6, v4
	v_add_nc_u32_e32 v6, 8, v3
	v_lshlrev_b32_e32 v5, 3, v5
	s_delay_alu instid0(VALU_DEP_1) | instskip(SKIP_3) | instid1(VALU_DEP_2)
	v_add_lshl_u32 v5, v5, v3, 2
	s_waitcnt lgkmcnt(0)
	v_cndmask_b32_e32 v2, 0, v2, vcc_lo
	v_cmp_gt_u32_e32 vcc_lo, 16, v3
	v_add_nc_u32_e32 v1, v1, v2
	ds_bpermute_b32 v2, v5, v1
	v_cndmask_b32_e64 v5, 0, 1, vcc_lo
	v_cmp_lt_u32_e32 vcc_lo, v6, v4
	s_delay_alu instid0(VALU_DEP_2) | instskip(NEXT) | instid1(VALU_DEP_1)
	v_lshlrev_b32_e32 v5, 4, v5
	v_add_lshl_u32 v5, v5, v3, 2
	s_waitcnt lgkmcnt(0)
	v_cndmask_b32_e32 v2, 0, v2, vcc_lo
	s_delay_alu instid0(VALU_DEP_1) | instskip(SKIP_2) | instid1(VALU_DEP_1)
	v_add_nc_u32_e32 v1, v1, v2
	ds_bpermute_b32 v2, v5, v1
	v_add_nc_u32_e32 v5, 16, v3
	v_cmp_lt_u32_e32 vcc_lo, v5, v4
	s_waitcnt lgkmcnt(0)
	v_cndmask_b32_e32 v2, 0, v2, vcc_lo
	s_delay_alu instid0(VALU_DEP_1)
	v_add_nc_u32_e32 v1, v1, v2
	v_cmpx_eq_u32_e32 0, v3
	s_cbranch_execz .LBB184_635
; %bb.634:
	v_lshrrev_b32_e32 v2, 3, v0
	s_delay_alu instid0(VALU_DEP_1)
	v_and_b32_e32 v2, 12, v2
	ds_store_b32 v2, v1 offset:128
.LBB184_635:
	s_or_b32 exec_lo, exec_lo, s3
	s_delay_alu instid0(SALU_CYCLE_1)
	s_mov_b32 s3, exec_lo
	s_waitcnt lgkmcnt(0)
	s_barrier
	buffer_gl0_inv
	v_cmpx_gt_u32_e32 4, v0
	s_cbranch_execz .LBB184_637
; %bb.636:
	v_and_b32_e32 v2, 3, v3
	s_add_i32 s2, s2, 31
	s_delay_alu instid0(SALU_CYCLE_1) | instskip(NEXT) | instid1(VALU_DEP_1)
	s_lshr_b32 s2, s2, 5
	v_cmp_ne_u32_e32 vcc_lo, 3, v2
	v_add_nc_u32_e32 v5, 1, v2
	v_add_co_ci_u32_e32 v4, vcc_lo, 0, v3, vcc_lo
	v_cmp_gt_u32_e32 vcc_lo, 2, v2
	v_add_nc_u32_e32 v2, 2, v2
	s_delay_alu instid0(VALU_DEP_3) | instskip(SKIP_3) | instid1(VALU_DEP_3)
	v_lshlrev_b32_e32 v4, 2, v4
	v_cndmask_b32_e64 v6, 0, 1, vcc_lo
	v_cmp_gt_u32_e32 vcc_lo, s2, v5
	v_lshlrev_b32_e32 v1, 2, v3
	v_lshlrev_b32_e32 v5, 1, v6
	ds_load_b32 v1, v1 offset:128
	v_add_lshl_u32 v3, v5, v3, 2
	s_waitcnt lgkmcnt(0)
	ds_bpermute_b32 v4, v4, v1
	s_waitcnt lgkmcnt(0)
	v_cndmask_b32_e32 v4, 0, v4, vcc_lo
	v_cmp_gt_u32_e32 vcc_lo, s2, v2
	s_delay_alu instid0(VALU_DEP_2) | instskip(SKIP_3) | instid1(VALU_DEP_1)
	v_add_nc_u32_e32 v1, v4, v1
	ds_bpermute_b32 v3, v3, v1
	s_waitcnt lgkmcnt(0)
	v_cndmask_b32_e32 v2, 0, v3, vcc_lo
	v_add_nc_u32_e32 v1, v1, v2
.LBB184_637:
	s_or_b32 exec_lo, exec_lo, s3
.LBB184_638:
	v_cmp_eq_u32_e64 s2, 0, v0
	s_branch .LBB184_623
.LBB184_639:
	s_cmp_eq_u32 s26, 1
	s_cbranch_scc0 .LBB184_647
; %bb.640:
	s_mov_b32 s5, 0
	v_mbcnt_lo_u32_b32 v2, -1, 0
	s_lshr_b64 s[2:3], s[20:21], 7
	s_mov_b32 s19, s5
	s_lshl_b32 s4, s18, 7
	s_cmp_lg_u64 s[2:3], s[18:19]
	s_cbranch_scc0 .LBB184_648
; %bb.641:
	s_lshl_b64 s[2:3], s[4:5], 2
	v_lshlrev_b32_e32 v1, 2, v0
	s_add_u32 s2, s24, s2
	s_addc_u32 s3, s25, s3
	global_load_b32 v1, v1, s[2:3]
	s_waitcnt vmcnt(0)
	v_cmp_ne_u32_e32 vcc_lo, 0, v1
	v_cndmask_b32_e64 v1, 0, 1, vcc_lo
	s_delay_alu instid0(VALU_DEP_1) | instskip(NEXT) | instid1(VALU_DEP_1)
	v_mov_b32_dpp v1, v1 quad_perm:[1,0,3,2] row_mask:0xf bank_mask:0xf
	v_add_co_ci_u32_e64 v3, s2, 0, v1, vcc_lo
	s_mov_b32 s2, exec_lo
	s_delay_alu instid0(VALU_DEP_1) | instskip(NEXT) | instid1(VALU_DEP_1)
	v_mov_b32_dpp v3, v3 quad_perm:[2,3,0,1] row_mask:0xf bank_mask:0xf
	v_add_co_ci_u32_e32 v1, vcc_lo, v3, v1, vcc_lo
	s_delay_alu instid0(VALU_DEP_1) | instskip(NEXT) | instid1(VALU_DEP_1)
	v_mov_b32_dpp v3, v1 row_ror:4 row_mask:0xf bank_mask:0xf
	v_add_nc_u32_e32 v1, v1, v3
	s_delay_alu instid0(VALU_DEP_1) | instskip(NEXT) | instid1(VALU_DEP_1)
	v_mov_b32_dpp v3, v1 row_ror:8 row_mask:0xf bank_mask:0xf
	v_add_nc_u32_e32 v1, v1, v3
	ds_swizzle_b32 v3, v1 offset:swizzle(BROADCAST,32,15)
	s_waitcnt lgkmcnt(0)
	v_add_nc_u32_e32 v1, v1, v3
	v_mov_b32_e32 v3, 0
	ds_bpermute_b32 v1, v3, v1 offset:124
	v_cmpx_eq_u32_e32 0, v2
	s_cbranch_execz .LBB184_643
; %bb.642:
	v_lshrrev_b32_e32 v3, 3, v0
	s_delay_alu instid0(VALU_DEP_1)
	v_and_b32_e32 v3, 12, v3
	s_waitcnt lgkmcnt(0)
	ds_store_b32 v3, v1 offset:32
.LBB184_643:
	s_or_b32 exec_lo, exec_lo, s2
	s_delay_alu instid0(SALU_CYCLE_1)
	s_mov_b32 s2, exec_lo
	s_waitcnt lgkmcnt(0)
	s_barrier
	buffer_gl0_inv
	v_cmpx_gt_u32_e32 32, v0
	s_cbranch_execz .LBB184_645
; %bb.644:
	v_and_b32_e32 v1, 3, v2
	s_delay_alu instid0(VALU_DEP_1) | instskip(SKIP_4) | instid1(VALU_DEP_2)
	v_lshlrev_b32_e32 v3, 2, v1
	v_cmp_ne_u32_e32 vcc_lo, 3, v1
	ds_load_b32 v3, v3 offset:32
	v_add_co_ci_u32_e32 v4, vcc_lo, 0, v2, vcc_lo
	v_cmp_gt_u32_e32 vcc_lo, 2, v1
	v_lshlrev_b32_e32 v4, 2, v4
	v_cndmask_b32_e64 v1, 0, 1, vcc_lo
	s_delay_alu instid0(VALU_DEP_1) | instskip(NEXT) | instid1(VALU_DEP_1)
	v_lshlrev_b32_e32 v1, 1, v1
	v_add_lshl_u32 v1, v1, v2, 2
	s_waitcnt lgkmcnt(0)
	ds_bpermute_b32 v4, v4, v3
	s_waitcnt lgkmcnt(0)
	v_add_nc_u32_e32 v3, v4, v3
	ds_bpermute_b32 v1, v1, v3
	s_waitcnt lgkmcnt(0)
	v_add_nc_u32_e32 v1, v1, v3
.LBB184_645:
	s_or_b32 exec_lo, exec_lo, s2
.LBB184_646:
	v_cmp_eq_u32_e64 s2, 0, v0
	s_delay_alu instid0(VALU_DEP_1)
	s_and_saveexec_b32 s3, s2
	s_cbranch_execnz .LBB184_624
	s_branch .LBB184_625
.LBB184_647:
                                        ; implicit-def: $sgpr18_sgpr19
                                        ; implicit-def: $vgpr1
	s_and_saveexec_b32 s3, s2
	s_cbranch_execz .LBB184_625
	s_branch .LBB184_624
.LBB184_648:
                                        ; implicit-def: $vgpr1
	s_cbranch_execz .LBB184_646
; %bb.649:
	s_sub_i32 s2, s20, s4
	s_mov_b32 s3, exec_lo
                                        ; implicit-def: $vgpr1
	v_cmpx_gt_u32_e64 s2, v0
	s_cbranch_execz .LBB184_651
; %bb.650:
	s_lshl_b64 s[4:5], s[4:5], 2
	v_lshlrev_b32_e32 v1, 2, v0
	s_add_u32 s4, s24, s4
	s_addc_u32 s5, s25, s5
	global_load_b32 v1, v1, s[4:5]
	s_waitcnt vmcnt(0)
	v_cmp_ne_u32_e32 vcc_lo, 0, v1
	v_cndmask_b32_e64 v1, 0, 1, vcc_lo
.LBB184_651:
	s_or_b32 exec_lo, exec_lo, s3
	v_cmp_ne_u32_e32 vcc_lo, 31, v2
	s_min_u32 s2, s2, 0x80
	v_add_nc_u32_e32 v5, 1, v2
	s_mov_b32 s3, exec_lo
	v_add_co_ci_u32_e32 v3, vcc_lo, 0, v2, vcc_lo
	v_cmp_gt_u32_e32 vcc_lo, 30, v2
	s_delay_alu instid0(VALU_DEP_2) | instskip(SKIP_4) | instid1(VALU_DEP_2)
	v_lshlrev_b32_e32 v3, 2, v3
	v_cndmask_b32_e64 v6, 0, 1, vcc_lo
	ds_bpermute_b32 v3, v3, v1
	v_and_b32_e32 v4, 0x60, v0
	v_lshlrev_b32_e32 v6, 1, v6
	v_sub_nc_u32_e64 v4, s2, v4 clamp
	s_delay_alu instid0(VALU_DEP_1) | instskip(NEXT) | instid1(VALU_DEP_3)
	v_cmp_lt_u32_e32 vcc_lo, v5, v4
	v_add_lshl_u32 v5, v6, v2, 2
	s_waitcnt lgkmcnt(0)
	v_dual_cndmask_b32 v3, 0, v3 :: v_dual_add_nc_u32 v6, 2, v2
	v_cmp_gt_u32_e32 vcc_lo, 28, v2
	s_delay_alu instid0(VALU_DEP_2) | instskip(SKIP_4) | instid1(VALU_DEP_3)
	v_add_nc_u32_e32 v1, v3, v1
	ds_bpermute_b32 v3, v5, v1
	v_cndmask_b32_e64 v5, 0, 1, vcc_lo
	v_cmp_lt_u32_e32 vcc_lo, v6, v4
	v_add_nc_u32_e32 v6, 4, v2
	v_lshlrev_b32_e32 v5, 2, v5
	s_delay_alu instid0(VALU_DEP_1) | instskip(SKIP_3) | instid1(VALU_DEP_2)
	v_add_lshl_u32 v5, v5, v2, 2
	s_waitcnt lgkmcnt(0)
	v_cndmask_b32_e32 v3, 0, v3, vcc_lo
	v_cmp_gt_u32_e32 vcc_lo, 24, v2
	v_add_nc_u32_e32 v1, v1, v3
	ds_bpermute_b32 v3, v5, v1
	v_cndmask_b32_e64 v5, 0, 1, vcc_lo
	v_cmp_lt_u32_e32 vcc_lo, v6, v4
	v_add_nc_u32_e32 v6, 8, v2
	s_delay_alu instid0(VALU_DEP_3) | instskip(NEXT) | instid1(VALU_DEP_1)
	v_lshlrev_b32_e32 v5, 3, v5
	v_add_lshl_u32 v5, v5, v2, 2
	s_waitcnt lgkmcnt(0)
	v_cndmask_b32_e32 v3, 0, v3, vcc_lo
	v_cmp_gt_u32_e32 vcc_lo, 16, v2
	s_delay_alu instid0(VALU_DEP_2) | instskip(SKIP_3) | instid1(VALU_DEP_2)
	v_add_nc_u32_e32 v1, v1, v3
	ds_bpermute_b32 v3, v5, v1
	v_cndmask_b32_e64 v5, 0, 1, vcc_lo
	v_cmp_lt_u32_e32 vcc_lo, v6, v4
	v_lshlrev_b32_e32 v5, 4, v5
	s_delay_alu instid0(VALU_DEP_1) | instskip(SKIP_2) | instid1(VALU_DEP_1)
	v_add_lshl_u32 v5, v5, v2, 2
	s_waitcnt lgkmcnt(0)
	v_cndmask_b32_e32 v3, 0, v3, vcc_lo
	v_add_nc_u32_e32 v1, v1, v3
	ds_bpermute_b32 v3, v5, v1
	v_add_nc_u32_e32 v5, 16, v2
	s_delay_alu instid0(VALU_DEP_1) | instskip(SKIP_2) | instid1(VALU_DEP_1)
	v_cmp_lt_u32_e32 vcc_lo, v5, v4
	s_waitcnt lgkmcnt(0)
	v_cndmask_b32_e32 v3, 0, v3, vcc_lo
	v_add_nc_u32_e32 v1, v1, v3
	v_cmpx_eq_u32_e32 0, v2
	s_cbranch_execz .LBB184_653
; %bb.652:
	v_lshrrev_b32_e32 v3, 3, v0
	s_delay_alu instid0(VALU_DEP_1)
	v_and_b32_e32 v3, 12, v3
	ds_store_b32 v3, v1 offset:128
.LBB184_653:
	s_or_b32 exec_lo, exec_lo, s3
	s_delay_alu instid0(SALU_CYCLE_1)
	s_mov_b32 s3, exec_lo
	s_waitcnt lgkmcnt(0)
	s_barrier
	buffer_gl0_inv
	v_cmpx_gt_u32_e32 4, v0
	s_cbranch_execz .LBB184_655
; %bb.654:
	v_and_b32_e32 v3, 3, v2
	s_add_i32 s2, s2, 31
	s_delay_alu instid0(SALU_CYCLE_1) | instskip(NEXT) | instid1(VALU_DEP_1)
	s_lshr_b32 s2, s2, 5
	v_cmp_ne_u32_e32 vcc_lo, 3, v3
	v_add_nc_u32_e32 v5, 1, v3
	v_add_co_ci_u32_e32 v4, vcc_lo, 0, v2, vcc_lo
	v_cmp_gt_u32_e32 vcc_lo, 2, v3
	v_add_nc_u32_e32 v3, 2, v3
	s_delay_alu instid0(VALU_DEP_3) | instskip(SKIP_3) | instid1(VALU_DEP_3)
	v_lshlrev_b32_e32 v4, 2, v4
	v_cndmask_b32_e64 v6, 0, 1, vcc_lo
	v_cmp_gt_u32_e32 vcc_lo, s2, v5
	v_lshlrev_b32_e32 v1, 2, v2
	v_lshlrev_b32_e32 v5, 1, v6
	ds_load_b32 v1, v1 offset:128
	v_add_lshl_u32 v2, v5, v2, 2
	s_waitcnt lgkmcnt(0)
	ds_bpermute_b32 v4, v4, v1
	s_waitcnt lgkmcnt(0)
	v_cndmask_b32_e32 v4, 0, v4, vcc_lo
	v_cmp_gt_u32_e32 vcc_lo, s2, v3
	s_delay_alu instid0(VALU_DEP_2) | instskip(SKIP_3) | instid1(VALU_DEP_1)
	v_add_nc_u32_e32 v1, v4, v1
	ds_bpermute_b32 v2, v2, v1
	s_waitcnt lgkmcnt(0)
	v_cndmask_b32_e32 v2, 0, v2, vcc_lo
	v_add_nc_u32_e32 v1, v1, v2
.LBB184_655:
	s_or_b32 exec_lo, exec_lo, s3
	v_cmp_eq_u32_e64 s2, 0, v0
	s_delay_alu instid0(VALU_DEP_1)
	s_and_saveexec_b32 s3, s2
	s_cbranch_execnz .LBB184_624
	s_branch .LBB184_625
	.section	.rodata,"a",@progbits
	.p2align	6, 0x0
	.amdhsa_kernel _ZN7rocprim17ROCPRIM_400000_NS6detail17trampoline_kernelINS0_14default_configENS1_22reduce_config_selectorIbEEZNS1_11reduce_implILb1ES3_N6hipcub16HIPCUB_304000_NS22TransformInputIteratorIbN2at6native12_GLOBAL__N_19NonZeroOpIiEEPKilEEPiiNS8_6detail34convert_binary_result_type_wrapperINS8_3SumESH_iEEEE10hipError_tPvRmT1_T2_T3_mT4_P12ihipStream_tbEUlT_E1_NS1_11comp_targetILNS1_3genE9ELNS1_11target_archE1100ELNS1_3gpuE3ELNS1_3repE0EEENS1_30default_config_static_selectorELNS0_4arch9wavefront6targetE0EEEvSQ_
		.amdhsa_group_segment_fixed_size 144
		.amdhsa_private_segment_fixed_size 0
		.amdhsa_kernarg_size 48
		.amdhsa_user_sgpr_count 15
		.amdhsa_user_sgpr_dispatch_ptr 0
		.amdhsa_user_sgpr_queue_ptr 0
		.amdhsa_user_sgpr_kernarg_segment_ptr 1
		.amdhsa_user_sgpr_dispatch_id 0
		.amdhsa_user_sgpr_private_segment_size 0
		.amdhsa_wavefront_size32 1
		.amdhsa_uses_dynamic_stack 0
		.amdhsa_enable_private_segment 0
		.amdhsa_system_sgpr_workgroup_id_x 1
		.amdhsa_system_sgpr_workgroup_id_y 0
		.amdhsa_system_sgpr_workgroup_id_z 0
		.amdhsa_system_sgpr_workgroup_info 0
		.amdhsa_system_vgpr_workitem_id 0
		.amdhsa_next_free_vgpr 130
		.amdhsa_next_free_sgpr 29
		.amdhsa_reserve_vcc 1
		.amdhsa_float_round_mode_32 0
		.amdhsa_float_round_mode_16_64 0
		.amdhsa_float_denorm_mode_32 3
		.amdhsa_float_denorm_mode_16_64 3
		.amdhsa_dx10_clamp 1
		.amdhsa_ieee_mode 1
		.amdhsa_fp16_overflow 0
		.amdhsa_workgroup_processor_mode 1
		.amdhsa_memory_ordered 1
		.amdhsa_forward_progress 0
		.amdhsa_shared_vgpr_count 0
		.amdhsa_exception_fp_ieee_invalid_op 0
		.amdhsa_exception_fp_denorm_src 0
		.amdhsa_exception_fp_ieee_div_zero 0
		.amdhsa_exception_fp_ieee_overflow 0
		.amdhsa_exception_fp_ieee_underflow 0
		.amdhsa_exception_fp_ieee_inexact 0
		.amdhsa_exception_int_div_zero 0
	.end_amdhsa_kernel
	.section	.text._ZN7rocprim17ROCPRIM_400000_NS6detail17trampoline_kernelINS0_14default_configENS1_22reduce_config_selectorIbEEZNS1_11reduce_implILb1ES3_N6hipcub16HIPCUB_304000_NS22TransformInputIteratorIbN2at6native12_GLOBAL__N_19NonZeroOpIiEEPKilEEPiiNS8_6detail34convert_binary_result_type_wrapperINS8_3SumESH_iEEEE10hipError_tPvRmT1_T2_T3_mT4_P12ihipStream_tbEUlT_E1_NS1_11comp_targetILNS1_3genE9ELNS1_11target_archE1100ELNS1_3gpuE3ELNS1_3repE0EEENS1_30default_config_static_selectorELNS0_4arch9wavefront6targetE0EEEvSQ_,"axG",@progbits,_ZN7rocprim17ROCPRIM_400000_NS6detail17trampoline_kernelINS0_14default_configENS1_22reduce_config_selectorIbEEZNS1_11reduce_implILb1ES3_N6hipcub16HIPCUB_304000_NS22TransformInputIteratorIbN2at6native12_GLOBAL__N_19NonZeroOpIiEEPKilEEPiiNS8_6detail34convert_binary_result_type_wrapperINS8_3SumESH_iEEEE10hipError_tPvRmT1_T2_T3_mT4_P12ihipStream_tbEUlT_E1_NS1_11comp_targetILNS1_3genE9ELNS1_11target_archE1100ELNS1_3gpuE3ELNS1_3repE0EEENS1_30default_config_static_selectorELNS0_4arch9wavefront6targetE0EEEvSQ_,comdat
.Lfunc_end184:
	.size	_ZN7rocprim17ROCPRIM_400000_NS6detail17trampoline_kernelINS0_14default_configENS1_22reduce_config_selectorIbEEZNS1_11reduce_implILb1ES3_N6hipcub16HIPCUB_304000_NS22TransformInputIteratorIbN2at6native12_GLOBAL__N_19NonZeroOpIiEEPKilEEPiiNS8_6detail34convert_binary_result_type_wrapperINS8_3SumESH_iEEEE10hipError_tPvRmT1_T2_T3_mT4_P12ihipStream_tbEUlT_E1_NS1_11comp_targetILNS1_3genE9ELNS1_11target_archE1100ELNS1_3gpuE3ELNS1_3repE0EEENS1_30default_config_static_selectorELNS0_4arch9wavefront6targetE0EEEvSQ_, .Lfunc_end184-_ZN7rocprim17ROCPRIM_400000_NS6detail17trampoline_kernelINS0_14default_configENS1_22reduce_config_selectorIbEEZNS1_11reduce_implILb1ES3_N6hipcub16HIPCUB_304000_NS22TransformInputIteratorIbN2at6native12_GLOBAL__N_19NonZeroOpIiEEPKilEEPiiNS8_6detail34convert_binary_result_type_wrapperINS8_3SumESH_iEEEE10hipError_tPvRmT1_T2_T3_mT4_P12ihipStream_tbEUlT_E1_NS1_11comp_targetILNS1_3genE9ELNS1_11target_archE1100ELNS1_3gpuE3ELNS1_3repE0EEENS1_30default_config_static_selectorELNS0_4arch9wavefront6targetE0EEEvSQ_
                                        ; -- End function
	.section	.AMDGPU.csdata,"",@progbits
; Kernel info:
; codeLenInByte = 31192
; NumSgprs: 31
; NumVgprs: 130
; ScratchSize: 0
; MemoryBound: 0
; FloatMode: 240
; IeeeMode: 1
; LDSByteSize: 144 bytes/workgroup (compile time only)
; SGPRBlocks: 3
; VGPRBlocks: 16
; NumSGPRsForWavesPerEU: 31
; NumVGPRsForWavesPerEU: 130
; Occupancy: 10
; WaveLimiterHint : 1
; COMPUTE_PGM_RSRC2:SCRATCH_EN: 0
; COMPUTE_PGM_RSRC2:USER_SGPR: 15
; COMPUTE_PGM_RSRC2:TRAP_HANDLER: 0
; COMPUTE_PGM_RSRC2:TGID_X_EN: 1
; COMPUTE_PGM_RSRC2:TGID_Y_EN: 0
; COMPUTE_PGM_RSRC2:TGID_Z_EN: 0
; COMPUTE_PGM_RSRC2:TIDIG_COMP_CNT: 0
	.section	.text._ZN7rocprim17ROCPRIM_400000_NS6detail17trampoline_kernelINS0_14default_configENS1_22reduce_config_selectorIbEEZNS1_11reduce_implILb1ES3_N6hipcub16HIPCUB_304000_NS22TransformInputIteratorIbN2at6native12_GLOBAL__N_19NonZeroOpIiEEPKilEEPiiNS8_6detail34convert_binary_result_type_wrapperINS8_3SumESH_iEEEE10hipError_tPvRmT1_T2_T3_mT4_P12ihipStream_tbEUlT_E1_NS1_11comp_targetILNS1_3genE8ELNS1_11target_archE1030ELNS1_3gpuE2ELNS1_3repE0EEENS1_30default_config_static_selectorELNS0_4arch9wavefront6targetE0EEEvSQ_,"axG",@progbits,_ZN7rocprim17ROCPRIM_400000_NS6detail17trampoline_kernelINS0_14default_configENS1_22reduce_config_selectorIbEEZNS1_11reduce_implILb1ES3_N6hipcub16HIPCUB_304000_NS22TransformInputIteratorIbN2at6native12_GLOBAL__N_19NonZeroOpIiEEPKilEEPiiNS8_6detail34convert_binary_result_type_wrapperINS8_3SumESH_iEEEE10hipError_tPvRmT1_T2_T3_mT4_P12ihipStream_tbEUlT_E1_NS1_11comp_targetILNS1_3genE8ELNS1_11target_archE1030ELNS1_3gpuE2ELNS1_3repE0EEENS1_30default_config_static_selectorELNS0_4arch9wavefront6targetE0EEEvSQ_,comdat
	.globl	_ZN7rocprim17ROCPRIM_400000_NS6detail17trampoline_kernelINS0_14default_configENS1_22reduce_config_selectorIbEEZNS1_11reduce_implILb1ES3_N6hipcub16HIPCUB_304000_NS22TransformInputIteratorIbN2at6native12_GLOBAL__N_19NonZeroOpIiEEPKilEEPiiNS8_6detail34convert_binary_result_type_wrapperINS8_3SumESH_iEEEE10hipError_tPvRmT1_T2_T3_mT4_P12ihipStream_tbEUlT_E1_NS1_11comp_targetILNS1_3genE8ELNS1_11target_archE1030ELNS1_3gpuE2ELNS1_3repE0EEENS1_30default_config_static_selectorELNS0_4arch9wavefront6targetE0EEEvSQ_ ; -- Begin function _ZN7rocprim17ROCPRIM_400000_NS6detail17trampoline_kernelINS0_14default_configENS1_22reduce_config_selectorIbEEZNS1_11reduce_implILb1ES3_N6hipcub16HIPCUB_304000_NS22TransformInputIteratorIbN2at6native12_GLOBAL__N_19NonZeroOpIiEEPKilEEPiiNS8_6detail34convert_binary_result_type_wrapperINS8_3SumESH_iEEEE10hipError_tPvRmT1_T2_T3_mT4_P12ihipStream_tbEUlT_E1_NS1_11comp_targetILNS1_3genE8ELNS1_11target_archE1030ELNS1_3gpuE2ELNS1_3repE0EEENS1_30default_config_static_selectorELNS0_4arch9wavefront6targetE0EEEvSQ_
	.p2align	8
	.type	_ZN7rocprim17ROCPRIM_400000_NS6detail17trampoline_kernelINS0_14default_configENS1_22reduce_config_selectorIbEEZNS1_11reduce_implILb1ES3_N6hipcub16HIPCUB_304000_NS22TransformInputIteratorIbN2at6native12_GLOBAL__N_19NonZeroOpIiEEPKilEEPiiNS8_6detail34convert_binary_result_type_wrapperINS8_3SumESH_iEEEE10hipError_tPvRmT1_T2_T3_mT4_P12ihipStream_tbEUlT_E1_NS1_11comp_targetILNS1_3genE8ELNS1_11target_archE1030ELNS1_3gpuE2ELNS1_3repE0EEENS1_30default_config_static_selectorELNS0_4arch9wavefront6targetE0EEEvSQ_,@function
_ZN7rocprim17ROCPRIM_400000_NS6detail17trampoline_kernelINS0_14default_configENS1_22reduce_config_selectorIbEEZNS1_11reduce_implILb1ES3_N6hipcub16HIPCUB_304000_NS22TransformInputIteratorIbN2at6native12_GLOBAL__N_19NonZeroOpIiEEPKilEEPiiNS8_6detail34convert_binary_result_type_wrapperINS8_3SumESH_iEEEE10hipError_tPvRmT1_T2_T3_mT4_P12ihipStream_tbEUlT_E1_NS1_11comp_targetILNS1_3genE8ELNS1_11target_archE1030ELNS1_3gpuE2ELNS1_3repE0EEENS1_30default_config_static_selectorELNS0_4arch9wavefront6targetE0EEEvSQ_: ; @_ZN7rocprim17ROCPRIM_400000_NS6detail17trampoline_kernelINS0_14default_configENS1_22reduce_config_selectorIbEEZNS1_11reduce_implILb1ES3_N6hipcub16HIPCUB_304000_NS22TransformInputIteratorIbN2at6native12_GLOBAL__N_19NonZeroOpIiEEPKilEEPiiNS8_6detail34convert_binary_result_type_wrapperINS8_3SumESH_iEEEE10hipError_tPvRmT1_T2_T3_mT4_P12ihipStream_tbEUlT_E1_NS1_11comp_targetILNS1_3genE8ELNS1_11target_archE1030ELNS1_3gpuE2ELNS1_3repE0EEENS1_30default_config_static_selectorELNS0_4arch9wavefront6targetE0EEEvSQ_
; %bb.0:
	.section	.rodata,"a",@progbits
	.p2align	6, 0x0
	.amdhsa_kernel _ZN7rocprim17ROCPRIM_400000_NS6detail17trampoline_kernelINS0_14default_configENS1_22reduce_config_selectorIbEEZNS1_11reduce_implILb1ES3_N6hipcub16HIPCUB_304000_NS22TransformInputIteratorIbN2at6native12_GLOBAL__N_19NonZeroOpIiEEPKilEEPiiNS8_6detail34convert_binary_result_type_wrapperINS8_3SumESH_iEEEE10hipError_tPvRmT1_T2_T3_mT4_P12ihipStream_tbEUlT_E1_NS1_11comp_targetILNS1_3genE8ELNS1_11target_archE1030ELNS1_3gpuE2ELNS1_3repE0EEENS1_30default_config_static_selectorELNS0_4arch9wavefront6targetE0EEEvSQ_
		.amdhsa_group_segment_fixed_size 0
		.amdhsa_private_segment_fixed_size 0
		.amdhsa_kernarg_size 48
		.amdhsa_user_sgpr_count 15
		.amdhsa_user_sgpr_dispatch_ptr 0
		.amdhsa_user_sgpr_queue_ptr 0
		.amdhsa_user_sgpr_kernarg_segment_ptr 1
		.amdhsa_user_sgpr_dispatch_id 0
		.amdhsa_user_sgpr_private_segment_size 0
		.amdhsa_wavefront_size32 1
		.amdhsa_uses_dynamic_stack 0
		.amdhsa_enable_private_segment 0
		.amdhsa_system_sgpr_workgroup_id_x 1
		.amdhsa_system_sgpr_workgroup_id_y 0
		.amdhsa_system_sgpr_workgroup_id_z 0
		.amdhsa_system_sgpr_workgroup_info 0
		.amdhsa_system_vgpr_workitem_id 0
		.amdhsa_next_free_vgpr 1
		.amdhsa_next_free_sgpr 1
		.amdhsa_reserve_vcc 0
		.amdhsa_float_round_mode_32 0
		.amdhsa_float_round_mode_16_64 0
		.amdhsa_float_denorm_mode_32 3
		.amdhsa_float_denorm_mode_16_64 3
		.amdhsa_dx10_clamp 1
		.amdhsa_ieee_mode 1
		.amdhsa_fp16_overflow 0
		.amdhsa_workgroup_processor_mode 1
		.amdhsa_memory_ordered 1
		.amdhsa_forward_progress 0
		.amdhsa_shared_vgpr_count 0
		.amdhsa_exception_fp_ieee_invalid_op 0
		.amdhsa_exception_fp_denorm_src 0
		.amdhsa_exception_fp_ieee_div_zero 0
		.amdhsa_exception_fp_ieee_overflow 0
		.amdhsa_exception_fp_ieee_underflow 0
		.amdhsa_exception_fp_ieee_inexact 0
		.amdhsa_exception_int_div_zero 0
	.end_amdhsa_kernel
	.section	.text._ZN7rocprim17ROCPRIM_400000_NS6detail17trampoline_kernelINS0_14default_configENS1_22reduce_config_selectorIbEEZNS1_11reduce_implILb1ES3_N6hipcub16HIPCUB_304000_NS22TransformInputIteratorIbN2at6native12_GLOBAL__N_19NonZeroOpIiEEPKilEEPiiNS8_6detail34convert_binary_result_type_wrapperINS8_3SumESH_iEEEE10hipError_tPvRmT1_T2_T3_mT4_P12ihipStream_tbEUlT_E1_NS1_11comp_targetILNS1_3genE8ELNS1_11target_archE1030ELNS1_3gpuE2ELNS1_3repE0EEENS1_30default_config_static_selectorELNS0_4arch9wavefront6targetE0EEEvSQ_,"axG",@progbits,_ZN7rocprim17ROCPRIM_400000_NS6detail17trampoline_kernelINS0_14default_configENS1_22reduce_config_selectorIbEEZNS1_11reduce_implILb1ES3_N6hipcub16HIPCUB_304000_NS22TransformInputIteratorIbN2at6native12_GLOBAL__N_19NonZeroOpIiEEPKilEEPiiNS8_6detail34convert_binary_result_type_wrapperINS8_3SumESH_iEEEE10hipError_tPvRmT1_T2_T3_mT4_P12ihipStream_tbEUlT_E1_NS1_11comp_targetILNS1_3genE8ELNS1_11target_archE1030ELNS1_3gpuE2ELNS1_3repE0EEENS1_30default_config_static_selectorELNS0_4arch9wavefront6targetE0EEEvSQ_,comdat
.Lfunc_end185:
	.size	_ZN7rocprim17ROCPRIM_400000_NS6detail17trampoline_kernelINS0_14default_configENS1_22reduce_config_selectorIbEEZNS1_11reduce_implILb1ES3_N6hipcub16HIPCUB_304000_NS22TransformInputIteratorIbN2at6native12_GLOBAL__N_19NonZeroOpIiEEPKilEEPiiNS8_6detail34convert_binary_result_type_wrapperINS8_3SumESH_iEEEE10hipError_tPvRmT1_T2_T3_mT4_P12ihipStream_tbEUlT_E1_NS1_11comp_targetILNS1_3genE8ELNS1_11target_archE1030ELNS1_3gpuE2ELNS1_3repE0EEENS1_30default_config_static_selectorELNS0_4arch9wavefront6targetE0EEEvSQ_, .Lfunc_end185-_ZN7rocprim17ROCPRIM_400000_NS6detail17trampoline_kernelINS0_14default_configENS1_22reduce_config_selectorIbEEZNS1_11reduce_implILb1ES3_N6hipcub16HIPCUB_304000_NS22TransformInputIteratorIbN2at6native12_GLOBAL__N_19NonZeroOpIiEEPKilEEPiiNS8_6detail34convert_binary_result_type_wrapperINS8_3SumESH_iEEEE10hipError_tPvRmT1_T2_T3_mT4_P12ihipStream_tbEUlT_E1_NS1_11comp_targetILNS1_3genE8ELNS1_11target_archE1030ELNS1_3gpuE2ELNS1_3repE0EEENS1_30default_config_static_selectorELNS0_4arch9wavefront6targetE0EEEvSQ_
                                        ; -- End function
	.section	.AMDGPU.csdata,"",@progbits
; Kernel info:
; codeLenInByte = 0
; NumSgprs: 0
; NumVgprs: 0
; ScratchSize: 0
; MemoryBound: 0
; FloatMode: 240
; IeeeMode: 1
; LDSByteSize: 0 bytes/workgroup (compile time only)
; SGPRBlocks: 0
; VGPRBlocks: 0
; NumSGPRsForWavesPerEU: 1
; NumVGPRsForWavesPerEU: 1
; Occupancy: 16
; WaveLimiterHint : 0
; COMPUTE_PGM_RSRC2:SCRATCH_EN: 0
; COMPUTE_PGM_RSRC2:USER_SGPR: 15
; COMPUTE_PGM_RSRC2:TRAP_HANDLER: 0
; COMPUTE_PGM_RSRC2:TGID_X_EN: 1
; COMPUTE_PGM_RSRC2:TGID_Y_EN: 0
; COMPUTE_PGM_RSRC2:TGID_Z_EN: 0
; COMPUTE_PGM_RSRC2:TIDIG_COMP_CNT: 0
	.section	.text._ZN7rocprim17ROCPRIM_400000_NS6detail17trampoline_kernelINS0_14default_configENS1_25partition_config_selectorILNS1_17partition_subalgoE5ElNS0_10empty_typeEbEEZZNS1_14partition_implILS5_5ELb0ES3_mN6hipcub16HIPCUB_304000_NS21CountingInputIteratorIllEEPS6_NSA_22TransformInputIteratorIbN2at6native12_GLOBAL__N_19NonZeroOpIiEEPKilEENS0_5tupleIJPlS6_EEENSN_IJSD_SD_EEES6_PiJS6_EEE10hipError_tPvRmT3_T4_T5_T6_T7_T9_mT8_P12ihipStream_tbDpT10_ENKUlT_T0_E_clISt17integral_constantIbLb0EES1B_EEDaS16_S17_EUlS16_E_NS1_11comp_targetILNS1_3genE0ELNS1_11target_archE4294967295ELNS1_3gpuE0ELNS1_3repE0EEENS1_30default_config_static_selectorELNS0_4arch9wavefront6targetE0EEEvT1_,"axG",@progbits,_ZN7rocprim17ROCPRIM_400000_NS6detail17trampoline_kernelINS0_14default_configENS1_25partition_config_selectorILNS1_17partition_subalgoE5ElNS0_10empty_typeEbEEZZNS1_14partition_implILS5_5ELb0ES3_mN6hipcub16HIPCUB_304000_NS21CountingInputIteratorIllEEPS6_NSA_22TransformInputIteratorIbN2at6native12_GLOBAL__N_19NonZeroOpIiEEPKilEENS0_5tupleIJPlS6_EEENSN_IJSD_SD_EEES6_PiJS6_EEE10hipError_tPvRmT3_T4_T5_T6_T7_T9_mT8_P12ihipStream_tbDpT10_ENKUlT_T0_E_clISt17integral_constantIbLb0EES1B_EEDaS16_S17_EUlS16_E_NS1_11comp_targetILNS1_3genE0ELNS1_11target_archE4294967295ELNS1_3gpuE0ELNS1_3repE0EEENS1_30default_config_static_selectorELNS0_4arch9wavefront6targetE0EEEvT1_,comdat
	.globl	_ZN7rocprim17ROCPRIM_400000_NS6detail17trampoline_kernelINS0_14default_configENS1_25partition_config_selectorILNS1_17partition_subalgoE5ElNS0_10empty_typeEbEEZZNS1_14partition_implILS5_5ELb0ES3_mN6hipcub16HIPCUB_304000_NS21CountingInputIteratorIllEEPS6_NSA_22TransformInputIteratorIbN2at6native12_GLOBAL__N_19NonZeroOpIiEEPKilEENS0_5tupleIJPlS6_EEENSN_IJSD_SD_EEES6_PiJS6_EEE10hipError_tPvRmT3_T4_T5_T6_T7_T9_mT8_P12ihipStream_tbDpT10_ENKUlT_T0_E_clISt17integral_constantIbLb0EES1B_EEDaS16_S17_EUlS16_E_NS1_11comp_targetILNS1_3genE0ELNS1_11target_archE4294967295ELNS1_3gpuE0ELNS1_3repE0EEENS1_30default_config_static_selectorELNS0_4arch9wavefront6targetE0EEEvT1_ ; -- Begin function _ZN7rocprim17ROCPRIM_400000_NS6detail17trampoline_kernelINS0_14default_configENS1_25partition_config_selectorILNS1_17partition_subalgoE5ElNS0_10empty_typeEbEEZZNS1_14partition_implILS5_5ELb0ES3_mN6hipcub16HIPCUB_304000_NS21CountingInputIteratorIllEEPS6_NSA_22TransformInputIteratorIbN2at6native12_GLOBAL__N_19NonZeroOpIiEEPKilEENS0_5tupleIJPlS6_EEENSN_IJSD_SD_EEES6_PiJS6_EEE10hipError_tPvRmT3_T4_T5_T6_T7_T9_mT8_P12ihipStream_tbDpT10_ENKUlT_T0_E_clISt17integral_constantIbLb0EES1B_EEDaS16_S17_EUlS16_E_NS1_11comp_targetILNS1_3genE0ELNS1_11target_archE4294967295ELNS1_3gpuE0ELNS1_3repE0EEENS1_30default_config_static_selectorELNS0_4arch9wavefront6targetE0EEEvT1_
	.p2align	8
	.type	_ZN7rocprim17ROCPRIM_400000_NS6detail17trampoline_kernelINS0_14default_configENS1_25partition_config_selectorILNS1_17partition_subalgoE5ElNS0_10empty_typeEbEEZZNS1_14partition_implILS5_5ELb0ES3_mN6hipcub16HIPCUB_304000_NS21CountingInputIteratorIllEEPS6_NSA_22TransformInputIteratorIbN2at6native12_GLOBAL__N_19NonZeroOpIiEEPKilEENS0_5tupleIJPlS6_EEENSN_IJSD_SD_EEES6_PiJS6_EEE10hipError_tPvRmT3_T4_T5_T6_T7_T9_mT8_P12ihipStream_tbDpT10_ENKUlT_T0_E_clISt17integral_constantIbLb0EES1B_EEDaS16_S17_EUlS16_E_NS1_11comp_targetILNS1_3genE0ELNS1_11target_archE4294967295ELNS1_3gpuE0ELNS1_3repE0EEENS1_30default_config_static_selectorELNS0_4arch9wavefront6targetE0EEEvT1_,@function
_ZN7rocprim17ROCPRIM_400000_NS6detail17trampoline_kernelINS0_14default_configENS1_25partition_config_selectorILNS1_17partition_subalgoE5ElNS0_10empty_typeEbEEZZNS1_14partition_implILS5_5ELb0ES3_mN6hipcub16HIPCUB_304000_NS21CountingInputIteratorIllEEPS6_NSA_22TransformInputIteratorIbN2at6native12_GLOBAL__N_19NonZeroOpIiEEPKilEENS0_5tupleIJPlS6_EEENSN_IJSD_SD_EEES6_PiJS6_EEE10hipError_tPvRmT3_T4_T5_T6_T7_T9_mT8_P12ihipStream_tbDpT10_ENKUlT_T0_E_clISt17integral_constantIbLb0EES1B_EEDaS16_S17_EUlS16_E_NS1_11comp_targetILNS1_3genE0ELNS1_11target_archE4294967295ELNS1_3gpuE0ELNS1_3repE0EEENS1_30default_config_static_selectorELNS0_4arch9wavefront6targetE0EEEvT1_: ; @_ZN7rocprim17ROCPRIM_400000_NS6detail17trampoline_kernelINS0_14default_configENS1_25partition_config_selectorILNS1_17partition_subalgoE5ElNS0_10empty_typeEbEEZZNS1_14partition_implILS5_5ELb0ES3_mN6hipcub16HIPCUB_304000_NS21CountingInputIteratorIllEEPS6_NSA_22TransformInputIteratorIbN2at6native12_GLOBAL__N_19NonZeroOpIiEEPKilEENS0_5tupleIJPlS6_EEENSN_IJSD_SD_EEES6_PiJS6_EEE10hipError_tPvRmT3_T4_T5_T6_T7_T9_mT8_P12ihipStream_tbDpT10_ENKUlT_T0_E_clISt17integral_constantIbLb0EES1B_EEDaS16_S17_EUlS16_E_NS1_11comp_targetILNS1_3genE0ELNS1_11target_archE4294967295ELNS1_3gpuE0ELNS1_3repE0EEENS1_30default_config_static_selectorELNS0_4arch9wavefront6targetE0EEEvT1_
; %bb.0:
	.section	.rodata,"a",@progbits
	.p2align	6, 0x0
	.amdhsa_kernel _ZN7rocprim17ROCPRIM_400000_NS6detail17trampoline_kernelINS0_14default_configENS1_25partition_config_selectorILNS1_17partition_subalgoE5ElNS0_10empty_typeEbEEZZNS1_14partition_implILS5_5ELb0ES3_mN6hipcub16HIPCUB_304000_NS21CountingInputIteratorIllEEPS6_NSA_22TransformInputIteratorIbN2at6native12_GLOBAL__N_19NonZeroOpIiEEPKilEENS0_5tupleIJPlS6_EEENSN_IJSD_SD_EEES6_PiJS6_EEE10hipError_tPvRmT3_T4_T5_T6_T7_T9_mT8_P12ihipStream_tbDpT10_ENKUlT_T0_E_clISt17integral_constantIbLb0EES1B_EEDaS16_S17_EUlS16_E_NS1_11comp_targetILNS1_3genE0ELNS1_11target_archE4294967295ELNS1_3gpuE0ELNS1_3repE0EEENS1_30default_config_static_selectorELNS0_4arch9wavefront6targetE0EEEvT1_
		.amdhsa_group_segment_fixed_size 0
		.amdhsa_private_segment_fixed_size 0
		.amdhsa_kernarg_size 120
		.amdhsa_user_sgpr_count 15
		.amdhsa_user_sgpr_dispatch_ptr 0
		.amdhsa_user_sgpr_queue_ptr 0
		.amdhsa_user_sgpr_kernarg_segment_ptr 1
		.amdhsa_user_sgpr_dispatch_id 0
		.amdhsa_user_sgpr_private_segment_size 0
		.amdhsa_wavefront_size32 1
		.amdhsa_uses_dynamic_stack 0
		.amdhsa_enable_private_segment 0
		.amdhsa_system_sgpr_workgroup_id_x 1
		.amdhsa_system_sgpr_workgroup_id_y 0
		.amdhsa_system_sgpr_workgroup_id_z 0
		.amdhsa_system_sgpr_workgroup_info 0
		.amdhsa_system_vgpr_workitem_id 0
		.amdhsa_next_free_vgpr 1
		.amdhsa_next_free_sgpr 1
		.amdhsa_reserve_vcc 0
		.amdhsa_float_round_mode_32 0
		.amdhsa_float_round_mode_16_64 0
		.amdhsa_float_denorm_mode_32 3
		.amdhsa_float_denorm_mode_16_64 3
		.amdhsa_dx10_clamp 1
		.amdhsa_ieee_mode 1
		.amdhsa_fp16_overflow 0
		.amdhsa_workgroup_processor_mode 1
		.amdhsa_memory_ordered 1
		.amdhsa_forward_progress 0
		.amdhsa_shared_vgpr_count 0
		.amdhsa_exception_fp_ieee_invalid_op 0
		.amdhsa_exception_fp_denorm_src 0
		.amdhsa_exception_fp_ieee_div_zero 0
		.amdhsa_exception_fp_ieee_overflow 0
		.amdhsa_exception_fp_ieee_underflow 0
		.amdhsa_exception_fp_ieee_inexact 0
		.amdhsa_exception_int_div_zero 0
	.end_amdhsa_kernel
	.section	.text._ZN7rocprim17ROCPRIM_400000_NS6detail17trampoline_kernelINS0_14default_configENS1_25partition_config_selectorILNS1_17partition_subalgoE5ElNS0_10empty_typeEbEEZZNS1_14partition_implILS5_5ELb0ES3_mN6hipcub16HIPCUB_304000_NS21CountingInputIteratorIllEEPS6_NSA_22TransformInputIteratorIbN2at6native12_GLOBAL__N_19NonZeroOpIiEEPKilEENS0_5tupleIJPlS6_EEENSN_IJSD_SD_EEES6_PiJS6_EEE10hipError_tPvRmT3_T4_T5_T6_T7_T9_mT8_P12ihipStream_tbDpT10_ENKUlT_T0_E_clISt17integral_constantIbLb0EES1B_EEDaS16_S17_EUlS16_E_NS1_11comp_targetILNS1_3genE0ELNS1_11target_archE4294967295ELNS1_3gpuE0ELNS1_3repE0EEENS1_30default_config_static_selectorELNS0_4arch9wavefront6targetE0EEEvT1_,"axG",@progbits,_ZN7rocprim17ROCPRIM_400000_NS6detail17trampoline_kernelINS0_14default_configENS1_25partition_config_selectorILNS1_17partition_subalgoE5ElNS0_10empty_typeEbEEZZNS1_14partition_implILS5_5ELb0ES3_mN6hipcub16HIPCUB_304000_NS21CountingInputIteratorIllEEPS6_NSA_22TransformInputIteratorIbN2at6native12_GLOBAL__N_19NonZeroOpIiEEPKilEENS0_5tupleIJPlS6_EEENSN_IJSD_SD_EEES6_PiJS6_EEE10hipError_tPvRmT3_T4_T5_T6_T7_T9_mT8_P12ihipStream_tbDpT10_ENKUlT_T0_E_clISt17integral_constantIbLb0EES1B_EEDaS16_S17_EUlS16_E_NS1_11comp_targetILNS1_3genE0ELNS1_11target_archE4294967295ELNS1_3gpuE0ELNS1_3repE0EEENS1_30default_config_static_selectorELNS0_4arch9wavefront6targetE0EEEvT1_,comdat
.Lfunc_end186:
	.size	_ZN7rocprim17ROCPRIM_400000_NS6detail17trampoline_kernelINS0_14default_configENS1_25partition_config_selectorILNS1_17partition_subalgoE5ElNS0_10empty_typeEbEEZZNS1_14partition_implILS5_5ELb0ES3_mN6hipcub16HIPCUB_304000_NS21CountingInputIteratorIllEEPS6_NSA_22TransformInputIteratorIbN2at6native12_GLOBAL__N_19NonZeroOpIiEEPKilEENS0_5tupleIJPlS6_EEENSN_IJSD_SD_EEES6_PiJS6_EEE10hipError_tPvRmT3_T4_T5_T6_T7_T9_mT8_P12ihipStream_tbDpT10_ENKUlT_T0_E_clISt17integral_constantIbLb0EES1B_EEDaS16_S17_EUlS16_E_NS1_11comp_targetILNS1_3genE0ELNS1_11target_archE4294967295ELNS1_3gpuE0ELNS1_3repE0EEENS1_30default_config_static_selectorELNS0_4arch9wavefront6targetE0EEEvT1_, .Lfunc_end186-_ZN7rocprim17ROCPRIM_400000_NS6detail17trampoline_kernelINS0_14default_configENS1_25partition_config_selectorILNS1_17partition_subalgoE5ElNS0_10empty_typeEbEEZZNS1_14partition_implILS5_5ELb0ES3_mN6hipcub16HIPCUB_304000_NS21CountingInputIteratorIllEEPS6_NSA_22TransformInputIteratorIbN2at6native12_GLOBAL__N_19NonZeroOpIiEEPKilEENS0_5tupleIJPlS6_EEENSN_IJSD_SD_EEES6_PiJS6_EEE10hipError_tPvRmT3_T4_T5_T6_T7_T9_mT8_P12ihipStream_tbDpT10_ENKUlT_T0_E_clISt17integral_constantIbLb0EES1B_EEDaS16_S17_EUlS16_E_NS1_11comp_targetILNS1_3genE0ELNS1_11target_archE4294967295ELNS1_3gpuE0ELNS1_3repE0EEENS1_30default_config_static_selectorELNS0_4arch9wavefront6targetE0EEEvT1_
                                        ; -- End function
	.section	.AMDGPU.csdata,"",@progbits
; Kernel info:
; codeLenInByte = 0
; NumSgprs: 0
; NumVgprs: 0
; ScratchSize: 0
; MemoryBound: 0
; FloatMode: 240
; IeeeMode: 1
; LDSByteSize: 0 bytes/workgroup (compile time only)
; SGPRBlocks: 0
; VGPRBlocks: 0
; NumSGPRsForWavesPerEU: 1
; NumVGPRsForWavesPerEU: 1
; Occupancy: 16
; WaveLimiterHint : 0
; COMPUTE_PGM_RSRC2:SCRATCH_EN: 0
; COMPUTE_PGM_RSRC2:USER_SGPR: 15
; COMPUTE_PGM_RSRC2:TRAP_HANDLER: 0
; COMPUTE_PGM_RSRC2:TGID_X_EN: 1
; COMPUTE_PGM_RSRC2:TGID_Y_EN: 0
; COMPUTE_PGM_RSRC2:TGID_Z_EN: 0
; COMPUTE_PGM_RSRC2:TIDIG_COMP_CNT: 0
	.section	.text._ZN7rocprim17ROCPRIM_400000_NS6detail17trampoline_kernelINS0_14default_configENS1_25partition_config_selectorILNS1_17partition_subalgoE5ElNS0_10empty_typeEbEEZZNS1_14partition_implILS5_5ELb0ES3_mN6hipcub16HIPCUB_304000_NS21CountingInputIteratorIllEEPS6_NSA_22TransformInputIteratorIbN2at6native12_GLOBAL__N_19NonZeroOpIiEEPKilEENS0_5tupleIJPlS6_EEENSN_IJSD_SD_EEES6_PiJS6_EEE10hipError_tPvRmT3_T4_T5_T6_T7_T9_mT8_P12ihipStream_tbDpT10_ENKUlT_T0_E_clISt17integral_constantIbLb0EES1B_EEDaS16_S17_EUlS16_E_NS1_11comp_targetILNS1_3genE5ELNS1_11target_archE942ELNS1_3gpuE9ELNS1_3repE0EEENS1_30default_config_static_selectorELNS0_4arch9wavefront6targetE0EEEvT1_,"axG",@progbits,_ZN7rocprim17ROCPRIM_400000_NS6detail17trampoline_kernelINS0_14default_configENS1_25partition_config_selectorILNS1_17partition_subalgoE5ElNS0_10empty_typeEbEEZZNS1_14partition_implILS5_5ELb0ES3_mN6hipcub16HIPCUB_304000_NS21CountingInputIteratorIllEEPS6_NSA_22TransformInputIteratorIbN2at6native12_GLOBAL__N_19NonZeroOpIiEEPKilEENS0_5tupleIJPlS6_EEENSN_IJSD_SD_EEES6_PiJS6_EEE10hipError_tPvRmT3_T4_T5_T6_T7_T9_mT8_P12ihipStream_tbDpT10_ENKUlT_T0_E_clISt17integral_constantIbLb0EES1B_EEDaS16_S17_EUlS16_E_NS1_11comp_targetILNS1_3genE5ELNS1_11target_archE942ELNS1_3gpuE9ELNS1_3repE0EEENS1_30default_config_static_selectorELNS0_4arch9wavefront6targetE0EEEvT1_,comdat
	.globl	_ZN7rocprim17ROCPRIM_400000_NS6detail17trampoline_kernelINS0_14default_configENS1_25partition_config_selectorILNS1_17partition_subalgoE5ElNS0_10empty_typeEbEEZZNS1_14partition_implILS5_5ELb0ES3_mN6hipcub16HIPCUB_304000_NS21CountingInputIteratorIllEEPS6_NSA_22TransformInputIteratorIbN2at6native12_GLOBAL__N_19NonZeroOpIiEEPKilEENS0_5tupleIJPlS6_EEENSN_IJSD_SD_EEES6_PiJS6_EEE10hipError_tPvRmT3_T4_T5_T6_T7_T9_mT8_P12ihipStream_tbDpT10_ENKUlT_T0_E_clISt17integral_constantIbLb0EES1B_EEDaS16_S17_EUlS16_E_NS1_11comp_targetILNS1_3genE5ELNS1_11target_archE942ELNS1_3gpuE9ELNS1_3repE0EEENS1_30default_config_static_selectorELNS0_4arch9wavefront6targetE0EEEvT1_ ; -- Begin function _ZN7rocprim17ROCPRIM_400000_NS6detail17trampoline_kernelINS0_14default_configENS1_25partition_config_selectorILNS1_17partition_subalgoE5ElNS0_10empty_typeEbEEZZNS1_14partition_implILS5_5ELb0ES3_mN6hipcub16HIPCUB_304000_NS21CountingInputIteratorIllEEPS6_NSA_22TransformInputIteratorIbN2at6native12_GLOBAL__N_19NonZeroOpIiEEPKilEENS0_5tupleIJPlS6_EEENSN_IJSD_SD_EEES6_PiJS6_EEE10hipError_tPvRmT3_T4_T5_T6_T7_T9_mT8_P12ihipStream_tbDpT10_ENKUlT_T0_E_clISt17integral_constantIbLb0EES1B_EEDaS16_S17_EUlS16_E_NS1_11comp_targetILNS1_3genE5ELNS1_11target_archE942ELNS1_3gpuE9ELNS1_3repE0EEENS1_30default_config_static_selectorELNS0_4arch9wavefront6targetE0EEEvT1_
	.p2align	8
	.type	_ZN7rocprim17ROCPRIM_400000_NS6detail17trampoline_kernelINS0_14default_configENS1_25partition_config_selectorILNS1_17partition_subalgoE5ElNS0_10empty_typeEbEEZZNS1_14partition_implILS5_5ELb0ES3_mN6hipcub16HIPCUB_304000_NS21CountingInputIteratorIllEEPS6_NSA_22TransformInputIteratorIbN2at6native12_GLOBAL__N_19NonZeroOpIiEEPKilEENS0_5tupleIJPlS6_EEENSN_IJSD_SD_EEES6_PiJS6_EEE10hipError_tPvRmT3_T4_T5_T6_T7_T9_mT8_P12ihipStream_tbDpT10_ENKUlT_T0_E_clISt17integral_constantIbLb0EES1B_EEDaS16_S17_EUlS16_E_NS1_11comp_targetILNS1_3genE5ELNS1_11target_archE942ELNS1_3gpuE9ELNS1_3repE0EEENS1_30default_config_static_selectorELNS0_4arch9wavefront6targetE0EEEvT1_,@function
_ZN7rocprim17ROCPRIM_400000_NS6detail17trampoline_kernelINS0_14default_configENS1_25partition_config_selectorILNS1_17partition_subalgoE5ElNS0_10empty_typeEbEEZZNS1_14partition_implILS5_5ELb0ES3_mN6hipcub16HIPCUB_304000_NS21CountingInputIteratorIllEEPS6_NSA_22TransformInputIteratorIbN2at6native12_GLOBAL__N_19NonZeroOpIiEEPKilEENS0_5tupleIJPlS6_EEENSN_IJSD_SD_EEES6_PiJS6_EEE10hipError_tPvRmT3_T4_T5_T6_T7_T9_mT8_P12ihipStream_tbDpT10_ENKUlT_T0_E_clISt17integral_constantIbLb0EES1B_EEDaS16_S17_EUlS16_E_NS1_11comp_targetILNS1_3genE5ELNS1_11target_archE942ELNS1_3gpuE9ELNS1_3repE0EEENS1_30default_config_static_selectorELNS0_4arch9wavefront6targetE0EEEvT1_: ; @_ZN7rocprim17ROCPRIM_400000_NS6detail17trampoline_kernelINS0_14default_configENS1_25partition_config_selectorILNS1_17partition_subalgoE5ElNS0_10empty_typeEbEEZZNS1_14partition_implILS5_5ELb0ES3_mN6hipcub16HIPCUB_304000_NS21CountingInputIteratorIllEEPS6_NSA_22TransformInputIteratorIbN2at6native12_GLOBAL__N_19NonZeroOpIiEEPKilEENS0_5tupleIJPlS6_EEENSN_IJSD_SD_EEES6_PiJS6_EEE10hipError_tPvRmT3_T4_T5_T6_T7_T9_mT8_P12ihipStream_tbDpT10_ENKUlT_T0_E_clISt17integral_constantIbLb0EES1B_EEDaS16_S17_EUlS16_E_NS1_11comp_targetILNS1_3genE5ELNS1_11target_archE942ELNS1_3gpuE9ELNS1_3repE0EEENS1_30default_config_static_selectorELNS0_4arch9wavefront6targetE0EEEvT1_
; %bb.0:
	.section	.rodata,"a",@progbits
	.p2align	6, 0x0
	.amdhsa_kernel _ZN7rocprim17ROCPRIM_400000_NS6detail17trampoline_kernelINS0_14default_configENS1_25partition_config_selectorILNS1_17partition_subalgoE5ElNS0_10empty_typeEbEEZZNS1_14partition_implILS5_5ELb0ES3_mN6hipcub16HIPCUB_304000_NS21CountingInputIteratorIllEEPS6_NSA_22TransformInputIteratorIbN2at6native12_GLOBAL__N_19NonZeroOpIiEEPKilEENS0_5tupleIJPlS6_EEENSN_IJSD_SD_EEES6_PiJS6_EEE10hipError_tPvRmT3_T4_T5_T6_T7_T9_mT8_P12ihipStream_tbDpT10_ENKUlT_T0_E_clISt17integral_constantIbLb0EES1B_EEDaS16_S17_EUlS16_E_NS1_11comp_targetILNS1_3genE5ELNS1_11target_archE942ELNS1_3gpuE9ELNS1_3repE0EEENS1_30default_config_static_selectorELNS0_4arch9wavefront6targetE0EEEvT1_
		.amdhsa_group_segment_fixed_size 0
		.amdhsa_private_segment_fixed_size 0
		.amdhsa_kernarg_size 120
		.amdhsa_user_sgpr_count 15
		.amdhsa_user_sgpr_dispatch_ptr 0
		.amdhsa_user_sgpr_queue_ptr 0
		.amdhsa_user_sgpr_kernarg_segment_ptr 1
		.amdhsa_user_sgpr_dispatch_id 0
		.amdhsa_user_sgpr_private_segment_size 0
		.amdhsa_wavefront_size32 1
		.amdhsa_uses_dynamic_stack 0
		.amdhsa_enable_private_segment 0
		.amdhsa_system_sgpr_workgroup_id_x 1
		.amdhsa_system_sgpr_workgroup_id_y 0
		.amdhsa_system_sgpr_workgroup_id_z 0
		.amdhsa_system_sgpr_workgroup_info 0
		.amdhsa_system_vgpr_workitem_id 0
		.amdhsa_next_free_vgpr 1
		.amdhsa_next_free_sgpr 1
		.amdhsa_reserve_vcc 0
		.amdhsa_float_round_mode_32 0
		.amdhsa_float_round_mode_16_64 0
		.amdhsa_float_denorm_mode_32 3
		.amdhsa_float_denorm_mode_16_64 3
		.amdhsa_dx10_clamp 1
		.amdhsa_ieee_mode 1
		.amdhsa_fp16_overflow 0
		.amdhsa_workgroup_processor_mode 1
		.amdhsa_memory_ordered 1
		.amdhsa_forward_progress 0
		.amdhsa_shared_vgpr_count 0
		.amdhsa_exception_fp_ieee_invalid_op 0
		.amdhsa_exception_fp_denorm_src 0
		.amdhsa_exception_fp_ieee_div_zero 0
		.amdhsa_exception_fp_ieee_overflow 0
		.amdhsa_exception_fp_ieee_underflow 0
		.amdhsa_exception_fp_ieee_inexact 0
		.amdhsa_exception_int_div_zero 0
	.end_amdhsa_kernel
	.section	.text._ZN7rocprim17ROCPRIM_400000_NS6detail17trampoline_kernelINS0_14default_configENS1_25partition_config_selectorILNS1_17partition_subalgoE5ElNS0_10empty_typeEbEEZZNS1_14partition_implILS5_5ELb0ES3_mN6hipcub16HIPCUB_304000_NS21CountingInputIteratorIllEEPS6_NSA_22TransformInputIteratorIbN2at6native12_GLOBAL__N_19NonZeroOpIiEEPKilEENS0_5tupleIJPlS6_EEENSN_IJSD_SD_EEES6_PiJS6_EEE10hipError_tPvRmT3_T4_T5_T6_T7_T9_mT8_P12ihipStream_tbDpT10_ENKUlT_T0_E_clISt17integral_constantIbLb0EES1B_EEDaS16_S17_EUlS16_E_NS1_11comp_targetILNS1_3genE5ELNS1_11target_archE942ELNS1_3gpuE9ELNS1_3repE0EEENS1_30default_config_static_selectorELNS0_4arch9wavefront6targetE0EEEvT1_,"axG",@progbits,_ZN7rocprim17ROCPRIM_400000_NS6detail17trampoline_kernelINS0_14default_configENS1_25partition_config_selectorILNS1_17partition_subalgoE5ElNS0_10empty_typeEbEEZZNS1_14partition_implILS5_5ELb0ES3_mN6hipcub16HIPCUB_304000_NS21CountingInputIteratorIllEEPS6_NSA_22TransformInputIteratorIbN2at6native12_GLOBAL__N_19NonZeroOpIiEEPKilEENS0_5tupleIJPlS6_EEENSN_IJSD_SD_EEES6_PiJS6_EEE10hipError_tPvRmT3_T4_T5_T6_T7_T9_mT8_P12ihipStream_tbDpT10_ENKUlT_T0_E_clISt17integral_constantIbLb0EES1B_EEDaS16_S17_EUlS16_E_NS1_11comp_targetILNS1_3genE5ELNS1_11target_archE942ELNS1_3gpuE9ELNS1_3repE0EEENS1_30default_config_static_selectorELNS0_4arch9wavefront6targetE0EEEvT1_,comdat
.Lfunc_end187:
	.size	_ZN7rocprim17ROCPRIM_400000_NS6detail17trampoline_kernelINS0_14default_configENS1_25partition_config_selectorILNS1_17partition_subalgoE5ElNS0_10empty_typeEbEEZZNS1_14partition_implILS5_5ELb0ES3_mN6hipcub16HIPCUB_304000_NS21CountingInputIteratorIllEEPS6_NSA_22TransformInputIteratorIbN2at6native12_GLOBAL__N_19NonZeroOpIiEEPKilEENS0_5tupleIJPlS6_EEENSN_IJSD_SD_EEES6_PiJS6_EEE10hipError_tPvRmT3_T4_T5_T6_T7_T9_mT8_P12ihipStream_tbDpT10_ENKUlT_T0_E_clISt17integral_constantIbLb0EES1B_EEDaS16_S17_EUlS16_E_NS1_11comp_targetILNS1_3genE5ELNS1_11target_archE942ELNS1_3gpuE9ELNS1_3repE0EEENS1_30default_config_static_selectorELNS0_4arch9wavefront6targetE0EEEvT1_, .Lfunc_end187-_ZN7rocprim17ROCPRIM_400000_NS6detail17trampoline_kernelINS0_14default_configENS1_25partition_config_selectorILNS1_17partition_subalgoE5ElNS0_10empty_typeEbEEZZNS1_14partition_implILS5_5ELb0ES3_mN6hipcub16HIPCUB_304000_NS21CountingInputIteratorIllEEPS6_NSA_22TransformInputIteratorIbN2at6native12_GLOBAL__N_19NonZeroOpIiEEPKilEENS0_5tupleIJPlS6_EEENSN_IJSD_SD_EEES6_PiJS6_EEE10hipError_tPvRmT3_T4_T5_T6_T7_T9_mT8_P12ihipStream_tbDpT10_ENKUlT_T0_E_clISt17integral_constantIbLb0EES1B_EEDaS16_S17_EUlS16_E_NS1_11comp_targetILNS1_3genE5ELNS1_11target_archE942ELNS1_3gpuE9ELNS1_3repE0EEENS1_30default_config_static_selectorELNS0_4arch9wavefront6targetE0EEEvT1_
                                        ; -- End function
	.section	.AMDGPU.csdata,"",@progbits
; Kernel info:
; codeLenInByte = 0
; NumSgprs: 0
; NumVgprs: 0
; ScratchSize: 0
; MemoryBound: 0
; FloatMode: 240
; IeeeMode: 1
; LDSByteSize: 0 bytes/workgroup (compile time only)
; SGPRBlocks: 0
; VGPRBlocks: 0
; NumSGPRsForWavesPerEU: 1
; NumVGPRsForWavesPerEU: 1
; Occupancy: 16
; WaveLimiterHint : 0
; COMPUTE_PGM_RSRC2:SCRATCH_EN: 0
; COMPUTE_PGM_RSRC2:USER_SGPR: 15
; COMPUTE_PGM_RSRC2:TRAP_HANDLER: 0
; COMPUTE_PGM_RSRC2:TGID_X_EN: 1
; COMPUTE_PGM_RSRC2:TGID_Y_EN: 0
; COMPUTE_PGM_RSRC2:TGID_Z_EN: 0
; COMPUTE_PGM_RSRC2:TIDIG_COMP_CNT: 0
	.section	.text._ZN7rocprim17ROCPRIM_400000_NS6detail17trampoline_kernelINS0_14default_configENS1_25partition_config_selectorILNS1_17partition_subalgoE5ElNS0_10empty_typeEbEEZZNS1_14partition_implILS5_5ELb0ES3_mN6hipcub16HIPCUB_304000_NS21CountingInputIteratorIllEEPS6_NSA_22TransformInputIteratorIbN2at6native12_GLOBAL__N_19NonZeroOpIiEEPKilEENS0_5tupleIJPlS6_EEENSN_IJSD_SD_EEES6_PiJS6_EEE10hipError_tPvRmT3_T4_T5_T6_T7_T9_mT8_P12ihipStream_tbDpT10_ENKUlT_T0_E_clISt17integral_constantIbLb0EES1B_EEDaS16_S17_EUlS16_E_NS1_11comp_targetILNS1_3genE4ELNS1_11target_archE910ELNS1_3gpuE8ELNS1_3repE0EEENS1_30default_config_static_selectorELNS0_4arch9wavefront6targetE0EEEvT1_,"axG",@progbits,_ZN7rocprim17ROCPRIM_400000_NS6detail17trampoline_kernelINS0_14default_configENS1_25partition_config_selectorILNS1_17partition_subalgoE5ElNS0_10empty_typeEbEEZZNS1_14partition_implILS5_5ELb0ES3_mN6hipcub16HIPCUB_304000_NS21CountingInputIteratorIllEEPS6_NSA_22TransformInputIteratorIbN2at6native12_GLOBAL__N_19NonZeroOpIiEEPKilEENS0_5tupleIJPlS6_EEENSN_IJSD_SD_EEES6_PiJS6_EEE10hipError_tPvRmT3_T4_T5_T6_T7_T9_mT8_P12ihipStream_tbDpT10_ENKUlT_T0_E_clISt17integral_constantIbLb0EES1B_EEDaS16_S17_EUlS16_E_NS1_11comp_targetILNS1_3genE4ELNS1_11target_archE910ELNS1_3gpuE8ELNS1_3repE0EEENS1_30default_config_static_selectorELNS0_4arch9wavefront6targetE0EEEvT1_,comdat
	.globl	_ZN7rocprim17ROCPRIM_400000_NS6detail17trampoline_kernelINS0_14default_configENS1_25partition_config_selectorILNS1_17partition_subalgoE5ElNS0_10empty_typeEbEEZZNS1_14partition_implILS5_5ELb0ES3_mN6hipcub16HIPCUB_304000_NS21CountingInputIteratorIllEEPS6_NSA_22TransformInputIteratorIbN2at6native12_GLOBAL__N_19NonZeroOpIiEEPKilEENS0_5tupleIJPlS6_EEENSN_IJSD_SD_EEES6_PiJS6_EEE10hipError_tPvRmT3_T4_T5_T6_T7_T9_mT8_P12ihipStream_tbDpT10_ENKUlT_T0_E_clISt17integral_constantIbLb0EES1B_EEDaS16_S17_EUlS16_E_NS1_11comp_targetILNS1_3genE4ELNS1_11target_archE910ELNS1_3gpuE8ELNS1_3repE0EEENS1_30default_config_static_selectorELNS0_4arch9wavefront6targetE0EEEvT1_ ; -- Begin function _ZN7rocprim17ROCPRIM_400000_NS6detail17trampoline_kernelINS0_14default_configENS1_25partition_config_selectorILNS1_17partition_subalgoE5ElNS0_10empty_typeEbEEZZNS1_14partition_implILS5_5ELb0ES3_mN6hipcub16HIPCUB_304000_NS21CountingInputIteratorIllEEPS6_NSA_22TransformInputIteratorIbN2at6native12_GLOBAL__N_19NonZeroOpIiEEPKilEENS0_5tupleIJPlS6_EEENSN_IJSD_SD_EEES6_PiJS6_EEE10hipError_tPvRmT3_T4_T5_T6_T7_T9_mT8_P12ihipStream_tbDpT10_ENKUlT_T0_E_clISt17integral_constantIbLb0EES1B_EEDaS16_S17_EUlS16_E_NS1_11comp_targetILNS1_3genE4ELNS1_11target_archE910ELNS1_3gpuE8ELNS1_3repE0EEENS1_30default_config_static_selectorELNS0_4arch9wavefront6targetE0EEEvT1_
	.p2align	8
	.type	_ZN7rocprim17ROCPRIM_400000_NS6detail17trampoline_kernelINS0_14default_configENS1_25partition_config_selectorILNS1_17partition_subalgoE5ElNS0_10empty_typeEbEEZZNS1_14partition_implILS5_5ELb0ES3_mN6hipcub16HIPCUB_304000_NS21CountingInputIteratorIllEEPS6_NSA_22TransformInputIteratorIbN2at6native12_GLOBAL__N_19NonZeroOpIiEEPKilEENS0_5tupleIJPlS6_EEENSN_IJSD_SD_EEES6_PiJS6_EEE10hipError_tPvRmT3_T4_T5_T6_T7_T9_mT8_P12ihipStream_tbDpT10_ENKUlT_T0_E_clISt17integral_constantIbLb0EES1B_EEDaS16_S17_EUlS16_E_NS1_11comp_targetILNS1_3genE4ELNS1_11target_archE910ELNS1_3gpuE8ELNS1_3repE0EEENS1_30default_config_static_selectorELNS0_4arch9wavefront6targetE0EEEvT1_,@function
_ZN7rocprim17ROCPRIM_400000_NS6detail17trampoline_kernelINS0_14default_configENS1_25partition_config_selectorILNS1_17partition_subalgoE5ElNS0_10empty_typeEbEEZZNS1_14partition_implILS5_5ELb0ES3_mN6hipcub16HIPCUB_304000_NS21CountingInputIteratorIllEEPS6_NSA_22TransformInputIteratorIbN2at6native12_GLOBAL__N_19NonZeroOpIiEEPKilEENS0_5tupleIJPlS6_EEENSN_IJSD_SD_EEES6_PiJS6_EEE10hipError_tPvRmT3_T4_T5_T6_T7_T9_mT8_P12ihipStream_tbDpT10_ENKUlT_T0_E_clISt17integral_constantIbLb0EES1B_EEDaS16_S17_EUlS16_E_NS1_11comp_targetILNS1_3genE4ELNS1_11target_archE910ELNS1_3gpuE8ELNS1_3repE0EEENS1_30default_config_static_selectorELNS0_4arch9wavefront6targetE0EEEvT1_: ; @_ZN7rocprim17ROCPRIM_400000_NS6detail17trampoline_kernelINS0_14default_configENS1_25partition_config_selectorILNS1_17partition_subalgoE5ElNS0_10empty_typeEbEEZZNS1_14partition_implILS5_5ELb0ES3_mN6hipcub16HIPCUB_304000_NS21CountingInputIteratorIllEEPS6_NSA_22TransformInputIteratorIbN2at6native12_GLOBAL__N_19NonZeroOpIiEEPKilEENS0_5tupleIJPlS6_EEENSN_IJSD_SD_EEES6_PiJS6_EEE10hipError_tPvRmT3_T4_T5_T6_T7_T9_mT8_P12ihipStream_tbDpT10_ENKUlT_T0_E_clISt17integral_constantIbLb0EES1B_EEDaS16_S17_EUlS16_E_NS1_11comp_targetILNS1_3genE4ELNS1_11target_archE910ELNS1_3gpuE8ELNS1_3repE0EEENS1_30default_config_static_selectorELNS0_4arch9wavefront6targetE0EEEvT1_
; %bb.0:
	.section	.rodata,"a",@progbits
	.p2align	6, 0x0
	.amdhsa_kernel _ZN7rocprim17ROCPRIM_400000_NS6detail17trampoline_kernelINS0_14default_configENS1_25partition_config_selectorILNS1_17partition_subalgoE5ElNS0_10empty_typeEbEEZZNS1_14partition_implILS5_5ELb0ES3_mN6hipcub16HIPCUB_304000_NS21CountingInputIteratorIllEEPS6_NSA_22TransformInputIteratorIbN2at6native12_GLOBAL__N_19NonZeroOpIiEEPKilEENS0_5tupleIJPlS6_EEENSN_IJSD_SD_EEES6_PiJS6_EEE10hipError_tPvRmT3_T4_T5_T6_T7_T9_mT8_P12ihipStream_tbDpT10_ENKUlT_T0_E_clISt17integral_constantIbLb0EES1B_EEDaS16_S17_EUlS16_E_NS1_11comp_targetILNS1_3genE4ELNS1_11target_archE910ELNS1_3gpuE8ELNS1_3repE0EEENS1_30default_config_static_selectorELNS0_4arch9wavefront6targetE0EEEvT1_
		.amdhsa_group_segment_fixed_size 0
		.amdhsa_private_segment_fixed_size 0
		.amdhsa_kernarg_size 120
		.amdhsa_user_sgpr_count 15
		.amdhsa_user_sgpr_dispatch_ptr 0
		.amdhsa_user_sgpr_queue_ptr 0
		.amdhsa_user_sgpr_kernarg_segment_ptr 1
		.amdhsa_user_sgpr_dispatch_id 0
		.amdhsa_user_sgpr_private_segment_size 0
		.amdhsa_wavefront_size32 1
		.amdhsa_uses_dynamic_stack 0
		.amdhsa_enable_private_segment 0
		.amdhsa_system_sgpr_workgroup_id_x 1
		.amdhsa_system_sgpr_workgroup_id_y 0
		.amdhsa_system_sgpr_workgroup_id_z 0
		.amdhsa_system_sgpr_workgroup_info 0
		.amdhsa_system_vgpr_workitem_id 0
		.amdhsa_next_free_vgpr 1
		.amdhsa_next_free_sgpr 1
		.amdhsa_reserve_vcc 0
		.amdhsa_float_round_mode_32 0
		.amdhsa_float_round_mode_16_64 0
		.amdhsa_float_denorm_mode_32 3
		.amdhsa_float_denorm_mode_16_64 3
		.amdhsa_dx10_clamp 1
		.amdhsa_ieee_mode 1
		.amdhsa_fp16_overflow 0
		.amdhsa_workgroup_processor_mode 1
		.amdhsa_memory_ordered 1
		.amdhsa_forward_progress 0
		.amdhsa_shared_vgpr_count 0
		.amdhsa_exception_fp_ieee_invalid_op 0
		.amdhsa_exception_fp_denorm_src 0
		.amdhsa_exception_fp_ieee_div_zero 0
		.amdhsa_exception_fp_ieee_overflow 0
		.amdhsa_exception_fp_ieee_underflow 0
		.amdhsa_exception_fp_ieee_inexact 0
		.amdhsa_exception_int_div_zero 0
	.end_amdhsa_kernel
	.section	.text._ZN7rocprim17ROCPRIM_400000_NS6detail17trampoline_kernelINS0_14default_configENS1_25partition_config_selectorILNS1_17partition_subalgoE5ElNS0_10empty_typeEbEEZZNS1_14partition_implILS5_5ELb0ES3_mN6hipcub16HIPCUB_304000_NS21CountingInputIteratorIllEEPS6_NSA_22TransformInputIteratorIbN2at6native12_GLOBAL__N_19NonZeroOpIiEEPKilEENS0_5tupleIJPlS6_EEENSN_IJSD_SD_EEES6_PiJS6_EEE10hipError_tPvRmT3_T4_T5_T6_T7_T9_mT8_P12ihipStream_tbDpT10_ENKUlT_T0_E_clISt17integral_constantIbLb0EES1B_EEDaS16_S17_EUlS16_E_NS1_11comp_targetILNS1_3genE4ELNS1_11target_archE910ELNS1_3gpuE8ELNS1_3repE0EEENS1_30default_config_static_selectorELNS0_4arch9wavefront6targetE0EEEvT1_,"axG",@progbits,_ZN7rocprim17ROCPRIM_400000_NS6detail17trampoline_kernelINS0_14default_configENS1_25partition_config_selectorILNS1_17partition_subalgoE5ElNS0_10empty_typeEbEEZZNS1_14partition_implILS5_5ELb0ES3_mN6hipcub16HIPCUB_304000_NS21CountingInputIteratorIllEEPS6_NSA_22TransformInputIteratorIbN2at6native12_GLOBAL__N_19NonZeroOpIiEEPKilEENS0_5tupleIJPlS6_EEENSN_IJSD_SD_EEES6_PiJS6_EEE10hipError_tPvRmT3_T4_T5_T6_T7_T9_mT8_P12ihipStream_tbDpT10_ENKUlT_T0_E_clISt17integral_constantIbLb0EES1B_EEDaS16_S17_EUlS16_E_NS1_11comp_targetILNS1_3genE4ELNS1_11target_archE910ELNS1_3gpuE8ELNS1_3repE0EEENS1_30default_config_static_selectorELNS0_4arch9wavefront6targetE0EEEvT1_,comdat
.Lfunc_end188:
	.size	_ZN7rocprim17ROCPRIM_400000_NS6detail17trampoline_kernelINS0_14default_configENS1_25partition_config_selectorILNS1_17partition_subalgoE5ElNS0_10empty_typeEbEEZZNS1_14partition_implILS5_5ELb0ES3_mN6hipcub16HIPCUB_304000_NS21CountingInputIteratorIllEEPS6_NSA_22TransformInputIteratorIbN2at6native12_GLOBAL__N_19NonZeroOpIiEEPKilEENS0_5tupleIJPlS6_EEENSN_IJSD_SD_EEES6_PiJS6_EEE10hipError_tPvRmT3_T4_T5_T6_T7_T9_mT8_P12ihipStream_tbDpT10_ENKUlT_T0_E_clISt17integral_constantIbLb0EES1B_EEDaS16_S17_EUlS16_E_NS1_11comp_targetILNS1_3genE4ELNS1_11target_archE910ELNS1_3gpuE8ELNS1_3repE0EEENS1_30default_config_static_selectorELNS0_4arch9wavefront6targetE0EEEvT1_, .Lfunc_end188-_ZN7rocprim17ROCPRIM_400000_NS6detail17trampoline_kernelINS0_14default_configENS1_25partition_config_selectorILNS1_17partition_subalgoE5ElNS0_10empty_typeEbEEZZNS1_14partition_implILS5_5ELb0ES3_mN6hipcub16HIPCUB_304000_NS21CountingInputIteratorIllEEPS6_NSA_22TransformInputIteratorIbN2at6native12_GLOBAL__N_19NonZeroOpIiEEPKilEENS0_5tupleIJPlS6_EEENSN_IJSD_SD_EEES6_PiJS6_EEE10hipError_tPvRmT3_T4_T5_T6_T7_T9_mT8_P12ihipStream_tbDpT10_ENKUlT_T0_E_clISt17integral_constantIbLb0EES1B_EEDaS16_S17_EUlS16_E_NS1_11comp_targetILNS1_3genE4ELNS1_11target_archE910ELNS1_3gpuE8ELNS1_3repE0EEENS1_30default_config_static_selectorELNS0_4arch9wavefront6targetE0EEEvT1_
                                        ; -- End function
	.section	.AMDGPU.csdata,"",@progbits
; Kernel info:
; codeLenInByte = 0
; NumSgprs: 0
; NumVgprs: 0
; ScratchSize: 0
; MemoryBound: 0
; FloatMode: 240
; IeeeMode: 1
; LDSByteSize: 0 bytes/workgroup (compile time only)
; SGPRBlocks: 0
; VGPRBlocks: 0
; NumSGPRsForWavesPerEU: 1
; NumVGPRsForWavesPerEU: 1
; Occupancy: 15
; WaveLimiterHint : 0
; COMPUTE_PGM_RSRC2:SCRATCH_EN: 0
; COMPUTE_PGM_RSRC2:USER_SGPR: 15
; COMPUTE_PGM_RSRC2:TRAP_HANDLER: 0
; COMPUTE_PGM_RSRC2:TGID_X_EN: 1
; COMPUTE_PGM_RSRC2:TGID_Y_EN: 0
; COMPUTE_PGM_RSRC2:TGID_Z_EN: 0
; COMPUTE_PGM_RSRC2:TIDIG_COMP_CNT: 0
	.section	.text._ZN7rocprim17ROCPRIM_400000_NS6detail17trampoline_kernelINS0_14default_configENS1_25partition_config_selectorILNS1_17partition_subalgoE5ElNS0_10empty_typeEbEEZZNS1_14partition_implILS5_5ELb0ES3_mN6hipcub16HIPCUB_304000_NS21CountingInputIteratorIllEEPS6_NSA_22TransformInputIteratorIbN2at6native12_GLOBAL__N_19NonZeroOpIiEEPKilEENS0_5tupleIJPlS6_EEENSN_IJSD_SD_EEES6_PiJS6_EEE10hipError_tPvRmT3_T4_T5_T6_T7_T9_mT8_P12ihipStream_tbDpT10_ENKUlT_T0_E_clISt17integral_constantIbLb0EES1B_EEDaS16_S17_EUlS16_E_NS1_11comp_targetILNS1_3genE3ELNS1_11target_archE908ELNS1_3gpuE7ELNS1_3repE0EEENS1_30default_config_static_selectorELNS0_4arch9wavefront6targetE0EEEvT1_,"axG",@progbits,_ZN7rocprim17ROCPRIM_400000_NS6detail17trampoline_kernelINS0_14default_configENS1_25partition_config_selectorILNS1_17partition_subalgoE5ElNS0_10empty_typeEbEEZZNS1_14partition_implILS5_5ELb0ES3_mN6hipcub16HIPCUB_304000_NS21CountingInputIteratorIllEEPS6_NSA_22TransformInputIteratorIbN2at6native12_GLOBAL__N_19NonZeroOpIiEEPKilEENS0_5tupleIJPlS6_EEENSN_IJSD_SD_EEES6_PiJS6_EEE10hipError_tPvRmT3_T4_T5_T6_T7_T9_mT8_P12ihipStream_tbDpT10_ENKUlT_T0_E_clISt17integral_constantIbLb0EES1B_EEDaS16_S17_EUlS16_E_NS1_11comp_targetILNS1_3genE3ELNS1_11target_archE908ELNS1_3gpuE7ELNS1_3repE0EEENS1_30default_config_static_selectorELNS0_4arch9wavefront6targetE0EEEvT1_,comdat
	.globl	_ZN7rocprim17ROCPRIM_400000_NS6detail17trampoline_kernelINS0_14default_configENS1_25partition_config_selectorILNS1_17partition_subalgoE5ElNS0_10empty_typeEbEEZZNS1_14partition_implILS5_5ELb0ES3_mN6hipcub16HIPCUB_304000_NS21CountingInputIteratorIllEEPS6_NSA_22TransformInputIteratorIbN2at6native12_GLOBAL__N_19NonZeroOpIiEEPKilEENS0_5tupleIJPlS6_EEENSN_IJSD_SD_EEES6_PiJS6_EEE10hipError_tPvRmT3_T4_T5_T6_T7_T9_mT8_P12ihipStream_tbDpT10_ENKUlT_T0_E_clISt17integral_constantIbLb0EES1B_EEDaS16_S17_EUlS16_E_NS1_11comp_targetILNS1_3genE3ELNS1_11target_archE908ELNS1_3gpuE7ELNS1_3repE0EEENS1_30default_config_static_selectorELNS0_4arch9wavefront6targetE0EEEvT1_ ; -- Begin function _ZN7rocprim17ROCPRIM_400000_NS6detail17trampoline_kernelINS0_14default_configENS1_25partition_config_selectorILNS1_17partition_subalgoE5ElNS0_10empty_typeEbEEZZNS1_14partition_implILS5_5ELb0ES3_mN6hipcub16HIPCUB_304000_NS21CountingInputIteratorIllEEPS6_NSA_22TransformInputIteratorIbN2at6native12_GLOBAL__N_19NonZeroOpIiEEPKilEENS0_5tupleIJPlS6_EEENSN_IJSD_SD_EEES6_PiJS6_EEE10hipError_tPvRmT3_T4_T5_T6_T7_T9_mT8_P12ihipStream_tbDpT10_ENKUlT_T0_E_clISt17integral_constantIbLb0EES1B_EEDaS16_S17_EUlS16_E_NS1_11comp_targetILNS1_3genE3ELNS1_11target_archE908ELNS1_3gpuE7ELNS1_3repE0EEENS1_30default_config_static_selectorELNS0_4arch9wavefront6targetE0EEEvT1_
	.p2align	8
	.type	_ZN7rocprim17ROCPRIM_400000_NS6detail17trampoline_kernelINS0_14default_configENS1_25partition_config_selectorILNS1_17partition_subalgoE5ElNS0_10empty_typeEbEEZZNS1_14partition_implILS5_5ELb0ES3_mN6hipcub16HIPCUB_304000_NS21CountingInputIteratorIllEEPS6_NSA_22TransformInputIteratorIbN2at6native12_GLOBAL__N_19NonZeroOpIiEEPKilEENS0_5tupleIJPlS6_EEENSN_IJSD_SD_EEES6_PiJS6_EEE10hipError_tPvRmT3_T4_T5_T6_T7_T9_mT8_P12ihipStream_tbDpT10_ENKUlT_T0_E_clISt17integral_constantIbLb0EES1B_EEDaS16_S17_EUlS16_E_NS1_11comp_targetILNS1_3genE3ELNS1_11target_archE908ELNS1_3gpuE7ELNS1_3repE0EEENS1_30default_config_static_selectorELNS0_4arch9wavefront6targetE0EEEvT1_,@function
_ZN7rocprim17ROCPRIM_400000_NS6detail17trampoline_kernelINS0_14default_configENS1_25partition_config_selectorILNS1_17partition_subalgoE5ElNS0_10empty_typeEbEEZZNS1_14partition_implILS5_5ELb0ES3_mN6hipcub16HIPCUB_304000_NS21CountingInputIteratorIllEEPS6_NSA_22TransformInputIteratorIbN2at6native12_GLOBAL__N_19NonZeroOpIiEEPKilEENS0_5tupleIJPlS6_EEENSN_IJSD_SD_EEES6_PiJS6_EEE10hipError_tPvRmT3_T4_T5_T6_T7_T9_mT8_P12ihipStream_tbDpT10_ENKUlT_T0_E_clISt17integral_constantIbLb0EES1B_EEDaS16_S17_EUlS16_E_NS1_11comp_targetILNS1_3genE3ELNS1_11target_archE908ELNS1_3gpuE7ELNS1_3repE0EEENS1_30default_config_static_selectorELNS0_4arch9wavefront6targetE0EEEvT1_: ; @_ZN7rocprim17ROCPRIM_400000_NS6detail17trampoline_kernelINS0_14default_configENS1_25partition_config_selectorILNS1_17partition_subalgoE5ElNS0_10empty_typeEbEEZZNS1_14partition_implILS5_5ELb0ES3_mN6hipcub16HIPCUB_304000_NS21CountingInputIteratorIllEEPS6_NSA_22TransformInputIteratorIbN2at6native12_GLOBAL__N_19NonZeroOpIiEEPKilEENS0_5tupleIJPlS6_EEENSN_IJSD_SD_EEES6_PiJS6_EEE10hipError_tPvRmT3_T4_T5_T6_T7_T9_mT8_P12ihipStream_tbDpT10_ENKUlT_T0_E_clISt17integral_constantIbLb0EES1B_EEDaS16_S17_EUlS16_E_NS1_11comp_targetILNS1_3genE3ELNS1_11target_archE908ELNS1_3gpuE7ELNS1_3repE0EEENS1_30default_config_static_selectorELNS0_4arch9wavefront6targetE0EEEvT1_
; %bb.0:
	.section	.rodata,"a",@progbits
	.p2align	6, 0x0
	.amdhsa_kernel _ZN7rocprim17ROCPRIM_400000_NS6detail17trampoline_kernelINS0_14default_configENS1_25partition_config_selectorILNS1_17partition_subalgoE5ElNS0_10empty_typeEbEEZZNS1_14partition_implILS5_5ELb0ES3_mN6hipcub16HIPCUB_304000_NS21CountingInputIteratorIllEEPS6_NSA_22TransformInputIteratorIbN2at6native12_GLOBAL__N_19NonZeroOpIiEEPKilEENS0_5tupleIJPlS6_EEENSN_IJSD_SD_EEES6_PiJS6_EEE10hipError_tPvRmT3_T4_T5_T6_T7_T9_mT8_P12ihipStream_tbDpT10_ENKUlT_T0_E_clISt17integral_constantIbLb0EES1B_EEDaS16_S17_EUlS16_E_NS1_11comp_targetILNS1_3genE3ELNS1_11target_archE908ELNS1_3gpuE7ELNS1_3repE0EEENS1_30default_config_static_selectorELNS0_4arch9wavefront6targetE0EEEvT1_
		.amdhsa_group_segment_fixed_size 0
		.amdhsa_private_segment_fixed_size 0
		.amdhsa_kernarg_size 120
		.amdhsa_user_sgpr_count 15
		.amdhsa_user_sgpr_dispatch_ptr 0
		.amdhsa_user_sgpr_queue_ptr 0
		.amdhsa_user_sgpr_kernarg_segment_ptr 1
		.amdhsa_user_sgpr_dispatch_id 0
		.amdhsa_user_sgpr_private_segment_size 0
		.amdhsa_wavefront_size32 1
		.amdhsa_uses_dynamic_stack 0
		.amdhsa_enable_private_segment 0
		.amdhsa_system_sgpr_workgroup_id_x 1
		.amdhsa_system_sgpr_workgroup_id_y 0
		.amdhsa_system_sgpr_workgroup_id_z 0
		.amdhsa_system_sgpr_workgroup_info 0
		.amdhsa_system_vgpr_workitem_id 0
		.amdhsa_next_free_vgpr 1
		.amdhsa_next_free_sgpr 1
		.amdhsa_reserve_vcc 0
		.amdhsa_float_round_mode_32 0
		.amdhsa_float_round_mode_16_64 0
		.amdhsa_float_denorm_mode_32 3
		.amdhsa_float_denorm_mode_16_64 3
		.amdhsa_dx10_clamp 1
		.amdhsa_ieee_mode 1
		.amdhsa_fp16_overflow 0
		.amdhsa_workgroup_processor_mode 1
		.amdhsa_memory_ordered 1
		.amdhsa_forward_progress 0
		.amdhsa_shared_vgpr_count 0
		.amdhsa_exception_fp_ieee_invalid_op 0
		.amdhsa_exception_fp_denorm_src 0
		.amdhsa_exception_fp_ieee_div_zero 0
		.amdhsa_exception_fp_ieee_overflow 0
		.amdhsa_exception_fp_ieee_underflow 0
		.amdhsa_exception_fp_ieee_inexact 0
		.amdhsa_exception_int_div_zero 0
	.end_amdhsa_kernel
	.section	.text._ZN7rocprim17ROCPRIM_400000_NS6detail17trampoline_kernelINS0_14default_configENS1_25partition_config_selectorILNS1_17partition_subalgoE5ElNS0_10empty_typeEbEEZZNS1_14partition_implILS5_5ELb0ES3_mN6hipcub16HIPCUB_304000_NS21CountingInputIteratorIllEEPS6_NSA_22TransformInputIteratorIbN2at6native12_GLOBAL__N_19NonZeroOpIiEEPKilEENS0_5tupleIJPlS6_EEENSN_IJSD_SD_EEES6_PiJS6_EEE10hipError_tPvRmT3_T4_T5_T6_T7_T9_mT8_P12ihipStream_tbDpT10_ENKUlT_T0_E_clISt17integral_constantIbLb0EES1B_EEDaS16_S17_EUlS16_E_NS1_11comp_targetILNS1_3genE3ELNS1_11target_archE908ELNS1_3gpuE7ELNS1_3repE0EEENS1_30default_config_static_selectorELNS0_4arch9wavefront6targetE0EEEvT1_,"axG",@progbits,_ZN7rocprim17ROCPRIM_400000_NS6detail17trampoline_kernelINS0_14default_configENS1_25partition_config_selectorILNS1_17partition_subalgoE5ElNS0_10empty_typeEbEEZZNS1_14partition_implILS5_5ELb0ES3_mN6hipcub16HIPCUB_304000_NS21CountingInputIteratorIllEEPS6_NSA_22TransformInputIteratorIbN2at6native12_GLOBAL__N_19NonZeroOpIiEEPKilEENS0_5tupleIJPlS6_EEENSN_IJSD_SD_EEES6_PiJS6_EEE10hipError_tPvRmT3_T4_T5_T6_T7_T9_mT8_P12ihipStream_tbDpT10_ENKUlT_T0_E_clISt17integral_constantIbLb0EES1B_EEDaS16_S17_EUlS16_E_NS1_11comp_targetILNS1_3genE3ELNS1_11target_archE908ELNS1_3gpuE7ELNS1_3repE0EEENS1_30default_config_static_selectorELNS0_4arch9wavefront6targetE0EEEvT1_,comdat
.Lfunc_end189:
	.size	_ZN7rocprim17ROCPRIM_400000_NS6detail17trampoline_kernelINS0_14default_configENS1_25partition_config_selectorILNS1_17partition_subalgoE5ElNS0_10empty_typeEbEEZZNS1_14partition_implILS5_5ELb0ES3_mN6hipcub16HIPCUB_304000_NS21CountingInputIteratorIllEEPS6_NSA_22TransformInputIteratorIbN2at6native12_GLOBAL__N_19NonZeroOpIiEEPKilEENS0_5tupleIJPlS6_EEENSN_IJSD_SD_EEES6_PiJS6_EEE10hipError_tPvRmT3_T4_T5_T6_T7_T9_mT8_P12ihipStream_tbDpT10_ENKUlT_T0_E_clISt17integral_constantIbLb0EES1B_EEDaS16_S17_EUlS16_E_NS1_11comp_targetILNS1_3genE3ELNS1_11target_archE908ELNS1_3gpuE7ELNS1_3repE0EEENS1_30default_config_static_selectorELNS0_4arch9wavefront6targetE0EEEvT1_, .Lfunc_end189-_ZN7rocprim17ROCPRIM_400000_NS6detail17trampoline_kernelINS0_14default_configENS1_25partition_config_selectorILNS1_17partition_subalgoE5ElNS0_10empty_typeEbEEZZNS1_14partition_implILS5_5ELb0ES3_mN6hipcub16HIPCUB_304000_NS21CountingInputIteratorIllEEPS6_NSA_22TransformInputIteratorIbN2at6native12_GLOBAL__N_19NonZeroOpIiEEPKilEENS0_5tupleIJPlS6_EEENSN_IJSD_SD_EEES6_PiJS6_EEE10hipError_tPvRmT3_T4_T5_T6_T7_T9_mT8_P12ihipStream_tbDpT10_ENKUlT_T0_E_clISt17integral_constantIbLb0EES1B_EEDaS16_S17_EUlS16_E_NS1_11comp_targetILNS1_3genE3ELNS1_11target_archE908ELNS1_3gpuE7ELNS1_3repE0EEENS1_30default_config_static_selectorELNS0_4arch9wavefront6targetE0EEEvT1_
                                        ; -- End function
	.section	.AMDGPU.csdata,"",@progbits
; Kernel info:
; codeLenInByte = 0
; NumSgprs: 0
; NumVgprs: 0
; ScratchSize: 0
; MemoryBound: 0
; FloatMode: 240
; IeeeMode: 1
; LDSByteSize: 0 bytes/workgroup (compile time only)
; SGPRBlocks: 0
; VGPRBlocks: 0
; NumSGPRsForWavesPerEU: 1
; NumVGPRsForWavesPerEU: 1
; Occupancy: 16
; WaveLimiterHint : 0
; COMPUTE_PGM_RSRC2:SCRATCH_EN: 0
; COMPUTE_PGM_RSRC2:USER_SGPR: 15
; COMPUTE_PGM_RSRC2:TRAP_HANDLER: 0
; COMPUTE_PGM_RSRC2:TGID_X_EN: 1
; COMPUTE_PGM_RSRC2:TGID_Y_EN: 0
; COMPUTE_PGM_RSRC2:TGID_Z_EN: 0
; COMPUTE_PGM_RSRC2:TIDIG_COMP_CNT: 0
	.section	.text._ZN7rocprim17ROCPRIM_400000_NS6detail17trampoline_kernelINS0_14default_configENS1_25partition_config_selectorILNS1_17partition_subalgoE5ElNS0_10empty_typeEbEEZZNS1_14partition_implILS5_5ELb0ES3_mN6hipcub16HIPCUB_304000_NS21CountingInputIteratorIllEEPS6_NSA_22TransformInputIteratorIbN2at6native12_GLOBAL__N_19NonZeroOpIiEEPKilEENS0_5tupleIJPlS6_EEENSN_IJSD_SD_EEES6_PiJS6_EEE10hipError_tPvRmT3_T4_T5_T6_T7_T9_mT8_P12ihipStream_tbDpT10_ENKUlT_T0_E_clISt17integral_constantIbLb0EES1B_EEDaS16_S17_EUlS16_E_NS1_11comp_targetILNS1_3genE2ELNS1_11target_archE906ELNS1_3gpuE6ELNS1_3repE0EEENS1_30default_config_static_selectorELNS0_4arch9wavefront6targetE0EEEvT1_,"axG",@progbits,_ZN7rocprim17ROCPRIM_400000_NS6detail17trampoline_kernelINS0_14default_configENS1_25partition_config_selectorILNS1_17partition_subalgoE5ElNS0_10empty_typeEbEEZZNS1_14partition_implILS5_5ELb0ES3_mN6hipcub16HIPCUB_304000_NS21CountingInputIteratorIllEEPS6_NSA_22TransformInputIteratorIbN2at6native12_GLOBAL__N_19NonZeroOpIiEEPKilEENS0_5tupleIJPlS6_EEENSN_IJSD_SD_EEES6_PiJS6_EEE10hipError_tPvRmT3_T4_T5_T6_T7_T9_mT8_P12ihipStream_tbDpT10_ENKUlT_T0_E_clISt17integral_constantIbLb0EES1B_EEDaS16_S17_EUlS16_E_NS1_11comp_targetILNS1_3genE2ELNS1_11target_archE906ELNS1_3gpuE6ELNS1_3repE0EEENS1_30default_config_static_selectorELNS0_4arch9wavefront6targetE0EEEvT1_,comdat
	.globl	_ZN7rocprim17ROCPRIM_400000_NS6detail17trampoline_kernelINS0_14default_configENS1_25partition_config_selectorILNS1_17partition_subalgoE5ElNS0_10empty_typeEbEEZZNS1_14partition_implILS5_5ELb0ES3_mN6hipcub16HIPCUB_304000_NS21CountingInputIteratorIllEEPS6_NSA_22TransformInputIteratorIbN2at6native12_GLOBAL__N_19NonZeroOpIiEEPKilEENS0_5tupleIJPlS6_EEENSN_IJSD_SD_EEES6_PiJS6_EEE10hipError_tPvRmT3_T4_T5_T6_T7_T9_mT8_P12ihipStream_tbDpT10_ENKUlT_T0_E_clISt17integral_constantIbLb0EES1B_EEDaS16_S17_EUlS16_E_NS1_11comp_targetILNS1_3genE2ELNS1_11target_archE906ELNS1_3gpuE6ELNS1_3repE0EEENS1_30default_config_static_selectorELNS0_4arch9wavefront6targetE0EEEvT1_ ; -- Begin function _ZN7rocprim17ROCPRIM_400000_NS6detail17trampoline_kernelINS0_14default_configENS1_25partition_config_selectorILNS1_17partition_subalgoE5ElNS0_10empty_typeEbEEZZNS1_14partition_implILS5_5ELb0ES3_mN6hipcub16HIPCUB_304000_NS21CountingInputIteratorIllEEPS6_NSA_22TransformInputIteratorIbN2at6native12_GLOBAL__N_19NonZeroOpIiEEPKilEENS0_5tupleIJPlS6_EEENSN_IJSD_SD_EEES6_PiJS6_EEE10hipError_tPvRmT3_T4_T5_T6_T7_T9_mT8_P12ihipStream_tbDpT10_ENKUlT_T0_E_clISt17integral_constantIbLb0EES1B_EEDaS16_S17_EUlS16_E_NS1_11comp_targetILNS1_3genE2ELNS1_11target_archE906ELNS1_3gpuE6ELNS1_3repE0EEENS1_30default_config_static_selectorELNS0_4arch9wavefront6targetE0EEEvT1_
	.p2align	8
	.type	_ZN7rocprim17ROCPRIM_400000_NS6detail17trampoline_kernelINS0_14default_configENS1_25partition_config_selectorILNS1_17partition_subalgoE5ElNS0_10empty_typeEbEEZZNS1_14partition_implILS5_5ELb0ES3_mN6hipcub16HIPCUB_304000_NS21CountingInputIteratorIllEEPS6_NSA_22TransformInputIteratorIbN2at6native12_GLOBAL__N_19NonZeroOpIiEEPKilEENS0_5tupleIJPlS6_EEENSN_IJSD_SD_EEES6_PiJS6_EEE10hipError_tPvRmT3_T4_T5_T6_T7_T9_mT8_P12ihipStream_tbDpT10_ENKUlT_T0_E_clISt17integral_constantIbLb0EES1B_EEDaS16_S17_EUlS16_E_NS1_11comp_targetILNS1_3genE2ELNS1_11target_archE906ELNS1_3gpuE6ELNS1_3repE0EEENS1_30default_config_static_selectorELNS0_4arch9wavefront6targetE0EEEvT1_,@function
_ZN7rocprim17ROCPRIM_400000_NS6detail17trampoline_kernelINS0_14default_configENS1_25partition_config_selectorILNS1_17partition_subalgoE5ElNS0_10empty_typeEbEEZZNS1_14partition_implILS5_5ELb0ES3_mN6hipcub16HIPCUB_304000_NS21CountingInputIteratorIllEEPS6_NSA_22TransformInputIteratorIbN2at6native12_GLOBAL__N_19NonZeroOpIiEEPKilEENS0_5tupleIJPlS6_EEENSN_IJSD_SD_EEES6_PiJS6_EEE10hipError_tPvRmT3_T4_T5_T6_T7_T9_mT8_P12ihipStream_tbDpT10_ENKUlT_T0_E_clISt17integral_constantIbLb0EES1B_EEDaS16_S17_EUlS16_E_NS1_11comp_targetILNS1_3genE2ELNS1_11target_archE906ELNS1_3gpuE6ELNS1_3repE0EEENS1_30default_config_static_selectorELNS0_4arch9wavefront6targetE0EEEvT1_: ; @_ZN7rocprim17ROCPRIM_400000_NS6detail17trampoline_kernelINS0_14default_configENS1_25partition_config_selectorILNS1_17partition_subalgoE5ElNS0_10empty_typeEbEEZZNS1_14partition_implILS5_5ELb0ES3_mN6hipcub16HIPCUB_304000_NS21CountingInputIteratorIllEEPS6_NSA_22TransformInputIteratorIbN2at6native12_GLOBAL__N_19NonZeroOpIiEEPKilEENS0_5tupleIJPlS6_EEENSN_IJSD_SD_EEES6_PiJS6_EEE10hipError_tPvRmT3_T4_T5_T6_T7_T9_mT8_P12ihipStream_tbDpT10_ENKUlT_T0_E_clISt17integral_constantIbLb0EES1B_EEDaS16_S17_EUlS16_E_NS1_11comp_targetILNS1_3genE2ELNS1_11target_archE906ELNS1_3gpuE6ELNS1_3repE0EEENS1_30default_config_static_selectorELNS0_4arch9wavefront6targetE0EEEvT1_
; %bb.0:
	.section	.rodata,"a",@progbits
	.p2align	6, 0x0
	.amdhsa_kernel _ZN7rocprim17ROCPRIM_400000_NS6detail17trampoline_kernelINS0_14default_configENS1_25partition_config_selectorILNS1_17partition_subalgoE5ElNS0_10empty_typeEbEEZZNS1_14partition_implILS5_5ELb0ES3_mN6hipcub16HIPCUB_304000_NS21CountingInputIteratorIllEEPS6_NSA_22TransformInputIteratorIbN2at6native12_GLOBAL__N_19NonZeroOpIiEEPKilEENS0_5tupleIJPlS6_EEENSN_IJSD_SD_EEES6_PiJS6_EEE10hipError_tPvRmT3_T4_T5_T6_T7_T9_mT8_P12ihipStream_tbDpT10_ENKUlT_T0_E_clISt17integral_constantIbLb0EES1B_EEDaS16_S17_EUlS16_E_NS1_11comp_targetILNS1_3genE2ELNS1_11target_archE906ELNS1_3gpuE6ELNS1_3repE0EEENS1_30default_config_static_selectorELNS0_4arch9wavefront6targetE0EEEvT1_
		.amdhsa_group_segment_fixed_size 0
		.amdhsa_private_segment_fixed_size 0
		.amdhsa_kernarg_size 120
		.amdhsa_user_sgpr_count 15
		.amdhsa_user_sgpr_dispatch_ptr 0
		.amdhsa_user_sgpr_queue_ptr 0
		.amdhsa_user_sgpr_kernarg_segment_ptr 1
		.amdhsa_user_sgpr_dispatch_id 0
		.amdhsa_user_sgpr_private_segment_size 0
		.amdhsa_wavefront_size32 1
		.amdhsa_uses_dynamic_stack 0
		.amdhsa_enable_private_segment 0
		.amdhsa_system_sgpr_workgroup_id_x 1
		.amdhsa_system_sgpr_workgroup_id_y 0
		.amdhsa_system_sgpr_workgroup_id_z 0
		.amdhsa_system_sgpr_workgroup_info 0
		.amdhsa_system_vgpr_workitem_id 0
		.amdhsa_next_free_vgpr 1
		.amdhsa_next_free_sgpr 1
		.amdhsa_reserve_vcc 0
		.amdhsa_float_round_mode_32 0
		.amdhsa_float_round_mode_16_64 0
		.amdhsa_float_denorm_mode_32 3
		.amdhsa_float_denorm_mode_16_64 3
		.amdhsa_dx10_clamp 1
		.amdhsa_ieee_mode 1
		.amdhsa_fp16_overflow 0
		.amdhsa_workgroup_processor_mode 1
		.amdhsa_memory_ordered 1
		.amdhsa_forward_progress 0
		.amdhsa_shared_vgpr_count 0
		.amdhsa_exception_fp_ieee_invalid_op 0
		.amdhsa_exception_fp_denorm_src 0
		.amdhsa_exception_fp_ieee_div_zero 0
		.amdhsa_exception_fp_ieee_overflow 0
		.amdhsa_exception_fp_ieee_underflow 0
		.amdhsa_exception_fp_ieee_inexact 0
		.amdhsa_exception_int_div_zero 0
	.end_amdhsa_kernel
	.section	.text._ZN7rocprim17ROCPRIM_400000_NS6detail17trampoline_kernelINS0_14default_configENS1_25partition_config_selectorILNS1_17partition_subalgoE5ElNS0_10empty_typeEbEEZZNS1_14partition_implILS5_5ELb0ES3_mN6hipcub16HIPCUB_304000_NS21CountingInputIteratorIllEEPS6_NSA_22TransformInputIteratorIbN2at6native12_GLOBAL__N_19NonZeroOpIiEEPKilEENS0_5tupleIJPlS6_EEENSN_IJSD_SD_EEES6_PiJS6_EEE10hipError_tPvRmT3_T4_T5_T6_T7_T9_mT8_P12ihipStream_tbDpT10_ENKUlT_T0_E_clISt17integral_constantIbLb0EES1B_EEDaS16_S17_EUlS16_E_NS1_11comp_targetILNS1_3genE2ELNS1_11target_archE906ELNS1_3gpuE6ELNS1_3repE0EEENS1_30default_config_static_selectorELNS0_4arch9wavefront6targetE0EEEvT1_,"axG",@progbits,_ZN7rocprim17ROCPRIM_400000_NS6detail17trampoline_kernelINS0_14default_configENS1_25partition_config_selectorILNS1_17partition_subalgoE5ElNS0_10empty_typeEbEEZZNS1_14partition_implILS5_5ELb0ES3_mN6hipcub16HIPCUB_304000_NS21CountingInputIteratorIllEEPS6_NSA_22TransformInputIteratorIbN2at6native12_GLOBAL__N_19NonZeroOpIiEEPKilEENS0_5tupleIJPlS6_EEENSN_IJSD_SD_EEES6_PiJS6_EEE10hipError_tPvRmT3_T4_T5_T6_T7_T9_mT8_P12ihipStream_tbDpT10_ENKUlT_T0_E_clISt17integral_constantIbLb0EES1B_EEDaS16_S17_EUlS16_E_NS1_11comp_targetILNS1_3genE2ELNS1_11target_archE906ELNS1_3gpuE6ELNS1_3repE0EEENS1_30default_config_static_selectorELNS0_4arch9wavefront6targetE0EEEvT1_,comdat
.Lfunc_end190:
	.size	_ZN7rocprim17ROCPRIM_400000_NS6detail17trampoline_kernelINS0_14default_configENS1_25partition_config_selectorILNS1_17partition_subalgoE5ElNS0_10empty_typeEbEEZZNS1_14partition_implILS5_5ELb0ES3_mN6hipcub16HIPCUB_304000_NS21CountingInputIteratorIllEEPS6_NSA_22TransformInputIteratorIbN2at6native12_GLOBAL__N_19NonZeroOpIiEEPKilEENS0_5tupleIJPlS6_EEENSN_IJSD_SD_EEES6_PiJS6_EEE10hipError_tPvRmT3_T4_T5_T6_T7_T9_mT8_P12ihipStream_tbDpT10_ENKUlT_T0_E_clISt17integral_constantIbLb0EES1B_EEDaS16_S17_EUlS16_E_NS1_11comp_targetILNS1_3genE2ELNS1_11target_archE906ELNS1_3gpuE6ELNS1_3repE0EEENS1_30default_config_static_selectorELNS0_4arch9wavefront6targetE0EEEvT1_, .Lfunc_end190-_ZN7rocprim17ROCPRIM_400000_NS6detail17trampoline_kernelINS0_14default_configENS1_25partition_config_selectorILNS1_17partition_subalgoE5ElNS0_10empty_typeEbEEZZNS1_14partition_implILS5_5ELb0ES3_mN6hipcub16HIPCUB_304000_NS21CountingInputIteratorIllEEPS6_NSA_22TransformInputIteratorIbN2at6native12_GLOBAL__N_19NonZeroOpIiEEPKilEENS0_5tupleIJPlS6_EEENSN_IJSD_SD_EEES6_PiJS6_EEE10hipError_tPvRmT3_T4_T5_T6_T7_T9_mT8_P12ihipStream_tbDpT10_ENKUlT_T0_E_clISt17integral_constantIbLb0EES1B_EEDaS16_S17_EUlS16_E_NS1_11comp_targetILNS1_3genE2ELNS1_11target_archE906ELNS1_3gpuE6ELNS1_3repE0EEENS1_30default_config_static_selectorELNS0_4arch9wavefront6targetE0EEEvT1_
                                        ; -- End function
	.section	.AMDGPU.csdata,"",@progbits
; Kernel info:
; codeLenInByte = 0
; NumSgprs: 0
; NumVgprs: 0
; ScratchSize: 0
; MemoryBound: 0
; FloatMode: 240
; IeeeMode: 1
; LDSByteSize: 0 bytes/workgroup (compile time only)
; SGPRBlocks: 0
; VGPRBlocks: 0
; NumSGPRsForWavesPerEU: 1
; NumVGPRsForWavesPerEU: 1
; Occupancy: 16
; WaveLimiterHint : 0
; COMPUTE_PGM_RSRC2:SCRATCH_EN: 0
; COMPUTE_PGM_RSRC2:USER_SGPR: 15
; COMPUTE_PGM_RSRC2:TRAP_HANDLER: 0
; COMPUTE_PGM_RSRC2:TGID_X_EN: 1
; COMPUTE_PGM_RSRC2:TGID_Y_EN: 0
; COMPUTE_PGM_RSRC2:TGID_Z_EN: 0
; COMPUTE_PGM_RSRC2:TIDIG_COMP_CNT: 0
	.section	.text._ZN7rocprim17ROCPRIM_400000_NS6detail17trampoline_kernelINS0_14default_configENS1_25partition_config_selectorILNS1_17partition_subalgoE5ElNS0_10empty_typeEbEEZZNS1_14partition_implILS5_5ELb0ES3_mN6hipcub16HIPCUB_304000_NS21CountingInputIteratorIllEEPS6_NSA_22TransformInputIteratorIbN2at6native12_GLOBAL__N_19NonZeroOpIiEEPKilEENS0_5tupleIJPlS6_EEENSN_IJSD_SD_EEES6_PiJS6_EEE10hipError_tPvRmT3_T4_T5_T6_T7_T9_mT8_P12ihipStream_tbDpT10_ENKUlT_T0_E_clISt17integral_constantIbLb0EES1B_EEDaS16_S17_EUlS16_E_NS1_11comp_targetILNS1_3genE10ELNS1_11target_archE1200ELNS1_3gpuE4ELNS1_3repE0EEENS1_30default_config_static_selectorELNS0_4arch9wavefront6targetE0EEEvT1_,"axG",@progbits,_ZN7rocprim17ROCPRIM_400000_NS6detail17trampoline_kernelINS0_14default_configENS1_25partition_config_selectorILNS1_17partition_subalgoE5ElNS0_10empty_typeEbEEZZNS1_14partition_implILS5_5ELb0ES3_mN6hipcub16HIPCUB_304000_NS21CountingInputIteratorIllEEPS6_NSA_22TransformInputIteratorIbN2at6native12_GLOBAL__N_19NonZeroOpIiEEPKilEENS0_5tupleIJPlS6_EEENSN_IJSD_SD_EEES6_PiJS6_EEE10hipError_tPvRmT3_T4_T5_T6_T7_T9_mT8_P12ihipStream_tbDpT10_ENKUlT_T0_E_clISt17integral_constantIbLb0EES1B_EEDaS16_S17_EUlS16_E_NS1_11comp_targetILNS1_3genE10ELNS1_11target_archE1200ELNS1_3gpuE4ELNS1_3repE0EEENS1_30default_config_static_selectorELNS0_4arch9wavefront6targetE0EEEvT1_,comdat
	.globl	_ZN7rocprim17ROCPRIM_400000_NS6detail17trampoline_kernelINS0_14default_configENS1_25partition_config_selectorILNS1_17partition_subalgoE5ElNS0_10empty_typeEbEEZZNS1_14partition_implILS5_5ELb0ES3_mN6hipcub16HIPCUB_304000_NS21CountingInputIteratorIllEEPS6_NSA_22TransformInputIteratorIbN2at6native12_GLOBAL__N_19NonZeroOpIiEEPKilEENS0_5tupleIJPlS6_EEENSN_IJSD_SD_EEES6_PiJS6_EEE10hipError_tPvRmT3_T4_T5_T6_T7_T9_mT8_P12ihipStream_tbDpT10_ENKUlT_T0_E_clISt17integral_constantIbLb0EES1B_EEDaS16_S17_EUlS16_E_NS1_11comp_targetILNS1_3genE10ELNS1_11target_archE1200ELNS1_3gpuE4ELNS1_3repE0EEENS1_30default_config_static_selectorELNS0_4arch9wavefront6targetE0EEEvT1_ ; -- Begin function _ZN7rocprim17ROCPRIM_400000_NS6detail17trampoline_kernelINS0_14default_configENS1_25partition_config_selectorILNS1_17partition_subalgoE5ElNS0_10empty_typeEbEEZZNS1_14partition_implILS5_5ELb0ES3_mN6hipcub16HIPCUB_304000_NS21CountingInputIteratorIllEEPS6_NSA_22TransformInputIteratorIbN2at6native12_GLOBAL__N_19NonZeroOpIiEEPKilEENS0_5tupleIJPlS6_EEENSN_IJSD_SD_EEES6_PiJS6_EEE10hipError_tPvRmT3_T4_T5_T6_T7_T9_mT8_P12ihipStream_tbDpT10_ENKUlT_T0_E_clISt17integral_constantIbLb0EES1B_EEDaS16_S17_EUlS16_E_NS1_11comp_targetILNS1_3genE10ELNS1_11target_archE1200ELNS1_3gpuE4ELNS1_3repE0EEENS1_30default_config_static_selectorELNS0_4arch9wavefront6targetE0EEEvT1_
	.p2align	8
	.type	_ZN7rocprim17ROCPRIM_400000_NS6detail17trampoline_kernelINS0_14default_configENS1_25partition_config_selectorILNS1_17partition_subalgoE5ElNS0_10empty_typeEbEEZZNS1_14partition_implILS5_5ELb0ES3_mN6hipcub16HIPCUB_304000_NS21CountingInputIteratorIllEEPS6_NSA_22TransformInputIteratorIbN2at6native12_GLOBAL__N_19NonZeroOpIiEEPKilEENS0_5tupleIJPlS6_EEENSN_IJSD_SD_EEES6_PiJS6_EEE10hipError_tPvRmT3_T4_T5_T6_T7_T9_mT8_P12ihipStream_tbDpT10_ENKUlT_T0_E_clISt17integral_constantIbLb0EES1B_EEDaS16_S17_EUlS16_E_NS1_11comp_targetILNS1_3genE10ELNS1_11target_archE1200ELNS1_3gpuE4ELNS1_3repE0EEENS1_30default_config_static_selectorELNS0_4arch9wavefront6targetE0EEEvT1_,@function
_ZN7rocprim17ROCPRIM_400000_NS6detail17trampoline_kernelINS0_14default_configENS1_25partition_config_selectorILNS1_17partition_subalgoE5ElNS0_10empty_typeEbEEZZNS1_14partition_implILS5_5ELb0ES3_mN6hipcub16HIPCUB_304000_NS21CountingInputIteratorIllEEPS6_NSA_22TransformInputIteratorIbN2at6native12_GLOBAL__N_19NonZeroOpIiEEPKilEENS0_5tupleIJPlS6_EEENSN_IJSD_SD_EEES6_PiJS6_EEE10hipError_tPvRmT3_T4_T5_T6_T7_T9_mT8_P12ihipStream_tbDpT10_ENKUlT_T0_E_clISt17integral_constantIbLb0EES1B_EEDaS16_S17_EUlS16_E_NS1_11comp_targetILNS1_3genE10ELNS1_11target_archE1200ELNS1_3gpuE4ELNS1_3repE0EEENS1_30default_config_static_selectorELNS0_4arch9wavefront6targetE0EEEvT1_: ; @_ZN7rocprim17ROCPRIM_400000_NS6detail17trampoline_kernelINS0_14default_configENS1_25partition_config_selectorILNS1_17partition_subalgoE5ElNS0_10empty_typeEbEEZZNS1_14partition_implILS5_5ELb0ES3_mN6hipcub16HIPCUB_304000_NS21CountingInputIteratorIllEEPS6_NSA_22TransformInputIteratorIbN2at6native12_GLOBAL__N_19NonZeroOpIiEEPKilEENS0_5tupleIJPlS6_EEENSN_IJSD_SD_EEES6_PiJS6_EEE10hipError_tPvRmT3_T4_T5_T6_T7_T9_mT8_P12ihipStream_tbDpT10_ENKUlT_T0_E_clISt17integral_constantIbLb0EES1B_EEDaS16_S17_EUlS16_E_NS1_11comp_targetILNS1_3genE10ELNS1_11target_archE1200ELNS1_3gpuE4ELNS1_3repE0EEENS1_30default_config_static_selectorELNS0_4arch9wavefront6targetE0EEEvT1_
; %bb.0:
	.section	.rodata,"a",@progbits
	.p2align	6, 0x0
	.amdhsa_kernel _ZN7rocprim17ROCPRIM_400000_NS6detail17trampoline_kernelINS0_14default_configENS1_25partition_config_selectorILNS1_17partition_subalgoE5ElNS0_10empty_typeEbEEZZNS1_14partition_implILS5_5ELb0ES3_mN6hipcub16HIPCUB_304000_NS21CountingInputIteratorIllEEPS6_NSA_22TransformInputIteratorIbN2at6native12_GLOBAL__N_19NonZeroOpIiEEPKilEENS0_5tupleIJPlS6_EEENSN_IJSD_SD_EEES6_PiJS6_EEE10hipError_tPvRmT3_T4_T5_T6_T7_T9_mT8_P12ihipStream_tbDpT10_ENKUlT_T0_E_clISt17integral_constantIbLb0EES1B_EEDaS16_S17_EUlS16_E_NS1_11comp_targetILNS1_3genE10ELNS1_11target_archE1200ELNS1_3gpuE4ELNS1_3repE0EEENS1_30default_config_static_selectorELNS0_4arch9wavefront6targetE0EEEvT1_
		.amdhsa_group_segment_fixed_size 0
		.amdhsa_private_segment_fixed_size 0
		.amdhsa_kernarg_size 120
		.amdhsa_user_sgpr_count 15
		.amdhsa_user_sgpr_dispatch_ptr 0
		.amdhsa_user_sgpr_queue_ptr 0
		.amdhsa_user_sgpr_kernarg_segment_ptr 1
		.amdhsa_user_sgpr_dispatch_id 0
		.amdhsa_user_sgpr_private_segment_size 0
		.amdhsa_wavefront_size32 1
		.amdhsa_uses_dynamic_stack 0
		.amdhsa_enable_private_segment 0
		.amdhsa_system_sgpr_workgroup_id_x 1
		.amdhsa_system_sgpr_workgroup_id_y 0
		.amdhsa_system_sgpr_workgroup_id_z 0
		.amdhsa_system_sgpr_workgroup_info 0
		.amdhsa_system_vgpr_workitem_id 0
		.amdhsa_next_free_vgpr 1
		.amdhsa_next_free_sgpr 1
		.amdhsa_reserve_vcc 0
		.amdhsa_float_round_mode_32 0
		.amdhsa_float_round_mode_16_64 0
		.amdhsa_float_denorm_mode_32 3
		.amdhsa_float_denorm_mode_16_64 3
		.amdhsa_dx10_clamp 1
		.amdhsa_ieee_mode 1
		.amdhsa_fp16_overflow 0
		.amdhsa_workgroup_processor_mode 1
		.amdhsa_memory_ordered 1
		.amdhsa_forward_progress 0
		.amdhsa_shared_vgpr_count 0
		.amdhsa_exception_fp_ieee_invalid_op 0
		.amdhsa_exception_fp_denorm_src 0
		.amdhsa_exception_fp_ieee_div_zero 0
		.amdhsa_exception_fp_ieee_overflow 0
		.amdhsa_exception_fp_ieee_underflow 0
		.amdhsa_exception_fp_ieee_inexact 0
		.amdhsa_exception_int_div_zero 0
	.end_amdhsa_kernel
	.section	.text._ZN7rocprim17ROCPRIM_400000_NS6detail17trampoline_kernelINS0_14default_configENS1_25partition_config_selectorILNS1_17partition_subalgoE5ElNS0_10empty_typeEbEEZZNS1_14partition_implILS5_5ELb0ES3_mN6hipcub16HIPCUB_304000_NS21CountingInputIteratorIllEEPS6_NSA_22TransformInputIteratorIbN2at6native12_GLOBAL__N_19NonZeroOpIiEEPKilEENS0_5tupleIJPlS6_EEENSN_IJSD_SD_EEES6_PiJS6_EEE10hipError_tPvRmT3_T4_T5_T6_T7_T9_mT8_P12ihipStream_tbDpT10_ENKUlT_T0_E_clISt17integral_constantIbLb0EES1B_EEDaS16_S17_EUlS16_E_NS1_11comp_targetILNS1_3genE10ELNS1_11target_archE1200ELNS1_3gpuE4ELNS1_3repE0EEENS1_30default_config_static_selectorELNS0_4arch9wavefront6targetE0EEEvT1_,"axG",@progbits,_ZN7rocprim17ROCPRIM_400000_NS6detail17trampoline_kernelINS0_14default_configENS1_25partition_config_selectorILNS1_17partition_subalgoE5ElNS0_10empty_typeEbEEZZNS1_14partition_implILS5_5ELb0ES3_mN6hipcub16HIPCUB_304000_NS21CountingInputIteratorIllEEPS6_NSA_22TransformInputIteratorIbN2at6native12_GLOBAL__N_19NonZeroOpIiEEPKilEENS0_5tupleIJPlS6_EEENSN_IJSD_SD_EEES6_PiJS6_EEE10hipError_tPvRmT3_T4_T5_T6_T7_T9_mT8_P12ihipStream_tbDpT10_ENKUlT_T0_E_clISt17integral_constantIbLb0EES1B_EEDaS16_S17_EUlS16_E_NS1_11comp_targetILNS1_3genE10ELNS1_11target_archE1200ELNS1_3gpuE4ELNS1_3repE0EEENS1_30default_config_static_selectorELNS0_4arch9wavefront6targetE0EEEvT1_,comdat
.Lfunc_end191:
	.size	_ZN7rocprim17ROCPRIM_400000_NS6detail17trampoline_kernelINS0_14default_configENS1_25partition_config_selectorILNS1_17partition_subalgoE5ElNS0_10empty_typeEbEEZZNS1_14partition_implILS5_5ELb0ES3_mN6hipcub16HIPCUB_304000_NS21CountingInputIteratorIllEEPS6_NSA_22TransformInputIteratorIbN2at6native12_GLOBAL__N_19NonZeroOpIiEEPKilEENS0_5tupleIJPlS6_EEENSN_IJSD_SD_EEES6_PiJS6_EEE10hipError_tPvRmT3_T4_T5_T6_T7_T9_mT8_P12ihipStream_tbDpT10_ENKUlT_T0_E_clISt17integral_constantIbLb0EES1B_EEDaS16_S17_EUlS16_E_NS1_11comp_targetILNS1_3genE10ELNS1_11target_archE1200ELNS1_3gpuE4ELNS1_3repE0EEENS1_30default_config_static_selectorELNS0_4arch9wavefront6targetE0EEEvT1_, .Lfunc_end191-_ZN7rocprim17ROCPRIM_400000_NS6detail17trampoline_kernelINS0_14default_configENS1_25partition_config_selectorILNS1_17partition_subalgoE5ElNS0_10empty_typeEbEEZZNS1_14partition_implILS5_5ELb0ES3_mN6hipcub16HIPCUB_304000_NS21CountingInputIteratorIllEEPS6_NSA_22TransformInputIteratorIbN2at6native12_GLOBAL__N_19NonZeroOpIiEEPKilEENS0_5tupleIJPlS6_EEENSN_IJSD_SD_EEES6_PiJS6_EEE10hipError_tPvRmT3_T4_T5_T6_T7_T9_mT8_P12ihipStream_tbDpT10_ENKUlT_T0_E_clISt17integral_constantIbLb0EES1B_EEDaS16_S17_EUlS16_E_NS1_11comp_targetILNS1_3genE10ELNS1_11target_archE1200ELNS1_3gpuE4ELNS1_3repE0EEENS1_30default_config_static_selectorELNS0_4arch9wavefront6targetE0EEEvT1_
                                        ; -- End function
	.section	.AMDGPU.csdata,"",@progbits
; Kernel info:
; codeLenInByte = 0
; NumSgprs: 0
; NumVgprs: 0
; ScratchSize: 0
; MemoryBound: 0
; FloatMode: 240
; IeeeMode: 1
; LDSByteSize: 0 bytes/workgroup (compile time only)
; SGPRBlocks: 0
; VGPRBlocks: 0
; NumSGPRsForWavesPerEU: 1
; NumVGPRsForWavesPerEU: 1
; Occupancy: 16
; WaveLimiterHint : 0
; COMPUTE_PGM_RSRC2:SCRATCH_EN: 0
; COMPUTE_PGM_RSRC2:USER_SGPR: 15
; COMPUTE_PGM_RSRC2:TRAP_HANDLER: 0
; COMPUTE_PGM_RSRC2:TGID_X_EN: 1
; COMPUTE_PGM_RSRC2:TGID_Y_EN: 0
; COMPUTE_PGM_RSRC2:TGID_Z_EN: 0
; COMPUTE_PGM_RSRC2:TIDIG_COMP_CNT: 0
	.section	.text._ZN7rocprim17ROCPRIM_400000_NS6detail17trampoline_kernelINS0_14default_configENS1_25partition_config_selectorILNS1_17partition_subalgoE5ElNS0_10empty_typeEbEEZZNS1_14partition_implILS5_5ELb0ES3_mN6hipcub16HIPCUB_304000_NS21CountingInputIteratorIllEEPS6_NSA_22TransformInputIteratorIbN2at6native12_GLOBAL__N_19NonZeroOpIiEEPKilEENS0_5tupleIJPlS6_EEENSN_IJSD_SD_EEES6_PiJS6_EEE10hipError_tPvRmT3_T4_T5_T6_T7_T9_mT8_P12ihipStream_tbDpT10_ENKUlT_T0_E_clISt17integral_constantIbLb0EES1B_EEDaS16_S17_EUlS16_E_NS1_11comp_targetILNS1_3genE9ELNS1_11target_archE1100ELNS1_3gpuE3ELNS1_3repE0EEENS1_30default_config_static_selectorELNS0_4arch9wavefront6targetE0EEEvT1_,"axG",@progbits,_ZN7rocprim17ROCPRIM_400000_NS6detail17trampoline_kernelINS0_14default_configENS1_25partition_config_selectorILNS1_17partition_subalgoE5ElNS0_10empty_typeEbEEZZNS1_14partition_implILS5_5ELb0ES3_mN6hipcub16HIPCUB_304000_NS21CountingInputIteratorIllEEPS6_NSA_22TransformInputIteratorIbN2at6native12_GLOBAL__N_19NonZeroOpIiEEPKilEENS0_5tupleIJPlS6_EEENSN_IJSD_SD_EEES6_PiJS6_EEE10hipError_tPvRmT3_T4_T5_T6_T7_T9_mT8_P12ihipStream_tbDpT10_ENKUlT_T0_E_clISt17integral_constantIbLb0EES1B_EEDaS16_S17_EUlS16_E_NS1_11comp_targetILNS1_3genE9ELNS1_11target_archE1100ELNS1_3gpuE3ELNS1_3repE0EEENS1_30default_config_static_selectorELNS0_4arch9wavefront6targetE0EEEvT1_,comdat
	.globl	_ZN7rocprim17ROCPRIM_400000_NS6detail17trampoline_kernelINS0_14default_configENS1_25partition_config_selectorILNS1_17partition_subalgoE5ElNS0_10empty_typeEbEEZZNS1_14partition_implILS5_5ELb0ES3_mN6hipcub16HIPCUB_304000_NS21CountingInputIteratorIllEEPS6_NSA_22TransformInputIteratorIbN2at6native12_GLOBAL__N_19NonZeroOpIiEEPKilEENS0_5tupleIJPlS6_EEENSN_IJSD_SD_EEES6_PiJS6_EEE10hipError_tPvRmT3_T4_T5_T6_T7_T9_mT8_P12ihipStream_tbDpT10_ENKUlT_T0_E_clISt17integral_constantIbLb0EES1B_EEDaS16_S17_EUlS16_E_NS1_11comp_targetILNS1_3genE9ELNS1_11target_archE1100ELNS1_3gpuE3ELNS1_3repE0EEENS1_30default_config_static_selectorELNS0_4arch9wavefront6targetE0EEEvT1_ ; -- Begin function _ZN7rocprim17ROCPRIM_400000_NS6detail17trampoline_kernelINS0_14default_configENS1_25partition_config_selectorILNS1_17partition_subalgoE5ElNS0_10empty_typeEbEEZZNS1_14partition_implILS5_5ELb0ES3_mN6hipcub16HIPCUB_304000_NS21CountingInputIteratorIllEEPS6_NSA_22TransformInputIteratorIbN2at6native12_GLOBAL__N_19NonZeroOpIiEEPKilEENS0_5tupleIJPlS6_EEENSN_IJSD_SD_EEES6_PiJS6_EEE10hipError_tPvRmT3_T4_T5_T6_T7_T9_mT8_P12ihipStream_tbDpT10_ENKUlT_T0_E_clISt17integral_constantIbLb0EES1B_EEDaS16_S17_EUlS16_E_NS1_11comp_targetILNS1_3genE9ELNS1_11target_archE1100ELNS1_3gpuE3ELNS1_3repE0EEENS1_30default_config_static_selectorELNS0_4arch9wavefront6targetE0EEEvT1_
	.p2align	8
	.type	_ZN7rocprim17ROCPRIM_400000_NS6detail17trampoline_kernelINS0_14default_configENS1_25partition_config_selectorILNS1_17partition_subalgoE5ElNS0_10empty_typeEbEEZZNS1_14partition_implILS5_5ELb0ES3_mN6hipcub16HIPCUB_304000_NS21CountingInputIteratorIllEEPS6_NSA_22TransformInputIteratorIbN2at6native12_GLOBAL__N_19NonZeroOpIiEEPKilEENS0_5tupleIJPlS6_EEENSN_IJSD_SD_EEES6_PiJS6_EEE10hipError_tPvRmT3_T4_T5_T6_T7_T9_mT8_P12ihipStream_tbDpT10_ENKUlT_T0_E_clISt17integral_constantIbLb0EES1B_EEDaS16_S17_EUlS16_E_NS1_11comp_targetILNS1_3genE9ELNS1_11target_archE1100ELNS1_3gpuE3ELNS1_3repE0EEENS1_30default_config_static_selectorELNS0_4arch9wavefront6targetE0EEEvT1_,@function
_ZN7rocprim17ROCPRIM_400000_NS6detail17trampoline_kernelINS0_14default_configENS1_25partition_config_selectorILNS1_17partition_subalgoE5ElNS0_10empty_typeEbEEZZNS1_14partition_implILS5_5ELb0ES3_mN6hipcub16HIPCUB_304000_NS21CountingInputIteratorIllEEPS6_NSA_22TransformInputIteratorIbN2at6native12_GLOBAL__N_19NonZeroOpIiEEPKilEENS0_5tupleIJPlS6_EEENSN_IJSD_SD_EEES6_PiJS6_EEE10hipError_tPvRmT3_T4_T5_T6_T7_T9_mT8_P12ihipStream_tbDpT10_ENKUlT_T0_E_clISt17integral_constantIbLb0EES1B_EEDaS16_S17_EUlS16_E_NS1_11comp_targetILNS1_3genE9ELNS1_11target_archE1100ELNS1_3gpuE3ELNS1_3repE0EEENS1_30default_config_static_selectorELNS0_4arch9wavefront6targetE0EEEvT1_: ; @_ZN7rocprim17ROCPRIM_400000_NS6detail17trampoline_kernelINS0_14default_configENS1_25partition_config_selectorILNS1_17partition_subalgoE5ElNS0_10empty_typeEbEEZZNS1_14partition_implILS5_5ELb0ES3_mN6hipcub16HIPCUB_304000_NS21CountingInputIteratorIllEEPS6_NSA_22TransformInputIteratorIbN2at6native12_GLOBAL__N_19NonZeroOpIiEEPKilEENS0_5tupleIJPlS6_EEENSN_IJSD_SD_EEES6_PiJS6_EEE10hipError_tPvRmT3_T4_T5_T6_T7_T9_mT8_P12ihipStream_tbDpT10_ENKUlT_T0_E_clISt17integral_constantIbLb0EES1B_EEDaS16_S17_EUlS16_E_NS1_11comp_targetILNS1_3genE9ELNS1_11target_archE1100ELNS1_3gpuE3ELNS1_3repE0EEENS1_30default_config_static_selectorELNS0_4arch9wavefront6targetE0EEEvT1_
; %bb.0:
	s_clause 0x4
	s_load_b128 s[8:11], s[0:1], 0x8
	s_load_b128 s[4:7], s[0:1], 0x48
	s_load_b32 s14, s[0:1], 0x70
	s_load_b64 s[2:3], s[0:1], 0x58
	s_load_b64 s[12:13], s[0:1], 0x20
	s_waitcnt lgkmcnt(0)
	s_add_u32 s18, s10, s8
	s_load_b64 s[6:7], s[6:7], 0x0
	s_mul_i32 s17, s14, 0x300
	s_addc_u32 s19, s11, s9
	s_add_i32 s14, s14, -1
	s_add_u32 s8, s10, s17
	s_addc_u32 s9, s11, 0
	s_cmp_eq_u32 s15, s14
	v_cmp_ge_u64_e64 s3, s[8:9], s[2:3]
	s_cselect_b32 s14, -1, 0
	s_mul_i32 s8, s15, 0x300
	s_mov_b32 s9, 0
	s_delay_alu instid0(VALU_DEP_1) | instskip(NEXT) | instid1(SALU_CYCLE_1)
	s_and_b32 s3, s14, s3
	s_xor_b32 s16, s3, -1
	s_mov_b32 s3, -1
	s_and_b32 vcc_lo, exec_lo, s16
	s_cbranch_vccz .LBB192_2
; %bb.1:
	s_add_u32 s3, s18, s8
	s_addc_u32 s20, s19, 0
	v_add_co_u32 v1, s3, s3, v0
	s_delay_alu instid0(VALU_DEP_1) | instskip(SKIP_1) | instid1(VALU_DEP_3)
	v_add_co_ci_u32_e64 v2, null, s20, 0, s3
	v_lshlrev_b32_e32 v13, 3, v0
	v_add_co_u32 v3, vcc_lo, 0x80, v1
	s_delay_alu instid0(VALU_DEP_3)
	v_add_co_ci_u32_e32 v4, vcc_lo, 0, v2, vcc_lo
	v_add_co_u32 v5, vcc_lo, 0x100, v1
	v_add_co_ci_u32_e32 v6, vcc_lo, 0, v2, vcc_lo
	v_add_co_u32 v7, vcc_lo, 0x180, v1
	v_add_co_ci_u32_e32 v8, vcc_lo, 0, v2, vcc_lo
	v_add_co_u32 v9, vcc_lo, 0x200, v1
	v_add_co_ci_u32_e32 v10, vcc_lo, 0, v2, vcc_lo
	v_add_co_u32 v11, vcc_lo, 0x280, v1
	v_add_co_ci_u32_e32 v12, vcc_lo, 0, v2, vcc_lo
	ds_store_2addr_stride64_b64 v13, v[1:2], v[3:4] offset1:2
	ds_store_2addr_stride64_b64 v13, v[5:6], v[7:8] offset0:4 offset1:6
	ds_store_2addr_stride64_b64 v13, v[9:10], v[11:12] offset0:8 offset1:10
	s_waitcnt lgkmcnt(0)
	s_mov_b32 s3, s9
	s_barrier
.LBB192_2:
	v_or_b32_e32 v17, 0x100, v0
	v_or_b32_e32 v16, 0x180, v0
	;; [unrolled: 1-line block ×4, first 2 shown]
	s_and_not1_b32 vcc_lo, exec_lo, s3
	s_cbranch_vccnz .LBB192_4
; %bb.3:
	v_or_b32_e32 v3, 0x80, v0
	s_add_u32 s3, s18, s8
	s_addc_u32 s18, s19, 0
	v_add_co_u32 v1, s19, s3, v0
	s_delay_alu instid0(VALU_DEP_1) | instskip(SKIP_1) | instid1(VALU_DEP_1)
	v_add_co_ci_u32_e64 v2, null, s18, 0, s19
	v_add_co_u32 v3, s19, s3, v3
	v_add_co_ci_u32_e64 v4, null, s18, 0, s19
	v_add_co_u32 v5, s19, s3, v17
	s_delay_alu instid0(VALU_DEP_1) | instskip(SKIP_1) | instid1(VALU_DEP_1)
	v_add_co_ci_u32_e64 v6, null, s18, 0, s19
	v_add_co_u32 v7, s19, s3, v16
	v_add_co_ci_u32_e64 v8, null, s18, 0, s19
	v_add_co_u32 v9, s19, s3, v14
	v_lshlrev_b32_e32 v15, 3, v0
	v_add_co_u32 v11, s3, s3, v13
	v_add_co_ci_u32_e64 v10, null, s18, 0, s19
	v_add_co_ci_u32_e64 v12, null, s18, 0, s3
	ds_store_2addr_stride64_b64 v15, v[1:2], v[3:4] offset1:2
	ds_store_2addr_stride64_b64 v15, v[5:6], v[7:8] offset0:4 offset1:6
	ds_store_2addr_stride64_b64 v15, v[9:10], v[11:12] offset0:8 offset1:10
	s_waitcnt lgkmcnt(0)
	s_barrier
.LBB192_4:
	v_mul_u32_u24_e32 v1, 6, v0
	s_waitcnt lgkmcnt(0)
	buffer_gl0_inv
	s_lshl_b64 s[18:19], s[10:11], 2
	v_lshlrev_b32_e32 v18, 2, v0
	s_add_u32 s3, s12, s18
	v_lshlrev_b32_e32 v15, 3, v1
	s_addc_u32 s11, s13, s19
	s_lshl_b64 s[8:9], s[8:9], 2
	ds_load_b128 v[9:12], v15
	ds_load_b128 v[5:8], v15 offset:16
	ds_load_b128 v[1:4], v15 offset:32
	s_add_u32 s12, s3, s8
	s_addc_u32 s13, s11, s9
	s_and_b32 vcc_lo, exec_lo, s16
	s_mov_b32 s3, -1
	s_waitcnt lgkmcnt(0)
	s_barrier
	buffer_gl0_inv
	s_cbranch_vccz .LBB192_6
; %bb.5:
	s_clause 0x5
	global_load_b32 v19, v18, s[12:13]
	global_load_b32 v20, v18, s[12:13] offset:512
	global_load_b32 v21, v18, s[12:13] offset:1024
	;; [unrolled: 1-line block ×5, first 2 shown]
	s_mov_b32 s3, 0
	s_waitcnt vmcnt(5)
	v_cmp_ne_u32_e32 vcc_lo, 0, v19
	v_cndmask_b32_e64 v19, 0, 1, vcc_lo
	s_waitcnt vmcnt(4)
	v_cmp_ne_u32_e32 vcc_lo, 0, v20
	v_cndmask_b32_e64 v20, 0, 1, vcc_lo
	;; [unrolled: 3-line block ×6, first 2 shown]
	ds_store_b8 v0, v19
	ds_store_b8 v0, v20 offset:128
	ds_store_b8 v0, v21 offset:256
	;; [unrolled: 1-line block ×5, first 2 shown]
	s_waitcnt lgkmcnt(0)
	s_barrier
.LBB192_6:
	s_load_b64 s[8:9], s[0:1], 0x68
	s_and_not1_b32 vcc_lo, exec_lo, s3
	s_cbranch_vccnz .LBB192_20
; %bb.7:
	s_add_i32 s17, s17, s10
	v_dual_mov_b32 v19, 0 :: v_dual_mov_b32 v20, 0
	s_sub_i32 s2, s2, s17
	s_mov_b32 s3, exec_lo
	s_addk_i32 s2, 0x300
	s_delay_alu instid0(SALU_CYCLE_1)
	v_cmpx_gt_u32_e64 s2, v0
	s_cbranch_execz .LBB192_9
; %bb.8:
	global_load_b32 v20, v18, s[12:13]
	s_waitcnt vmcnt(0)
	v_cmp_ne_u32_e32 vcc_lo, 0, v20
	v_cndmask_b32_e64 v20, 0, 1, vcc_lo
.LBB192_9:
	s_or_b32 exec_lo, exec_lo, s3
	v_or_b32_e32 v21, 0x80, v0
	s_mov_b32 s3, exec_lo
	s_delay_alu instid0(VALU_DEP_1)
	v_cmpx_gt_u32_e64 s2, v21
	s_cbranch_execz .LBB192_11
; %bb.10:
	global_load_b32 v19, v18, s[12:13] offset:512
	s_waitcnt vmcnt(0)
	v_cmp_ne_u32_e32 vcc_lo, 0, v19
	v_cndmask_b32_e64 v19, 0, 1, vcc_lo
.LBB192_11:
	s_or_b32 exec_lo, exec_lo, s3
	v_cmp_gt_u32_e32 vcc_lo, s2, v17
	v_mov_b32_e32 v17, 0
	v_mov_b32_e32 v21, 0
	s_and_saveexec_b32 s3, vcc_lo
	s_cbranch_execz .LBB192_13
; %bb.12:
	global_load_b32 v21, v18, s[12:13] offset:1024
	s_waitcnt vmcnt(0)
	v_cmp_ne_u32_e32 vcc_lo, 0, v21
	v_cndmask_b32_e64 v21, 0, 1, vcc_lo
.LBB192_13:
	s_or_b32 exec_lo, exec_lo, s3
	s_delay_alu instid0(SALU_CYCLE_1)
	s_mov_b32 s3, exec_lo
	v_cmpx_gt_u32_e64 s2, v16
	s_cbranch_execz .LBB192_15
; %bb.14:
	global_load_b32 v16, v18, s[12:13] offset:1536
	s_waitcnt vmcnt(0)
	v_cmp_ne_u32_e32 vcc_lo, 0, v16
	v_cndmask_b32_e64 v17, 0, 1, vcc_lo
.LBB192_15:
	s_or_b32 exec_lo, exec_lo, s3
	v_cmp_gt_u32_e32 vcc_lo, s2, v14
	v_mov_b32_e32 v14, 0
	v_mov_b32_e32 v16, 0
	s_and_saveexec_b32 s3, vcc_lo
	s_cbranch_execz .LBB192_17
; %bb.16:
	global_load_b32 v16, v18, s[12:13] offset:2048
	s_waitcnt vmcnt(0)
	v_cmp_ne_u32_e32 vcc_lo, 0, v16
	v_cndmask_b32_e64 v16, 0, 1, vcc_lo
.LBB192_17:
	s_or_b32 exec_lo, exec_lo, s3
	v_cmp_gt_u32_e32 vcc_lo, s2, v13
	s_and_saveexec_b32 s2, vcc_lo
	s_cbranch_execz .LBB192_19
; %bb.18:
	global_load_b32 v13, v18, s[12:13] offset:2560
	s_waitcnt vmcnt(0)
	v_cmp_ne_u32_e32 vcc_lo, 0, v13
	v_cndmask_b32_e64 v14, 0, 1, vcc_lo
.LBB192_19:
	s_or_b32 exec_lo, exec_lo, s2
	ds_store_b8 v0, v20
	ds_store_b8 v0, v19 offset:128
	ds_store_b8 v0, v21 offset:256
	;; [unrolled: 1-line block ×5, first 2 shown]
	s_waitcnt lgkmcnt(0)
	s_barrier
.LBB192_20:
	v_mad_i32_i24 v43, 0xffffffd6, v0, v15
	s_waitcnt lgkmcnt(0)
	buffer_gl0_inv
	v_mbcnt_lo_u32_b32 v42, -1, 0
	s_cmp_lg_u32 s15, 0
	s_mov_b32 s3, -1
	ds_load_u16 v36, v43
	ds_load_u16 v33, v43 offset:2
	ds_load_u16 v31, v43 offset:4
	v_mov_b32_e32 v14, 0
	v_and_b32_e32 v44, 15, v42
	s_waitcnt lgkmcnt(0)
	s_barrier
	buffer_gl0_inv
	v_and_b32_e32 v41, 0xff, v36
	v_lshrrev_b16 v34, 8, v36
	v_lshrrev_b16 v35, 8, v33
	v_and_b32_e32 v39, 0xff, v33
	v_lshrrev_b16 v32, 8, v31
	v_and_b32_e32 v37, 0xff, v31
	v_and_b32_e32 v40, 0xffff, v34
	;; [unrolled: 1-line block ×3, first 2 shown]
	s_delay_alu instid0(VALU_DEP_4) | instskip(NEXT) | instid1(VALU_DEP_3)
	v_and_b32_e32 v16, 0xffff, v32
	v_add_co_u32 v13, s2, v40, v41
	s_delay_alu instid0(VALU_DEP_1) | instskip(SKIP_1) | instid1(VALU_DEP_3)
	v_add_co_ci_u32_e64 v15, null, 0, 0, s2
	v_cmp_ne_u32_e64 s2, 0, v44
	v_add_co_u32 v13, vcc_lo, v13, v39
	s_delay_alu instid0(VALU_DEP_3) | instskip(NEXT) | instid1(VALU_DEP_2)
	v_add_co_ci_u32_e32 v15, vcc_lo, 0, v15, vcc_lo
	v_add_co_u32 v13, vcc_lo, v13, v38
	s_delay_alu instid0(VALU_DEP_2) | instskip(NEXT) | instid1(VALU_DEP_2)
	v_add_co_ci_u32_e32 v15, vcc_lo, 0, v15, vcc_lo
	v_add_co_u32 v13, vcc_lo, v13, v37
	s_delay_alu instid0(VALU_DEP_2) | instskip(NEXT) | instid1(VALU_DEP_2)
	v_add_co_ci_u32_e32 v15, vcc_lo, 0, v15, vcc_lo
	v_add_co_u32 v21, vcc_lo, v13, v16
	s_delay_alu instid0(VALU_DEP_2)
	v_add_co_ci_u32_e32 v22, vcc_lo, 0, v15, vcc_lo
	s_cbranch_scc0 .LBB192_84
; %bb.21:
	s_delay_alu instid0(VALU_DEP_2)
	v_mov_b32_e32 v15, v21
	v_mov_b32_dpp v13, v21 row_shr:1 row_mask:0xf bank_mask:0xf
	v_mov_b32_dpp v18, v14 row_shr:1 row_mask:0xf bank_mask:0xf
	v_dual_mov_b32 v17, v21 :: v_dual_mov_b32 v16, v22
	s_and_saveexec_b32 s3, s2
; %bb.22:
	s_delay_alu instid0(VALU_DEP_3) | instskip(SKIP_1) | instid1(VALU_DEP_2)
	v_add_co_u32 v17, vcc_lo, v21, v13
	v_add_co_ci_u32_e32 v14, vcc_lo, 0, v22, vcc_lo
	v_add_co_u32 v13, vcc_lo, 0, v17
	s_delay_alu instid0(VALU_DEP_2) | instskip(NEXT) | instid1(VALU_DEP_1)
	v_add_co_ci_u32_e32 v14, vcc_lo, v18, v14, vcc_lo
	v_dual_mov_b32 v16, v14 :: v_dual_mov_b32 v15, v13
; %bb.23:
	s_or_b32 exec_lo, exec_lo, s3
	v_mov_b32_dpp v13, v17 row_shr:2 row_mask:0xf bank_mask:0xf
	v_mov_b32_dpp v18, v14 row_shr:2 row_mask:0xf bank_mask:0xf
	s_mov_b32 s3, exec_lo
	v_cmpx_lt_u32_e32 1, v44
; %bb.24:
	s_delay_alu instid0(VALU_DEP_3) | instskip(SKIP_1) | instid1(VALU_DEP_2)
	v_add_co_u32 v17, vcc_lo, v15, v13
	v_add_co_ci_u32_e32 v14, vcc_lo, 0, v16, vcc_lo
	v_add_co_u32 v13, vcc_lo, 0, v17
	s_delay_alu instid0(VALU_DEP_2) | instskip(NEXT) | instid1(VALU_DEP_1)
	v_add_co_ci_u32_e32 v14, vcc_lo, v18, v14, vcc_lo
	v_dual_mov_b32 v16, v14 :: v_dual_mov_b32 v15, v13
; %bb.25:
	s_or_b32 exec_lo, exec_lo, s3
	v_mov_b32_dpp v13, v17 row_shr:4 row_mask:0xf bank_mask:0xf
	v_mov_b32_dpp v18, v14 row_shr:4 row_mask:0xf bank_mask:0xf
	s_mov_b32 s3, exec_lo
	v_cmpx_lt_u32_e32 3, v44
	;; [unrolled: 14-line block ×3, first 2 shown]
; %bb.28:
	s_delay_alu instid0(VALU_DEP_3) | instskip(SKIP_1) | instid1(VALU_DEP_2)
	v_add_co_u32 v17, vcc_lo, v15, v18
	v_add_co_ci_u32_e32 v14, vcc_lo, 0, v16, vcc_lo
	v_add_co_u32 v15, vcc_lo, 0, v17
	s_delay_alu instid0(VALU_DEP_2) | instskip(NEXT) | instid1(VALU_DEP_1)
	v_add_co_ci_u32_e32 v16, vcc_lo, v13, v14, vcc_lo
	v_mov_b32_e32 v14, v16
; %bb.29:
	s_or_b32 exec_lo, exec_lo, s3
	ds_swizzle_b32 v13, v17 offset:swizzle(BROADCAST,32,15)
	ds_swizzle_b32 v18, v14 offset:swizzle(BROADCAST,32,15)
	v_and_b32_e32 v19, 16, v42
	s_mov_b32 s3, exec_lo
	s_delay_alu instid0(VALU_DEP_1)
	v_cmpx_ne_u32_e32 0, v19
	s_cbranch_execz .LBB192_31
; %bb.30:
	s_waitcnt lgkmcnt(1)
	v_add_co_u32 v17, vcc_lo, v15, v13
	v_add_co_ci_u32_e32 v14, vcc_lo, 0, v16, vcc_lo
	s_delay_alu instid0(VALU_DEP_2) | instskip(SKIP_1) | instid1(VALU_DEP_2)
	v_add_co_u32 v13, vcc_lo, 0, v17
	s_waitcnt lgkmcnt(0)
	v_add_co_ci_u32_e32 v14, vcc_lo, v18, v14, vcc_lo
	s_delay_alu instid0(VALU_DEP_1)
	v_dual_mov_b32 v16, v14 :: v_dual_mov_b32 v15, v13
.LBB192_31:
	s_or_b32 exec_lo, exec_lo, s3
	s_waitcnt lgkmcnt(0)
	v_or_b32_e32 v18, 31, v0
	v_lshrrev_b32_e32 v13, 5, v0
	s_mov_b32 s3, exec_lo
	s_delay_alu instid0(VALU_DEP_2)
	v_cmpx_eq_u32_e64 v18, v0
	s_cbranch_execz .LBB192_33
; %bb.32:
	s_delay_alu instid0(VALU_DEP_2)
	v_lshlrev_b32_e32 v18, 3, v13
	ds_store_b64 v18, v[15:16]
.LBB192_33:
	s_or_b32 exec_lo, exec_lo, s3
	s_delay_alu instid0(SALU_CYCLE_1)
	s_mov_b32 s3, exec_lo
	s_waitcnt lgkmcnt(0)
	s_barrier
	buffer_gl0_inv
	v_cmpx_gt_u32_e32 4, v0
	s_cbranch_execz .LBB192_39
; %bb.34:
	v_lshlrev_b32_e32 v18, 3, v0
	s_mov_b32 s10, exec_lo
	ds_load_b64 v[15:16], v18
	s_waitcnt lgkmcnt(0)
	v_dual_mov_b32 v20, v15 :: v_dual_and_b32 v19, 3, v42
	v_mov_b32_dpp v24, v15 row_shr:1 row_mask:0xf bank_mask:0xf
	v_mov_b32_dpp v23, v16 row_shr:1 row_mask:0xf bank_mask:0xf
	s_delay_alu instid0(VALU_DEP_3)
	v_cmpx_ne_u32_e32 0, v19
; %bb.35:
	s_delay_alu instid0(VALU_DEP_3) | instskip(SKIP_1) | instid1(VALU_DEP_2)
	v_add_co_u32 v20, vcc_lo, v15, v24
	v_add_co_ci_u32_e32 v16, vcc_lo, 0, v16, vcc_lo
	v_add_co_u32 v15, vcc_lo, 0, v20
	s_delay_alu instid0(VALU_DEP_2)
	v_add_co_ci_u32_e32 v16, vcc_lo, v23, v16, vcc_lo
; %bb.36:
	s_or_b32 exec_lo, exec_lo, s10
	v_mov_b32_dpp v23, v20 row_shr:2 row_mask:0xf bank_mask:0xf
	s_delay_alu instid0(VALU_DEP_2)
	v_mov_b32_dpp v20, v16 row_shr:2 row_mask:0xf bank_mask:0xf
	s_mov_b32 s10, exec_lo
	v_cmpx_lt_u32_e32 1, v19
; %bb.37:
	s_delay_alu instid0(VALU_DEP_3) | instskip(SKIP_1) | instid1(VALU_DEP_2)
	v_add_co_u32 v15, vcc_lo, v15, v23
	v_add_co_ci_u32_e32 v16, vcc_lo, 0, v16, vcc_lo
	v_add_co_u32 v15, vcc_lo, v15, 0
	s_delay_alu instid0(VALU_DEP_2)
	v_add_co_ci_u32_e32 v16, vcc_lo, v16, v20, vcc_lo
; %bb.38:
	s_or_b32 exec_lo, exec_lo, s10
	ds_store_b64 v18, v[15:16]
.LBB192_39:
	s_or_b32 exec_lo, exec_lo, s3
	v_cmp_gt_u32_e32 vcc_lo, 32, v0
	s_mov_b32 s10, exec_lo
	s_waitcnt lgkmcnt(0)
	s_barrier
	buffer_gl0_inv
                                        ; implicit-def: $vgpr23_vgpr24
	v_cmpx_lt_u32_e32 31, v0
	s_cbranch_execz .LBB192_41
; %bb.40:
	v_lshl_add_u32 v13, v13, 3, -8
	ds_load_b64 v[23:24], v13
	s_waitcnt lgkmcnt(0)
	v_add_co_u32 v17, s3, v17, v23
	s_delay_alu instid0(VALU_DEP_1)
	v_add_co_ci_u32_e64 v14, s3, v14, v24, s3
.LBB192_41:
	s_or_b32 exec_lo, exec_lo, s10
	v_add_nc_u32_e32 v13, -1, v42
	s_delay_alu instid0(VALU_DEP_1) | instskip(NEXT) | instid1(VALU_DEP_1)
	v_cmp_gt_i32_e64 s3, 0, v13
	v_cndmask_b32_e64 v13, v13, v42, s3
	v_cmp_eq_u32_e64 s3, 0, v42
	s_delay_alu instid0(VALU_DEP_2)
	v_lshlrev_b32_e32 v13, 2, v13
	ds_bpermute_b32 v29, v13, v17
	ds_bpermute_b32 v30, v13, v14
	s_and_saveexec_b32 s10, vcc_lo
	s_cbranch_execz .LBB192_79
; %bb.42:
	v_mov_b32_e32 v16, 0
	ds_load_b64 v[13:14], v16 offset:24
	s_and_saveexec_b32 s11, s3
	s_cbranch_execz .LBB192_44
; %bb.43:
	s_add_i32 s12, s15, 32
	s_mov_b32 s13, 0
	s_delay_alu instid0(SALU_CYCLE_1) | instskip(NEXT) | instid1(SALU_CYCLE_1)
	s_lshl_b64 s[12:13], s[12:13], 4
	s_add_u32 s12, s8, s12
	s_addc_u32 s13, s9, s13
	s_delay_alu instid0(SALU_CYCLE_1)
	v_dual_mov_b32 v15, 1 :: v_dual_mov_b32 v18, s13
	v_mov_b32_e32 v17, s12
	s_waitcnt lgkmcnt(0)
	;;#ASMSTART
	global_store_dwordx4 v[17:18], v[13:16] off	
s_waitcnt vmcnt(0)
	;;#ASMEND
.LBB192_44:
	s_or_b32 exec_lo, exec_lo, s11
	v_xad_u32 v25, v42, -1, s15
	s_mov_b32 s12, 0
	s_mov_b32 s11, exec_lo
	s_delay_alu instid0(VALU_DEP_1) | instskip(NEXT) | instid1(VALU_DEP_1)
	v_add_nc_u32_e32 v15, 32, v25
	v_lshlrev_b64 v[15:16], 4, v[15:16]
	s_delay_alu instid0(VALU_DEP_1) | instskip(NEXT) | instid1(VALU_DEP_2)
	v_add_co_u32 v15, vcc_lo, s8, v15
	v_add_co_ci_u32_e32 v16, vcc_lo, s9, v16, vcc_lo
	;;#ASMSTART
	global_load_dwordx4 v[17:20], v[15:16] off glc	
s_waitcnt vmcnt(0)
	;;#ASMEND
	v_and_b32_e32 v20, 0xff, v18
	v_and_b32_e32 v26, 0xff00, v18
	v_or3_b32 v17, v17, 0, 0
	v_and_b32_e32 v27, 0xff000000, v18
	v_and_b32_e32 v18, 0xff0000, v18
	s_delay_alu instid0(VALU_DEP_4) | instskip(SKIP_2) | instid1(VALU_DEP_3)
	v_or3_b32 v20, 0, v20, v26
	v_and_b32_e32 v26, 0xff, v19
	v_or3_b32 v17, v17, 0, 0
	v_or3_b32 v18, v20, v18, v27
	s_delay_alu instid0(VALU_DEP_3)
	v_cmpx_eq_u16_e32 0, v26
	s_cbranch_execz .LBB192_47
.LBB192_45:                             ; =>This Inner Loop Header: Depth=1
	;;#ASMSTART
	global_load_dwordx4 v[17:20], v[15:16] off glc	
s_waitcnt vmcnt(0)
	;;#ASMEND
	v_and_b32_e32 v20, 0xff, v19
	s_delay_alu instid0(VALU_DEP_1) | instskip(SKIP_1) | instid1(SALU_CYCLE_1)
	v_cmp_ne_u16_e32 vcc_lo, 0, v20
	s_or_b32 s12, vcc_lo, s12
	s_and_not1_b32 exec_lo, exec_lo, s12
	s_cbranch_execnz .LBB192_45
; %bb.46:
	s_or_b32 exec_lo, exec_lo, s12
.LBB192_47:
	s_delay_alu instid0(SALU_CYCLE_1)
	s_or_b32 exec_lo, exec_lo, s11
	v_cmp_ne_u32_e32 vcc_lo, 31, v42
	v_and_b32_e32 v16, 0xff, v19
	v_lshlrev_b32_e64 v46, v42, -1
	s_mov_b32 s11, exec_lo
	v_add_co_ci_u32_e32 v15, vcc_lo, 0, v42, vcc_lo
	s_delay_alu instid0(VALU_DEP_3) | instskip(NEXT) | instid1(VALU_DEP_2)
	v_cmp_eq_u16_e32 vcc_lo, 2, v16
	v_dual_mov_b32 v16, v17 :: v_dual_lshlrev_b32 v45, 2, v15
	v_and_or_b32 v15, vcc_lo, v46, 0x80000000
	ds_bpermute_b32 v26, v45, v17
	ds_bpermute_b32 v20, v45, v18
	v_ctz_i32_b32_e32 v15, v15
	s_delay_alu instid0(VALU_DEP_1)
	v_cmpx_lt_u32_e64 v42, v15
	s_cbranch_execz .LBB192_49
; %bb.48:
	s_waitcnt lgkmcnt(1)
	v_add_co_u32 v16, vcc_lo, v17, v26
	v_add_co_ci_u32_e32 v18, vcc_lo, 0, v18, vcc_lo
	s_delay_alu instid0(VALU_DEP_2) | instskip(SKIP_1) | instid1(VALU_DEP_2)
	v_add_co_u32 v17, vcc_lo, 0, v16
	s_waitcnt lgkmcnt(0)
	v_add_co_ci_u32_e32 v18, vcc_lo, v20, v18, vcc_lo
.LBB192_49:
	s_or_b32 exec_lo, exec_lo, s11
	v_cmp_gt_u32_e32 vcc_lo, 30, v42
	v_add_nc_u32_e32 v48, 2, v42
	s_mov_b32 s11, exec_lo
	s_waitcnt lgkmcnt(0)
	v_cndmask_b32_e64 v20, 0, 1, vcc_lo
	s_delay_alu instid0(VALU_DEP_1) | instskip(NEXT) | instid1(VALU_DEP_1)
	v_lshlrev_b32_e32 v20, 1, v20
	v_add_lshl_u32 v47, v20, v42, 2
	ds_bpermute_b32 v26, v47, v16
	ds_bpermute_b32 v20, v47, v18
	v_cmpx_le_u32_e64 v48, v15
	s_cbranch_execz .LBB192_51
; %bb.50:
	s_waitcnt lgkmcnt(1)
	v_add_co_u32 v16, vcc_lo, v17, v26
	v_add_co_ci_u32_e32 v18, vcc_lo, 0, v18, vcc_lo
	s_delay_alu instid0(VALU_DEP_2) | instskip(SKIP_1) | instid1(VALU_DEP_2)
	v_add_co_u32 v17, vcc_lo, 0, v16
	s_waitcnt lgkmcnt(0)
	v_add_co_ci_u32_e32 v18, vcc_lo, v20, v18, vcc_lo
.LBB192_51:
	s_or_b32 exec_lo, exec_lo, s11
	v_cmp_gt_u32_e32 vcc_lo, 28, v42
	v_add_nc_u32_e32 v50, 4, v42
	s_mov_b32 s11, exec_lo
	s_waitcnt lgkmcnt(0)
	v_cndmask_b32_e64 v20, 0, 1, vcc_lo
	s_delay_alu instid0(VALU_DEP_1) | instskip(NEXT) | instid1(VALU_DEP_1)
	v_lshlrev_b32_e32 v20, 2, v20
	v_add_lshl_u32 v49, v20, v42, 2
	ds_bpermute_b32 v26, v49, v16
	ds_bpermute_b32 v20, v49, v18
	v_cmpx_le_u32_e64 v50, v15
	s_cbranch_execz .LBB192_53
; %bb.52:
	s_waitcnt lgkmcnt(1)
	v_add_co_u32 v16, vcc_lo, v17, v26
	v_add_co_ci_u32_e32 v18, vcc_lo, 0, v18, vcc_lo
	s_delay_alu instid0(VALU_DEP_2) | instskip(SKIP_1) | instid1(VALU_DEP_2)
	v_add_co_u32 v17, vcc_lo, 0, v16
	s_waitcnt lgkmcnt(0)
	v_add_co_ci_u32_e32 v18, vcc_lo, v20, v18, vcc_lo
.LBB192_53:
	s_or_b32 exec_lo, exec_lo, s11
	v_cmp_gt_u32_e32 vcc_lo, 24, v42
	v_add_nc_u32_e32 v52, 8, v42
	s_mov_b32 s11, exec_lo
	s_waitcnt lgkmcnt(0)
	v_cndmask_b32_e64 v20, 0, 1, vcc_lo
	s_delay_alu instid0(VALU_DEP_1) | instskip(NEXT) | instid1(VALU_DEP_1)
	v_lshlrev_b32_e32 v20, 3, v20
	v_add_lshl_u32 v51, v20, v42, 2
	ds_bpermute_b32 v26, v51, v16
	ds_bpermute_b32 v20, v51, v18
	v_cmpx_le_u32_e64 v52, v15
	s_cbranch_execz .LBB192_55
; %bb.54:
	s_waitcnt lgkmcnt(1)
	v_add_co_u32 v16, vcc_lo, v17, v26
	v_add_co_ci_u32_e32 v18, vcc_lo, 0, v18, vcc_lo
	s_delay_alu instid0(VALU_DEP_2) | instskip(SKIP_1) | instid1(VALU_DEP_2)
	v_add_co_u32 v17, vcc_lo, 0, v16
	s_waitcnt lgkmcnt(0)
	v_add_co_ci_u32_e32 v18, vcc_lo, v20, v18, vcc_lo
.LBB192_55:
	s_or_b32 exec_lo, exec_lo, s11
	v_cmp_gt_u32_e32 vcc_lo, 16, v42
	v_add_nc_u32_e32 v54, 16, v42
	s_mov_b32 s11, exec_lo
	s_waitcnt lgkmcnt(0)
	v_cndmask_b32_e64 v20, 0, 1, vcc_lo
	s_delay_alu instid0(VALU_DEP_1) | instskip(NEXT) | instid1(VALU_DEP_1)
	v_lshlrev_b32_e32 v20, 4, v20
	v_add_lshl_u32 v53, v20, v42, 2
	ds_bpermute_b32 v20, v53, v16
	ds_bpermute_b32 v16, v53, v18
	v_cmpx_le_u32_e64 v54, v15
	s_cbranch_execz .LBB192_57
; %bb.56:
	s_waitcnt lgkmcnt(1)
	v_add_co_u32 v15, vcc_lo, v17, v20
	v_add_co_ci_u32_e32 v18, vcc_lo, 0, v18, vcc_lo
	s_delay_alu instid0(VALU_DEP_2) | instskip(SKIP_1) | instid1(VALU_DEP_2)
	v_add_co_u32 v17, vcc_lo, v15, 0
	s_waitcnt lgkmcnt(0)
	v_add_co_ci_u32_e32 v18, vcc_lo, v18, v16, vcc_lo
.LBB192_57:
	s_or_b32 exec_lo, exec_lo, s11
	v_mov_b32_e32 v26, 0
	s_branch .LBB192_59
.LBB192_58:                             ;   in Loop: Header=BB192_59 Depth=1
	s_or_b32 exec_lo, exec_lo, s11
	v_add_co_u32 v17, vcc_lo, v17, v15
	v_subrev_nc_u32_e32 v25, 32, v25
	v_add_co_ci_u32_e32 v18, vcc_lo, v18, v16, vcc_lo
.LBB192_59:                             ; =>This Loop Header: Depth=1
                                        ;     Child Loop BB192_62 Depth 2
	v_and_b32_e32 v15, 0xff, v19
	s_delay_alu instid0(VALU_DEP_1) | instskip(SKIP_2) | instid1(VALU_DEP_1)
	v_cmp_ne_u16_e32 vcc_lo, 2, v15
	v_cndmask_b32_e64 v15, 0, 1, vcc_lo
	;;#ASMSTART
	;;#ASMEND
	v_cmp_ne_u32_e32 vcc_lo, 0, v15
	s_waitcnt lgkmcnt(0)
	v_dual_mov_b32 v15, v17 :: v_dual_mov_b32 v16, v18
	s_cmp_lg_u32 vcc_lo, exec_lo
	s_cbranch_scc1 .LBB192_74
; %bb.60:                               ;   in Loop: Header=BB192_59 Depth=1
	v_lshlrev_b64 v[17:18], 4, v[25:26]
	s_mov_b32 s11, exec_lo
	s_delay_alu instid0(VALU_DEP_1) | instskip(NEXT) | instid1(VALU_DEP_2)
	v_add_co_u32 v27, vcc_lo, s8, v17
	v_add_co_ci_u32_e32 v28, vcc_lo, s9, v18, vcc_lo
	;;#ASMSTART
	global_load_dwordx4 v[17:20], v[27:28] off glc	
s_waitcnt vmcnt(0)
	;;#ASMEND
	v_and_b32_e32 v20, 0xff, v18
	v_and_b32_e32 v55, 0xff00, v18
	v_or3_b32 v17, v17, 0, 0
	v_and_b32_e32 v56, 0xff000000, v18
	v_and_b32_e32 v18, 0xff0000, v18
	s_delay_alu instid0(VALU_DEP_4) | instskip(SKIP_2) | instid1(VALU_DEP_3)
	v_or3_b32 v20, 0, v20, v55
	v_and_b32_e32 v55, 0xff, v19
	v_or3_b32 v17, v17, 0, 0
	v_or3_b32 v18, v20, v18, v56
	s_delay_alu instid0(VALU_DEP_3)
	v_cmpx_eq_u16_e32 0, v55
	s_cbranch_execz .LBB192_64
; %bb.61:                               ;   in Loop: Header=BB192_59 Depth=1
	s_mov_b32 s12, 0
.LBB192_62:                             ;   Parent Loop BB192_59 Depth=1
                                        ; =>  This Inner Loop Header: Depth=2
	;;#ASMSTART
	global_load_dwordx4 v[17:20], v[27:28] off glc	
s_waitcnt vmcnt(0)
	;;#ASMEND
	v_and_b32_e32 v20, 0xff, v19
	s_delay_alu instid0(VALU_DEP_1) | instskip(SKIP_1) | instid1(SALU_CYCLE_1)
	v_cmp_ne_u16_e32 vcc_lo, 0, v20
	s_or_b32 s12, vcc_lo, s12
	s_and_not1_b32 exec_lo, exec_lo, s12
	s_cbranch_execnz .LBB192_62
; %bb.63:                               ;   in Loop: Header=BB192_59 Depth=1
	s_or_b32 exec_lo, exec_lo, s12
.LBB192_64:                             ;   in Loop: Header=BB192_59 Depth=1
	s_delay_alu instid0(SALU_CYCLE_1)
	s_or_b32 exec_lo, exec_lo, s11
	v_dual_mov_b32 v27, v17 :: v_dual_and_b32 v20, 0xff, v19
	ds_bpermute_b32 v55, v45, v17
	ds_bpermute_b32 v28, v45, v18
	s_mov_b32 s11, exec_lo
	v_cmp_eq_u16_e32 vcc_lo, 2, v20
	v_and_or_b32 v20, vcc_lo, v46, 0x80000000
	s_delay_alu instid0(VALU_DEP_1) | instskip(NEXT) | instid1(VALU_DEP_1)
	v_ctz_i32_b32_e32 v20, v20
	v_cmpx_lt_u32_e64 v42, v20
	s_cbranch_execz .LBB192_66
; %bb.65:                               ;   in Loop: Header=BB192_59 Depth=1
	s_waitcnt lgkmcnt(1)
	v_add_co_u32 v27, vcc_lo, v17, v55
	v_add_co_ci_u32_e32 v18, vcc_lo, 0, v18, vcc_lo
	s_delay_alu instid0(VALU_DEP_2) | instskip(SKIP_1) | instid1(VALU_DEP_2)
	v_add_co_u32 v17, vcc_lo, 0, v27
	s_waitcnt lgkmcnt(0)
	v_add_co_ci_u32_e32 v18, vcc_lo, v28, v18, vcc_lo
.LBB192_66:                             ;   in Loop: Header=BB192_59 Depth=1
	s_or_b32 exec_lo, exec_lo, s11
	s_waitcnt lgkmcnt(1)
	ds_bpermute_b32 v55, v47, v27
	s_waitcnt lgkmcnt(1)
	ds_bpermute_b32 v28, v47, v18
	s_mov_b32 s11, exec_lo
	v_cmpx_le_u32_e64 v48, v20
	s_cbranch_execz .LBB192_68
; %bb.67:                               ;   in Loop: Header=BB192_59 Depth=1
	s_waitcnt lgkmcnt(1)
	v_add_co_u32 v27, vcc_lo, v17, v55
	v_add_co_ci_u32_e32 v18, vcc_lo, 0, v18, vcc_lo
	s_delay_alu instid0(VALU_DEP_2) | instskip(SKIP_1) | instid1(VALU_DEP_2)
	v_add_co_u32 v17, vcc_lo, 0, v27
	s_waitcnt lgkmcnt(0)
	v_add_co_ci_u32_e32 v18, vcc_lo, v28, v18, vcc_lo
.LBB192_68:                             ;   in Loop: Header=BB192_59 Depth=1
	s_or_b32 exec_lo, exec_lo, s11
	s_waitcnt lgkmcnt(1)
	ds_bpermute_b32 v55, v49, v27
	s_waitcnt lgkmcnt(1)
	ds_bpermute_b32 v28, v49, v18
	s_mov_b32 s11, exec_lo
	v_cmpx_le_u32_e64 v50, v20
	;; [unrolled: 17-line block ×3, first 2 shown]
	s_cbranch_execz .LBB192_72
; %bb.71:                               ;   in Loop: Header=BB192_59 Depth=1
	s_waitcnt lgkmcnt(1)
	v_add_co_u32 v27, vcc_lo, v17, v55
	v_add_co_ci_u32_e32 v18, vcc_lo, 0, v18, vcc_lo
	s_delay_alu instid0(VALU_DEP_2) | instskip(SKIP_1) | instid1(VALU_DEP_2)
	v_add_co_u32 v17, vcc_lo, 0, v27
	s_waitcnt lgkmcnt(0)
	v_add_co_ci_u32_e32 v18, vcc_lo, v28, v18, vcc_lo
.LBB192_72:                             ;   in Loop: Header=BB192_59 Depth=1
	s_or_b32 exec_lo, exec_lo, s11
	s_waitcnt lgkmcnt(0)
	ds_bpermute_b32 v28, v53, v27
	ds_bpermute_b32 v27, v53, v18
	s_mov_b32 s11, exec_lo
	v_cmpx_le_u32_e64 v54, v20
	s_cbranch_execz .LBB192_58
; %bb.73:                               ;   in Loop: Header=BB192_59 Depth=1
	s_waitcnt lgkmcnt(1)
	v_add_co_u32 v17, vcc_lo, v17, v28
	v_add_co_ci_u32_e32 v18, vcc_lo, 0, v18, vcc_lo
	s_delay_alu instid0(VALU_DEP_2) | instskip(SKIP_1) | instid1(VALU_DEP_2)
	v_add_co_u32 v17, vcc_lo, v17, 0
	s_waitcnt lgkmcnt(0)
	v_add_co_ci_u32_e32 v18, vcc_lo, v18, v27, vcc_lo
	s_branch .LBB192_58
.LBB192_74:                             ;   in Loop: Header=BB192_59 Depth=1
                                        ; implicit-def: $vgpr17_vgpr18
	s_cbranch_execz .LBB192_59
; %bb.75:
	s_and_saveexec_b32 s11, s3
	s_cbranch_execz .LBB192_77
; %bb.76:
	s_add_i32 s12, s15, 32
	s_mov_b32 s13, 0
	v_add_co_u32 v17, vcc_lo, v15, v13
	s_lshl_b64 s[12:13], s[12:13], 4
	v_dual_mov_b32 v19, 2 :: v_dual_mov_b32 v20, 0
	s_add_u32 s12, s8, s12
	s_addc_u32 s13, s9, s13
	v_add_co_ci_u32_e32 v18, vcc_lo, v16, v14, vcc_lo
	v_dual_mov_b32 v26, s13 :: v_dual_mov_b32 v25, s12
	;;#ASMSTART
	global_store_dwordx4 v[25:26], v[17:20] off	
s_waitcnt vmcnt(0)
	;;#ASMEND
	ds_store_b128 v20, v[13:16] offset:6144
.LBB192_77:
	s_or_b32 exec_lo, exec_lo, s11
	v_cmp_eq_u32_e32 vcc_lo, 0, v0
	s_and_b32 exec_lo, exec_lo, vcc_lo
	s_cbranch_execz .LBB192_79
; %bb.78:
	v_mov_b32_e32 v13, 0
	ds_store_b64 v13, v[15:16] offset:24
.LBB192_79:
	s_or_b32 exec_lo, exec_lo, s10
	s_waitcnt lgkmcnt(1)
	v_cndmask_b32_e64 v16, v29, v23, s3
	v_cmp_ne_u32_e32 vcc_lo, 0, v0
	v_mov_b32_e32 v15, 0
	s_waitcnt lgkmcnt(0)
	s_barrier
	buffer_gl0_inv
	v_cndmask_b32_e32 v16, 0, v16, vcc_lo
	ds_load_b64 v[13:14], v15 offset:24
	v_cndmask_b32_e64 v17, v30, v24, s3
	s_waitcnt lgkmcnt(0)
	s_barrier
	buffer_gl0_inv
	v_cndmask_b32_e32 v17, 0, v17, vcc_lo
	v_add_co_u32 v29, vcc_lo, v13, v16
	s_delay_alu instid0(VALU_DEP_2) | instskip(SKIP_3) | instid1(VALU_DEP_2)
	v_add_co_ci_u32_e32 v30, vcc_lo, v14, v17, vcc_lo
	ds_load_b128 v[13:16], v15 offset:6144
	v_add_co_u32 v27, vcc_lo, v29, v41
	v_add_co_ci_u32_e32 v28, vcc_lo, 0, v30, vcc_lo
	v_add_co_u32 v25, vcc_lo, v27, v40
	s_delay_alu instid0(VALU_DEP_2) | instskip(NEXT) | instid1(VALU_DEP_2)
	v_add_co_ci_u32_e32 v26, vcc_lo, 0, v28, vcc_lo
	v_add_co_u32 v23, vcc_lo, v25, v39
	s_delay_alu instid0(VALU_DEP_2) | instskip(NEXT) | instid1(VALU_DEP_2)
	;; [unrolled: 3-line block ×3, first 2 shown]
	v_add_co_ci_u32_e32 v20, vcc_lo, 0, v24, vcc_lo
	v_add_co_u32 v17, vcc_lo, v19, v37
	s_delay_alu instid0(VALU_DEP_2)
	v_add_co_ci_u32_e32 v18, vcc_lo, 0, v20, vcc_lo
	s_load_b64 s[10:11], s[0:1], 0x30
.LBB192_80:
	s_waitcnt lgkmcnt(0)
	v_cmp_gt_u64_e32 vcc_lo, 0x81, v[13:14]
	s_mov_b32 s0, -1
	s_cbranch_vccnz .LBB192_108
.LBB192_81:
	s_and_b32 vcc_lo, exec_lo, s0
	s_cbranch_vccnz .LBB192_127
.LBB192_82:
	v_cmp_eq_u32_e32 vcc_lo, 0, v0
	s_and_b32 s0, vcc_lo, s14
	s_delay_alu instid0(SALU_CYCLE_1)
	s_and_saveexec_b32 s1, s0
	s_cbranch_execnz .LBB192_143
.LBB192_83:
	s_nop 0
	s_sendmsg sendmsg(MSG_DEALLOC_VGPRS)
	s_endpgm
.LBB192_84:
                                        ; kill: def $vgpr13_vgpr14 killed $sgpr0_sgpr1 killed $exec
                                        ; implicit-def: $vgpr17_vgpr18
                                        ; implicit-def: $vgpr19_vgpr20
                                        ; implicit-def: $vgpr23_vgpr24
                                        ; implicit-def: $vgpr25_vgpr26
                                        ; implicit-def: $vgpr27_vgpr28
                                        ; implicit-def: $vgpr29_vgpr30
                                        ; implicit-def: $vgpr15_vgpr16
	s_load_b64 s[10:11], s[0:1], 0x30
	s_and_b32 vcc_lo, exec_lo, s3
	s_cbranch_vccz .LBB192_80
; %bb.85:
	s_waitcnt lgkmcnt(0)
	v_dual_mov_b32 v14, 0 :: v_dual_mov_b32 v15, v21
	v_mov_b32_dpp v16, v21 row_shr:1 row_mask:0xf bank_mask:0xf
	s_delay_alu instid0(VALU_DEP_2)
	v_mov_b32_dpp v13, v14 row_shr:1 row_mask:0xf bank_mask:0xf
	s_and_saveexec_b32 s0, s2
; %bb.86:
	s_delay_alu instid0(VALU_DEP_2) | instskip(SKIP_1) | instid1(VALU_DEP_2)
	v_add_co_u32 v15, vcc_lo, v21, v16
	v_add_co_ci_u32_e32 v14, vcc_lo, 0, v22, vcc_lo
	v_add_co_u32 v21, vcc_lo, 0, v15
	s_delay_alu instid0(VALU_DEP_2) | instskip(NEXT) | instid1(VALU_DEP_1)
	v_add_co_ci_u32_e32 v22, vcc_lo, v13, v14, vcc_lo
	v_mov_b32_e32 v14, v22
; %bb.87:
	s_or_b32 exec_lo, exec_lo, s0
	v_mov_b32_dpp v13, v15 row_shr:2 row_mask:0xf bank_mask:0xf
	s_delay_alu instid0(VALU_DEP_2)
	v_mov_b32_dpp v16, v14 row_shr:2 row_mask:0xf bank_mask:0xf
	s_mov_b32 s0, exec_lo
	v_cmpx_lt_u32_e32 1, v44
; %bb.88:
	s_delay_alu instid0(VALU_DEP_3) | instskip(SKIP_1) | instid1(VALU_DEP_2)
	v_add_co_u32 v15, vcc_lo, v21, v13
	v_add_co_ci_u32_e32 v14, vcc_lo, 0, v22, vcc_lo
	v_add_co_u32 v13, vcc_lo, 0, v15
	s_delay_alu instid0(VALU_DEP_2) | instskip(NEXT) | instid1(VALU_DEP_1)
	v_add_co_ci_u32_e32 v14, vcc_lo, v16, v14, vcc_lo
	v_dual_mov_b32 v22, v14 :: v_dual_mov_b32 v21, v13
; %bb.89:
	s_or_b32 exec_lo, exec_lo, s0
	v_mov_b32_dpp v13, v15 row_shr:4 row_mask:0xf bank_mask:0xf
	v_mov_b32_dpp v16, v14 row_shr:4 row_mask:0xf bank_mask:0xf
	s_mov_b32 s0, exec_lo
	v_cmpx_lt_u32_e32 3, v44
; %bb.90:
	s_delay_alu instid0(VALU_DEP_3) | instskip(SKIP_1) | instid1(VALU_DEP_2)
	v_add_co_u32 v15, vcc_lo, v21, v13
	v_add_co_ci_u32_e32 v14, vcc_lo, 0, v22, vcc_lo
	v_add_co_u32 v13, vcc_lo, 0, v15
	s_delay_alu instid0(VALU_DEP_2) | instskip(NEXT) | instid1(VALU_DEP_1)
	v_add_co_ci_u32_e32 v14, vcc_lo, v16, v14, vcc_lo
	v_dual_mov_b32 v22, v14 :: v_dual_mov_b32 v21, v13
; %bb.91:
	s_or_b32 exec_lo, exec_lo, s0
	v_mov_b32_dpp v16, v15 row_shr:8 row_mask:0xf bank_mask:0xf
	v_mov_b32_dpp v13, v14 row_shr:8 row_mask:0xf bank_mask:0xf
	s_mov_b32 s0, exec_lo
	v_cmpx_lt_u32_e32 7, v44
; %bb.92:
	s_delay_alu instid0(VALU_DEP_3) | instskip(SKIP_1) | instid1(VALU_DEP_2)
	v_add_co_u32 v15, vcc_lo, v21, v16
	v_add_co_ci_u32_e32 v14, vcc_lo, 0, v22, vcc_lo
	v_add_co_u32 v21, vcc_lo, 0, v15
	s_delay_alu instid0(VALU_DEP_2) | instskip(NEXT) | instid1(VALU_DEP_1)
	v_add_co_ci_u32_e32 v22, vcc_lo, v13, v14, vcc_lo
	v_mov_b32_e32 v14, v22
; %bb.93:
	s_or_b32 exec_lo, exec_lo, s0
	ds_swizzle_b32 v15, v15 offset:swizzle(BROADCAST,32,15)
	ds_swizzle_b32 v13, v14 offset:swizzle(BROADCAST,32,15)
	v_and_b32_e32 v14, 16, v42
	s_mov_b32 s0, exec_lo
	s_delay_alu instid0(VALU_DEP_1)
	v_cmpx_ne_u32_e32 0, v14
	s_cbranch_execz .LBB192_95
; %bb.94:
	s_waitcnt lgkmcnt(1)
	v_add_co_u32 v14, vcc_lo, v21, v15
	v_add_co_ci_u32_e32 v15, vcc_lo, 0, v22, vcc_lo
	s_delay_alu instid0(VALU_DEP_2) | instskip(SKIP_1) | instid1(VALU_DEP_2)
	v_add_co_u32 v21, vcc_lo, v14, 0
	s_waitcnt lgkmcnt(0)
	v_add_co_ci_u32_e32 v22, vcc_lo, v15, v13, vcc_lo
.LBB192_95:
	s_or_b32 exec_lo, exec_lo, s0
	s_waitcnt lgkmcnt(0)
	v_or_b32_e32 v13, 31, v0
	v_lshrrev_b32_e32 v15, 5, v0
	s_mov_b32 s0, exec_lo
	s_delay_alu instid0(VALU_DEP_2)
	v_cmpx_eq_u32_e64 v13, v0
	s_cbranch_execz .LBB192_97
; %bb.96:
	s_delay_alu instid0(VALU_DEP_2)
	v_lshlrev_b32_e32 v13, 3, v15
	ds_store_b64 v13, v[21:22]
.LBB192_97:
	s_or_b32 exec_lo, exec_lo, s0
	s_delay_alu instid0(SALU_CYCLE_1)
	s_mov_b32 s0, exec_lo
	s_waitcnt lgkmcnt(0)
	s_barrier
	buffer_gl0_inv
	v_cmpx_gt_u32_e32 4, v0
	s_cbranch_execz .LBB192_103
; %bb.98:
	v_lshlrev_b32_e32 v13, 1, v0
	s_mov_b32 s1, exec_lo
	s_delay_alu instid0(VALU_DEP_1)
	v_add_nc_u32_e32 v16, v43, v13
	ds_load_b64 v[13:14], v16
	s_waitcnt lgkmcnt(0)
	v_dual_mov_b32 v18, v13 :: v_dual_and_b32 v17, 3, v42
	v_mov_b32_dpp v20, v13 row_shr:1 row_mask:0xf bank_mask:0xf
	v_mov_b32_dpp v19, v14 row_shr:1 row_mask:0xf bank_mask:0xf
	s_delay_alu instid0(VALU_DEP_3)
	v_cmpx_ne_u32_e32 0, v17
; %bb.99:
	s_delay_alu instid0(VALU_DEP_3) | instskip(SKIP_1) | instid1(VALU_DEP_2)
	v_add_co_u32 v18, vcc_lo, v13, v20
	v_add_co_ci_u32_e32 v14, vcc_lo, 0, v14, vcc_lo
	v_add_co_u32 v13, vcc_lo, 0, v18
	s_delay_alu instid0(VALU_DEP_2)
	v_add_co_ci_u32_e32 v14, vcc_lo, v19, v14, vcc_lo
; %bb.100:
	s_or_b32 exec_lo, exec_lo, s1
	v_mov_b32_dpp v19, v18 row_shr:2 row_mask:0xf bank_mask:0xf
	s_delay_alu instid0(VALU_DEP_2)
	v_mov_b32_dpp v18, v14 row_shr:2 row_mask:0xf bank_mask:0xf
	s_mov_b32 s1, exec_lo
	v_cmpx_lt_u32_e32 1, v17
; %bb.101:
	s_delay_alu instid0(VALU_DEP_3) | instskip(SKIP_1) | instid1(VALU_DEP_2)
	v_add_co_u32 v13, vcc_lo, v13, v19
	v_add_co_ci_u32_e32 v14, vcc_lo, 0, v14, vcc_lo
	v_add_co_u32 v13, vcc_lo, v13, 0
	s_delay_alu instid0(VALU_DEP_2)
	v_add_co_ci_u32_e32 v14, vcc_lo, v14, v18, vcc_lo
; %bb.102:
	s_or_b32 exec_lo, exec_lo, s1
	ds_store_b64 v16, v[13:14]
.LBB192_103:
	s_or_b32 exec_lo, exec_lo, s0
	v_mov_b32_e32 v17, 0
	v_mov_b32_e32 v18, 0
	s_mov_b32 s0, exec_lo
	s_waitcnt lgkmcnt(0)
	s_barrier
	buffer_gl0_inv
	v_cmpx_lt_u32_e32 31, v0
	s_cbranch_execz .LBB192_105
; %bb.104:
	v_lshl_add_u32 v13, v15, 3, -8
	ds_load_b64 v[17:18], v13
.LBB192_105:
	s_or_b32 exec_lo, exec_lo, s0
	v_dual_mov_b32 v16, 0 :: v_dual_add_nc_u32 v13, -1, v42
	s_delay_alu instid0(VALU_DEP_1) | instskip(SKIP_4) | instid1(VALU_DEP_3)
	v_cmp_gt_i32_e32 vcc_lo, 0, v13
	v_cndmask_b32_e32 v13, v13, v42, vcc_lo
	s_waitcnt lgkmcnt(0)
	v_add_co_u32 v14, vcc_lo, v17, v21
	v_add_co_ci_u32_e32 v15, vcc_lo, v18, v22, vcc_lo
	v_lshlrev_b32_e32 v13, 2, v13
	v_cmp_eq_u32_e32 vcc_lo, 0, v0
	ds_bpermute_b32 v19, v13, v14
	ds_bpermute_b32 v20, v13, v15
	ds_load_b64 v[13:14], v16 offset:24
	s_and_saveexec_b32 s0, vcc_lo
	s_cbranch_execz .LBB192_107
; %bb.106:
	s_add_u32 s2, s8, 0x200
	s_addc_u32 s3, s9, 0
	s_delay_alu instid0(SALU_CYCLE_1)
	v_dual_mov_b32 v15, 2 :: v_dual_mov_b32 v22, s3
	v_mov_b32_e32 v21, s2
	s_waitcnt lgkmcnt(0)
	;;#ASMSTART
	global_store_dwordx4 v[21:22], v[13:16] off	
s_waitcnt vmcnt(0)
	;;#ASMEND
.LBB192_107:
	s_or_b32 exec_lo, exec_lo, s0
	v_cmp_eq_u32_e64 s0, 0, v42
	s_waitcnt lgkmcnt(0)
	s_barrier
	buffer_gl0_inv
	v_cndmask_b32_e64 v15, v19, v17, s0
	v_cndmask_b32_e64 v16, v20, v18, s0
	s_delay_alu instid0(VALU_DEP_2) | instskip(NEXT) | instid1(VALU_DEP_2)
	v_cndmask_b32_e64 v29, v15, 0, vcc_lo
	v_cndmask_b32_e64 v30, v16, 0, vcc_lo
	v_mov_b32_e32 v15, 0
	v_mov_b32_e32 v16, 0
	s_delay_alu instid0(VALU_DEP_4) | instskip(NEXT) | instid1(VALU_DEP_4)
	v_add_co_u32 v27, vcc_lo, v29, v41
	v_add_co_ci_u32_e32 v28, vcc_lo, 0, v30, vcc_lo
	s_delay_alu instid0(VALU_DEP_2) | instskip(NEXT) | instid1(VALU_DEP_2)
	v_add_co_u32 v25, vcc_lo, v27, v40
	v_add_co_ci_u32_e32 v26, vcc_lo, 0, v28, vcc_lo
	s_delay_alu instid0(VALU_DEP_2) | instskip(NEXT) | instid1(VALU_DEP_2)
	;; [unrolled: 3-line block ×4, first 2 shown]
	v_add_co_u32 v17, vcc_lo, v19, v37
	v_add_co_ci_u32_e32 v18, vcc_lo, 0, v20, vcc_lo
	v_cmp_gt_u64_e32 vcc_lo, 0x81, v[13:14]
	s_mov_b32 s0, -1
	s_cbranch_vccz .LBB192_81
.LBB192_108:
	v_add_co_u32 v21, vcc_lo, v15, v13
	v_add_co_ci_u32_e32 v22, vcc_lo, v16, v14, vcc_lo
	s_delay_alu instid0(VALU_DEP_1) | instskip(SKIP_1) | instid1(SALU_CYCLE_1)
	v_cmp_lt_u64_e32 vcc_lo, v[29:30], v[21:22]
	s_or_b32 s1, s16, vcc_lo
	s_and_saveexec_b32 s0, s1
	s_cbranch_execz .LBB192_111
; %bb.109:
	v_and_b32_e32 v37, 1, v36
	s_delay_alu instid0(VALU_DEP_1)
	v_cmp_eq_u32_e32 vcc_lo, 1, v37
	s_and_b32 exec_lo, exec_lo, vcc_lo
	s_cbranch_execz .LBB192_111
; %bb.110:
	v_lshlrev_b64 v[37:38], 3, v[29:30]
	s_lshl_b64 s[2:3], s[6:7], 3
	s_delay_alu instid0(SALU_CYCLE_1) | instskip(SKIP_1) | instid1(VALU_DEP_1)
	s_add_u32 s1, s10, s2
	s_addc_u32 s2, s11, s3
	v_add_co_u32 v37, vcc_lo, s1, v37
	s_delay_alu instid0(VALU_DEP_2)
	v_add_co_ci_u32_e32 v38, vcc_lo, s2, v38, vcc_lo
	global_store_b64 v[37:38], v[9:10], off
.LBB192_111:
	s_or_b32 exec_lo, exec_lo, s0
	v_cmp_lt_u64_e32 vcc_lo, v[27:28], v[21:22]
	s_or_b32 s1, s16, vcc_lo
	s_delay_alu instid0(SALU_CYCLE_1)
	s_and_saveexec_b32 s0, s1
	s_cbranch_execz .LBB192_114
; %bb.112:
	v_and_b32_e32 v30, 1, v34
	s_delay_alu instid0(VALU_DEP_1)
	v_cmp_eq_u32_e32 vcc_lo, 1, v30
	s_and_b32 exec_lo, exec_lo, vcc_lo
	s_cbranch_execz .LBB192_114
; %bb.113:
	v_lshlrev_b64 v[37:38], 3, v[27:28]
	s_lshl_b64 s[2:3], s[6:7], 3
	s_delay_alu instid0(SALU_CYCLE_1) | instskip(SKIP_1) | instid1(VALU_DEP_1)
	s_add_u32 s1, s10, s2
	s_addc_u32 s2, s11, s3
	v_add_co_u32 v37, vcc_lo, s1, v37
	s_delay_alu instid0(VALU_DEP_2)
	v_add_co_ci_u32_e32 v38, vcc_lo, s2, v38, vcc_lo
	global_store_b64 v[37:38], v[11:12], off
.LBB192_114:
	s_or_b32 exec_lo, exec_lo, s0
	v_cmp_lt_u64_e32 vcc_lo, v[25:26], v[21:22]
	s_or_b32 s1, s16, vcc_lo
	s_delay_alu instid0(SALU_CYCLE_1)
	;; [unrolled: 23-line block ×5, first 2 shown]
	s_and_saveexec_b32 s0, s1
	s_cbranch_execz .LBB192_126
; %bb.124:
	v_and_b32_e32 v20, 1, v32
	s_delay_alu instid0(VALU_DEP_1)
	v_cmp_eq_u32_e32 vcc_lo, 1, v20
	s_and_b32 exec_lo, exec_lo, vcc_lo
	s_cbranch_execz .LBB192_126
; %bb.125:
	v_lshlrev_b64 v[20:21], 3, v[17:18]
	s_lshl_b64 s[2:3], s[6:7], 3
	s_delay_alu instid0(SALU_CYCLE_1) | instskip(SKIP_1) | instid1(VALU_DEP_1)
	s_add_u32 s1, s10, s2
	s_addc_u32 s2, s11, s3
	v_add_co_u32 v20, vcc_lo, s1, v20
	s_delay_alu instid0(VALU_DEP_2)
	v_add_co_ci_u32_e32 v21, vcc_lo, s2, v21, vcc_lo
	global_store_b64 v[20:21], v[3:4], off
.LBB192_126:
	s_or_b32 exec_lo, exec_lo, s0
	s_branch .LBB192_82
.LBB192_127:
	v_and_b32_e32 v18, 1, v36
	s_mov_b32 s0, exec_lo
	s_delay_alu instid0(VALU_DEP_1)
	v_cmpx_eq_u32_e32 1, v18
	s_cbranch_execz .LBB192_129
; %bb.128:
	v_sub_nc_u32_e32 v18, v29, v15
	s_delay_alu instid0(VALU_DEP_1)
	v_lshlrev_b32_e32 v18, 3, v18
	ds_store_b64 v18, v[9:10]
.LBB192_129:
	s_or_b32 exec_lo, exec_lo, s0
	v_and_b32_e32 v9, 1, v34
	s_mov_b32 s0, exec_lo
	s_delay_alu instid0(VALU_DEP_1)
	v_cmpx_eq_u32_e32 1, v9
	s_cbranch_execz .LBB192_131
; %bb.130:
	v_sub_nc_u32_e32 v9, v27, v15
	s_delay_alu instid0(VALU_DEP_1)
	v_lshlrev_b32_e32 v9, 3, v9
	ds_store_b64 v9, v[11:12]
.LBB192_131:
	s_or_b32 exec_lo, exec_lo, s0
	;; [unrolled: 12-line block ×6, first 2 shown]
	v_mov_b32_e32 v3, 0
	s_mov_b32 s1, exec_lo
	s_waitcnt lgkmcnt(0)
	s_waitcnt_vscnt null, 0x0
	s_barrier
	buffer_gl0_inv
	v_mov_b32_e32 v1, v3
	s_delay_alu instid0(VALU_DEP_1)
	v_cmpx_gt_u64_e64 v[13:14], v[0:1]
	s_cbranch_execz .LBB192_142
; %bb.140:
	v_lshlrev_b64 v[4:5], 3, v[15:16]
	s_lshl_b64 s[2:3], s[6:7], 3
	v_or_b32_e32 v2, 0x80, v0
	s_delay_alu instid0(VALU_DEP_2) | instskip(NEXT) | instid1(VALU_DEP_3)
	v_add_co_u32 v4, vcc_lo, s10, v4
	v_add_co_ci_u32_e32 v5, vcc_lo, s11, v5, vcc_lo
	s_delay_alu instid0(VALU_DEP_2) | instskip(NEXT) | instid1(VALU_DEP_2)
	v_add_co_u32 v6, vcc_lo, v4, s2
	v_add_co_ci_u32_e32 v7, vcc_lo, s3, v5, vcc_lo
	v_dual_mov_b32 v5, v1 :: v_dual_mov_b32 v4, v0
	s_mov_b32 s2, 0
	.p2align	6
.LBB192_141:                            ; =>This Inner Loop Header: Depth=1
	s_delay_alu instid0(VALU_DEP_1) | instskip(NEXT) | instid1(VALU_DEP_2)
	v_lshlrev_b32_e32 v1, 3, v4
	v_lshlrev_b64 v[10:11], 3, v[4:5]
	v_dual_mov_b32 v5, v3 :: v_dual_mov_b32 v4, v2
	v_cmp_le_u64_e32 vcc_lo, v[13:14], v[2:3]
	v_add_nc_u32_e32 v2, 0x80, v2
	ds_load_b64 v[8:9], v1
	v_add_co_u32 v10, s0, v6, v10
	s_delay_alu instid0(VALU_DEP_1)
	v_add_co_ci_u32_e64 v11, s0, v7, v11, s0
	s_or_b32 s2, vcc_lo, s2
	s_waitcnt lgkmcnt(0)
	global_store_b64 v[10:11], v[8:9], off
	s_and_not1_b32 exec_lo, exec_lo, s2
	s_cbranch_execnz .LBB192_141
.LBB192_142:
	s_or_b32 exec_lo, exec_lo, s1
	v_cmp_eq_u32_e32 vcc_lo, 0, v0
	s_and_b32 s0, vcc_lo, s14
	s_delay_alu instid0(SALU_CYCLE_1)
	s_and_saveexec_b32 s1, s0
	s_cbranch_execz .LBB192_83
.LBB192_143:
	v_add_co_u32 v0, vcc_lo, v15, v13
	v_add_co_ci_u32_e32 v1, vcc_lo, v16, v14, vcc_lo
	v_mov_b32_e32 v2, 0
	s_delay_alu instid0(VALU_DEP_3) | instskip(NEXT) | instid1(VALU_DEP_3)
	v_add_co_u32 v0, vcc_lo, v0, s6
	v_add_co_ci_u32_e32 v1, vcc_lo, s7, v1, vcc_lo
	global_store_b64 v2, v[0:1], s[4:5]
	s_nop 0
	s_sendmsg sendmsg(MSG_DEALLOC_VGPRS)
	s_endpgm
	.section	.rodata,"a",@progbits
	.p2align	6, 0x0
	.amdhsa_kernel _ZN7rocprim17ROCPRIM_400000_NS6detail17trampoline_kernelINS0_14default_configENS1_25partition_config_selectorILNS1_17partition_subalgoE5ElNS0_10empty_typeEbEEZZNS1_14partition_implILS5_5ELb0ES3_mN6hipcub16HIPCUB_304000_NS21CountingInputIteratorIllEEPS6_NSA_22TransformInputIteratorIbN2at6native12_GLOBAL__N_19NonZeroOpIiEEPKilEENS0_5tupleIJPlS6_EEENSN_IJSD_SD_EEES6_PiJS6_EEE10hipError_tPvRmT3_T4_T5_T6_T7_T9_mT8_P12ihipStream_tbDpT10_ENKUlT_T0_E_clISt17integral_constantIbLb0EES1B_EEDaS16_S17_EUlS16_E_NS1_11comp_targetILNS1_3genE9ELNS1_11target_archE1100ELNS1_3gpuE3ELNS1_3repE0EEENS1_30default_config_static_selectorELNS0_4arch9wavefront6targetE0EEEvT1_
		.amdhsa_group_segment_fixed_size 6160
		.amdhsa_private_segment_fixed_size 0
		.amdhsa_kernarg_size 120
		.amdhsa_user_sgpr_count 15
		.amdhsa_user_sgpr_dispatch_ptr 0
		.amdhsa_user_sgpr_queue_ptr 0
		.amdhsa_user_sgpr_kernarg_segment_ptr 1
		.amdhsa_user_sgpr_dispatch_id 0
		.amdhsa_user_sgpr_private_segment_size 0
		.amdhsa_wavefront_size32 1
		.amdhsa_uses_dynamic_stack 0
		.amdhsa_enable_private_segment 0
		.amdhsa_system_sgpr_workgroup_id_x 1
		.amdhsa_system_sgpr_workgroup_id_y 0
		.amdhsa_system_sgpr_workgroup_id_z 0
		.amdhsa_system_sgpr_workgroup_info 0
		.amdhsa_system_vgpr_workitem_id 0
		.amdhsa_next_free_vgpr 57
		.amdhsa_next_free_sgpr 21
		.amdhsa_reserve_vcc 1
		.amdhsa_float_round_mode_32 0
		.amdhsa_float_round_mode_16_64 0
		.amdhsa_float_denorm_mode_32 3
		.amdhsa_float_denorm_mode_16_64 3
		.amdhsa_dx10_clamp 1
		.amdhsa_ieee_mode 1
		.amdhsa_fp16_overflow 0
		.amdhsa_workgroup_processor_mode 1
		.amdhsa_memory_ordered 1
		.amdhsa_forward_progress 0
		.amdhsa_shared_vgpr_count 0
		.amdhsa_exception_fp_ieee_invalid_op 0
		.amdhsa_exception_fp_denorm_src 0
		.amdhsa_exception_fp_ieee_div_zero 0
		.amdhsa_exception_fp_ieee_overflow 0
		.amdhsa_exception_fp_ieee_underflow 0
		.amdhsa_exception_fp_ieee_inexact 0
		.amdhsa_exception_int_div_zero 0
	.end_amdhsa_kernel
	.section	.text._ZN7rocprim17ROCPRIM_400000_NS6detail17trampoline_kernelINS0_14default_configENS1_25partition_config_selectorILNS1_17partition_subalgoE5ElNS0_10empty_typeEbEEZZNS1_14partition_implILS5_5ELb0ES3_mN6hipcub16HIPCUB_304000_NS21CountingInputIteratorIllEEPS6_NSA_22TransformInputIteratorIbN2at6native12_GLOBAL__N_19NonZeroOpIiEEPKilEENS0_5tupleIJPlS6_EEENSN_IJSD_SD_EEES6_PiJS6_EEE10hipError_tPvRmT3_T4_T5_T6_T7_T9_mT8_P12ihipStream_tbDpT10_ENKUlT_T0_E_clISt17integral_constantIbLb0EES1B_EEDaS16_S17_EUlS16_E_NS1_11comp_targetILNS1_3genE9ELNS1_11target_archE1100ELNS1_3gpuE3ELNS1_3repE0EEENS1_30default_config_static_selectorELNS0_4arch9wavefront6targetE0EEEvT1_,"axG",@progbits,_ZN7rocprim17ROCPRIM_400000_NS6detail17trampoline_kernelINS0_14default_configENS1_25partition_config_selectorILNS1_17partition_subalgoE5ElNS0_10empty_typeEbEEZZNS1_14partition_implILS5_5ELb0ES3_mN6hipcub16HIPCUB_304000_NS21CountingInputIteratorIllEEPS6_NSA_22TransformInputIteratorIbN2at6native12_GLOBAL__N_19NonZeroOpIiEEPKilEENS0_5tupleIJPlS6_EEENSN_IJSD_SD_EEES6_PiJS6_EEE10hipError_tPvRmT3_T4_T5_T6_T7_T9_mT8_P12ihipStream_tbDpT10_ENKUlT_T0_E_clISt17integral_constantIbLb0EES1B_EEDaS16_S17_EUlS16_E_NS1_11comp_targetILNS1_3genE9ELNS1_11target_archE1100ELNS1_3gpuE3ELNS1_3repE0EEENS1_30default_config_static_selectorELNS0_4arch9wavefront6targetE0EEEvT1_,comdat
.Lfunc_end192:
	.size	_ZN7rocprim17ROCPRIM_400000_NS6detail17trampoline_kernelINS0_14default_configENS1_25partition_config_selectorILNS1_17partition_subalgoE5ElNS0_10empty_typeEbEEZZNS1_14partition_implILS5_5ELb0ES3_mN6hipcub16HIPCUB_304000_NS21CountingInputIteratorIllEEPS6_NSA_22TransformInputIteratorIbN2at6native12_GLOBAL__N_19NonZeroOpIiEEPKilEENS0_5tupleIJPlS6_EEENSN_IJSD_SD_EEES6_PiJS6_EEE10hipError_tPvRmT3_T4_T5_T6_T7_T9_mT8_P12ihipStream_tbDpT10_ENKUlT_T0_E_clISt17integral_constantIbLb0EES1B_EEDaS16_S17_EUlS16_E_NS1_11comp_targetILNS1_3genE9ELNS1_11target_archE1100ELNS1_3gpuE3ELNS1_3repE0EEENS1_30default_config_static_selectorELNS0_4arch9wavefront6targetE0EEEvT1_, .Lfunc_end192-_ZN7rocprim17ROCPRIM_400000_NS6detail17trampoline_kernelINS0_14default_configENS1_25partition_config_selectorILNS1_17partition_subalgoE5ElNS0_10empty_typeEbEEZZNS1_14partition_implILS5_5ELb0ES3_mN6hipcub16HIPCUB_304000_NS21CountingInputIteratorIllEEPS6_NSA_22TransformInputIteratorIbN2at6native12_GLOBAL__N_19NonZeroOpIiEEPKilEENS0_5tupleIJPlS6_EEENSN_IJSD_SD_EEES6_PiJS6_EEE10hipError_tPvRmT3_T4_T5_T6_T7_T9_mT8_P12ihipStream_tbDpT10_ENKUlT_T0_E_clISt17integral_constantIbLb0EES1B_EEDaS16_S17_EUlS16_E_NS1_11comp_targetILNS1_3genE9ELNS1_11target_archE1100ELNS1_3gpuE3ELNS1_3repE0EEENS1_30default_config_static_selectorELNS0_4arch9wavefront6targetE0EEEvT1_
                                        ; -- End function
	.section	.AMDGPU.csdata,"",@progbits
; Kernel info:
; codeLenInByte = 6348
; NumSgprs: 23
; NumVgprs: 57
; ScratchSize: 0
; MemoryBound: 0
; FloatMode: 240
; IeeeMode: 1
; LDSByteSize: 6160 bytes/workgroup (compile time only)
; SGPRBlocks: 2
; VGPRBlocks: 7
; NumSGPRsForWavesPerEU: 23
; NumVGPRsForWavesPerEU: 57
; Occupancy: 16
; WaveLimiterHint : 1
; COMPUTE_PGM_RSRC2:SCRATCH_EN: 0
; COMPUTE_PGM_RSRC2:USER_SGPR: 15
; COMPUTE_PGM_RSRC2:TRAP_HANDLER: 0
; COMPUTE_PGM_RSRC2:TGID_X_EN: 1
; COMPUTE_PGM_RSRC2:TGID_Y_EN: 0
; COMPUTE_PGM_RSRC2:TGID_Z_EN: 0
; COMPUTE_PGM_RSRC2:TIDIG_COMP_CNT: 0
	.section	.text._ZN7rocprim17ROCPRIM_400000_NS6detail17trampoline_kernelINS0_14default_configENS1_25partition_config_selectorILNS1_17partition_subalgoE5ElNS0_10empty_typeEbEEZZNS1_14partition_implILS5_5ELb0ES3_mN6hipcub16HIPCUB_304000_NS21CountingInputIteratorIllEEPS6_NSA_22TransformInputIteratorIbN2at6native12_GLOBAL__N_19NonZeroOpIiEEPKilEENS0_5tupleIJPlS6_EEENSN_IJSD_SD_EEES6_PiJS6_EEE10hipError_tPvRmT3_T4_T5_T6_T7_T9_mT8_P12ihipStream_tbDpT10_ENKUlT_T0_E_clISt17integral_constantIbLb0EES1B_EEDaS16_S17_EUlS16_E_NS1_11comp_targetILNS1_3genE8ELNS1_11target_archE1030ELNS1_3gpuE2ELNS1_3repE0EEENS1_30default_config_static_selectorELNS0_4arch9wavefront6targetE0EEEvT1_,"axG",@progbits,_ZN7rocprim17ROCPRIM_400000_NS6detail17trampoline_kernelINS0_14default_configENS1_25partition_config_selectorILNS1_17partition_subalgoE5ElNS0_10empty_typeEbEEZZNS1_14partition_implILS5_5ELb0ES3_mN6hipcub16HIPCUB_304000_NS21CountingInputIteratorIllEEPS6_NSA_22TransformInputIteratorIbN2at6native12_GLOBAL__N_19NonZeroOpIiEEPKilEENS0_5tupleIJPlS6_EEENSN_IJSD_SD_EEES6_PiJS6_EEE10hipError_tPvRmT3_T4_T5_T6_T7_T9_mT8_P12ihipStream_tbDpT10_ENKUlT_T0_E_clISt17integral_constantIbLb0EES1B_EEDaS16_S17_EUlS16_E_NS1_11comp_targetILNS1_3genE8ELNS1_11target_archE1030ELNS1_3gpuE2ELNS1_3repE0EEENS1_30default_config_static_selectorELNS0_4arch9wavefront6targetE0EEEvT1_,comdat
	.globl	_ZN7rocprim17ROCPRIM_400000_NS6detail17trampoline_kernelINS0_14default_configENS1_25partition_config_selectorILNS1_17partition_subalgoE5ElNS0_10empty_typeEbEEZZNS1_14partition_implILS5_5ELb0ES3_mN6hipcub16HIPCUB_304000_NS21CountingInputIteratorIllEEPS6_NSA_22TransformInputIteratorIbN2at6native12_GLOBAL__N_19NonZeroOpIiEEPKilEENS0_5tupleIJPlS6_EEENSN_IJSD_SD_EEES6_PiJS6_EEE10hipError_tPvRmT3_T4_T5_T6_T7_T9_mT8_P12ihipStream_tbDpT10_ENKUlT_T0_E_clISt17integral_constantIbLb0EES1B_EEDaS16_S17_EUlS16_E_NS1_11comp_targetILNS1_3genE8ELNS1_11target_archE1030ELNS1_3gpuE2ELNS1_3repE0EEENS1_30default_config_static_selectorELNS0_4arch9wavefront6targetE0EEEvT1_ ; -- Begin function _ZN7rocprim17ROCPRIM_400000_NS6detail17trampoline_kernelINS0_14default_configENS1_25partition_config_selectorILNS1_17partition_subalgoE5ElNS0_10empty_typeEbEEZZNS1_14partition_implILS5_5ELb0ES3_mN6hipcub16HIPCUB_304000_NS21CountingInputIteratorIllEEPS6_NSA_22TransformInputIteratorIbN2at6native12_GLOBAL__N_19NonZeroOpIiEEPKilEENS0_5tupleIJPlS6_EEENSN_IJSD_SD_EEES6_PiJS6_EEE10hipError_tPvRmT3_T4_T5_T6_T7_T9_mT8_P12ihipStream_tbDpT10_ENKUlT_T0_E_clISt17integral_constantIbLb0EES1B_EEDaS16_S17_EUlS16_E_NS1_11comp_targetILNS1_3genE8ELNS1_11target_archE1030ELNS1_3gpuE2ELNS1_3repE0EEENS1_30default_config_static_selectorELNS0_4arch9wavefront6targetE0EEEvT1_
	.p2align	8
	.type	_ZN7rocprim17ROCPRIM_400000_NS6detail17trampoline_kernelINS0_14default_configENS1_25partition_config_selectorILNS1_17partition_subalgoE5ElNS0_10empty_typeEbEEZZNS1_14partition_implILS5_5ELb0ES3_mN6hipcub16HIPCUB_304000_NS21CountingInputIteratorIllEEPS6_NSA_22TransformInputIteratorIbN2at6native12_GLOBAL__N_19NonZeroOpIiEEPKilEENS0_5tupleIJPlS6_EEENSN_IJSD_SD_EEES6_PiJS6_EEE10hipError_tPvRmT3_T4_T5_T6_T7_T9_mT8_P12ihipStream_tbDpT10_ENKUlT_T0_E_clISt17integral_constantIbLb0EES1B_EEDaS16_S17_EUlS16_E_NS1_11comp_targetILNS1_3genE8ELNS1_11target_archE1030ELNS1_3gpuE2ELNS1_3repE0EEENS1_30default_config_static_selectorELNS0_4arch9wavefront6targetE0EEEvT1_,@function
_ZN7rocprim17ROCPRIM_400000_NS6detail17trampoline_kernelINS0_14default_configENS1_25partition_config_selectorILNS1_17partition_subalgoE5ElNS0_10empty_typeEbEEZZNS1_14partition_implILS5_5ELb0ES3_mN6hipcub16HIPCUB_304000_NS21CountingInputIteratorIllEEPS6_NSA_22TransformInputIteratorIbN2at6native12_GLOBAL__N_19NonZeroOpIiEEPKilEENS0_5tupleIJPlS6_EEENSN_IJSD_SD_EEES6_PiJS6_EEE10hipError_tPvRmT3_T4_T5_T6_T7_T9_mT8_P12ihipStream_tbDpT10_ENKUlT_T0_E_clISt17integral_constantIbLb0EES1B_EEDaS16_S17_EUlS16_E_NS1_11comp_targetILNS1_3genE8ELNS1_11target_archE1030ELNS1_3gpuE2ELNS1_3repE0EEENS1_30default_config_static_selectorELNS0_4arch9wavefront6targetE0EEEvT1_: ; @_ZN7rocprim17ROCPRIM_400000_NS6detail17trampoline_kernelINS0_14default_configENS1_25partition_config_selectorILNS1_17partition_subalgoE5ElNS0_10empty_typeEbEEZZNS1_14partition_implILS5_5ELb0ES3_mN6hipcub16HIPCUB_304000_NS21CountingInputIteratorIllEEPS6_NSA_22TransformInputIteratorIbN2at6native12_GLOBAL__N_19NonZeroOpIiEEPKilEENS0_5tupleIJPlS6_EEENSN_IJSD_SD_EEES6_PiJS6_EEE10hipError_tPvRmT3_T4_T5_T6_T7_T9_mT8_P12ihipStream_tbDpT10_ENKUlT_T0_E_clISt17integral_constantIbLb0EES1B_EEDaS16_S17_EUlS16_E_NS1_11comp_targetILNS1_3genE8ELNS1_11target_archE1030ELNS1_3gpuE2ELNS1_3repE0EEENS1_30default_config_static_selectorELNS0_4arch9wavefront6targetE0EEEvT1_
; %bb.0:
	.section	.rodata,"a",@progbits
	.p2align	6, 0x0
	.amdhsa_kernel _ZN7rocprim17ROCPRIM_400000_NS6detail17trampoline_kernelINS0_14default_configENS1_25partition_config_selectorILNS1_17partition_subalgoE5ElNS0_10empty_typeEbEEZZNS1_14partition_implILS5_5ELb0ES3_mN6hipcub16HIPCUB_304000_NS21CountingInputIteratorIllEEPS6_NSA_22TransformInputIteratorIbN2at6native12_GLOBAL__N_19NonZeroOpIiEEPKilEENS0_5tupleIJPlS6_EEENSN_IJSD_SD_EEES6_PiJS6_EEE10hipError_tPvRmT3_T4_T5_T6_T7_T9_mT8_P12ihipStream_tbDpT10_ENKUlT_T0_E_clISt17integral_constantIbLb0EES1B_EEDaS16_S17_EUlS16_E_NS1_11comp_targetILNS1_3genE8ELNS1_11target_archE1030ELNS1_3gpuE2ELNS1_3repE0EEENS1_30default_config_static_selectorELNS0_4arch9wavefront6targetE0EEEvT1_
		.amdhsa_group_segment_fixed_size 0
		.amdhsa_private_segment_fixed_size 0
		.amdhsa_kernarg_size 120
		.amdhsa_user_sgpr_count 15
		.amdhsa_user_sgpr_dispatch_ptr 0
		.amdhsa_user_sgpr_queue_ptr 0
		.amdhsa_user_sgpr_kernarg_segment_ptr 1
		.amdhsa_user_sgpr_dispatch_id 0
		.amdhsa_user_sgpr_private_segment_size 0
		.amdhsa_wavefront_size32 1
		.amdhsa_uses_dynamic_stack 0
		.amdhsa_enable_private_segment 0
		.amdhsa_system_sgpr_workgroup_id_x 1
		.amdhsa_system_sgpr_workgroup_id_y 0
		.amdhsa_system_sgpr_workgroup_id_z 0
		.amdhsa_system_sgpr_workgroup_info 0
		.amdhsa_system_vgpr_workitem_id 0
		.amdhsa_next_free_vgpr 1
		.amdhsa_next_free_sgpr 1
		.amdhsa_reserve_vcc 0
		.amdhsa_float_round_mode_32 0
		.amdhsa_float_round_mode_16_64 0
		.amdhsa_float_denorm_mode_32 3
		.amdhsa_float_denorm_mode_16_64 3
		.amdhsa_dx10_clamp 1
		.amdhsa_ieee_mode 1
		.amdhsa_fp16_overflow 0
		.amdhsa_workgroup_processor_mode 1
		.amdhsa_memory_ordered 1
		.amdhsa_forward_progress 0
		.amdhsa_shared_vgpr_count 0
		.amdhsa_exception_fp_ieee_invalid_op 0
		.amdhsa_exception_fp_denorm_src 0
		.amdhsa_exception_fp_ieee_div_zero 0
		.amdhsa_exception_fp_ieee_overflow 0
		.amdhsa_exception_fp_ieee_underflow 0
		.amdhsa_exception_fp_ieee_inexact 0
		.amdhsa_exception_int_div_zero 0
	.end_amdhsa_kernel
	.section	.text._ZN7rocprim17ROCPRIM_400000_NS6detail17trampoline_kernelINS0_14default_configENS1_25partition_config_selectorILNS1_17partition_subalgoE5ElNS0_10empty_typeEbEEZZNS1_14partition_implILS5_5ELb0ES3_mN6hipcub16HIPCUB_304000_NS21CountingInputIteratorIllEEPS6_NSA_22TransformInputIteratorIbN2at6native12_GLOBAL__N_19NonZeroOpIiEEPKilEENS0_5tupleIJPlS6_EEENSN_IJSD_SD_EEES6_PiJS6_EEE10hipError_tPvRmT3_T4_T5_T6_T7_T9_mT8_P12ihipStream_tbDpT10_ENKUlT_T0_E_clISt17integral_constantIbLb0EES1B_EEDaS16_S17_EUlS16_E_NS1_11comp_targetILNS1_3genE8ELNS1_11target_archE1030ELNS1_3gpuE2ELNS1_3repE0EEENS1_30default_config_static_selectorELNS0_4arch9wavefront6targetE0EEEvT1_,"axG",@progbits,_ZN7rocprim17ROCPRIM_400000_NS6detail17trampoline_kernelINS0_14default_configENS1_25partition_config_selectorILNS1_17partition_subalgoE5ElNS0_10empty_typeEbEEZZNS1_14partition_implILS5_5ELb0ES3_mN6hipcub16HIPCUB_304000_NS21CountingInputIteratorIllEEPS6_NSA_22TransformInputIteratorIbN2at6native12_GLOBAL__N_19NonZeroOpIiEEPKilEENS0_5tupleIJPlS6_EEENSN_IJSD_SD_EEES6_PiJS6_EEE10hipError_tPvRmT3_T4_T5_T6_T7_T9_mT8_P12ihipStream_tbDpT10_ENKUlT_T0_E_clISt17integral_constantIbLb0EES1B_EEDaS16_S17_EUlS16_E_NS1_11comp_targetILNS1_3genE8ELNS1_11target_archE1030ELNS1_3gpuE2ELNS1_3repE0EEENS1_30default_config_static_selectorELNS0_4arch9wavefront6targetE0EEEvT1_,comdat
.Lfunc_end193:
	.size	_ZN7rocprim17ROCPRIM_400000_NS6detail17trampoline_kernelINS0_14default_configENS1_25partition_config_selectorILNS1_17partition_subalgoE5ElNS0_10empty_typeEbEEZZNS1_14partition_implILS5_5ELb0ES3_mN6hipcub16HIPCUB_304000_NS21CountingInputIteratorIllEEPS6_NSA_22TransformInputIteratorIbN2at6native12_GLOBAL__N_19NonZeroOpIiEEPKilEENS0_5tupleIJPlS6_EEENSN_IJSD_SD_EEES6_PiJS6_EEE10hipError_tPvRmT3_T4_T5_T6_T7_T9_mT8_P12ihipStream_tbDpT10_ENKUlT_T0_E_clISt17integral_constantIbLb0EES1B_EEDaS16_S17_EUlS16_E_NS1_11comp_targetILNS1_3genE8ELNS1_11target_archE1030ELNS1_3gpuE2ELNS1_3repE0EEENS1_30default_config_static_selectorELNS0_4arch9wavefront6targetE0EEEvT1_, .Lfunc_end193-_ZN7rocprim17ROCPRIM_400000_NS6detail17trampoline_kernelINS0_14default_configENS1_25partition_config_selectorILNS1_17partition_subalgoE5ElNS0_10empty_typeEbEEZZNS1_14partition_implILS5_5ELb0ES3_mN6hipcub16HIPCUB_304000_NS21CountingInputIteratorIllEEPS6_NSA_22TransformInputIteratorIbN2at6native12_GLOBAL__N_19NonZeroOpIiEEPKilEENS0_5tupleIJPlS6_EEENSN_IJSD_SD_EEES6_PiJS6_EEE10hipError_tPvRmT3_T4_T5_T6_T7_T9_mT8_P12ihipStream_tbDpT10_ENKUlT_T0_E_clISt17integral_constantIbLb0EES1B_EEDaS16_S17_EUlS16_E_NS1_11comp_targetILNS1_3genE8ELNS1_11target_archE1030ELNS1_3gpuE2ELNS1_3repE0EEENS1_30default_config_static_selectorELNS0_4arch9wavefront6targetE0EEEvT1_
                                        ; -- End function
	.section	.AMDGPU.csdata,"",@progbits
; Kernel info:
; codeLenInByte = 0
; NumSgprs: 0
; NumVgprs: 0
; ScratchSize: 0
; MemoryBound: 0
; FloatMode: 240
; IeeeMode: 1
; LDSByteSize: 0 bytes/workgroup (compile time only)
; SGPRBlocks: 0
; VGPRBlocks: 0
; NumSGPRsForWavesPerEU: 1
; NumVGPRsForWavesPerEU: 1
; Occupancy: 16
; WaveLimiterHint : 0
; COMPUTE_PGM_RSRC2:SCRATCH_EN: 0
; COMPUTE_PGM_RSRC2:USER_SGPR: 15
; COMPUTE_PGM_RSRC2:TRAP_HANDLER: 0
; COMPUTE_PGM_RSRC2:TGID_X_EN: 1
; COMPUTE_PGM_RSRC2:TGID_Y_EN: 0
; COMPUTE_PGM_RSRC2:TGID_Z_EN: 0
; COMPUTE_PGM_RSRC2:TIDIG_COMP_CNT: 0
	.section	.text._ZN7rocprim17ROCPRIM_400000_NS6detail17trampoline_kernelINS0_14default_configENS1_25partition_config_selectorILNS1_17partition_subalgoE5ElNS0_10empty_typeEbEEZZNS1_14partition_implILS5_5ELb0ES3_mN6hipcub16HIPCUB_304000_NS21CountingInputIteratorIllEEPS6_NSA_22TransformInputIteratorIbN2at6native12_GLOBAL__N_19NonZeroOpIiEEPKilEENS0_5tupleIJPlS6_EEENSN_IJSD_SD_EEES6_PiJS6_EEE10hipError_tPvRmT3_T4_T5_T6_T7_T9_mT8_P12ihipStream_tbDpT10_ENKUlT_T0_E_clISt17integral_constantIbLb1EES1B_EEDaS16_S17_EUlS16_E_NS1_11comp_targetILNS1_3genE0ELNS1_11target_archE4294967295ELNS1_3gpuE0ELNS1_3repE0EEENS1_30default_config_static_selectorELNS0_4arch9wavefront6targetE0EEEvT1_,"axG",@progbits,_ZN7rocprim17ROCPRIM_400000_NS6detail17trampoline_kernelINS0_14default_configENS1_25partition_config_selectorILNS1_17partition_subalgoE5ElNS0_10empty_typeEbEEZZNS1_14partition_implILS5_5ELb0ES3_mN6hipcub16HIPCUB_304000_NS21CountingInputIteratorIllEEPS6_NSA_22TransformInputIteratorIbN2at6native12_GLOBAL__N_19NonZeroOpIiEEPKilEENS0_5tupleIJPlS6_EEENSN_IJSD_SD_EEES6_PiJS6_EEE10hipError_tPvRmT3_T4_T5_T6_T7_T9_mT8_P12ihipStream_tbDpT10_ENKUlT_T0_E_clISt17integral_constantIbLb1EES1B_EEDaS16_S17_EUlS16_E_NS1_11comp_targetILNS1_3genE0ELNS1_11target_archE4294967295ELNS1_3gpuE0ELNS1_3repE0EEENS1_30default_config_static_selectorELNS0_4arch9wavefront6targetE0EEEvT1_,comdat
	.globl	_ZN7rocprim17ROCPRIM_400000_NS6detail17trampoline_kernelINS0_14default_configENS1_25partition_config_selectorILNS1_17partition_subalgoE5ElNS0_10empty_typeEbEEZZNS1_14partition_implILS5_5ELb0ES3_mN6hipcub16HIPCUB_304000_NS21CountingInputIteratorIllEEPS6_NSA_22TransformInputIteratorIbN2at6native12_GLOBAL__N_19NonZeroOpIiEEPKilEENS0_5tupleIJPlS6_EEENSN_IJSD_SD_EEES6_PiJS6_EEE10hipError_tPvRmT3_T4_T5_T6_T7_T9_mT8_P12ihipStream_tbDpT10_ENKUlT_T0_E_clISt17integral_constantIbLb1EES1B_EEDaS16_S17_EUlS16_E_NS1_11comp_targetILNS1_3genE0ELNS1_11target_archE4294967295ELNS1_3gpuE0ELNS1_3repE0EEENS1_30default_config_static_selectorELNS0_4arch9wavefront6targetE0EEEvT1_ ; -- Begin function _ZN7rocprim17ROCPRIM_400000_NS6detail17trampoline_kernelINS0_14default_configENS1_25partition_config_selectorILNS1_17partition_subalgoE5ElNS0_10empty_typeEbEEZZNS1_14partition_implILS5_5ELb0ES3_mN6hipcub16HIPCUB_304000_NS21CountingInputIteratorIllEEPS6_NSA_22TransformInputIteratorIbN2at6native12_GLOBAL__N_19NonZeroOpIiEEPKilEENS0_5tupleIJPlS6_EEENSN_IJSD_SD_EEES6_PiJS6_EEE10hipError_tPvRmT3_T4_T5_T6_T7_T9_mT8_P12ihipStream_tbDpT10_ENKUlT_T0_E_clISt17integral_constantIbLb1EES1B_EEDaS16_S17_EUlS16_E_NS1_11comp_targetILNS1_3genE0ELNS1_11target_archE4294967295ELNS1_3gpuE0ELNS1_3repE0EEENS1_30default_config_static_selectorELNS0_4arch9wavefront6targetE0EEEvT1_
	.p2align	8
	.type	_ZN7rocprim17ROCPRIM_400000_NS6detail17trampoline_kernelINS0_14default_configENS1_25partition_config_selectorILNS1_17partition_subalgoE5ElNS0_10empty_typeEbEEZZNS1_14partition_implILS5_5ELb0ES3_mN6hipcub16HIPCUB_304000_NS21CountingInputIteratorIllEEPS6_NSA_22TransformInputIteratorIbN2at6native12_GLOBAL__N_19NonZeroOpIiEEPKilEENS0_5tupleIJPlS6_EEENSN_IJSD_SD_EEES6_PiJS6_EEE10hipError_tPvRmT3_T4_T5_T6_T7_T9_mT8_P12ihipStream_tbDpT10_ENKUlT_T0_E_clISt17integral_constantIbLb1EES1B_EEDaS16_S17_EUlS16_E_NS1_11comp_targetILNS1_3genE0ELNS1_11target_archE4294967295ELNS1_3gpuE0ELNS1_3repE0EEENS1_30default_config_static_selectorELNS0_4arch9wavefront6targetE0EEEvT1_,@function
_ZN7rocprim17ROCPRIM_400000_NS6detail17trampoline_kernelINS0_14default_configENS1_25partition_config_selectorILNS1_17partition_subalgoE5ElNS0_10empty_typeEbEEZZNS1_14partition_implILS5_5ELb0ES3_mN6hipcub16HIPCUB_304000_NS21CountingInputIteratorIllEEPS6_NSA_22TransformInputIteratorIbN2at6native12_GLOBAL__N_19NonZeroOpIiEEPKilEENS0_5tupleIJPlS6_EEENSN_IJSD_SD_EEES6_PiJS6_EEE10hipError_tPvRmT3_T4_T5_T6_T7_T9_mT8_P12ihipStream_tbDpT10_ENKUlT_T0_E_clISt17integral_constantIbLb1EES1B_EEDaS16_S17_EUlS16_E_NS1_11comp_targetILNS1_3genE0ELNS1_11target_archE4294967295ELNS1_3gpuE0ELNS1_3repE0EEENS1_30default_config_static_selectorELNS0_4arch9wavefront6targetE0EEEvT1_: ; @_ZN7rocprim17ROCPRIM_400000_NS6detail17trampoline_kernelINS0_14default_configENS1_25partition_config_selectorILNS1_17partition_subalgoE5ElNS0_10empty_typeEbEEZZNS1_14partition_implILS5_5ELb0ES3_mN6hipcub16HIPCUB_304000_NS21CountingInputIteratorIllEEPS6_NSA_22TransformInputIteratorIbN2at6native12_GLOBAL__N_19NonZeroOpIiEEPKilEENS0_5tupleIJPlS6_EEENSN_IJSD_SD_EEES6_PiJS6_EEE10hipError_tPvRmT3_T4_T5_T6_T7_T9_mT8_P12ihipStream_tbDpT10_ENKUlT_T0_E_clISt17integral_constantIbLb1EES1B_EEDaS16_S17_EUlS16_E_NS1_11comp_targetILNS1_3genE0ELNS1_11target_archE4294967295ELNS1_3gpuE0ELNS1_3repE0EEENS1_30default_config_static_selectorELNS0_4arch9wavefront6targetE0EEEvT1_
; %bb.0:
	.section	.rodata,"a",@progbits
	.p2align	6, 0x0
	.amdhsa_kernel _ZN7rocprim17ROCPRIM_400000_NS6detail17trampoline_kernelINS0_14default_configENS1_25partition_config_selectorILNS1_17partition_subalgoE5ElNS0_10empty_typeEbEEZZNS1_14partition_implILS5_5ELb0ES3_mN6hipcub16HIPCUB_304000_NS21CountingInputIteratorIllEEPS6_NSA_22TransformInputIteratorIbN2at6native12_GLOBAL__N_19NonZeroOpIiEEPKilEENS0_5tupleIJPlS6_EEENSN_IJSD_SD_EEES6_PiJS6_EEE10hipError_tPvRmT3_T4_T5_T6_T7_T9_mT8_P12ihipStream_tbDpT10_ENKUlT_T0_E_clISt17integral_constantIbLb1EES1B_EEDaS16_S17_EUlS16_E_NS1_11comp_targetILNS1_3genE0ELNS1_11target_archE4294967295ELNS1_3gpuE0ELNS1_3repE0EEENS1_30default_config_static_selectorELNS0_4arch9wavefront6targetE0EEEvT1_
		.amdhsa_group_segment_fixed_size 0
		.amdhsa_private_segment_fixed_size 0
		.amdhsa_kernarg_size 136
		.amdhsa_user_sgpr_count 15
		.amdhsa_user_sgpr_dispatch_ptr 0
		.amdhsa_user_sgpr_queue_ptr 0
		.amdhsa_user_sgpr_kernarg_segment_ptr 1
		.amdhsa_user_sgpr_dispatch_id 0
		.amdhsa_user_sgpr_private_segment_size 0
		.amdhsa_wavefront_size32 1
		.amdhsa_uses_dynamic_stack 0
		.amdhsa_enable_private_segment 0
		.amdhsa_system_sgpr_workgroup_id_x 1
		.amdhsa_system_sgpr_workgroup_id_y 0
		.amdhsa_system_sgpr_workgroup_id_z 0
		.amdhsa_system_sgpr_workgroup_info 0
		.amdhsa_system_vgpr_workitem_id 0
		.amdhsa_next_free_vgpr 1
		.amdhsa_next_free_sgpr 1
		.amdhsa_reserve_vcc 0
		.amdhsa_float_round_mode_32 0
		.amdhsa_float_round_mode_16_64 0
		.amdhsa_float_denorm_mode_32 3
		.amdhsa_float_denorm_mode_16_64 3
		.amdhsa_dx10_clamp 1
		.amdhsa_ieee_mode 1
		.amdhsa_fp16_overflow 0
		.amdhsa_workgroup_processor_mode 1
		.amdhsa_memory_ordered 1
		.amdhsa_forward_progress 0
		.amdhsa_shared_vgpr_count 0
		.amdhsa_exception_fp_ieee_invalid_op 0
		.amdhsa_exception_fp_denorm_src 0
		.amdhsa_exception_fp_ieee_div_zero 0
		.amdhsa_exception_fp_ieee_overflow 0
		.amdhsa_exception_fp_ieee_underflow 0
		.amdhsa_exception_fp_ieee_inexact 0
		.amdhsa_exception_int_div_zero 0
	.end_amdhsa_kernel
	.section	.text._ZN7rocprim17ROCPRIM_400000_NS6detail17trampoline_kernelINS0_14default_configENS1_25partition_config_selectorILNS1_17partition_subalgoE5ElNS0_10empty_typeEbEEZZNS1_14partition_implILS5_5ELb0ES3_mN6hipcub16HIPCUB_304000_NS21CountingInputIteratorIllEEPS6_NSA_22TransformInputIteratorIbN2at6native12_GLOBAL__N_19NonZeroOpIiEEPKilEENS0_5tupleIJPlS6_EEENSN_IJSD_SD_EEES6_PiJS6_EEE10hipError_tPvRmT3_T4_T5_T6_T7_T9_mT8_P12ihipStream_tbDpT10_ENKUlT_T0_E_clISt17integral_constantIbLb1EES1B_EEDaS16_S17_EUlS16_E_NS1_11comp_targetILNS1_3genE0ELNS1_11target_archE4294967295ELNS1_3gpuE0ELNS1_3repE0EEENS1_30default_config_static_selectorELNS0_4arch9wavefront6targetE0EEEvT1_,"axG",@progbits,_ZN7rocprim17ROCPRIM_400000_NS6detail17trampoline_kernelINS0_14default_configENS1_25partition_config_selectorILNS1_17partition_subalgoE5ElNS0_10empty_typeEbEEZZNS1_14partition_implILS5_5ELb0ES3_mN6hipcub16HIPCUB_304000_NS21CountingInputIteratorIllEEPS6_NSA_22TransformInputIteratorIbN2at6native12_GLOBAL__N_19NonZeroOpIiEEPKilEENS0_5tupleIJPlS6_EEENSN_IJSD_SD_EEES6_PiJS6_EEE10hipError_tPvRmT3_T4_T5_T6_T7_T9_mT8_P12ihipStream_tbDpT10_ENKUlT_T0_E_clISt17integral_constantIbLb1EES1B_EEDaS16_S17_EUlS16_E_NS1_11comp_targetILNS1_3genE0ELNS1_11target_archE4294967295ELNS1_3gpuE0ELNS1_3repE0EEENS1_30default_config_static_selectorELNS0_4arch9wavefront6targetE0EEEvT1_,comdat
.Lfunc_end194:
	.size	_ZN7rocprim17ROCPRIM_400000_NS6detail17trampoline_kernelINS0_14default_configENS1_25partition_config_selectorILNS1_17partition_subalgoE5ElNS0_10empty_typeEbEEZZNS1_14partition_implILS5_5ELb0ES3_mN6hipcub16HIPCUB_304000_NS21CountingInputIteratorIllEEPS6_NSA_22TransformInputIteratorIbN2at6native12_GLOBAL__N_19NonZeroOpIiEEPKilEENS0_5tupleIJPlS6_EEENSN_IJSD_SD_EEES6_PiJS6_EEE10hipError_tPvRmT3_T4_T5_T6_T7_T9_mT8_P12ihipStream_tbDpT10_ENKUlT_T0_E_clISt17integral_constantIbLb1EES1B_EEDaS16_S17_EUlS16_E_NS1_11comp_targetILNS1_3genE0ELNS1_11target_archE4294967295ELNS1_3gpuE0ELNS1_3repE0EEENS1_30default_config_static_selectorELNS0_4arch9wavefront6targetE0EEEvT1_, .Lfunc_end194-_ZN7rocprim17ROCPRIM_400000_NS6detail17trampoline_kernelINS0_14default_configENS1_25partition_config_selectorILNS1_17partition_subalgoE5ElNS0_10empty_typeEbEEZZNS1_14partition_implILS5_5ELb0ES3_mN6hipcub16HIPCUB_304000_NS21CountingInputIteratorIllEEPS6_NSA_22TransformInputIteratorIbN2at6native12_GLOBAL__N_19NonZeroOpIiEEPKilEENS0_5tupleIJPlS6_EEENSN_IJSD_SD_EEES6_PiJS6_EEE10hipError_tPvRmT3_T4_T5_T6_T7_T9_mT8_P12ihipStream_tbDpT10_ENKUlT_T0_E_clISt17integral_constantIbLb1EES1B_EEDaS16_S17_EUlS16_E_NS1_11comp_targetILNS1_3genE0ELNS1_11target_archE4294967295ELNS1_3gpuE0ELNS1_3repE0EEENS1_30default_config_static_selectorELNS0_4arch9wavefront6targetE0EEEvT1_
                                        ; -- End function
	.section	.AMDGPU.csdata,"",@progbits
; Kernel info:
; codeLenInByte = 0
; NumSgprs: 0
; NumVgprs: 0
; ScratchSize: 0
; MemoryBound: 0
; FloatMode: 240
; IeeeMode: 1
; LDSByteSize: 0 bytes/workgroup (compile time only)
; SGPRBlocks: 0
; VGPRBlocks: 0
; NumSGPRsForWavesPerEU: 1
; NumVGPRsForWavesPerEU: 1
; Occupancy: 16
; WaveLimiterHint : 0
; COMPUTE_PGM_RSRC2:SCRATCH_EN: 0
; COMPUTE_PGM_RSRC2:USER_SGPR: 15
; COMPUTE_PGM_RSRC2:TRAP_HANDLER: 0
; COMPUTE_PGM_RSRC2:TGID_X_EN: 1
; COMPUTE_PGM_RSRC2:TGID_Y_EN: 0
; COMPUTE_PGM_RSRC2:TGID_Z_EN: 0
; COMPUTE_PGM_RSRC2:TIDIG_COMP_CNT: 0
	.section	.text._ZN7rocprim17ROCPRIM_400000_NS6detail17trampoline_kernelINS0_14default_configENS1_25partition_config_selectorILNS1_17partition_subalgoE5ElNS0_10empty_typeEbEEZZNS1_14partition_implILS5_5ELb0ES3_mN6hipcub16HIPCUB_304000_NS21CountingInputIteratorIllEEPS6_NSA_22TransformInputIteratorIbN2at6native12_GLOBAL__N_19NonZeroOpIiEEPKilEENS0_5tupleIJPlS6_EEENSN_IJSD_SD_EEES6_PiJS6_EEE10hipError_tPvRmT3_T4_T5_T6_T7_T9_mT8_P12ihipStream_tbDpT10_ENKUlT_T0_E_clISt17integral_constantIbLb1EES1B_EEDaS16_S17_EUlS16_E_NS1_11comp_targetILNS1_3genE5ELNS1_11target_archE942ELNS1_3gpuE9ELNS1_3repE0EEENS1_30default_config_static_selectorELNS0_4arch9wavefront6targetE0EEEvT1_,"axG",@progbits,_ZN7rocprim17ROCPRIM_400000_NS6detail17trampoline_kernelINS0_14default_configENS1_25partition_config_selectorILNS1_17partition_subalgoE5ElNS0_10empty_typeEbEEZZNS1_14partition_implILS5_5ELb0ES3_mN6hipcub16HIPCUB_304000_NS21CountingInputIteratorIllEEPS6_NSA_22TransformInputIteratorIbN2at6native12_GLOBAL__N_19NonZeroOpIiEEPKilEENS0_5tupleIJPlS6_EEENSN_IJSD_SD_EEES6_PiJS6_EEE10hipError_tPvRmT3_T4_T5_T6_T7_T9_mT8_P12ihipStream_tbDpT10_ENKUlT_T0_E_clISt17integral_constantIbLb1EES1B_EEDaS16_S17_EUlS16_E_NS1_11comp_targetILNS1_3genE5ELNS1_11target_archE942ELNS1_3gpuE9ELNS1_3repE0EEENS1_30default_config_static_selectorELNS0_4arch9wavefront6targetE0EEEvT1_,comdat
	.globl	_ZN7rocprim17ROCPRIM_400000_NS6detail17trampoline_kernelINS0_14default_configENS1_25partition_config_selectorILNS1_17partition_subalgoE5ElNS0_10empty_typeEbEEZZNS1_14partition_implILS5_5ELb0ES3_mN6hipcub16HIPCUB_304000_NS21CountingInputIteratorIllEEPS6_NSA_22TransformInputIteratorIbN2at6native12_GLOBAL__N_19NonZeroOpIiEEPKilEENS0_5tupleIJPlS6_EEENSN_IJSD_SD_EEES6_PiJS6_EEE10hipError_tPvRmT3_T4_T5_T6_T7_T9_mT8_P12ihipStream_tbDpT10_ENKUlT_T0_E_clISt17integral_constantIbLb1EES1B_EEDaS16_S17_EUlS16_E_NS1_11comp_targetILNS1_3genE5ELNS1_11target_archE942ELNS1_3gpuE9ELNS1_3repE0EEENS1_30default_config_static_selectorELNS0_4arch9wavefront6targetE0EEEvT1_ ; -- Begin function _ZN7rocprim17ROCPRIM_400000_NS6detail17trampoline_kernelINS0_14default_configENS1_25partition_config_selectorILNS1_17partition_subalgoE5ElNS0_10empty_typeEbEEZZNS1_14partition_implILS5_5ELb0ES3_mN6hipcub16HIPCUB_304000_NS21CountingInputIteratorIllEEPS6_NSA_22TransformInputIteratorIbN2at6native12_GLOBAL__N_19NonZeroOpIiEEPKilEENS0_5tupleIJPlS6_EEENSN_IJSD_SD_EEES6_PiJS6_EEE10hipError_tPvRmT3_T4_T5_T6_T7_T9_mT8_P12ihipStream_tbDpT10_ENKUlT_T0_E_clISt17integral_constantIbLb1EES1B_EEDaS16_S17_EUlS16_E_NS1_11comp_targetILNS1_3genE5ELNS1_11target_archE942ELNS1_3gpuE9ELNS1_3repE0EEENS1_30default_config_static_selectorELNS0_4arch9wavefront6targetE0EEEvT1_
	.p2align	8
	.type	_ZN7rocprim17ROCPRIM_400000_NS6detail17trampoline_kernelINS0_14default_configENS1_25partition_config_selectorILNS1_17partition_subalgoE5ElNS0_10empty_typeEbEEZZNS1_14partition_implILS5_5ELb0ES3_mN6hipcub16HIPCUB_304000_NS21CountingInputIteratorIllEEPS6_NSA_22TransformInputIteratorIbN2at6native12_GLOBAL__N_19NonZeroOpIiEEPKilEENS0_5tupleIJPlS6_EEENSN_IJSD_SD_EEES6_PiJS6_EEE10hipError_tPvRmT3_T4_T5_T6_T7_T9_mT8_P12ihipStream_tbDpT10_ENKUlT_T0_E_clISt17integral_constantIbLb1EES1B_EEDaS16_S17_EUlS16_E_NS1_11comp_targetILNS1_3genE5ELNS1_11target_archE942ELNS1_3gpuE9ELNS1_3repE0EEENS1_30default_config_static_selectorELNS0_4arch9wavefront6targetE0EEEvT1_,@function
_ZN7rocprim17ROCPRIM_400000_NS6detail17trampoline_kernelINS0_14default_configENS1_25partition_config_selectorILNS1_17partition_subalgoE5ElNS0_10empty_typeEbEEZZNS1_14partition_implILS5_5ELb0ES3_mN6hipcub16HIPCUB_304000_NS21CountingInputIteratorIllEEPS6_NSA_22TransformInputIteratorIbN2at6native12_GLOBAL__N_19NonZeroOpIiEEPKilEENS0_5tupleIJPlS6_EEENSN_IJSD_SD_EEES6_PiJS6_EEE10hipError_tPvRmT3_T4_T5_T6_T7_T9_mT8_P12ihipStream_tbDpT10_ENKUlT_T0_E_clISt17integral_constantIbLb1EES1B_EEDaS16_S17_EUlS16_E_NS1_11comp_targetILNS1_3genE5ELNS1_11target_archE942ELNS1_3gpuE9ELNS1_3repE0EEENS1_30default_config_static_selectorELNS0_4arch9wavefront6targetE0EEEvT1_: ; @_ZN7rocprim17ROCPRIM_400000_NS6detail17trampoline_kernelINS0_14default_configENS1_25partition_config_selectorILNS1_17partition_subalgoE5ElNS0_10empty_typeEbEEZZNS1_14partition_implILS5_5ELb0ES3_mN6hipcub16HIPCUB_304000_NS21CountingInputIteratorIllEEPS6_NSA_22TransformInputIteratorIbN2at6native12_GLOBAL__N_19NonZeroOpIiEEPKilEENS0_5tupleIJPlS6_EEENSN_IJSD_SD_EEES6_PiJS6_EEE10hipError_tPvRmT3_T4_T5_T6_T7_T9_mT8_P12ihipStream_tbDpT10_ENKUlT_T0_E_clISt17integral_constantIbLb1EES1B_EEDaS16_S17_EUlS16_E_NS1_11comp_targetILNS1_3genE5ELNS1_11target_archE942ELNS1_3gpuE9ELNS1_3repE0EEENS1_30default_config_static_selectorELNS0_4arch9wavefront6targetE0EEEvT1_
; %bb.0:
	.section	.rodata,"a",@progbits
	.p2align	6, 0x0
	.amdhsa_kernel _ZN7rocprim17ROCPRIM_400000_NS6detail17trampoline_kernelINS0_14default_configENS1_25partition_config_selectorILNS1_17partition_subalgoE5ElNS0_10empty_typeEbEEZZNS1_14partition_implILS5_5ELb0ES3_mN6hipcub16HIPCUB_304000_NS21CountingInputIteratorIllEEPS6_NSA_22TransformInputIteratorIbN2at6native12_GLOBAL__N_19NonZeroOpIiEEPKilEENS0_5tupleIJPlS6_EEENSN_IJSD_SD_EEES6_PiJS6_EEE10hipError_tPvRmT3_T4_T5_T6_T7_T9_mT8_P12ihipStream_tbDpT10_ENKUlT_T0_E_clISt17integral_constantIbLb1EES1B_EEDaS16_S17_EUlS16_E_NS1_11comp_targetILNS1_3genE5ELNS1_11target_archE942ELNS1_3gpuE9ELNS1_3repE0EEENS1_30default_config_static_selectorELNS0_4arch9wavefront6targetE0EEEvT1_
		.amdhsa_group_segment_fixed_size 0
		.amdhsa_private_segment_fixed_size 0
		.amdhsa_kernarg_size 136
		.amdhsa_user_sgpr_count 15
		.amdhsa_user_sgpr_dispatch_ptr 0
		.amdhsa_user_sgpr_queue_ptr 0
		.amdhsa_user_sgpr_kernarg_segment_ptr 1
		.amdhsa_user_sgpr_dispatch_id 0
		.amdhsa_user_sgpr_private_segment_size 0
		.amdhsa_wavefront_size32 1
		.amdhsa_uses_dynamic_stack 0
		.amdhsa_enable_private_segment 0
		.amdhsa_system_sgpr_workgroup_id_x 1
		.amdhsa_system_sgpr_workgroup_id_y 0
		.amdhsa_system_sgpr_workgroup_id_z 0
		.amdhsa_system_sgpr_workgroup_info 0
		.amdhsa_system_vgpr_workitem_id 0
		.amdhsa_next_free_vgpr 1
		.amdhsa_next_free_sgpr 1
		.amdhsa_reserve_vcc 0
		.amdhsa_float_round_mode_32 0
		.amdhsa_float_round_mode_16_64 0
		.amdhsa_float_denorm_mode_32 3
		.amdhsa_float_denorm_mode_16_64 3
		.amdhsa_dx10_clamp 1
		.amdhsa_ieee_mode 1
		.amdhsa_fp16_overflow 0
		.amdhsa_workgroup_processor_mode 1
		.amdhsa_memory_ordered 1
		.amdhsa_forward_progress 0
		.amdhsa_shared_vgpr_count 0
		.amdhsa_exception_fp_ieee_invalid_op 0
		.amdhsa_exception_fp_denorm_src 0
		.amdhsa_exception_fp_ieee_div_zero 0
		.amdhsa_exception_fp_ieee_overflow 0
		.amdhsa_exception_fp_ieee_underflow 0
		.amdhsa_exception_fp_ieee_inexact 0
		.amdhsa_exception_int_div_zero 0
	.end_amdhsa_kernel
	.section	.text._ZN7rocprim17ROCPRIM_400000_NS6detail17trampoline_kernelINS0_14default_configENS1_25partition_config_selectorILNS1_17partition_subalgoE5ElNS0_10empty_typeEbEEZZNS1_14partition_implILS5_5ELb0ES3_mN6hipcub16HIPCUB_304000_NS21CountingInputIteratorIllEEPS6_NSA_22TransformInputIteratorIbN2at6native12_GLOBAL__N_19NonZeroOpIiEEPKilEENS0_5tupleIJPlS6_EEENSN_IJSD_SD_EEES6_PiJS6_EEE10hipError_tPvRmT3_T4_T5_T6_T7_T9_mT8_P12ihipStream_tbDpT10_ENKUlT_T0_E_clISt17integral_constantIbLb1EES1B_EEDaS16_S17_EUlS16_E_NS1_11comp_targetILNS1_3genE5ELNS1_11target_archE942ELNS1_3gpuE9ELNS1_3repE0EEENS1_30default_config_static_selectorELNS0_4arch9wavefront6targetE0EEEvT1_,"axG",@progbits,_ZN7rocprim17ROCPRIM_400000_NS6detail17trampoline_kernelINS0_14default_configENS1_25partition_config_selectorILNS1_17partition_subalgoE5ElNS0_10empty_typeEbEEZZNS1_14partition_implILS5_5ELb0ES3_mN6hipcub16HIPCUB_304000_NS21CountingInputIteratorIllEEPS6_NSA_22TransformInputIteratorIbN2at6native12_GLOBAL__N_19NonZeroOpIiEEPKilEENS0_5tupleIJPlS6_EEENSN_IJSD_SD_EEES6_PiJS6_EEE10hipError_tPvRmT3_T4_T5_T6_T7_T9_mT8_P12ihipStream_tbDpT10_ENKUlT_T0_E_clISt17integral_constantIbLb1EES1B_EEDaS16_S17_EUlS16_E_NS1_11comp_targetILNS1_3genE5ELNS1_11target_archE942ELNS1_3gpuE9ELNS1_3repE0EEENS1_30default_config_static_selectorELNS0_4arch9wavefront6targetE0EEEvT1_,comdat
.Lfunc_end195:
	.size	_ZN7rocprim17ROCPRIM_400000_NS6detail17trampoline_kernelINS0_14default_configENS1_25partition_config_selectorILNS1_17partition_subalgoE5ElNS0_10empty_typeEbEEZZNS1_14partition_implILS5_5ELb0ES3_mN6hipcub16HIPCUB_304000_NS21CountingInputIteratorIllEEPS6_NSA_22TransformInputIteratorIbN2at6native12_GLOBAL__N_19NonZeroOpIiEEPKilEENS0_5tupleIJPlS6_EEENSN_IJSD_SD_EEES6_PiJS6_EEE10hipError_tPvRmT3_T4_T5_T6_T7_T9_mT8_P12ihipStream_tbDpT10_ENKUlT_T0_E_clISt17integral_constantIbLb1EES1B_EEDaS16_S17_EUlS16_E_NS1_11comp_targetILNS1_3genE5ELNS1_11target_archE942ELNS1_3gpuE9ELNS1_3repE0EEENS1_30default_config_static_selectorELNS0_4arch9wavefront6targetE0EEEvT1_, .Lfunc_end195-_ZN7rocprim17ROCPRIM_400000_NS6detail17trampoline_kernelINS0_14default_configENS1_25partition_config_selectorILNS1_17partition_subalgoE5ElNS0_10empty_typeEbEEZZNS1_14partition_implILS5_5ELb0ES3_mN6hipcub16HIPCUB_304000_NS21CountingInputIteratorIllEEPS6_NSA_22TransformInputIteratorIbN2at6native12_GLOBAL__N_19NonZeroOpIiEEPKilEENS0_5tupleIJPlS6_EEENSN_IJSD_SD_EEES6_PiJS6_EEE10hipError_tPvRmT3_T4_T5_T6_T7_T9_mT8_P12ihipStream_tbDpT10_ENKUlT_T0_E_clISt17integral_constantIbLb1EES1B_EEDaS16_S17_EUlS16_E_NS1_11comp_targetILNS1_3genE5ELNS1_11target_archE942ELNS1_3gpuE9ELNS1_3repE0EEENS1_30default_config_static_selectorELNS0_4arch9wavefront6targetE0EEEvT1_
                                        ; -- End function
	.section	.AMDGPU.csdata,"",@progbits
; Kernel info:
; codeLenInByte = 0
; NumSgprs: 0
; NumVgprs: 0
; ScratchSize: 0
; MemoryBound: 0
; FloatMode: 240
; IeeeMode: 1
; LDSByteSize: 0 bytes/workgroup (compile time only)
; SGPRBlocks: 0
; VGPRBlocks: 0
; NumSGPRsForWavesPerEU: 1
; NumVGPRsForWavesPerEU: 1
; Occupancy: 16
; WaveLimiterHint : 0
; COMPUTE_PGM_RSRC2:SCRATCH_EN: 0
; COMPUTE_PGM_RSRC2:USER_SGPR: 15
; COMPUTE_PGM_RSRC2:TRAP_HANDLER: 0
; COMPUTE_PGM_RSRC2:TGID_X_EN: 1
; COMPUTE_PGM_RSRC2:TGID_Y_EN: 0
; COMPUTE_PGM_RSRC2:TGID_Z_EN: 0
; COMPUTE_PGM_RSRC2:TIDIG_COMP_CNT: 0
	.section	.text._ZN7rocprim17ROCPRIM_400000_NS6detail17trampoline_kernelINS0_14default_configENS1_25partition_config_selectorILNS1_17partition_subalgoE5ElNS0_10empty_typeEbEEZZNS1_14partition_implILS5_5ELb0ES3_mN6hipcub16HIPCUB_304000_NS21CountingInputIteratorIllEEPS6_NSA_22TransformInputIteratorIbN2at6native12_GLOBAL__N_19NonZeroOpIiEEPKilEENS0_5tupleIJPlS6_EEENSN_IJSD_SD_EEES6_PiJS6_EEE10hipError_tPvRmT3_T4_T5_T6_T7_T9_mT8_P12ihipStream_tbDpT10_ENKUlT_T0_E_clISt17integral_constantIbLb1EES1B_EEDaS16_S17_EUlS16_E_NS1_11comp_targetILNS1_3genE4ELNS1_11target_archE910ELNS1_3gpuE8ELNS1_3repE0EEENS1_30default_config_static_selectorELNS0_4arch9wavefront6targetE0EEEvT1_,"axG",@progbits,_ZN7rocprim17ROCPRIM_400000_NS6detail17trampoline_kernelINS0_14default_configENS1_25partition_config_selectorILNS1_17partition_subalgoE5ElNS0_10empty_typeEbEEZZNS1_14partition_implILS5_5ELb0ES3_mN6hipcub16HIPCUB_304000_NS21CountingInputIteratorIllEEPS6_NSA_22TransformInputIteratorIbN2at6native12_GLOBAL__N_19NonZeroOpIiEEPKilEENS0_5tupleIJPlS6_EEENSN_IJSD_SD_EEES6_PiJS6_EEE10hipError_tPvRmT3_T4_T5_T6_T7_T9_mT8_P12ihipStream_tbDpT10_ENKUlT_T0_E_clISt17integral_constantIbLb1EES1B_EEDaS16_S17_EUlS16_E_NS1_11comp_targetILNS1_3genE4ELNS1_11target_archE910ELNS1_3gpuE8ELNS1_3repE0EEENS1_30default_config_static_selectorELNS0_4arch9wavefront6targetE0EEEvT1_,comdat
	.globl	_ZN7rocprim17ROCPRIM_400000_NS6detail17trampoline_kernelINS0_14default_configENS1_25partition_config_selectorILNS1_17partition_subalgoE5ElNS0_10empty_typeEbEEZZNS1_14partition_implILS5_5ELb0ES3_mN6hipcub16HIPCUB_304000_NS21CountingInputIteratorIllEEPS6_NSA_22TransformInputIteratorIbN2at6native12_GLOBAL__N_19NonZeroOpIiEEPKilEENS0_5tupleIJPlS6_EEENSN_IJSD_SD_EEES6_PiJS6_EEE10hipError_tPvRmT3_T4_T5_T6_T7_T9_mT8_P12ihipStream_tbDpT10_ENKUlT_T0_E_clISt17integral_constantIbLb1EES1B_EEDaS16_S17_EUlS16_E_NS1_11comp_targetILNS1_3genE4ELNS1_11target_archE910ELNS1_3gpuE8ELNS1_3repE0EEENS1_30default_config_static_selectorELNS0_4arch9wavefront6targetE0EEEvT1_ ; -- Begin function _ZN7rocprim17ROCPRIM_400000_NS6detail17trampoline_kernelINS0_14default_configENS1_25partition_config_selectorILNS1_17partition_subalgoE5ElNS0_10empty_typeEbEEZZNS1_14partition_implILS5_5ELb0ES3_mN6hipcub16HIPCUB_304000_NS21CountingInputIteratorIllEEPS6_NSA_22TransformInputIteratorIbN2at6native12_GLOBAL__N_19NonZeroOpIiEEPKilEENS0_5tupleIJPlS6_EEENSN_IJSD_SD_EEES6_PiJS6_EEE10hipError_tPvRmT3_T4_T5_T6_T7_T9_mT8_P12ihipStream_tbDpT10_ENKUlT_T0_E_clISt17integral_constantIbLb1EES1B_EEDaS16_S17_EUlS16_E_NS1_11comp_targetILNS1_3genE4ELNS1_11target_archE910ELNS1_3gpuE8ELNS1_3repE0EEENS1_30default_config_static_selectorELNS0_4arch9wavefront6targetE0EEEvT1_
	.p2align	8
	.type	_ZN7rocprim17ROCPRIM_400000_NS6detail17trampoline_kernelINS0_14default_configENS1_25partition_config_selectorILNS1_17partition_subalgoE5ElNS0_10empty_typeEbEEZZNS1_14partition_implILS5_5ELb0ES3_mN6hipcub16HIPCUB_304000_NS21CountingInputIteratorIllEEPS6_NSA_22TransformInputIteratorIbN2at6native12_GLOBAL__N_19NonZeroOpIiEEPKilEENS0_5tupleIJPlS6_EEENSN_IJSD_SD_EEES6_PiJS6_EEE10hipError_tPvRmT3_T4_T5_T6_T7_T9_mT8_P12ihipStream_tbDpT10_ENKUlT_T0_E_clISt17integral_constantIbLb1EES1B_EEDaS16_S17_EUlS16_E_NS1_11comp_targetILNS1_3genE4ELNS1_11target_archE910ELNS1_3gpuE8ELNS1_3repE0EEENS1_30default_config_static_selectorELNS0_4arch9wavefront6targetE0EEEvT1_,@function
_ZN7rocprim17ROCPRIM_400000_NS6detail17trampoline_kernelINS0_14default_configENS1_25partition_config_selectorILNS1_17partition_subalgoE5ElNS0_10empty_typeEbEEZZNS1_14partition_implILS5_5ELb0ES3_mN6hipcub16HIPCUB_304000_NS21CountingInputIteratorIllEEPS6_NSA_22TransformInputIteratorIbN2at6native12_GLOBAL__N_19NonZeroOpIiEEPKilEENS0_5tupleIJPlS6_EEENSN_IJSD_SD_EEES6_PiJS6_EEE10hipError_tPvRmT3_T4_T5_T6_T7_T9_mT8_P12ihipStream_tbDpT10_ENKUlT_T0_E_clISt17integral_constantIbLb1EES1B_EEDaS16_S17_EUlS16_E_NS1_11comp_targetILNS1_3genE4ELNS1_11target_archE910ELNS1_3gpuE8ELNS1_3repE0EEENS1_30default_config_static_selectorELNS0_4arch9wavefront6targetE0EEEvT1_: ; @_ZN7rocprim17ROCPRIM_400000_NS6detail17trampoline_kernelINS0_14default_configENS1_25partition_config_selectorILNS1_17partition_subalgoE5ElNS0_10empty_typeEbEEZZNS1_14partition_implILS5_5ELb0ES3_mN6hipcub16HIPCUB_304000_NS21CountingInputIteratorIllEEPS6_NSA_22TransformInputIteratorIbN2at6native12_GLOBAL__N_19NonZeroOpIiEEPKilEENS0_5tupleIJPlS6_EEENSN_IJSD_SD_EEES6_PiJS6_EEE10hipError_tPvRmT3_T4_T5_T6_T7_T9_mT8_P12ihipStream_tbDpT10_ENKUlT_T0_E_clISt17integral_constantIbLb1EES1B_EEDaS16_S17_EUlS16_E_NS1_11comp_targetILNS1_3genE4ELNS1_11target_archE910ELNS1_3gpuE8ELNS1_3repE0EEENS1_30default_config_static_selectorELNS0_4arch9wavefront6targetE0EEEvT1_
; %bb.0:
	.section	.rodata,"a",@progbits
	.p2align	6, 0x0
	.amdhsa_kernel _ZN7rocprim17ROCPRIM_400000_NS6detail17trampoline_kernelINS0_14default_configENS1_25partition_config_selectorILNS1_17partition_subalgoE5ElNS0_10empty_typeEbEEZZNS1_14partition_implILS5_5ELb0ES3_mN6hipcub16HIPCUB_304000_NS21CountingInputIteratorIllEEPS6_NSA_22TransformInputIteratorIbN2at6native12_GLOBAL__N_19NonZeroOpIiEEPKilEENS0_5tupleIJPlS6_EEENSN_IJSD_SD_EEES6_PiJS6_EEE10hipError_tPvRmT3_T4_T5_T6_T7_T9_mT8_P12ihipStream_tbDpT10_ENKUlT_T0_E_clISt17integral_constantIbLb1EES1B_EEDaS16_S17_EUlS16_E_NS1_11comp_targetILNS1_3genE4ELNS1_11target_archE910ELNS1_3gpuE8ELNS1_3repE0EEENS1_30default_config_static_selectorELNS0_4arch9wavefront6targetE0EEEvT1_
		.amdhsa_group_segment_fixed_size 0
		.amdhsa_private_segment_fixed_size 0
		.amdhsa_kernarg_size 136
		.amdhsa_user_sgpr_count 15
		.amdhsa_user_sgpr_dispatch_ptr 0
		.amdhsa_user_sgpr_queue_ptr 0
		.amdhsa_user_sgpr_kernarg_segment_ptr 1
		.amdhsa_user_sgpr_dispatch_id 0
		.amdhsa_user_sgpr_private_segment_size 0
		.amdhsa_wavefront_size32 1
		.amdhsa_uses_dynamic_stack 0
		.amdhsa_enable_private_segment 0
		.amdhsa_system_sgpr_workgroup_id_x 1
		.amdhsa_system_sgpr_workgroup_id_y 0
		.amdhsa_system_sgpr_workgroup_id_z 0
		.amdhsa_system_sgpr_workgroup_info 0
		.amdhsa_system_vgpr_workitem_id 0
		.amdhsa_next_free_vgpr 1
		.amdhsa_next_free_sgpr 1
		.amdhsa_reserve_vcc 0
		.amdhsa_float_round_mode_32 0
		.amdhsa_float_round_mode_16_64 0
		.amdhsa_float_denorm_mode_32 3
		.amdhsa_float_denorm_mode_16_64 3
		.amdhsa_dx10_clamp 1
		.amdhsa_ieee_mode 1
		.amdhsa_fp16_overflow 0
		.amdhsa_workgroup_processor_mode 1
		.amdhsa_memory_ordered 1
		.amdhsa_forward_progress 0
		.amdhsa_shared_vgpr_count 0
		.amdhsa_exception_fp_ieee_invalid_op 0
		.amdhsa_exception_fp_denorm_src 0
		.amdhsa_exception_fp_ieee_div_zero 0
		.amdhsa_exception_fp_ieee_overflow 0
		.amdhsa_exception_fp_ieee_underflow 0
		.amdhsa_exception_fp_ieee_inexact 0
		.amdhsa_exception_int_div_zero 0
	.end_amdhsa_kernel
	.section	.text._ZN7rocprim17ROCPRIM_400000_NS6detail17trampoline_kernelINS0_14default_configENS1_25partition_config_selectorILNS1_17partition_subalgoE5ElNS0_10empty_typeEbEEZZNS1_14partition_implILS5_5ELb0ES3_mN6hipcub16HIPCUB_304000_NS21CountingInputIteratorIllEEPS6_NSA_22TransformInputIteratorIbN2at6native12_GLOBAL__N_19NonZeroOpIiEEPKilEENS0_5tupleIJPlS6_EEENSN_IJSD_SD_EEES6_PiJS6_EEE10hipError_tPvRmT3_T4_T5_T6_T7_T9_mT8_P12ihipStream_tbDpT10_ENKUlT_T0_E_clISt17integral_constantIbLb1EES1B_EEDaS16_S17_EUlS16_E_NS1_11comp_targetILNS1_3genE4ELNS1_11target_archE910ELNS1_3gpuE8ELNS1_3repE0EEENS1_30default_config_static_selectorELNS0_4arch9wavefront6targetE0EEEvT1_,"axG",@progbits,_ZN7rocprim17ROCPRIM_400000_NS6detail17trampoline_kernelINS0_14default_configENS1_25partition_config_selectorILNS1_17partition_subalgoE5ElNS0_10empty_typeEbEEZZNS1_14partition_implILS5_5ELb0ES3_mN6hipcub16HIPCUB_304000_NS21CountingInputIteratorIllEEPS6_NSA_22TransformInputIteratorIbN2at6native12_GLOBAL__N_19NonZeroOpIiEEPKilEENS0_5tupleIJPlS6_EEENSN_IJSD_SD_EEES6_PiJS6_EEE10hipError_tPvRmT3_T4_T5_T6_T7_T9_mT8_P12ihipStream_tbDpT10_ENKUlT_T0_E_clISt17integral_constantIbLb1EES1B_EEDaS16_S17_EUlS16_E_NS1_11comp_targetILNS1_3genE4ELNS1_11target_archE910ELNS1_3gpuE8ELNS1_3repE0EEENS1_30default_config_static_selectorELNS0_4arch9wavefront6targetE0EEEvT1_,comdat
.Lfunc_end196:
	.size	_ZN7rocprim17ROCPRIM_400000_NS6detail17trampoline_kernelINS0_14default_configENS1_25partition_config_selectorILNS1_17partition_subalgoE5ElNS0_10empty_typeEbEEZZNS1_14partition_implILS5_5ELb0ES3_mN6hipcub16HIPCUB_304000_NS21CountingInputIteratorIllEEPS6_NSA_22TransformInputIteratorIbN2at6native12_GLOBAL__N_19NonZeroOpIiEEPKilEENS0_5tupleIJPlS6_EEENSN_IJSD_SD_EEES6_PiJS6_EEE10hipError_tPvRmT3_T4_T5_T6_T7_T9_mT8_P12ihipStream_tbDpT10_ENKUlT_T0_E_clISt17integral_constantIbLb1EES1B_EEDaS16_S17_EUlS16_E_NS1_11comp_targetILNS1_3genE4ELNS1_11target_archE910ELNS1_3gpuE8ELNS1_3repE0EEENS1_30default_config_static_selectorELNS0_4arch9wavefront6targetE0EEEvT1_, .Lfunc_end196-_ZN7rocprim17ROCPRIM_400000_NS6detail17trampoline_kernelINS0_14default_configENS1_25partition_config_selectorILNS1_17partition_subalgoE5ElNS0_10empty_typeEbEEZZNS1_14partition_implILS5_5ELb0ES3_mN6hipcub16HIPCUB_304000_NS21CountingInputIteratorIllEEPS6_NSA_22TransformInputIteratorIbN2at6native12_GLOBAL__N_19NonZeroOpIiEEPKilEENS0_5tupleIJPlS6_EEENSN_IJSD_SD_EEES6_PiJS6_EEE10hipError_tPvRmT3_T4_T5_T6_T7_T9_mT8_P12ihipStream_tbDpT10_ENKUlT_T0_E_clISt17integral_constantIbLb1EES1B_EEDaS16_S17_EUlS16_E_NS1_11comp_targetILNS1_3genE4ELNS1_11target_archE910ELNS1_3gpuE8ELNS1_3repE0EEENS1_30default_config_static_selectorELNS0_4arch9wavefront6targetE0EEEvT1_
                                        ; -- End function
	.section	.AMDGPU.csdata,"",@progbits
; Kernel info:
; codeLenInByte = 0
; NumSgprs: 0
; NumVgprs: 0
; ScratchSize: 0
; MemoryBound: 0
; FloatMode: 240
; IeeeMode: 1
; LDSByteSize: 0 bytes/workgroup (compile time only)
; SGPRBlocks: 0
; VGPRBlocks: 0
; NumSGPRsForWavesPerEU: 1
; NumVGPRsForWavesPerEU: 1
; Occupancy: 15
; WaveLimiterHint : 0
; COMPUTE_PGM_RSRC2:SCRATCH_EN: 0
; COMPUTE_PGM_RSRC2:USER_SGPR: 15
; COMPUTE_PGM_RSRC2:TRAP_HANDLER: 0
; COMPUTE_PGM_RSRC2:TGID_X_EN: 1
; COMPUTE_PGM_RSRC2:TGID_Y_EN: 0
; COMPUTE_PGM_RSRC2:TGID_Z_EN: 0
; COMPUTE_PGM_RSRC2:TIDIG_COMP_CNT: 0
	.section	.text._ZN7rocprim17ROCPRIM_400000_NS6detail17trampoline_kernelINS0_14default_configENS1_25partition_config_selectorILNS1_17partition_subalgoE5ElNS0_10empty_typeEbEEZZNS1_14partition_implILS5_5ELb0ES3_mN6hipcub16HIPCUB_304000_NS21CountingInputIteratorIllEEPS6_NSA_22TransformInputIteratorIbN2at6native12_GLOBAL__N_19NonZeroOpIiEEPKilEENS0_5tupleIJPlS6_EEENSN_IJSD_SD_EEES6_PiJS6_EEE10hipError_tPvRmT3_T4_T5_T6_T7_T9_mT8_P12ihipStream_tbDpT10_ENKUlT_T0_E_clISt17integral_constantIbLb1EES1B_EEDaS16_S17_EUlS16_E_NS1_11comp_targetILNS1_3genE3ELNS1_11target_archE908ELNS1_3gpuE7ELNS1_3repE0EEENS1_30default_config_static_selectorELNS0_4arch9wavefront6targetE0EEEvT1_,"axG",@progbits,_ZN7rocprim17ROCPRIM_400000_NS6detail17trampoline_kernelINS0_14default_configENS1_25partition_config_selectorILNS1_17partition_subalgoE5ElNS0_10empty_typeEbEEZZNS1_14partition_implILS5_5ELb0ES3_mN6hipcub16HIPCUB_304000_NS21CountingInputIteratorIllEEPS6_NSA_22TransformInputIteratorIbN2at6native12_GLOBAL__N_19NonZeroOpIiEEPKilEENS0_5tupleIJPlS6_EEENSN_IJSD_SD_EEES6_PiJS6_EEE10hipError_tPvRmT3_T4_T5_T6_T7_T9_mT8_P12ihipStream_tbDpT10_ENKUlT_T0_E_clISt17integral_constantIbLb1EES1B_EEDaS16_S17_EUlS16_E_NS1_11comp_targetILNS1_3genE3ELNS1_11target_archE908ELNS1_3gpuE7ELNS1_3repE0EEENS1_30default_config_static_selectorELNS0_4arch9wavefront6targetE0EEEvT1_,comdat
	.globl	_ZN7rocprim17ROCPRIM_400000_NS6detail17trampoline_kernelINS0_14default_configENS1_25partition_config_selectorILNS1_17partition_subalgoE5ElNS0_10empty_typeEbEEZZNS1_14partition_implILS5_5ELb0ES3_mN6hipcub16HIPCUB_304000_NS21CountingInputIteratorIllEEPS6_NSA_22TransformInputIteratorIbN2at6native12_GLOBAL__N_19NonZeroOpIiEEPKilEENS0_5tupleIJPlS6_EEENSN_IJSD_SD_EEES6_PiJS6_EEE10hipError_tPvRmT3_T4_T5_T6_T7_T9_mT8_P12ihipStream_tbDpT10_ENKUlT_T0_E_clISt17integral_constantIbLb1EES1B_EEDaS16_S17_EUlS16_E_NS1_11comp_targetILNS1_3genE3ELNS1_11target_archE908ELNS1_3gpuE7ELNS1_3repE0EEENS1_30default_config_static_selectorELNS0_4arch9wavefront6targetE0EEEvT1_ ; -- Begin function _ZN7rocprim17ROCPRIM_400000_NS6detail17trampoline_kernelINS0_14default_configENS1_25partition_config_selectorILNS1_17partition_subalgoE5ElNS0_10empty_typeEbEEZZNS1_14partition_implILS5_5ELb0ES3_mN6hipcub16HIPCUB_304000_NS21CountingInputIteratorIllEEPS6_NSA_22TransformInputIteratorIbN2at6native12_GLOBAL__N_19NonZeroOpIiEEPKilEENS0_5tupleIJPlS6_EEENSN_IJSD_SD_EEES6_PiJS6_EEE10hipError_tPvRmT3_T4_T5_T6_T7_T9_mT8_P12ihipStream_tbDpT10_ENKUlT_T0_E_clISt17integral_constantIbLb1EES1B_EEDaS16_S17_EUlS16_E_NS1_11comp_targetILNS1_3genE3ELNS1_11target_archE908ELNS1_3gpuE7ELNS1_3repE0EEENS1_30default_config_static_selectorELNS0_4arch9wavefront6targetE0EEEvT1_
	.p2align	8
	.type	_ZN7rocprim17ROCPRIM_400000_NS6detail17trampoline_kernelINS0_14default_configENS1_25partition_config_selectorILNS1_17partition_subalgoE5ElNS0_10empty_typeEbEEZZNS1_14partition_implILS5_5ELb0ES3_mN6hipcub16HIPCUB_304000_NS21CountingInputIteratorIllEEPS6_NSA_22TransformInputIteratorIbN2at6native12_GLOBAL__N_19NonZeroOpIiEEPKilEENS0_5tupleIJPlS6_EEENSN_IJSD_SD_EEES6_PiJS6_EEE10hipError_tPvRmT3_T4_T5_T6_T7_T9_mT8_P12ihipStream_tbDpT10_ENKUlT_T0_E_clISt17integral_constantIbLb1EES1B_EEDaS16_S17_EUlS16_E_NS1_11comp_targetILNS1_3genE3ELNS1_11target_archE908ELNS1_3gpuE7ELNS1_3repE0EEENS1_30default_config_static_selectorELNS0_4arch9wavefront6targetE0EEEvT1_,@function
_ZN7rocprim17ROCPRIM_400000_NS6detail17trampoline_kernelINS0_14default_configENS1_25partition_config_selectorILNS1_17partition_subalgoE5ElNS0_10empty_typeEbEEZZNS1_14partition_implILS5_5ELb0ES3_mN6hipcub16HIPCUB_304000_NS21CountingInputIteratorIllEEPS6_NSA_22TransformInputIteratorIbN2at6native12_GLOBAL__N_19NonZeroOpIiEEPKilEENS0_5tupleIJPlS6_EEENSN_IJSD_SD_EEES6_PiJS6_EEE10hipError_tPvRmT3_T4_T5_T6_T7_T9_mT8_P12ihipStream_tbDpT10_ENKUlT_T0_E_clISt17integral_constantIbLb1EES1B_EEDaS16_S17_EUlS16_E_NS1_11comp_targetILNS1_3genE3ELNS1_11target_archE908ELNS1_3gpuE7ELNS1_3repE0EEENS1_30default_config_static_selectorELNS0_4arch9wavefront6targetE0EEEvT1_: ; @_ZN7rocprim17ROCPRIM_400000_NS6detail17trampoline_kernelINS0_14default_configENS1_25partition_config_selectorILNS1_17partition_subalgoE5ElNS0_10empty_typeEbEEZZNS1_14partition_implILS5_5ELb0ES3_mN6hipcub16HIPCUB_304000_NS21CountingInputIteratorIllEEPS6_NSA_22TransformInputIteratorIbN2at6native12_GLOBAL__N_19NonZeroOpIiEEPKilEENS0_5tupleIJPlS6_EEENSN_IJSD_SD_EEES6_PiJS6_EEE10hipError_tPvRmT3_T4_T5_T6_T7_T9_mT8_P12ihipStream_tbDpT10_ENKUlT_T0_E_clISt17integral_constantIbLb1EES1B_EEDaS16_S17_EUlS16_E_NS1_11comp_targetILNS1_3genE3ELNS1_11target_archE908ELNS1_3gpuE7ELNS1_3repE0EEENS1_30default_config_static_selectorELNS0_4arch9wavefront6targetE0EEEvT1_
; %bb.0:
	.section	.rodata,"a",@progbits
	.p2align	6, 0x0
	.amdhsa_kernel _ZN7rocprim17ROCPRIM_400000_NS6detail17trampoline_kernelINS0_14default_configENS1_25partition_config_selectorILNS1_17partition_subalgoE5ElNS0_10empty_typeEbEEZZNS1_14partition_implILS5_5ELb0ES3_mN6hipcub16HIPCUB_304000_NS21CountingInputIteratorIllEEPS6_NSA_22TransformInputIteratorIbN2at6native12_GLOBAL__N_19NonZeroOpIiEEPKilEENS0_5tupleIJPlS6_EEENSN_IJSD_SD_EEES6_PiJS6_EEE10hipError_tPvRmT3_T4_T5_T6_T7_T9_mT8_P12ihipStream_tbDpT10_ENKUlT_T0_E_clISt17integral_constantIbLb1EES1B_EEDaS16_S17_EUlS16_E_NS1_11comp_targetILNS1_3genE3ELNS1_11target_archE908ELNS1_3gpuE7ELNS1_3repE0EEENS1_30default_config_static_selectorELNS0_4arch9wavefront6targetE0EEEvT1_
		.amdhsa_group_segment_fixed_size 0
		.amdhsa_private_segment_fixed_size 0
		.amdhsa_kernarg_size 136
		.amdhsa_user_sgpr_count 15
		.amdhsa_user_sgpr_dispatch_ptr 0
		.amdhsa_user_sgpr_queue_ptr 0
		.amdhsa_user_sgpr_kernarg_segment_ptr 1
		.amdhsa_user_sgpr_dispatch_id 0
		.amdhsa_user_sgpr_private_segment_size 0
		.amdhsa_wavefront_size32 1
		.amdhsa_uses_dynamic_stack 0
		.amdhsa_enable_private_segment 0
		.amdhsa_system_sgpr_workgroup_id_x 1
		.amdhsa_system_sgpr_workgroup_id_y 0
		.amdhsa_system_sgpr_workgroup_id_z 0
		.amdhsa_system_sgpr_workgroup_info 0
		.amdhsa_system_vgpr_workitem_id 0
		.amdhsa_next_free_vgpr 1
		.amdhsa_next_free_sgpr 1
		.amdhsa_reserve_vcc 0
		.amdhsa_float_round_mode_32 0
		.amdhsa_float_round_mode_16_64 0
		.amdhsa_float_denorm_mode_32 3
		.amdhsa_float_denorm_mode_16_64 3
		.amdhsa_dx10_clamp 1
		.amdhsa_ieee_mode 1
		.amdhsa_fp16_overflow 0
		.amdhsa_workgroup_processor_mode 1
		.amdhsa_memory_ordered 1
		.amdhsa_forward_progress 0
		.amdhsa_shared_vgpr_count 0
		.amdhsa_exception_fp_ieee_invalid_op 0
		.amdhsa_exception_fp_denorm_src 0
		.amdhsa_exception_fp_ieee_div_zero 0
		.amdhsa_exception_fp_ieee_overflow 0
		.amdhsa_exception_fp_ieee_underflow 0
		.amdhsa_exception_fp_ieee_inexact 0
		.amdhsa_exception_int_div_zero 0
	.end_amdhsa_kernel
	.section	.text._ZN7rocprim17ROCPRIM_400000_NS6detail17trampoline_kernelINS0_14default_configENS1_25partition_config_selectorILNS1_17partition_subalgoE5ElNS0_10empty_typeEbEEZZNS1_14partition_implILS5_5ELb0ES3_mN6hipcub16HIPCUB_304000_NS21CountingInputIteratorIllEEPS6_NSA_22TransformInputIteratorIbN2at6native12_GLOBAL__N_19NonZeroOpIiEEPKilEENS0_5tupleIJPlS6_EEENSN_IJSD_SD_EEES6_PiJS6_EEE10hipError_tPvRmT3_T4_T5_T6_T7_T9_mT8_P12ihipStream_tbDpT10_ENKUlT_T0_E_clISt17integral_constantIbLb1EES1B_EEDaS16_S17_EUlS16_E_NS1_11comp_targetILNS1_3genE3ELNS1_11target_archE908ELNS1_3gpuE7ELNS1_3repE0EEENS1_30default_config_static_selectorELNS0_4arch9wavefront6targetE0EEEvT1_,"axG",@progbits,_ZN7rocprim17ROCPRIM_400000_NS6detail17trampoline_kernelINS0_14default_configENS1_25partition_config_selectorILNS1_17partition_subalgoE5ElNS0_10empty_typeEbEEZZNS1_14partition_implILS5_5ELb0ES3_mN6hipcub16HIPCUB_304000_NS21CountingInputIteratorIllEEPS6_NSA_22TransformInputIteratorIbN2at6native12_GLOBAL__N_19NonZeroOpIiEEPKilEENS0_5tupleIJPlS6_EEENSN_IJSD_SD_EEES6_PiJS6_EEE10hipError_tPvRmT3_T4_T5_T6_T7_T9_mT8_P12ihipStream_tbDpT10_ENKUlT_T0_E_clISt17integral_constantIbLb1EES1B_EEDaS16_S17_EUlS16_E_NS1_11comp_targetILNS1_3genE3ELNS1_11target_archE908ELNS1_3gpuE7ELNS1_3repE0EEENS1_30default_config_static_selectorELNS0_4arch9wavefront6targetE0EEEvT1_,comdat
.Lfunc_end197:
	.size	_ZN7rocprim17ROCPRIM_400000_NS6detail17trampoline_kernelINS0_14default_configENS1_25partition_config_selectorILNS1_17partition_subalgoE5ElNS0_10empty_typeEbEEZZNS1_14partition_implILS5_5ELb0ES3_mN6hipcub16HIPCUB_304000_NS21CountingInputIteratorIllEEPS6_NSA_22TransformInputIteratorIbN2at6native12_GLOBAL__N_19NonZeroOpIiEEPKilEENS0_5tupleIJPlS6_EEENSN_IJSD_SD_EEES6_PiJS6_EEE10hipError_tPvRmT3_T4_T5_T6_T7_T9_mT8_P12ihipStream_tbDpT10_ENKUlT_T0_E_clISt17integral_constantIbLb1EES1B_EEDaS16_S17_EUlS16_E_NS1_11comp_targetILNS1_3genE3ELNS1_11target_archE908ELNS1_3gpuE7ELNS1_3repE0EEENS1_30default_config_static_selectorELNS0_4arch9wavefront6targetE0EEEvT1_, .Lfunc_end197-_ZN7rocprim17ROCPRIM_400000_NS6detail17trampoline_kernelINS0_14default_configENS1_25partition_config_selectorILNS1_17partition_subalgoE5ElNS0_10empty_typeEbEEZZNS1_14partition_implILS5_5ELb0ES3_mN6hipcub16HIPCUB_304000_NS21CountingInputIteratorIllEEPS6_NSA_22TransformInputIteratorIbN2at6native12_GLOBAL__N_19NonZeroOpIiEEPKilEENS0_5tupleIJPlS6_EEENSN_IJSD_SD_EEES6_PiJS6_EEE10hipError_tPvRmT3_T4_T5_T6_T7_T9_mT8_P12ihipStream_tbDpT10_ENKUlT_T0_E_clISt17integral_constantIbLb1EES1B_EEDaS16_S17_EUlS16_E_NS1_11comp_targetILNS1_3genE3ELNS1_11target_archE908ELNS1_3gpuE7ELNS1_3repE0EEENS1_30default_config_static_selectorELNS0_4arch9wavefront6targetE0EEEvT1_
                                        ; -- End function
	.section	.AMDGPU.csdata,"",@progbits
; Kernel info:
; codeLenInByte = 0
; NumSgprs: 0
; NumVgprs: 0
; ScratchSize: 0
; MemoryBound: 0
; FloatMode: 240
; IeeeMode: 1
; LDSByteSize: 0 bytes/workgroup (compile time only)
; SGPRBlocks: 0
; VGPRBlocks: 0
; NumSGPRsForWavesPerEU: 1
; NumVGPRsForWavesPerEU: 1
; Occupancy: 16
; WaveLimiterHint : 0
; COMPUTE_PGM_RSRC2:SCRATCH_EN: 0
; COMPUTE_PGM_RSRC2:USER_SGPR: 15
; COMPUTE_PGM_RSRC2:TRAP_HANDLER: 0
; COMPUTE_PGM_RSRC2:TGID_X_EN: 1
; COMPUTE_PGM_RSRC2:TGID_Y_EN: 0
; COMPUTE_PGM_RSRC2:TGID_Z_EN: 0
; COMPUTE_PGM_RSRC2:TIDIG_COMP_CNT: 0
	.section	.text._ZN7rocprim17ROCPRIM_400000_NS6detail17trampoline_kernelINS0_14default_configENS1_25partition_config_selectorILNS1_17partition_subalgoE5ElNS0_10empty_typeEbEEZZNS1_14partition_implILS5_5ELb0ES3_mN6hipcub16HIPCUB_304000_NS21CountingInputIteratorIllEEPS6_NSA_22TransformInputIteratorIbN2at6native12_GLOBAL__N_19NonZeroOpIiEEPKilEENS0_5tupleIJPlS6_EEENSN_IJSD_SD_EEES6_PiJS6_EEE10hipError_tPvRmT3_T4_T5_T6_T7_T9_mT8_P12ihipStream_tbDpT10_ENKUlT_T0_E_clISt17integral_constantIbLb1EES1B_EEDaS16_S17_EUlS16_E_NS1_11comp_targetILNS1_3genE2ELNS1_11target_archE906ELNS1_3gpuE6ELNS1_3repE0EEENS1_30default_config_static_selectorELNS0_4arch9wavefront6targetE0EEEvT1_,"axG",@progbits,_ZN7rocprim17ROCPRIM_400000_NS6detail17trampoline_kernelINS0_14default_configENS1_25partition_config_selectorILNS1_17partition_subalgoE5ElNS0_10empty_typeEbEEZZNS1_14partition_implILS5_5ELb0ES3_mN6hipcub16HIPCUB_304000_NS21CountingInputIteratorIllEEPS6_NSA_22TransformInputIteratorIbN2at6native12_GLOBAL__N_19NonZeroOpIiEEPKilEENS0_5tupleIJPlS6_EEENSN_IJSD_SD_EEES6_PiJS6_EEE10hipError_tPvRmT3_T4_T5_T6_T7_T9_mT8_P12ihipStream_tbDpT10_ENKUlT_T0_E_clISt17integral_constantIbLb1EES1B_EEDaS16_S17_EUlS16_E_NS1_11comp_targetILNS1_3genE2ELNS1_11target_archE906ELNS1_3gpuE6ELNS1_3repE0EEENS1_30default_config_static_selectorELNS0_4arch9wavefront6targetE0EEEvT1_,comdat
	.globl	_ZN7rocprim17ROCPRIM_400000_NS6detail17trampoline_kernelINS0_14default_configENS1_25partition_config_selectorILNS1_17partition_subalgoE5ElNS0_10empty_typeEbEEZZNS1_14partition_implILS5_5ELb0ES3_mN6hipcub16HIPCUB_304000_NS21CountingInputIteratorIllEEPS6_NSA_22TransformInputIteratorIbN2at6native12_GLOBAL__N_19NonZeroOpIiEEPKilEENS0_5tupleIJPlS6_EEENSN_IJSD_SD_EEES6_PiJS6_EEE10hipError_tPvRmT3_T4_T5_T6_T7_T9_mT8_P12ihipStream_tbDpT10_ENKUlT_T0_E_clISt17integral_constantIbLb1EES1B_EEDaS16_S17_EUlS16_E_NS1_11comp_targetILNS1_3genE2ELNS1_11target_archE906ELNS1_3gpuE6ELNS1_3repE0EEENS1_30default_config_static_selectorELNS0_4arch9wavefront6targetE0EEEvT1_ ; -- Begin function _ZN7rocprim17ROCPRIM_400000_NS6detail17trampoline_kernelINS0_14default_configENS1_25partition_config_selectorILNS1_17partition_subalgoE5ElNS0_10empty_typeEbEEZZNS1_14partition_implILS5_5ELb0ES3_mN6hipcub16HIPCUB_304000_NS21CountingInputIteratorIllEEPS6_NSA_22TransformInputIteratorIbN2at6native12_GLOBAL__N_19NonZeroOpIiEEPKilEENS0_5tupleIJPlS6_EEENSN_IJSD_SD_EEES6_PiJS6_EEE10hipError_tPvRmT3_T4_T5_T6_T7_T9_mT8_P12ihipStream_tbDpT10_ENKUlT_T0_E_clISt17integral_constantIbLb1EES1B_EEDaS16_S17_EUlS16_E_NS1_11comp_targetILNS1_3genE2ELNS1_11target_archE906ELNS1_3gpuE6ELNS1_3repE0EEENS1_30default_config_static_selectorELNS0_4arch9wavefront6targetE0EEEvT1_
	.p2align	8
	.type	_ZN7rocprim17ROCPRIM_400000_NS6detail17trampoline_kernelINS0_14default_configENS1_25partition_config_selectorILNS1_17partition_subalgoE5ElNS0_10empty_typeEbEEZZNS1_14partition_implILS5_5ELb0ES3_mN6hipcub16HIPCUB_304000_NS21CountingInputIteratorIllEEPS6_NSA_22TransformInputIteratorIbN2at6native12_GLOBAL__N_19NonZeroOpIiEEPKilEENS0_5tupleIJPlS6_EEENSN_IJSD_SD_EEES6_PiJS6_EEE10hipError_tPvRmT3_T4_T5_T6_T7_T9_mT8_P12ihipStream_tbDpT10_ENKUlT_T0_E_clISt17integral_constantIbLb1EES1B_EEDaS16_S17_EUlS16_E_NS1_11comp_targetILNS1_3genE2ELNS1_11target_archE906ELNS1_3gpuE6ELNS1_3repE0EEENS1_30default_config_static_selectorELNS0_4arch9wavefront6targetE0EEEvT1_,@function
_ZN7rocprim17ROCPRIM_400000_NS6detail17trampoline_kernelINS0_14default_configENS1_25partition_config_selectorILNS1_17partition_subalgoE5ElNS0_10empty_typeEbEEZZNS1_14partition_implILS5_5ELb0ES3_mN6hipcub16HIPCUB_304000_NS21CountingInputIteratorIllEEPS6_NSA_22TransformInputIteratorIbN2at6native12_GLOBAL__N_19NonZeroOpIiEEPKilEENS0_5tupleIJPlS6_EEENSN_IJSD_SD_EEES6_PiJS6_EEE10hipError_tPvRmT3_T4_T5_T6_T7_T9_mT8_P12ihipStream_tbDpT10_ENKUlT_T0_E_clISt17integral_constantIbLb1EES1B_EEDaS16_S17_EUlS16_E_NS1_11comp_targetILNS1_3genE2ELNS1_11target_archE906ELNS1_3gpuE6ELNS1_3repE0EEENS1_30default_config_static_selectorELNS0_4arch9wavefront6targetE0EEEvT1_: ; @_ZN7rocprim17ROCPRIM_400000_NS6detail17trampoline_kernelINS0_14default_configENS1_25partition_config_selectorILNS1_17partition_subalgoE5ElNS0_10empty_typeEbEEZZNS1_14partition_implILS5_5ELb0ES3_mN6hipcub16HIPCUB_304000_NS21CountingInputIteratorIllEEPS6_NSA_22TransformInputIteratorIbN2at6native12_GLOBAL__N_19NonZeroOpIiEEPKilEENS0_5tupleIJPlS6_EEENSN_IJSD_SD_EEES6_PiJS6_EEE10hipError_tPvRmT3_T4_T5_T6_T7_T9_mT8_P12ihipStream_tbDpT10_ENKUlT_T0_E_clISt17integral_constantIbLb1EES1B_EEDaS16_S17_EUlS16_E_NS1_11comp_targetILNS1_3genE2ELNS1_11target_archE906ELNS1_3gpuE6ELNS1_3repE0EEENS1_30default_config_static_selectorELNS0_4arch9wavefront6targetE0EEEvT1_
; %bb.0:
	.section	.rodata,"a",@progbits
	.p2align	6, 0x0
	.amdhsa_kernel _ZN7rocprim17ROCPRIM_400000_NS6detail17trampoline_kernelINS0_14default_configENS1_25partition_config_selectorILNS1_17partition_subalgoE5ElNS0_10empty_typeEbEEZZNS1_14partition_implILS5_5ELb0ES3_mN6hipcub16HIPCUB_304000_NS21CountingInputIteratorIllEEPS6_NSA_22TransformInputIteratorIbN2at6native12_GLOBAL__N_19NonZeroOpIiEEPKilEENS0_5tupleIJPlS6_EEENSN_IJSD_SD_EEES6_PiJS6_EEE10hipError_tPvRmT3_T4_T5_T6_T7_T9_mT8_P12ihipStream_tbDpT10_ENKUlT_T0_E_clISt17integral_constantIbLb1EES1B_EEDaS16_S17_EUlS16_E_NS1_11comp_targetILNS1_3genE2ELNS1_11target_archE906ELNS1_3gpuE6ELNS1_3repE0EEENS1_30default_config_static_selectorELNS0_4arch9wavefront6targetE0EEEvT1_
		.amdhsa_group_segment_fixed_size 0
		.amdhsa_private_segment_fixed_size 0
		.amdhsa_kernarg_size 136
		.amdhsa_user_sgpr_count 15
		.amdhsa_user_sgpr_dispatch_ptr 0
		.amdhsa_user_sgpr_queue_ptr 0
		.amdhsa_user_sgpr_kernarg_segment_ptr 1
		.amdhsa_user_sgpr_dispatch_id 0
		.amdhsa_user_sgpr_private_segment_size 0
		.amdhsa_wavefront_size32 1
		.amdhsa_uses_dynamic_stack 0
		.amdhsa_enable_private_segment 0
		.amdhsa_system_sgpr_workgroup_id_x 1
		.amdhsa_system_sgpr_workgroup_id_y 0
		.amdhsa_system_sgpr_workgroup_id_z 0
		.amdhsa_system_sgpr_workgroup_info 0
		.amdhsa_system_vgpr_workitem_id 0
		.amdhsa_next_free_vgpr 1
		.amdhsa_next_free_sgpr 1
		.amdhsa_reserve_vcc 0
		.amdhsa_float_round_mode_32 0
		.amdhsa_float_round_mode_16_64 0
		.amdhsa_float_denorm_mode_32 3
		.amdhsa_float_denorm_mode_16_64 3
		.amdhsa_dx10_clamp 1
		.amdhsa_ieee_mode 1
		.amdhsa_fp16_overflow 0
		.amdhsa_workgroup_processor_mode 1
		.amdhsa_memory_ordered 1
		.amdhsa_forward_progress 0
		.amdhsa_shared_vgpr_count 0
		.amdhsa_exception_fp_ieee_invalid_op 0
		.amdhsa_exception_fp_denorm_src 0
		.amdhsa_exception_fp_ieee_div_zero 0
		.amdhsa_exception_fp_ieee_overflow 0
		.amdhsa_exception_fp_ieee_underflow 0
		.amdhsa_exception_fp_ieee_inexact 0
		.amdhsa_exception_int_div_zero 0
	.end_amdhsa_kernel
	.section	.text._ZN7rocprim17ROCPRIM_400000_NS6detail17trampoline_kernelINS0_14default_configENS1_25partition_config_selectorILNS1_17partition_subalgoE5ElNS0_10empty_typeEbEEZZNS1_14partition_implILS5_5ELb0ES3_mN6hipcub16HIPCUB_304000_NS21CountingInputIteratorIllEEPS6_NSA_22TransformInputIteratorIbN2at6native12_GLOBAL__N_19NonZeroOpIiEEPKilEENS0_5tupleIJPlS6_EEENSN_IJSD_SD_EEES6_PiJS6_EEE10hipError_tPvRmT3_T4_T5_T6_T7_T9_mT8_P12ihipStream_tbDpT10_ENKUlT_T0_E_clISt17integral_constantIbLb1EES1B_EEDaS16_S17_EUlS16_E_NS1_11comp_targetILNS1_3genE2ELNS1_11target_archE906ELNS1_3gpuE6ELNS1_3repE0EEENS1_30default_config_static_selectorELNS0_4arch9wavefront6targetE0EEEvT1_,"axG",@progbits,_ZN7rocprim17ROCPRIM_400000_NS6detail17trampoline_kernelINS0_14default_configENS1_25partition_config_selectorILNS1_17partition_subalgoE5ElNS0_10empty_typeEbEEZZNS1_14partition_implILS5_5ELb0ES3_mN6hipcub16HIPCUB_304000_NS21CountingInputIteratorIllEEPS6_NSA_22TransformInputIteratorIbN2at6native12_GLOBAL__N_19NonZeroOpIiEEPKilEENS0_5tupleIJPlS6_EEENSN_IJSD_SD_EEES6_PiJS6_EEE10hipError_tPvRmT3_T4_T5_T6_T7_T9_mT8_P12ihipStream_tbDpT10_ENKUlT_T0_E_clISt17integral_constantIbLb1EES1B_EEDaS16_S17_EUlS16_E_NS1_11comp_targetILNS1_3genE2ELNS1_11target_archE906ELNS1_3gpuE6ELNS1_3repE0EEENS1_30default_config_static_selectorELNS0_4arch9wavefront6targetE0EEEvT1_,comdat
.Lfunc_end198:
	.size	_ZN7rocprim17ROCPRIM_400000_NS6detail17trampoline_kernelINS0_14default_configENS1_25partition_config_selectorILNS1_17partition_subalgoE5ElNS0_10empty_typeEbEEZZNS1_14partition_implILS5_5ELb0ES3_mN6hipcub16HIPCUB_304000_NS21CountingInputIteratorIllEEPS6_NSA_22TransformInputIteratorIbN2at6native12_GLOBAL__N_19NonZeroOpIiEEPKilEENS0_5tupleIJPlS6_EEENSN_IJSD_SD_EEES6_PiJS6_EEE10hipError_tPvRmT3_T4_T5_T6_T7_T9_mT8_P12ihipStream_tbDpT10_ENKUlT_T0_E_clISt17integral_constantIbLb1EES1B_EEDaS16_S17_EUlS16_E_NS1_11comp_targetILNS1_3genE2ELNS1_11target_archE906ELNS1_3gpuE6ELNS1_3repE0EEENS1_30default_config_static_selectorELNS0_4arch9wavefront6targetE0EEEvT1_, .Lfunc_end198-_ZN7rocprim17ROCPRIM_400000_NS6detail17trampoline_kernelINS0_14default_configENS1_25partition_config_selectorILNS1_17partition_subalgoE5ElNS0_10empty_typeEbEEZZNS1_14partition_implILS5_5ELb0ES3_mN6hipcub16HIPCUB_304000_NS21CountingInputIteratorIllEEPS6_NSA_22TransformInputIteratorIbN2at6native12_GLOBAL__N_19NonZeroOpIiEEPKilEENS0_5tupleIJPlS6_EEENSN_IJSD_SD_EEES6_PiJS6_EEE10hipError_tPvRmT3_T4_T5_T6_T7_T9_mT8_P12ihipStream_tbDpT10_ENKUlT_T0_E_clISt17integral_constantIbLb1EES1B_EEDaS16_S17_EUlS16_E_NS1_11comp_targetILNS1_3genE2ELNS1_11target_archE906ELNS1_3gpuE6ELNS1_3repE0EEENS1_30default_config_static_selectorELNS0_4arch9wavefront6targetE0EEEvT1_
                                        ; -- End function
	.section	.AMDGPU.csdata,"",@progbits
; Kernel info:
; codeLenInByte = 0
; NumSgprs: 0
; NumVgprs: 0
; ScratchSize: 0
; MemoryBound: 0
; FloatMode: 240
; IeeeMode: 1
; LDSByteSize: 0 bytes/workgroup (compile time only)
; SGPRBlocks: 0
; VGPRBlocks: 0
; NumSGPRsForWavesPerEU: 1
; NumVGPRsForWavesPerEU: 1
; Occupancy: 16
; WaveLimiterHint : 0
; COMPUTE_PGM_RSRC2:SCRATCH_EN: 0
; COMPUTE_PGM_RSRC2:USER_SGPR: 15
; COMPUTE_PGM_RSRC2:TRAP_HANDLER: 0
; COMPUTE_PGM_RSRC2:TGID_X_EN: 1
; COMPUTE_PGM_RSRC2:TGID_Y_EN: 0
; COMPUTE_PGM_RSRC2:TGID_Z_EN: 0
; COMPUTE_PGM_RSRC2:TIDIG_COMP_CNT: 0
	.section	.text._ZN7rocprim17ROCPRIM_400000_NS6detail17trampoline_kernelINS0_14default_configENS1_25partition_config_selectorILNS1_17partition_subalgoE5ElNS0_10empty_typeEbEEZZNS1_14partition_implILS5_5ELb0ES3_mN6hipcub16HIPCUB_304000_NS21CountingInputIteratorIllEEPS6_NSA_22TransformInputIteratorIbN2at6native12_GLOBAL__N_19NonZeroOpIiEEPKilEENS0_5tupleIJPlS6_EEENSN_IJSD_SD_EEES6_PiJS6_EEE10hipError_tPvRmT3_T4_T5_T6_T7_T9_mT8_P12ihipStream_tbDpT10_ENKUlT_T0_E_clISt17integral_constantIbLb1EES1B_EEDaS16_S17_EUlS16_E_NS1_11comp_targetILNS1_3genE10ELNS1_11target_archE1200ELNS1_3gpuE4ELNS1_3repE0EEENS1_30default_config_static_selectorELNS0_4arch9wavefront6targetE0EEEvT1_,"axG",@progbits,_ZN7rocprim17ROCPRIM_400000_NS6detail17trampoline_kernelINS0_14default_configENS1_25partition_config_selectorILNS1_17partition_subalgoE5ElNS0_10empty_typeEbEEZZNS1_14partition_implILS5_5ELb0ES3_mN6hipcub16HIPCUB_304000_NS21CountingInputIteratorIllEEPS6_NSA_22TransformInputIteratorIbN2at6native12_GLOBAL__N_19NonZeroOpIiEEPKilEENS0_5tupleIJPlS6_EEENSN_IJSD_SD_EEES6_PiJS6_EEE10hipError_tPvRmT3_T4_T5_T6_T7_T9_mT8_P12ihipStream_tbDpT10_ENKUlT_T0_E_clISt17integral_constantIbLb1EES1B_EEDaS16_S17_EUlS16_E_NS1_11comp_targetILNS1_3genE10ELNS1_11target_archE1200ELNS1_3gpuE4ELNS1_3repE0EEENS1_30default_config_static_selectorELNS0_4arch9wavefront6targetE0EEEvT1_,comdat
	.globl	_ZN7rocprim17ROCPRIM_400000_NS6detail17trampoline_kernelINS0_14default_configENS1_25partition_config_selectorILNS1_17partition_subalgoE5ElNS0_10empty_typeEbEEZZNS1_14partition_implILS5_5ELb0ES3_mN6hipcub16HIPCUB_304000_NS21CountingInputIteratorIllEEPS6_NSA_22TransformInputIteratorIbN2at6native12_GLOBAL__N_19NonZeroOpIiEEPKilEENS0_5tupleIJPlS6_EEENSN_IJSD_SD_EEES6_PiJS6_EEE10hipError_tPvRmT3_T4_T5_T6_T7_T9_mT8_P12ihipStream_tbDpT10_ENKUlT_T0_E_clISt17integral_constantIbLb1EES1B_EEDaS16_S17_EUlS16_E_NS1_11comp_targetILNS1_3genE10ELNS1_11target_archE1200ELNS1_3gpuE4ELNS1_3repE0EEENS1_30default_config_static_selectorELNS0_4arch9wavefront6targetE0EEEvT1_ ; -- Begin function _ZN7rocprim17ROCPRIM_400000_NS6detail17trampoline_kernelINS0_14default_configENS1_25partition_config_selectorILNS1_17partition_subalgoE5ElNS0_10empty_typeEbEEZZNS1_14partition_implILS5_5ELb0ES3_mN6hipcub16HIPCUB_304000_NS21CountingInputIteratorIllEEPS6_NSA_22TransformInputIteratorIbN2at6native12_GLOBAL__N_19NonZeroOpIiEEPKilEENS0_5tupleIJPlS6_EEENSN_IJSD_SD_EEES6_PiJS6_EEE10hipError_tPvRmT3_T4_T5_T6_T7_T9_mT8_P12ihipStream_tbDpT10_ENKUlT_T0_E_clISt17integral_constantIbLb1EES1B_EEDaS16_S17_EUlS16_E_NS1_11comp_targetILNS1_3genE10ELNS1_11target_archE1200ELNS1_3gpuE4ELNS1_3repE0EEENS1_30default_config_static_selectorELNS0_4arch9wavefront6targetE0EEEvT1_
	.p2align	8
	.type	_ZN7rocprim17ROCPRIM_400000_NS6detail17trampoline_kernelINS0_14default_configENS1_25partition_config_selectorILNS1_17partition_subalgoE5ElNS0_10empty_typeEbEEZZNS1_14partition_implILS5_5ELb0ES3_mN6hipcub16HIPCUB_304000_NS21CountingInputIteratorIllEEPS6_NSA_22TransformInputIteratorIbN2at6native12_GLOBAL__N_19NonZeroOpIiEEPKilEENS0_5tupleIJPlS6_EEENSN_IJSD_SD_EEES6_PiJS6_EEE10hipError_tPvRmT3_T4_T5_T6_T7_T9_mT8_P12ihipStream_tbDpT10_ENKUlT_T0_E_clISt17integral_constantIbLb1EES1B_EEDaS16_S17_EUlS16_E_NS1_11comp_targetILNS1_3genE10ELNS1_11target_archE1200ELNS1_3gpuE4ELNS1_3repE0EEENS1_30default_config_static_selectorELNS0_4arch9wavefront6targetE0EEEvT1_,@function
_ZN7rocprim17ROCPRIM_400000_NS6detail17trampoline_kernelINS0_14default_configENS1_25partition_config_selectorILNS1_17partition_subalgoE5ElNS0_10empty_typeEbEEZZNS1_14partition_implILS5_5ELb0ES3_mN6hipcub16HIPCUB_304000_NS21CountingInputIteratorIllEEPS6_NSA_22TransformInputIteratorIbN2at6native12_GLOBAL__N_19NonZeroOpIiEEPKilEENS0_5tupleIJPlS6_EEENSN_IJSD_SD_EEES6_PiJS6_EEE10hipError_tPvRmT3_T4_T5_T6_T7_T9_mT8_P12ihipStream_tbDpT10_ENKUlT_T0_E_clISt17integral_constantIbLb1EES1B_EEDaS16_S17_EUlS16_E_NS1_11comp_targetILNS1_3genE10ELNS1_11target_archE1200ELNS1_3gpuE4ELNS1_3repE0EEENS1_30default_config_static_selectorELNS0_4arch9wavefront6targetE0EEEvT1_: ; @_ZN7rocprim17ROCPRIM_400000_NS6detail17trampoline_kernelINS0_14default_configENS1_25partition_config_selectorILNS1_17partition_subalgoE5ElNS0_10empty_typeEbEEZZNS1_14partition_implILS5_5ELb0ES3_mN6hipcub16HIPCUB_304000_NS21CountingInputIteratorIllEEPS6_NSA_22TransformInputIteratorIbN2at6native12_GLOBAL__N_19NonZeroOpIiEEPKilEENS0_5tupleIJPlS6_EEENSN_IJSD_SD_EEES6_PiJS6_EEE10hipError_tPvRmT3_T4_T5_T6_T7_T9_mT8_P12ihipStream_tbDpT10_ENKUlT_T0_E_clISt17integral_constantIbLb1EES1B_EEDaS16_S17_EUlS16_E_NS1_11comp_targetILNS1_3genE10ELNS1_11target_archE1200ELNS1_3gpuE4ELNS1_3repE0EEENS1_30default_config_static_selectorELNS0_4arch9wavefront6targetE0EEEvT1_
; %bb.0:
	.section	.rodata,"a",@progbits
	.p2align	6, 0x0
	.amdhsa_kernel _ZN7rocprim17ROCPRIM_400000_NS6detail17trampoline_kernelINS0_14default_configENS1_25partition_config_selectorILNS1_17partition_subalgoE5ElNS0_10empty_typeEbEEZZNS1_14partition_implILS5_5ELb0ES3_mN6hipcub16HIPCUB_304000_NS21CountingInputIteratorIllEEPS6_NSA_22TransformInputIteratorIbN2at6native12_GLOBAL__N_19NonZeroOpIiEEPKilEENS0_5tupleIJPlS6_EEENSN_IJSD_SD_EEES6_PiJS6_EEE10hipError_tPvRmT3_T4_T5_T6_T7_T9_mT8_P12ihipStream_tbDpT10_ENKUlT_T0_E_clISt17integral_constantIbLb1EES1B_EEDaS16_S17_EUlS16_E_NS1_11comp_targetILNS1_3genE10ELNS1_11target_archE1200ELNS1_3gpuE4ELNS1_3repE0EEENS1_30default_config_static_selectorELNS0_4arch9wavefront6targetE0EEEvT1_
		.amdhsa_group_segment_fixed_size 0
		.amdhsa_private_segment_fixed_size 0
		.amdhsa_kernarg_size 136
		.amdhsa_user_sgpr_count 15
		.amdhsa_user_sgpr_dispatch_ptr 0
		.amdhsa_user_sgpr_queue_ptr 0
		.amdhsa_user_sgpr_kernarg_segment_ptr 1
		.amdhsa_user_sgpr_dispatch_id 0
		.amdhsa_user_sgpr_private_segment_size 0
		.amdhsa_wavefront_size32 1
		.amdhsa_uses_dynamic_stack 0
		.amdhsa_enable_private_segment 0
		.amdhsa_system_sgpr_workgroup_id_x 1
		.amdhsa_system_sgpr_workgroup_id_y 0
		.amdhsa_system_sgpr_workgroup_id_z 0
		.amdhsa_system_sgpr_workgroup_info 0
		.amdhsa_system_vgpr_workitem_id 0
		.amdhsa_next_free_vgpr 1
		.amdhsa_next_free_sgpr 1
		.amdhsa_reserve_vcc 0
		.amdhsa_float_round_mode_32 0
		.amdhsa_float_round_mode_16_64 0
		.amdhsa_float_denorm_mode_32 3
		.amdhsa_float_denorm_mode_16_64 3
		.amdhsa_dx10_clamp 1
		.amdhsa_ieee_mode 1
		.amdhsa_fp16_overflow 0
		.amdhsa_workgroup_processor_mode 1
		.amdhsa_memory_ordered 1
		.amdhsa_forward_progress 0
		.amdhsa_shared_vgpr_count 0
		.amdhsa_exception_fp_ieee_invalid_op 0
		.amdhsa_exception_fp_denorm_src 0
		.amdhsa_exception_fp_ieee_div_zero 0
		.amdhsa_exception_fp_ieee_overflow 0
		.amdhsa_exception_fp_ieee_underflow 0
		.amdhsa_exception_fp_ieee_inexact 0
		.amdhsa_exception_int_div_zero 0
	.end_amdhsa_kernel
	.section	.text._ZN7rocprim17ROCPRIM_400000_NS6detail17trampoline_kernelINS0_14default_configENS1_25partition_config_selectorILNS1_17partition_subalgoE5ElNS0_10empty_typeEbEEZZNS1_14partition_implILS5_5ELb0ES3_mN6hipcub16HIPCUB_304000_NS21CountingInputIteratorIllEEPS6_NSA_22TransformInputIteratorIbN2at6native12_GLOBAL__N_19NonZeroOpIiEEPKilEENS0_5tupleIJPlS6_EEENSN_IJSD_SD_EEES6_PiJS6_EEE10hipError_tPvRmT3_T4_T5_T6_T7_T9_mT8_P12ihipStream_tbDpT10_ENKUlT_T0_E_clISt17integral_constantIbLb1EES1B_EEDaS16_S17_EUlS16_E_NS1_11comp_targetILNS1_3genE10ELNS1_11target_archE1200ELNS1_3gpuE4ELNS1_3repE0EEENS1_30default_config_static_selectorELNS0_4arch9wavefront6targetE0EEEvT1_,"axG",@progbits,_ZN7rocprim17ROCPRIM_400000_NS6detail17trampoline_kernelINS0_14default_configENS1_25partition_config_selectorILNS1_17partition_subalgoE5ElNS0_10empty_typeEbEEZZNS1_14partition_implILS5_5ELb0ES3_mN6hipcub16HIPCUB_304000_NS21CountingInputIteratorIllEEPS6_NSA_22TransformInputIteratorIbN2at6native12_GLOBAL__N_19NonZeroOpIiEEPKilEENS0_5tupleIJPlS6_EEENSN_IJSD_SD_EEES6_PiJS6_EEE10hipError_tPvRmT3_T4_T5_T6_T7_T9_mT8_P12ihipStream_tbDpT10_ENKUlT_T0_E_clISt17integral_constantIbLb1EES1B_EEDaS16_S17_EUlS16_E_NS1_11comp_targetILNS1_3genE10ELNS1_11target_archE1200ELNS1_3gpuE4ELNS1_3repE0EEENS1_30default_config_static_selectorELNS0_4arch9wavefront6targetE0EEEvT1_,comdat
.Lfunc_end199:
	.size	_ZN7rocprim17ROCPRIM_400000_NS6detail17trampoline_kernelINS0_14default_configENS1_25partition_config_selectorILNS1_17partition_subalgoE5ElNS0_10empty_typeEbEEZZNS1_14partition_implILS5_5ELb0ES3_mN6hipcub16HIPCUB_304000_NS21CountingInputIteratorIllEEPS6_NSA_22TransformInputIteratorIbN2at6native12_GLOBAL__N_19NonZeroOpIiEEPKilEENS0_5tupleIJPlS6_EEENSN_IJSD_SD_EEES6_PiJS6_EEE10hipError_tPvRmT3_T4_T5_T6_T7_T9_mT8_P12ihipStream_tbDpT10_ENKUlT_T0_E_clISt17integral_constantIbLb1EES1B_EEDaS16_S17_EUlS16_E_NS1_11comp_targetILNS1_3genE10ELNS1_11target_archE1200ELNS1_3gpuE4ELNS1_3repE0EEENS1_30default_config_static_selectorELNS0_4arch9wavefront6targetE0EEEvT1_, .Lfunc_end199-_ZN7rocprim17ROCPRIM_400000_NS6detail17trampoline_kernelINS0_14default_configENS1_25partition_config_selectorILNS1_17partition_subalgoE5ElNS0_10empty_typeEbEEZZNS1_14partition_implILS5_5ELb0ES3_mN6hipcub16HIPCUB_304000_NS21CountingInputIteratorIllEEPS6_NSA_22TransformInputIteratorIbN2at6native12_GLOBAL__N_19NonZeroOpIiEEPKilEENS0_5tupleIJPlS6_EEENSN_IJSD_SD_EEES6_PiJS6_EEE10hipError_tPvRmT3_T4_T5_T6_T7_T9_mT8_P12ihipStream_tbDpT10_ENKUlT_T0_E_clISt17integral_constantIbLb1EES1B_EEDaS16_S17_EUlS16_E_NS1_11comp_targetILNS1_3genE10ELNS1_11target_archE1200ELNS1_3gpuE4ELNS1_3repE0EEENS1_30default_config_static_selectorELNS0_4arch9wavefront6targetE0EEEvT1_
                                        ; -- End function
	.section	.AMDGPU.csdata,"",@progbits
; Kernel info:
; codeLenInByte = 0
; NumSgprs: 0
; NumVgprs: 0
; ScratchSize: 0
; MemoryBound: 0
; FloatMode: 240
; IeeeMode: 1
; LDSByteSize: 0 bytes/workgroup (compile time only)
; SGPRBlocks: 0
; VGPRBlocks: 0
; NumSGPRsForWavesPerEU: 1
; NumVGPRsForWavesPerEU: 1
; Occupancy: 16
; WaveLimiterHint : 0
; COMPUTE_PGM_RSRC2:SCRATCH_EN: 0
; COMPUTE_PGM_RSRC2:USER_SGPR: 15
; COMPUTE_PGM_RSRC2:TRAP_HANDLER: 0
; COMPUTE_PGM_RSRC2:TGID_X_EN: 1
; COMPUTE_PGM_RSRC2:TGID_Y_EN: 0
; COMPUTE_PGM_RSRC2:TGID_Z_EN: 0
; COMPUTE_PGM_RSRC2:TIDIG_COMP_CNT: 0
	.section	.text._ZN7rocprim17ROCPRIM_400000_NS6detail17trampoline_kernelINS0_14default_configENS1_25partition_config_selectorILNS1_17partition_subalgoE5ElNS0_10empty_typeEbEEZZNS1_14partition_implILS5_5ELb0ES3_mN6hipcub16HIPCUB_304000_NS21CountingInputIteratorIllEEPS6_NSA_22TransformInputIteratorIbN2at6native12_GLOBAL__N_19NonZeroOpIiEEPKilEENS0_5tupleIJPlS6_EEENSN_IJSD_SD_EEES6_PiJS6_EEE10hipError_tPvRmT3_T4_T5_T6_T7_T9_mT8_P12ihipStream_tbDpT10_ENKUlT_T0_E_clISt17integral_constantIbLb1EES1B_EEDaS16_S17_EUlS16_E_NS1_11comp_targetILNS1_3genE9ELNS1_11target_archE1100ELNS1_3gpuE3ELNS1_3repE0EEENS1_30default_config_static_selectorELNS0_4arch9wavefront6targetE0EEEvT1_,"axG",@progbits,_ZN7rocprim17ROCPRIM_400000_NS6detail17trampoline_kernelINS0_14default_configENS1_25partition_config_selectorILNS1_17partition_subalgoE5ElNS0_10empty_typeEbEEZZNS1_14partition_implILS5_5ELb0ES3_mN6hipcub16HIPCUB_304000_NS21CountingInputIteratorIllEEPS6_NSA_22TransformInputIteratorIbN2at6native12_GLOBAL__N_19NonZeroOpIiEEPKilEENS0_5tupleIJPlS6_EEENSN_IJSD_SD_EEES6_PiJS6_EEE10hipError_tPvRmT3_T4_T5_T6_T7_T9_mT8_P12ihipStream_tbDpT10_ENKUlT_T0_E_clISt17integral_constantIbLb1EES1B_EEDaS16_S17_EUlS16_E_NS1_11comp_targetILNS1_3genE9ELNS1_11target_archE1100ELNS1_3gpuE3ELNS1_3repE0EEENS1_30default_config_static_selectorELNS0_4arch9wavefront6targetE0EEEvT1_,comdat
	.globl	_ZN7rocprim17ROCPRIM_400000_NS6detail17trampoline_kernelINS0_14default_configENS1_25partition_config_selectorILNS1_17partition_subalgoE5ElNS0_10empty_typeEbEEZZNS1_14partition_implILS5_5ELb0ES3_mN6hipcub16HIPCUB_304000_NS21CountingInputIteratorIllEEPS6_NSA_22TransformInputIteratorIbN2at6native12_GLOBAL__N_19NonZeroOpIiEEPKilEENS0_5tupleIJPlS6_EEENSN_IJSD_SD_EEES6_PiJS6_EEE10hipError_tPvRmT3_T4_T5_T6_T7_T9_mT8_P12ihipStream_tbDpT10_ENKUlT_T0_E_clISt17integral_constantIbLb1EES1B_EEDaS16_S17_EUlS16_E_NS1_11comp_targetILNS1_3genE9ELNS1_11target_archE1100ELNS1_3gpuE3ELNS1_3repE0EEENS1_30default_config_static_selectorELNS0_4arch9wavefront6targetE0EEEvT1_ ; -- Begin function _ZN7rocprim17ROCPRIM_400000_NS6detail17trampoline_kernelINS0_14default_configENS1_25partition_config_selectorILNS1_17partition_subalgoE5ElNS0_10empty_typeEbEEZZNS1_14partition_implILS5_5ELb0ES3_mN6hipcub16HIPCUB_304000_NS21CountingInputIteratorIllEEPS6_NSA_22TransformInputIteratorIbN2at6native12_GLOBAL__N_19NonZeroOpIiEEPKilEENS0_5tupleIJPlS6_EEENSN_IJSD_SD_EEES6_PiJS6_EEE10hipError_tPvRmT3_T4_T5_T6_T7_T9_mT8_P12ihipStream_tbDpT10_ENKUlT_T0_E_clISt17integral_constantIbLb1EES1B_EEDaS16_S17_EUlS16_E_NS1_11comp_targetILNS1_3genE9ELNS1_11target_archE1100ELNS1_3gpuE3ELNS1_3repE0EEENS1_30default_config_static_selectorELNS0_4arch9wavefront6targetE0EEEvT1_
	.p2align	8
	.type	_ZN7rocprim17ROCPRIM_400000_NS6detail17trampoline_kernelINS0_14default_configENS1_25partition_config_selectorILNS1_17partition_subalgoE5ElNS0_10empty_typeEbEEZZNS1_14partition_implILS5_5ELb0ES3_mN6hipcub16HIPCUB_304000_NS21CountingInputIteratorIllEEPS6_NSA_22TransformInputIteratorIbN2at6native12_GLOBAL__N_19NonZeroOpIiEEPKilEENS0_5tupleIJPlS6_EEENSN_IJSD_SD_EEES6_PiJS6_EEE10hipError_tPvRmT3_T4_T5_T6_T7_T9_mT8_P12ihipStream_tbDpT10_ENKUlT_T0_E_clISt17integral_constantIbLb1EES1B_EEDaS16_S17_EUlS16_E_NS1_11comp_targetILNS1_3genE9ELNS1_11target_archE1100ELNS1_3gpuE3ELNS1_3repE0EEENS1_30default_config_static_selectorELNS0_4arch9wavefront6targetE0EEEvT1_,@function
_ZN7rocprim17ROCPRIM_400000_NS6detail17trampoline_kernelINS0_14default_configENS1_25partition_config_selectorILNS1_17partition_subalgoE5ElNS0_10empty_typeEbEEZZNS1_14partition_implILS5_5ELb0ES3_mN6hipcub16HIPCUB_304000_NS21CountingInputIteratorIllEEPS6_NSA_22TransformInputIteratorIbN2at6native12_GLOBAL__N_19NonZeroOpIiEEPKilEENS0_5tupleIJPlS6_EEENSN_IJSD_SD_EEES6_PiJS6_EEE10hipError_tPvRmT3_T4_T5_T6_T7_T9_mT8_P12ihipStream_tbDpT10_ENKUlT_T0_E_clISt17integral_constantIbLb1EES1B_EEDaS16_S17_EUlS16_E_NS1_11comp_targetILNS1_3genE9ELNS1_11target_archE1100ELNS1_3gpuE3ELNS1_3repE0EEENS1_30default_config_static_selectorELNS0_4arch9wavefront6targetE0EEEvT1_: ; @_ZN7rocprim17ROCPRIM_400000_NS6detail17trampoline_kernelINS0_14default_configENS1_25partition_config_selectorILNS1_17partition_subalgoE5ElNS0_10empty_typeEbEEZZNS1_14partition_implILS5_5ELb0ES3_mN6hipcub16HIPCUB_304000_NS21CountingInputIteratorIllEEPS6_NSA_22TransformInputIteratorIbN2at6native12_GLOBAL__N_19NonZeroOpIiEEPKilEENS0_5tupleIJPlS6_EEENSN_IJSD_SD_EEES6_PiJS6_EEE10hipError_tPvRmT3_T4_T5_T6_T7_T9_mT8_P12ihipStream_tbDpT10_ENKUlT_T0_E_clISt17integral_constantIbLb1EES1B_EEDaS16_S17_EUlS16_E_NS1_11comp_targetILNS1_3genE9ELNS1_11target_archE1100ELNS1_3gpuE3ELNS1_3repE0EEENS1_30default_config_static_selectorELNS0_4arch9wavefront6targetE0EEEvT1_
; %bb.0:
	s_clause 0x4
	s_load_b64 s[18:19], s[0:1], 0x20
	s_load_b64 s[12:13], s[0:1], 0x30
	;; [unrolled: 1-line block ×3, first 2 shown]
	s_load_b128 s[4:7], s[0:1], 0x48
	s_load_b64 s[14:15], s[0:1], 0x68
	v_cmp_eq_u32_e64 s2, 0, v0
	s_delay_alu instid0(VALU_DEP_1)
	s_and_saveexec_b32 s3, s2
	s_cbranch_execz .LBB200_4
; %bb.1:
	s_mov_b32 s9, exec_lo
	s_mov_b32 s8, exec_lo
	v_mbcnt_lo_u32_b32 v1, s9, 0
                                        ; implicit-def: $vgpr2
	s_delay_alu instid0(VALU_DEP_1)
	v_cmpx_eq_u32_e32 0, v1
	s_cbranch_execz .LBB200_3
; %bb.2:
	s_load_b64 s[10:11], s[0:1], 0x78
	s_bcnt1_i32_b32 s9, s9
	s_delay_alu instid0(SALU_CYCLE_1)
	v_dual_mov_b32 v2, 0 :: v_dual_mov_b32 v3, s9
	s_waitcnt lgkmcnt(0)
	global_atomic_add_u32 v2, v2, v3, s[10:11] glc
.LBB200_3:
	s_or_b32 exec_lo, exec_lo, s8
	s_waitcnt vmcnt(0)
	v_readfirstlane_b32 s8, v2
	s_delay_alu instid0(VALU_DEP_1)
	v_dual_mov_b32 v2, 0 :: v_dual_add_nc_u32 v1, s8, v1
	ds_store_b32 v2, v1
.LBB200_4:
	s_or_b32 exec_lo, exec_lo, s3
	v_mov_b32_e32 v1, 0
	s_clause 0x1
	s_load_b128 s[8:11], s[0:1], 0x8
	s_load_b32 s0, s[0:1], 0x70
	s_waitcnt lgkmcnt(0)
	s_barrier
	buffer_gl0_inv
	ds_load_b32 v3, v1
	s_waitcnt lgkmcnt(0)
	s_barrier
	buffer_gl0_inv
	global_load_b64 v[1:2], v1, s[6:7]
	s_add_u32 s21, s10, s8
	s_mul_i32 s20, s0, 0x300
	s_addc_u32 s22, s11, s9
	s_add_i32 s3, s0, -1
	s_add_u32 s0, s10, s20
	v_readfirstlane_b32 s9, v3
	s_addc_u32 s1, s11, 0
	s_delay_alu instid0(SALU_CYCLE_1) | instskip(SKIP_1) | instid1(VALU_DEP_2)
	v_cmp_ge_u64_e64 s0, s[0:1], s[16:17]
	s_mov_b32 s17, -1
	s_cmp_eq_u32 s9, s3
	s_cselect_b32 s3, -1, 0
	s_delay_alu instid0(VALU_DEP_1) | instid1(SALU_CYCLE_1)
	s_and_b32 s1, s0, s3
	s_mul_i32 s0, s9, 0x300
	s_xor_b32 s8, s1, -1
	s_mov_b32 s1, 0
	s_and_b32 vcc_lo, exec_lo, s8
	s_waitcnt vmcnt(0)
	v_readfirstlane_b32 s6, v1
	v_readfirstlane_b32 s7, v2
	s_cbranch_vccz .LBB200_6
; %bb.5:
	s_add_u32 s17, s0, s21
	s_addc_u32 s23, 0, s22
	v_add_co_u32 v1, s17, s17, v0
	s_delay_alu instid0(VALU_DEP_1) | instskip(SKIP_1) | instid1(VALU_DEP_3)
	v_add_co_ci_u32_e64 v2, null, s23, 0, s17
	v_lshlrev_b32_e32 v13, 3, v0
	v_add_co_u32 v3, vcc_lo, 0x80, v1
	s_delay_alu instid0(VALU_DEP_3)
	v_add_co_ci_u32_e32 v4, vcc_lo, 0, v2, vcc_lo
	v_add_co_u32 v5, vcc_lo, 0x100, v1
	v_add_co_ci_u32_e32 v6, vcc_lo, 0, v2, vcc_lo
	v_add_co_u32 v7, vcc_lo, 0x180, v1
	;; [unrolled: 2-line block ×4, first 2 shown]
	v_add_co_ci_u32_e32 v12, vcc_lo, 0, v2, vcc_lo
	ds_store_2addr_stride64_b64 v13, v[1:2], v[3:4] offset1:2
	ds_store_2addr_stride64_b64 v13, v[5:6], v[7:8] offset0:4 offset1:6
	ds_store_2addr_stride64_b64 v13, v[9:10], v[11:12] offset0:8 offset1:10
	s_waitcnt lgkmcnt(0)
	s_mov_b32 s17, s1
	s_barrier
.LBB200_6:
	v_or_b32_e32 v17, 0x100, v0
	v_or_b32_e32 v16, 0x180, v0
	;; [unrolled: 1-line block ×4, first 2 shown]
	s_and_not1_b32 vcc_lo, exec_lo, s17
	s_cbranch_vccnz .LBB200_8
; %bb.7:
	v_or_b32_e32 v3, 0x80, v0
	s_add_u32 s17, s21, s0
	s_addc_u32 s21, s22, 0
	v_add_co_u32 v1, s22, s17, v0
	s_delay_alu instid0(VALU_DEP_1) | instskip(SKIP_1) | instid1(VALU_DEP_1)
	v_add_co_ci_u32_e64 v2, null, s21, 0, s22
	v_add_co_u32 v3, s22, s17, v3
	v_add_co_ci_u32_e64 v4, null, s21, 0, s22
	v_add_co_u32 v5, s22, s17, v17
	s_delay_alu instid0(VALU_DEP_1) | instskip(SKIP_1) | instid1(VALU_DEP_1)
	v_add_co_ci_u32_e64 v6, null, s21, 0, s22
	v_add_co_u32 v7, s22, s17, v16
	v_add_co_ci_u32_e64 v8, null, s21, 0, s22
	v_add_co_u32 v9, s22, s17, v14
	v_lshlrev_b32_e32 v15, 3, v0
	v_add_co_u32 v11, s17, s17, v13
	v_add_co_ci_u32_e64 v10, null, s21, 0, s22
	v_add_co_ci_u32_e64 v12, null, s21, 0, s17
	ds_store_2addr_stride64_b64 v15, v[1:2], v[3:4] offset1:2
	ds_store_2addr_stride64_b64 v15, v[5:6], v[7:8] offset0:4 offset1:6
	ds_store_2addr_stride64_b64 v15, v[9:10], v[11:12] offset0:8 offset1:10
	s_waitcnt lgkmcnt(0)
	s_barrier
.LBB200_8:
	v_mul_u32_u24_e32 v1, 6, v0
	buffer_gl0_inv
	s_lshl_b64 s[22:23], s[10:11], 2
	s_delay_alu instid0(SALU_CYCLE_1)
	s_add_u32 s11, s18, s22
	v_lshlrev_b32_e32 v15, 3, v1
	s_addc_u32 s17, s19, s23
	s_lshl_b64 s[0:1], s[0:1], 2
	ds_load_b128 v[9:12], v15
	ds_load_b128 v[5:8], v15 offset:16
	ds_load_b128 v[1:4], v15 offset:32
	s_add_u32 s0, s11, s0
	s_addc_u32 s1, s17, s1
	s_and_b32 vcc_lo, exec_lo, s8
	s_mov_b32 s11, -1
	s_waitcnt lgkmcnt(0)
	s_barrier
	buffer_gl0_inv
	s_cbranch_vccz .LBB200_10
; %bb.9:
	v_lshlrev_b32_e32 v18, 2, v0
	s_mov_b32 s11, 0
	s_clause 0x5
	global_load_b32 v19, v18, s[0:1]
	global_load_b32 v20, v18, s[0:1] offset:512
	global_load_b32 v21, v18, s[0:1] offset:1024
	;; [unrolled: 1-line block ×5, first 2 shown]
	s_waitcnt vmcnt(5)
	v_cmp_ne_u32_e32 vcc_lo, 0, v19
	v_cndmask_b32_e64 v19, 0, 1, vcc_lo
	s_waitcnt vmcnt(4)
	v_cmp_ne_u32_e32 vcc_lo, 0, v20
	v_cndmask_b32_e64 v20, 0, 1, vcc_lo
	;; [unrolled: 3-line block ×6, first 2 shown]
	ds_store_b8 v0, v19
	ds_store_b8 v0, v20 offset:128
	ds_store_b8 v0, v21 offset:256
	;; [unrolled: 1-line block ×5, first 2 shown]
	s_waitcnt lgkmcnt(0)
	s_barrier
.LBB200_10:
	s_and_not1_b32 vcc_lo, exec_lo, s11
	s_cbranch_vccnz .LBB200_24
; %bb.11:
	s_add_i32 s20, s20, s10
	v_dual_mov_b32 v18, 0 :: v_dual_mov_b32 v19, 0
	s_sub_i32 s10, s16, s20
	s_mov_b32 s11, exec_lo
	s_addk_i32 s10, 0x300
	s_delay_alu instid0(SALU_CYCLE_1)
	v_cmpx_gt_u32_e64 s10, v0
	s_cbranch_execz .LBB200_13
; %bb.12:
	v_lshlrev_b32_e32 v19, 2, v0
	global_load_b32 v19, v19, s[0:1]
	s_waitcnt vmcnt(0)
	v_cmp_ne_u32_e32 vcc_lo, 0, v19
	v_cndmask_b32_e64 v19, 0, 1, vcc_lo
.LBB200_13:
	s_or_b32 exec_lo, exec_lo, s11
	v_or_b32_e32 v20, 0x80, v0
	s_mov_b32 s11, exec_lo
	s_delay_alu instid0(VALU_DEP_1)
	v_cmpx_gt_u32_e64 s10, v20
	s_cbranch_execz .LBB200_15
; %bb.14:
	v_lshlrev_b32_e32 v18, 2, v0
	global_load_b32 v18, v18, s[0:1] offset:512
	s_waitcnt vmcnt(0)
	v_cmp_ne_u32_e32 vcc_lo, 0, v18
	v_cndmask_b32_e64 v18, 0, 1, vcc_lo
.LBB200_15:
	s_or_b32 exec_lo, exec_lo, s11
	v_cmp_gt_u32_e32 vcc_lo, s10, v17
	v_dual_mov_b32 v17, 0 :: v_dual_mov_b32 v20, 0
	s_and_saveexec_b32 s11, vcc_lo
	s_cbranch_execz .LBB200_17
; %bb.16:
	v_lshlrev_b32_e32 v20, 2, v0
	global_load_b32 v20, v20, s[0:1] offset:1024
	s_waitcnt vmcnt(0)
	v_cmp_ne_u32_e32 vcc_lo, 0, v20
	v_cndmask_b32_e64 v20, 0, 1, vcc_lo
.LBB200_17:
	s_or_b32 exec_lo, exec_lo, s11
	s_delay_alu instid0(SALU_CYCLE_1)
	s_mov_b32 s11, exec_lo
	v_cmpx_gt_u32_e64 s10, v16
	s_cbranch_execz .LBB200_19
; %bb.18:
	v_lshlrev_b32_e32 v16, 2, v0
	global_load_b32 v16, v16, s[0:1] offset:1536
	s_waitcnt vmcnt(0)
	v_cmp_ne_u32_e32 vcc_lo, 0, v16
	v_cndmask_b32_e64 v17, 0, 1, vcc_lo
.LBB200_19:
	s_or_b32 exec_lo, exec_lo, s11
	v_cmp_gt_u32_e32 vcc_lo, s10, v14
	v_mov_b32_e32 v14, 0
	v_mov_b32_e32 v16, 0
	s_and_saveexec_b32 s11, vcc_lo
	s_cbranch_execz .LBB200_21
; %bb.20:
	v_lshlrev_b32_e32 v16, 2, v0
	global_load_b32 v16, v16, s[0:1] offset:2048
	s_waitcnt vmcnt(0)
	v_cmp_ne_u32_e32 vcc_lo, 0, v16
	v_cndmask_b32_e64 v16, 0, 1, vcc_lo
.LBB200_21:
	s_or_b32 exec_lo, exec_lo, s11
	v_cmp_gt_u32_e32 vcc_lo, s10, v13
	s_and_saveexec_b32 s10, vcc_lo
	s_cbranch_execz .LBB200_23
; %bb.22:
	v_lshlrev_b32_e32 v13, 2, v0
	global_load_b32 v13, v13, s[0:1] offset:2560
	s_waitcnt vmcnt(0)
	v_cmp_ne_u32_e32 vcc_lo, 0, v13
	v_cndmask_b32_e64 v14, 0, 1, vcc_lo
.LBB200_23:
	s_or_b32 exec_lo, exec_lo, s10
	ds_store_b8 v0, v19
	ds_store_b8 v0, v18 offset:128
	ds_store_b8 v0, v20 offset:256
	;; [unrolled: 1-line block ×5, first 2 shown]
	s_waitcnt lgkmcnt(0)
	s_barrier
.LBB200_24:
	v_mad_i32_i24 v43, 0xffffffd6, v0, v15
	buffer_gl0_inv
	v_mbcnt_lo_u32_b32 v42, -1, 0
	s_cmp_lg_u32 s9, 0
	s_mov_b32 s1, -1
	ds_load_u16 v36, v43
	ds_load_u16 v33, v43 offset:2
	ds_load_u16 v31, v43 offset:4
	v_mov_b32_e32 v14, 0
	v_and_b32_e32 v44, 15, v42
	s_waitcnt lgkmcnt(0)
	s_barrier
	buffer_gl0_inv
	v_and_b32_e32 v41, 0xff, v36
	v_lshrrev_b16 v34, 8, v36
	v_lshrrev_b16 v35, 8, v33
	v_and_b32_e32 v39, 0xff, v33
	v_lshrrev_b16 v32, 8, v31
	v_and_b32_e32 v37, 0xff, v31
	v_and_b32_e32 v40, 0xffff, v34
	v_and_b32_e32 v38, 0xffff, v35
	s_delay_alu instid0(VALU_DEP_4) | instskip(NEXT) | instid1(VALU_DEP_3)
	v_and_b32_e32 v16, 0xffff, v32
	v_add_co_u32 v13, s0, v40, v41
	s_delay_alu instid0(VALU_DEP_1) | instskip(SKIP_1) | instid1(VALU_DEP_3)
	v_add_co_ci_u32_e64 v15, null, 0, 0, s0
	v_cmp_ne_u32_e64 s0, 0, v44
	v_add_co_u32 v13, vcc_lo, v13, v39
	s_delay_alu instid0(VALU_DEP_3) | instskip(NEXT) | instid1(VALU_DEP_2)
	v_add_co_ci_u32_e32 v15, vcc_lo, 0, v15, vcc_lo
	v_add_co_u32 v13, vcc_lo, v13, v38
	s_delay_alu instid0(VALU_DEP_2) | instskip(NEXT) | instid1(VALU_DEP_2)
	v_add_co_ci_u32_e32 v15, vcc_lo, 0, v15, vcc_lo
	v_add_co_u32 v13, vcc_lo, v13, v37
	s_delay_alu instid0(VALU_DEP_2) | instskip(NEXT) | instid1(VALU_DEP_2)
	v_add_co_ci_u32_e32 v15, vcc_lo, 0, v15, vcc_lo
	v_add_co_u32 v21, vcc_lo, v13, v16
	s_delay_alu instid0(VALU_DEP_2)
	v_add_co_ci_u32_e32 v22, vcc_lo, 0, v15, vcc_lo
	s_cbranch_scc0 .LBB200_93
; %bb.25:
	s_delay_alu instid0(VALU_DEP_2)
	v_mov_b32_e32 v15, v21
	v_mov_b32_dpp v13, v21 row_shr:1 row_mask:0xf bank_mask:0xf
	v_mov_b32_dpp v18, v14 row_shr:1 row_mask:0xf bank_mask:0xf
	v_dual_mov_b32 v17, v21 :: v_dual_mov_b32 v16, v22
	s_and_saveexec_b32 s1, s0
; %bb.26:
	s_delay_alu instid0(VALU_DEP_3) | instskip(SKIP_1) | instid1(VALU_DEP_2)
	v_add_co_u32 v17, vcc_lo, v21, v13
	v_add_co_ci_u32_e32 v14, vcc_lo, 0, v22, vcc_lo
	v_add_co_u32 v13, vcc_lo, 0, v17
	s_delay_alu instid0(VALU_DEP_2) | instskip(NEXT) | instid1(VALU_DEP_1)
	v_add_co_ci_u32_e32 v14, vcc_lo, v18, v14, vcc_lo
	v_dual_mov_b32 v16, v14 :: v_dual_mov_b32 v15, v13
; %bb.27:
	s_or_b32 exec_lo, exec_lo, s1
	v_mov_b32_dpp v13, v17 row_shr:2 row_mask:0xf bank_mask:0xf
	v_mov_b32_dpp v18, v14 row_shr:2 row_mask:0xf bank_mask:0xf
	s_mov_b32 s1, exec_lo
	v_cmpx_lt_u32_e32 1, v44
; %bb.28:
	s_delay_alu instid0(VALU_DEP_3) | instskip(SKIP_1) | instid1(VALU_DEP_2)
	v_add_co_u32 v17, vcc_lo, v15, v13
	v_add_co_ci_u32_e32 v14, vcc_lo, 0, v16, vcc_lo
	v_add_co_u32 v13, vcc_lo, 0, v17
	s_delay_alu instid0(VALU_DEP_2) | instskip(NEXT) | instid1(VALU_DEP_1)
	v_add_co_ci_u32_e32 v14, vcc_lo, v18, v14, vcc_lo
	v_dual_mov_b32 v16, v14 :: v_dual_mov_b32 v15, v13
; %bb.29:
	s_or_b32 exec_lo, exec_lo, s1
	v_mov_b32_dpp v13, v17 row_shr:4 row_mask:0xf bank_mask:0xf
	v_mov_b32_dpp v18, v14 row_shr:4 row_mask:0xf bank_mask:0xf
	s_mov_b32 s1, exec_lo
	v_cmpx_lt_u32_e32 3, v44
	;; [unrolled: 14-line block ×3, first 2 shown]
; %bb.32:
	s_delay_alu instid0(VALU_DEP_3) | instskip(SKIP_1) | instid1(VALU_DEP_2)
	v_add_co_u32 v17, vcc_lo, v15, v18
	v_add_co_ci_u32_e32 v14, vcc_lo, 0, v16, vcc_lo
	v_add_co_u32 v15, vcc_lo, 0, v17
	s_delay_alu instid0(VALU_DEP_2) | instskip(NEXT) | instid1(VALU_DEP_1)
	v_add_co_ci_u32_e32 v16, vcc_lo, v13, v14, vcc_lo
	v_mov_b32_e32 v14, v16
; %bb.33:
	s_or_b32 exec_lo, exec_lo, s1
	ds_swizzle_b32 v13, v17 offset:swizzle(BROADCAST,32,15)
	ds_swizzle_b32 v18, v14 offset:swizzle(BROADCAST,32,15)
	v_and_b32_e32 v19, 16, v42
	s_mov_b32 s1, exec_lo
	s_delay_alu instid0(VALU_DEP_1)
	v_cmpx_ne_u32_e32 0, v19
	s_cbranch_execz .LBB200_35
; %bb.34:
	s_waitcnt lgkmcnt(1)
	v_add_co_u32 v17, vcc_lo, v15, v13
	v_add_co_ci_u32_e32 v14, vcc_lo, 0, v16, vcc_lo
	s_delay_alu instid0(VALU_DEP_2) | instskip(SKIP_1) | instid1(VALU_DEP_2)
	v_add_co_u32 v13, vcc_lo, 0, v17
	s_waitcnt lgkmcnt(0)
	v_add_co_ci_u32_e32 v14, vcc_lo, v18, v14, vcc_lo
	s_delay_alu instid0(VALU_DEP_1)
	v_dual_mov_b32 v16, v14 :: v_dual_mov_b32 v15, v13
.LBB200_35:
	s_or_b32 exec_lo, exec_lo, s1
	s_waitcnt lgkmcnt(0)
	v_or_b32_e32 v18, 31, v0
	v_lshrrev_b32_e32 v13, 5, v0
	s_mov_b32 s1, exec_lo
	s_delay_alu instid0(VALU_DEP_2)
	v_cmpx_eq_u32_e64 v18, v0
	s_cbranch_execz .LBB200_37
; %bb.36:
	s_delay_alu instid0(VALU_DEP_2)
	v_lshlrev_b32_e32 v18, 3, v13
	ds_store_b64 v18, v[15:16]
.LBB200_37:
	s_or_b32 exec_lo, exec_lo, s1
	s_delay_alu instid0(SALU_CYCLE_1)
	s_mov_b32 s1, exec_lo
	s_waitcnt lgkmcnt(0)
	s_barrier
	buffer_gl0_inv
	v_cmpx_gt_u32_e32 4, v0
	s_cbranch_execz .LBB200_43
; %bb.38:
	v_lshlrev_b32_e32 v18, 3, v0
	s_mov_b32 s10, exec_lo
	ds_load_b64 v[15:16], v18
	s_waitcnt lgkmcnt(0)
	v_dual_mov_b32 v20, v15 :: v_dual_and_b32 v19, 3, v42
	v_mov_b32_dpp v24, v15 row_shr:1 row_mask:0xf bank_mask:0xf
	v_mov_b32_dpp v23, v16 row_shr:1 row_mask:0xf bank_mask:0xf
	s_delay_alu instid0(VALU_DEP_3)
	v_cmpx_ne_u32_e32 0, v19
; %bb.39:
	s_delay_alu instid0(VALU_DEP_3) | instskip(SKIP_1) | instid1(VALU_DEP_2)
	v_add_co_u32 v20, vcc_lo, v15, v24
	v_add_co_ci_u32_e32 v16, vcc_lo, 0, v16, vcc_lo
	v_add_co_u32 v15, vcc_lo, 0, v20
	s_delay_alu instid0(VALU_DEP_2)
	v_add_co_ci_u32_e32 v16, vcc_lo, v23, v16, vcc_lo
; %bb.40:
	s_or_b32 exec_lo, exec_lo, s10
	v_mov_b32_dpp v23, v20 row_shr:2 row_mask:0xf bank_mask:0xf
	s_delay_alu instid0(VALU_DEP_2)
	v_mov_b32_dpp v20, v16 row_shr:2 row_mask:0xf bank_mask:0xf
	s_mov_b32 s10, exec_lo
	v_cmpx_lt_u32_e32 1, v19
; %bb.41:
	s_delay_alu instid0(VALU_DEP_3) | instskip(SKIP_1) | instid1(VALU_DEP_2)
	v_add_co_u32 v15, vcc_lo, v15, v23
	v_add_co_ci_u32_e32 v16, vcc_lo, 0, v16, vcc_lo
	v_add_co_u32 v15, vcc_lo, v15, 0
	s_delay_alu instid0(VALU_DEP_2)
	v_add_co_ci_u32_e32 v16, vcc_lo, v16, v20, vcc_lo
; %bb.42:
	s_or_b32 exec_lo, exec_lo, s10
	ds_store_b64 v18, v[15:16]
.LBB200_43:
	s_or_b32 exec_lo, exec_lo, s1
	v_cmp_gt_u32_e32 vcc_lo, 32, v0
	s_mov_b32 s10, exec_lo
	s_waitcnt lgkmcnt(0)
	s_barrier
	buffer_gl0_inv
                                        ; implicit-def: $vgpr23_vgpr24
	v_cmpx_lt_u32_e32 31, v0
	s_cbranch_execz .LBB200_45
; %bb.44:
	v_lshl_add_u32 v13, v13, 3, -8
	ds_load_b64 v[23:24], v13
	s_waitcnt lgkmcnt(0)
	v_add_co_u32 v17, s1, v17, v23
	s_delay_alu instid0(VALU_DEP_1)
	v_add_co_ci_u32_e64 v14, s1, v14, v24, s1
.LBB200_45:
	s_or_b32 exec_lo, exec_lo, s10
	v_add_nc_u32_e32 v13, -1, v42
	s_delay_alu instid0(VALU_DEP_1) | instskip(NEXT) | instid1(VALU_DEP_1)
	v_cmp_gt_i32_e64 s1, 0, v13
	v_cndmask_b32_e64 v13, v13, v42, s1
	v_cmp_eq_u32_e64 s1, 0, v42
	s_delay_alu instid0(VALU_DEP_2)
	v_lshlrev_b32_e32 v13, 2, v13
	ds_bpermute_b32 v29, v13, v17
	ds_bpermute_b32 v30, v13, v14
	s_and_saveexec_b32 s10, vcc_lo
	s_cbranch_execz .LBB200_88
; %bb.46:
	v_mov_b32_e32 v16, 0
	ds_load_b64 v[13:14], v16 offset:24
	s_and_saveexec_b32 s11, s1
	s_cbranch_execz .LBB200_48
; %bb.47:
	s_add_i32 s16, s9, 32
	s_mov_b32 s17, 0
	s_delay_alu instid0(SALU_CYCLE_1) | instskip(NEXT) | instid1(SALU_CYCLE_1)
	s_lshl_b64 s[16:17], s[16:17], 4
	s_add_u32 s16, s14, s16
	s_addc_u32 s17, s15, s17
	s_delay_alu instid0(SALU_CYCLE_1)
	v_dual_mov_b32 v15, 1 :: v_dual_mov_b32 v18, s17
	v_mov_b32_e32 v17, s16
	s_waitcnt lgkmcnt(0)
	;;#ASMSTART
	global_store_dwordx4 v[17:18], v[13:16] off	
s_waitcnt vmcnt(0)
	;;#ASMEND
.LBB200_48:
	s_or_b32 exec_lo, exec_lo, s11
	v_xad_u32 v25, v42, -1, s9
	s_mov_b32 s16, 0
	s_mov_b32 s11, exec_lo
	s_delay_alu instid0(VALU_DEP_1) | instskip(NEXT) | instid1(VALU_DEP_1)
	v_add_nc_u32_e32 v15, 32, v25
	v_lshlrev_b64 v[15:16], 4, v[15:16]
	s_delay_alu instid0(VALU_DEP_1) | instskip(NEXT) | instid1(VALU_DEP_2)
	v_add_co_u32 v15, vcc_lo, s14, v15
	v_add_co_ci_u32_e32 v16, vcc_lo, s15, v16, vcc_lo
	;;#ASMSTART
	global_load_dwordx4 v[17:20], v[15:16] off glc	
s_waitcnt vmcnt(0)
	;;#ASMEND
	v_and_b32_e32 v20, 0xff, v18
	v_and_b32_e32 v26, 0xff00, v18
	v_or3_b32 v17, v17, 0, 0
	v_and_b32_e32 v27, 0xff000000, v18
	v_and_b32_e32 v18, 0xff0000, v18
	s_delay_alu instid0(VALU_DEP_4) | instskip(SKIP_2) | instid1(VALU_DEP_3)
	v_or3_b32 v20, 0, v20, v26
	v_and_b32_e32 v26, 0xff, v19
	v_or3_b32 v17, v17, 0, 0
	v_or3_b32 v18, v20, v18, v27
	s_delay_alu instid0(VALU_DEP_3)
	v_cmpx_eq_u16_e32 0, v26
	s_cbranch_execz .LBB200_54
; %bb.49:
	s_mov_b32 s17, 1
	.p2align	6
.LBB200_50:                             ; =>This Loop Header: Depth=1
                                        ;     Child Loop BB200_51 Depth 2
	s_delay_alu instid0(SALU_CYCLE_1)
	s_max_u32 s18, s17, 1
.LBB200_51:                             ;   Parent Loop BB200_50 Depth=1
                                        ; =>  This Inner Loop Header: Depth=2
	s_delay_alu instid0(SALU_CYCLE_1)
	s_add_i32 s18, s18, -1
	s_sleep 1
	s_cmp_eq_u32 s18, 0
	s_cbranch_scc0 .LBB200_51
; %bb.52:                               ;   in Loop: Header=BB200_50 Depth=1
	;;#ASMSTART
	global_load_dwordx4 v[17:20], v[15:16] off glc	
s_waitcnt vmcnt(0)
	;;#ASMEND
	v_and_b32_e32 v20, 0xff, v19
	s_cmp_lt_u32 s17, 32
	s_cselect_b32 s18, -1, 0
	s_delay_alu instid0(SALU_CYCLE_1) | instskip(NEXT) | instid1(VALU_DEP_1)
	s_cmp_lg_u32 s18, 0
	v_cmp_ne_u16_e32 vcc_lo, 0, v20
	s_addc_u32 s17, s17, 0
	s_or_b32 s16, vcc_lo, s16
	s_delay_alu instid0(SALU_CYCLE_1)
	s_and_not1_b32 exec_lo, exec_lo, s16
	s_cbranch_execnz .LBB200_50
; %bb.53:
	s_or_b32 exec_lo, exec_lo, s16
.LBB200_54:
	s_delay_alu instid0(SALU_CYCLE_1)
	s_or_b32 exec_lo, exec_lo, s11
	v_cmp_ne_u32_e32 vcc_lo, 31, v42
	v_and_b32_e32 v16, 0xff, v19
	v_lshlrev_b32_e64 v46, v42, -1
	s_mov_b32 s11, exec_lo
	v_add_co_ci_u32_e32 v15, vcc_lo, 0, v42, vcc_lo
	s_delay_alu instid0(VALU_DEP_3) | instskip(NEXT) | instid1(VALU_DEP_2)
	v_cmp_eq_u16_e32 vcc_lo, 2, v16
	v_dual_mov_b32 v16, v17 :: v_dual_lshlrev_b32 v45, 2, v15
	v_and_or_b32 v15, vcc_lo, v46, 0x80000000
	ds_bpermute_b32 v26, v45, v17
	ds_bpermute_b32 v20, v45, v18
	v_ctz_i32_b32_e32 v15, v15
	s_delay_alu instid0(VALU_DEP_1)
	v_cmpx_lt_u32_e64 v42, v15
	s_cbranch_execz .LBB200_56
; %bb.55:
	s_waitcnt lgkmcnt(1)
	v_add_co_u32 v16, vcc_lo, v17, v26
	v_add_co_ci_u32_e32 v18, vcc_lo, 0, v18, vcc_lo
	s_delay_alu instid0(VALU_DEP_2) | instskip(SKIP_1) | instid1(VALU_DEP_2)
	v_add_co_u32 v17, vcc_lo, 0, v16
	s_waitcnt lgkmcnt(0)
	v_add_co_ci_u32_e32 v18, vcc_lo, v20, v18, vcc_lo
.LBB200_56:
	s_or_b32 exec_lo, exec_lo, s11
	v_cmp_gt_u32_e32 vcc_lo, 30, v42
	v_add_nc_u32_e32 v48, 2, v42
	s_mov_b32 s11, exec_lo
	s_waitcnt lgkmcnt(0)
	v_cndmask_b32_e64 v20, 0, 1, vcc_lo
	s_delay_alu instid0(VALU_DEP_1) | instskip(NEXT) | instid1(VALU_DEP_1)
	v_lshlrev_b32_e32 v20, 1, v20
	v_add_lshl_u32 v47, v20, v42, 2
	ds_bpermute_b32 v26, v47, v16
	ds_bpermute_b32 v20, v47, v18
	v_cmpx_le_u32_e64 v48, v15
	s_cbranch_execz .LBB200_58
; %bb.57:
	s_waitcnt lgkmcnt(1)
	v_add_co_u32 v16, vcc_lo, v17, v26
	v_add_co_ci_u32_e32 v18, vcc_lo, 0, v18, vcc_lo
	s_delay_alu instid0(VALU_DEP_2) | instskip(SKIP_1) | instid1(VALU_DEP_2)
	v_add_co_u32 v17, vcc_lo, 0, v16
	s_waitcnt lgkmcnt(0)
	v_add_co_ci_u32_e32 v18, vcc_lo, v20, v18, vcc_lo
.LBB200_58:
	s_or_b32 exec_lo, exec_lo, s11
	v_cmp_gt_u32_e32 vcc_lo, 28, v42
	v_add_nc_u32_e32 v50, 4, v42
	s_mov_b32 s11, exec_lo
	s_waitcnt lgkmcnt(0)
	v_cndmask_b32_e64 v20, 0, 1, vcc_lo
	s_delay_alu instid0(VALU_DEP_1) | instskip(NEXT) | instid1(VALU_DEP_1)
	v_lshlrev_b32_e32 v20, 2, v20
	v_add_lshl_u32 v49, v20, v42, 2
	ds_bpermute_b32 v26, v49, v16
	ds_bpermute_b32 v20, v49, v18
	v_cmpx_le_u32_e64 v50, v15
	;; [unrolled: 22-line block ×4, first 2 shown]
	s_cbranch_execz .LBB200_64
; %bb.63:
	s_waitcnt lgkmcnt(1)
	v_add_co_u32 v15, vcc_lo, v17, v20
	v_add_co_ci_u32_e32 v18, vcc_lo, 0, v18, vcc_lo
	s_delay_alu instid0(VALU_DEP_2) | instskip(SKIP_1) | instid1(VALU_DEP_2)
	v_add_co_u32 v17, vcc_lo, v15, 0
	s_waitcnt lgkmcnt(0)
	v_add_co_ci_u32_e32 v18, vcc_lo, v18, v16, vcc_lo
.LBB200_64:
	s_or_b32 exec_lo, exec_lo, s11
	v_mov_b32_e32 v26, 0
	s_branch .LBB200_66
.LBB200_65:                             ;   in Loop: Header=BB200_66 Depth=1
	s_or_b32 exec_lo, exec_lo, s11
	v_add_co_u32 v17, vcc_lo, v17, v15
	v_subrev_nc_u32_e32 v25, 32, v25
	v_add_co_ci_u32_e32 v18, vcc_lo, v18, v16, vcc_lo
.LBB200_66:                             ; =>This Loop Header: Depth=1
                                        ;     Child Loop BB200_69 Depth 2
                                        ;       Child Loop BB200_70 Depth 3
	v_and_b32_e32 v15, 0xff, v19
	s_delay_alu instid0(VALU_DEP_1) | instskip(SKIP_2) | instid1(VALU_DEP_1)
	v_cmp_ne_u16_e32 vcc_lo, 2, v15
	v_cndmask_b32_e64 v15, 0, 1, vcc_lo
	;;#ASMSTART
	;;#ASMEND
	v_cmp_ne_u32_e32 vcc_lo, 0, v15
	s_waitcnt lgkmcnt(0)
	v_dual_mov_b32 v15, v17 :: v_dual_mov_b32 v16, v18
	s_cmp_lg_u32 vcc_lo, exec_lo
	s_cbranch_scc1 .LBB200_83
; %bb.67:                               ;   in Loop: Header=BB200_66 Depth=1
	v_lshlrev_b64 v[17:18], 4, v[25:26]
	s_mov_b32 s11, exec_lo
	s_delay_alu instid0(VALU_DEP_1) | instskip(NEXT) | instid1(VALU_DEP_2)
	v_add_co_u32 v27, vcc_lo, s14, v17
	v_add_co_ci_u32_e32 v28, vcc_lo, s15, v18, vcc_lo
	;;#ASMSTART
	global_load_dwordx4 v[17:20], v[27:28] off glc	
s_waitcnt vmcnt(0)
	;;#ASMEND
	v_and_b32_e32 v20, 0xff, v18
	v_and_b32_e32 v55, 0xff00, v18
	v_or3_b32 v17, v17, 0, 0
	v_and_b32_e32 v56, 0xff000000, v18
	v_and_b32_e32 v18, 0xff0000, v18
	s_delay_alu instid0(VALU_DEP_4) | instskip(SKIP_2) | instid1(VALU_DEP_3)
	v_or3_b32 v20, 0, v20, v55
	v_and_b32_e32 v55, 0xff, v19
	v_or3_b32 v17, v17, 0, 0
	v_or3_b32 v18, v20, v18, v56
	s_delay_alu instid0(VALU_DEP_3)
	v_cmpx_eq_u16_e32 0, v55
	s_cbranch_execz .LBB200_73
; %bb.68:                               ;   in Loop: Header=BB200_66 Depth=1
	s_mov_b32 s17, 1
	s_mov_b32 s16, 0
	.p2align	6
.LBB200_69:                             ;   Parent Loop BB200_66 Depth=1
                                        ; =>  This Loop Header: Depth=2
                                        ;       Child Loop BB200_70 Depth 3
	s_max_u32 s18, s17, 1
.LBB200_70:                             ;   Parent Loop BB200_66 Depth=1
                                        ;     Parent Loop BB200_69 Depth=2
                                        ; =>    This Inner Loop Header: Depth=3
	s_delay_alu instid0(SALU_CYCLE_1)
	s_add_i32 s18, s18, -1
	s_sleep 1
	s_cmp_eq_u32 s18, 0
	s_cbranch_scc0 .LBB200_70
; %bb.71:                               ;   in Loop: Header=BB200_69 Depth=2
	;;#ASMSTART
	global_load_dwordx4 v[17:20], v[27:28] off glc	
s_waitcnt vmcnt(0)
	;;#ASMEND
	v_and_b32_e32 v20, 0xff, v19
	s_cmp_lt_u32 s17, 32
	s_cselect_b32 s18, -1, 0
	s_delay_alu instid0(SALU_CYCLE_1) | instskip(NEXT) | instid1(VALU_DEP_1)
	s_cmp_lg_u32 s18, 0
	v_cmp_ne_u16_e32 vcc_lo, 0, v20
	s_addc_u32 s17, s17, 0
	s_or_b32 s16, vcc_lo, s16
	s_delay_alu instid0(SALU_CYCLE_1)
	s_and_not1_b32 exec_lo, exec_lo, s16
	s_cbranch_execnz .LBB200_69
; %bb.72:                               ;   in Loop: Header=BB200_66 Depth=1
	s_or_b32 exec_lo, exec_lo, s16
.LBB200_73:                             ;   in Loop: Header=BB200_66 Depth=1
	s_delay_alu instid0(SALU_CYCLE_1)
	s_or_b32 exec_lo, exec_lo, s11
	v_dual_mov_b32 v27, v17 :: v_dual_and_b32 v20, 0xff, v19
	ds_bpermute_b32 v55, v45, v17
	ds_bpermute_b32 v28, v45, v18
	s_mov_b32 s11, exec_lo
	v_cmp_eq_u16_e32 vcc_lo, 2, v20
	v_and_or_b32 v20, vcc_lo, v46, 0x80000000
	s_delay_alu instid0(VALU_DEP_1) | instskip(NEXT) | instid1(VALU_DEP_1)
	v_ctz_i32_b32_e32 v20, v20
	v_cmpx_lt_u32_e64 v42, v20
	s_cbranch_execz .LBB200_75
; %bb.74:                               ;   in Loop: Header=BB200_66 Depth=1
	s_waitcnt lgkmcnt(1)
	v_add_co_u32 v27, vcc_lo, v17, v55
	v_add_co_ci_u32_e32 v18, vcc_lo, 0, v18, vcc_lo
	s_delay_alu instid0(VALU_DEP_2) | instskip(SKIP_1) | instid1(VALU_DEP_2)
	v_add_co_u32 v17, vcc_lo, 0, v27
	s_waitcnt lgkmcnt(0)
	v_add_co_ci_u32_e32 v18, vcc_lo, v28, v18, vcc_lo
.LBB200_75:                             ;   in Loop: Header=BB200_66 Depth=1
	s_or_b32 exec_lo, exec_lo, s11
	s_waitcnt lgkmcnt(1)
	ds_bpermute_b32 v55, v47, v27
	s_waitcnt lgkmcnt(1)
	ds_bpermute_b32 v28, v47, v18
	s_mov_b32 s11, exec_lo
	v_cmpx_le_u32_e64 v48, v20
	s_cbranch_execz .LBB200_77
; %bb.76:                               ;   in Loop: Header=BB200_66 Depth=1
	s_waitcnt lgkmcnt(1)
	v_add_co_u32 v27, vcc_lo, v17, v55
	v_add_co_ci_u32_e32 v18, vcc_lo, 0, v18, vcc_lo
	s_delay_alu instid0(VALU_DEP_2) | instskip(SKIP_1) | instid1(VALU_DEP_2)
	v_add_co_u32 v17, vcc_lo, 0, v27
	s_waitcnt lgkmcnt(0)
	v_add_co_ci_u32_e32 v18, vcc_lo, v28, v18, vcc_lo
.LBB200_77:                             ;   in Loop: Header=BB200_66 Depth=1
	s_or_b32 exec_lo, exec_lo, s11
	s_waitcnt lgkmcnt(1)
	ds_bpermute_b32 v55, v49, v27
	s_waitcnt lgkmcnt(1)
	ds_bpermute_b32 v28, v49, v18
	s_mov_b32 s11, exec_lo
	v_cmpx_le_u32_e64 v50, v20
	;; [unrolled: 17-line block ×3, first 2 shown]
	s_cbranch_execz .LBB200_81
; %bb.80:                               ;   in Loop: Header=BB200_66 Depth=1
	s_waitcnt lgkmcnt(1)
	v_add_co_u32 v27, vcc_lo, v17, v55
	v_add_co_ci_u32_e32 v18, vcc_lo, 0, v18, vcc_lo
	s_delay_alu instid0(VALU_DEP_2) | instskip(SKIP_1) | instid1(VALU_DEP_2)
	v_add_co_u32 v17, vcc_lo, 0, v27
	s_waitcnt lgkmcnt(0)
	v_add_co_ci_u32_e32 v18, vcc_lo, v28, v18, vcc_lo
.LBB200_81:                             ;   in Loop: Header=BB200_66 Depth=1
	s_or_b32 exec_lo, exec_lo, s11
	s_waitcnt lgkmcnt(0)
	ds_bpermute_b32 v28, v53, v27
	ds_bpermute_b32 v27, v53, v18
	s_mov_b32 s11, exec_lo
	v_cmpx_le_u32_e64 v54, v20
	s_cbranch_execz .LBB200_65
; %bb.82:                               ;   in Loop: Header=BB200_66 Depth=1
	s_waitcnt lgkmcnt(1)
	v_add_co_u32 v17, vcc_lo, v17, v28
	v_add_co_ci_u32_e32 v18, vcc_lo, 0, v18, vcc_lo
	s_delay_alu instid0(VALU_DEP_2) | instskip(SKIP_1) | instid1(VALU_DEP_2)
	v_add_co_u32 v17, vcc_lo, v17, 0
	s_waitcnt lgkmcnt(0)
	v_add_co_ci_u32_e32 v18, vcc_lo, v18, v27, vcc_lo
	s_branch .LBB200_65
.LBB200_83:                             ;   in Loop: Header=BB200_66 Depth=1
                                        ; implicit-def: $vgpr17_vgpr18
	s_cbranch_execz .LBB200_66
; %bb.84:
	s_and_saveexec_b32 s11, s1
	s_cbranch_execz .LBB200_86
; %bb.85:
	s_add_i32 s16, s9, 32
	s_mov_b32 s17, 0
	v_add_co_u32 v17, vcc_lo, v15, v13
	s_lshl_b64 s[16:17], s[16:17], 4
	v_dual_mov_b32 v19, 2 :: v_dual_mov_b32 v20, 0
	s_add_u32 s16, s14, s16
	s_addc_u32 s17, s15, s17
	v_add_co_ci_u32_e32 v18, vcc_lo, v16, v14, vcc_lo
	v_dual_mov_b32 v26, s17 :: v_dual_mov_b32 v25, s16
	;;#ASMSTART
	global_store_dwordx4 v[25:26], v[17:20] off	
s_waitcnt vmcnt(0)
	;;#ASMEND
	ds_store_b128 v20, v[13:16] offset:6144
.LBB200_86:
	s_or_b32 exec_lo, exec_lo, s11
	s_delay_alu instid0(SALU_CYCLE_1)
	s_and_b32 exec_lo, exec_lo, s2
	s_cbranch_execz .LBB200_88
; %bb.87:
	v_mov_b32_e32 v13, 0
	ds_store_b64 v13, v[15:16] offset:24
.LBB200_88:
	s_or_b32 exec_lo, exec_lo, s10
	v_mov_b32_e32 v15, 0
	s_waitcnt lgkmcnt(0)
	s_barrier
	buffer_gl0_inv
	v_cndmask_b32_e64 v16, v29, v23, s1
	ds_load_b64 v[13:14], v15 offset:24
	v_cndmask_b32_e64 v17, v30, v24, s1
	s_waitcnt lgkmcnt(0)
	s_barrier
	v_cndmask_b32_e64 v16, v16, 0, s2
	buffer_gl0_inv
	v_cndmask_b32_e64 v17, v17, 0, s2
	v_add_co_u32 v29, vcc_lo, v13, v16
	s_delay_alu instid0(VALU_DEP_2) | instskip(SKIP_3) | instid1(VALU_DEP_2)
	v_add_co_ci_u32_e32 v30, vcc_lo, v14, v17, vcc_lo
	ds_load_b128 v[13:16], v15 offset:6144
	v_add_co_u32 v27, vcc_lo, v29, v41
	v_add_co_ci_u32_e32 v28, vcc_lo, 0, v30, vcc_lo
	v_add_co_u32 v25, vcc_lo, v27, v40
	s_delay_alu instid0(VALU_DEP_2) | instskip(NEXT) | instid1(VALU_DEP_2)
	v_add_co_ci_u32_e32 v26, vcc_lo, 0, v28, vcc_lo
	v_add_co_u32 v23, vcc_lo, v25, v39
	s_delay_alu instid0(VALU_DEP_2) | instskip(NEXT) | instid1(VALU_DEP_2)
	v_add_co_ci_u32_e32 v24, vcc_lo, 0, v26, vcc_lo
	v_add_co_u32 v19, vcc_lo, v23, v38
	s_delay_alu instid0(VALU_DEP_2) | instskip(NEXT) | instid1(VALU_DEP_2)
	v_add_co_ci_u32_e32 v20, vcc_lo, 0, v24, vcc_lo
	v_add_co_u32 v17, vcc_lo, v19, v37
	s_delay_alu instid0(VALU_DEP_2)
	v_add_co_ci_u32_e32 v18, vcc_lo, 0, v20, vcc_lo
.LBB200_89:
	s_waitcnt lgkmcnt(0)
	v_cmp_gt_u64_e32 vcc_lo, 0x81, v[13:14]
	s_mov_b32 s0, -1
	s_cbranch_vccnz .LBB200_117
.LBB200_90:
	s_and_b32 vcc_lo, exec_lo, s0
	s_cbranch_vccnz .LBB200_136
.LBB200_91:
	s_and_b32 s0, s2, s3
	s_delay_alu instid0(SALU_CYCLE_1)
	s_and_saveexec_b32 s1, s0
	s_cbranch_execnz .LBB200_152
.LBB200_92:
	s_nop 0
	s_sendmsg sendmsg(MSG_DEALLOC_VGPRS)
	s_endpgm
.LBB200_93:
                                        ; kill: def $vgpr13_vgpr14 killed $sgpr0_sgpr1 killed $exec
                                        ; implicit-def: $vgpr17_vgpr18
                                        ; implicit-def: $vgpr19_vgpr20
                                        ; implicit-def: $vgpr23_vgpr24
                                        ; implicit-def: $vgpr25_vgpr26
                                        ; implicit-def: $vgpr27_vgpr28
                                        ; implicit-def: $vgpr29_vgpr30
                                        ; implicit-def: $vgpr15_vgpr16
	s_and_b32 vcc_lo, exec_lo, s1
	s_cbranch_vccz .LBB200_89
; %bb.94:
	s_waitcnt lgkmcnt(0)
	v_dual_mov_b32 v14, 0 :: v_dual_mov_b32 v15, v21
	v_mov_b32_dpp v16, v21 row_shr:1 row_mask:0xf bank_mask:0xf
	s_delay_alu instid0(VALU_DEP_2)
	v_mov_b32_dpp v13, v14 row_shr:1 row_mask:0xf bank_mask:0xf
	s_and_saveexec_b32 s1, s0
; %bb.95:
	s_delay_alu instid0(VALU_DEP_2) | instskip(SKIP_1) | instid1(VALU_DEP_2)
	v_add_co_u32 v15, vcc_lo, v21, v16
	v_add_co_ci_u32_e32 v14, vcc_lo, 0, v22, vcc_lo
	v_add_co_u32 v21, vcc_lo, 0, v15
	s_delay_alu instid0(VALU_DEP_2) | instskip(NEXT) | instid1(VALU_DEP_1)
	v_add_co_ci_u32_e32 v22, vcc_lo, v13, v14, vcc_lo
	v_mov_b32_e32 v14, v22
; %bb.96:
	s_or_b32 exec_lo, exec_lo, s1
	v_mov_b32_dpp v13, v15 row_shr:2 row_mask:0xf bank_mask:0xf
	s_delay_alu instid0(VALU_DEP_2)
	v_mov_b32_dpp v16, v14 row_shr:2 row_mask:0xf bank_mask:0xf
	s_mov_b32 s0, exec_lo
	v_cmpx_lt_u32_e32 1, v44
; %bb.97:
	s_delay_alu instid0(VALU_DEP_3) | instskip(SKIP_1) | instid1(VALU_DEP_2)
	v_add_co_u32 v15, vcc_lo, v21, v13
	v_add_co_ci_u32_e32 v14, vcc_lo, 0, v22, vcc_lo
	v_add_co_u32 v13, vcc_lo, 0, v15
	s_delay_alu instid0(VALU_DEP_2) | instskip(NEXT) | instid1(VALU_DEP_1)
	v_add_co_ci_u32_e32 v14, vcc_lo, v16, v14, vcc_lo
	v_dual_mov_b32 v22, v14 :: v_dual_mov_b32 v21, v13
; %bb.98:
	s_or_b32 exec_lo, exec_lo, s0
	v_mov_b32_dpp v13, v15 row_shr:4 row_mask:0xf bank_mask:0xf
	v_mov_b32_dpp v16, v14 row_shr:4 row_mask:0xf bank_mask:0xf
	s_mov_b32 s0, exec_lo
	v_cmpx_lt_u32_e32 3, v44
; %bb.99:
	s_delay_alu instid0(VALU_DEP_3) | instskip(SKIP_1) | instid1(VALU_DEP_2)
	v_add_co_u32 v15, vcc_lo, v21, v13
	v_add_co_ci_u32_e32 v14, vcc_lo, 0, v22, vcc_lo
	v_add_co_u32 v13, vcc_lo, 0, v15
	s_delay_alu instid0(VALU_DEP_2) | instskip(NEXT) | instid1(VALU_DEP_1)
	v_add_co_ci_u32_e32 v14, vcc_lo, v16, v14, vcc_lo
	v_dual_mov_b32 v22, v14 :: v_dual_mov_b32 v21, v13
; %bb.100:
	s_or_b32 exec_lo, exec_lo, s0
	v_mov_b32_dpp v16, v15 row_shr:8 row_mask:0xf bank_mask:0xf
	v_mov_b32_dpp v13, v14 row_shr:8 row_mask:0xf bank_mask:0xf
	s_mov_b32 s0, exec_lo
	v_cmpx_lt_u32_e32 7, v44
; %bb.101:
	s_delay_alu instid0(VALU_DEP_3) | instskip(SKIP_1) | instid1(VALU_DEP_2)
	v_add_co_u32 v15, vcc_lo, v21, v16
	v_add_co_ci_u32_e32 v14, vcc_lo, 0, v22, vcc_lo
	v_add_co_u32 v21, vcc_lo, 0, v15
	s_delay_alu instid0(VALU_DEP_2) | instskip(NEXT) | instid1(VALU_DEP_1)
	v_add_co_ci_u32_e32 v22, vcc_lo, v13, v14, vcc_lo
	v_mov_b32_e32 v14, v22
; %bb.102:
	s_or_b32 exec_lo, exec_lo, s0
	ds_swizzle_b32 v15, v15 offset:swizzle(BROADCAST,32,15)
	ds_swizzle_b32 v13, v14 offset:swizzle(BROADCAST,32,15)
	v_and_b32_e32 v14, 16, v42
	s_mov_b32 s0, exec_lo
	s_delay_alu instid0(VALU_DEP_1)
	v_cmpx_ne_u32_e32 0, v14
	s_cbranch_execz .LBB200_104
; %bb.103:
	s_waitcnt lgkmcnt(1)
	v_add_co_u32 v14, vcc_lo, v21, v15
	v_add_co_ci_u32_e32 v15, vcc_lo, 0, v22, vcc_lo
	s_delay_alu instid0(VALU_DEP_2) | instskip(SKIP_1) | instid1(VALU_DEP_2)
	v_add_co_u32 v21, vcc_lo, v14, 0
	s_waitcnt lgkmcnt(0)
	v_add_co_ci_u32_e32 v22, vcc_lo, v15, v13, vcc_lo
.LBB200_104:
	s_or_b32 exec_lo, exec_lo, s0
	s_waitcnt lgkmcnt(0)
	v_or_b32_e32 v13, 31, v0
	v_lshrrev_b32_e32 v15, 5, v0
	s_mov_b32 s0, exec_lo
	s_delay_alu instid0(VALU_DEP_2)
	v_cmpx_eq_u32_e64 v13, v0
	s_cbranch_execz .LBB200_106
; %bb.105:
	s_delay_alu instid0(VALU_DEP_2)
	v_lshlrev_b32_e32 v13, 3, v15
	ds_store_b64 v13, v[21:22]
.LBB200_106:
	s_or_b32 exec_lo, exec_lo, s0
	s_delay_alu instid0(SALU_CYCLE_1)
	s_mov_b32 s0, exec_lo
	s_waitcnt lgkmcnt(0)
	s_barrier
	buffer_gl0_inv
	v_cmpx_gt_u32_e32 4, v0
	s_cbranch_execz .LBB200_112
; %bb.107:
	v_lshlrev_b32_e32 v13, 1, v0
	s_mov_b32 s1, exec_lo
	s_delay_alu instid0(VALU_DEP_1)
	v_add_nc_u32_e32 v16, v43, v13
	ds_load_b64 v[13:14], v16
	s_waitcnt lgkmcnt(0)
	v_dual_mov_b32 v18, v13 :: v_dual_and_b32 v17, 3, v42
	v_mov_b32_dpp v20, v13 row_shr:1 row_mask:0xf bank_mask:0xf
	v_mov_b32_dpp v19, v14 row_shr:1 row_mask:0xf bank_mask:0xf
	s_delay_alu instid0(VALU_DEP_3)
	v_cmpx_ne_u32_e32 0, v17
; %bb.108:
	s_delay_alu instid0(VALU_DEP_3) | instskip(SKIP_1) | instid1(VALU_DEP_2)
	v_add_co_u32 v18, vcc_lo, v13, v20
	v_add_co_ci_u32_e32 v14, vcc_lo, 0, v14, vcc_lo
	v_add_co_u32 v13, vcc_lo, 0, v18
	s_delay_alu instid0(VALU_DEP_2)
	v_add_co_ci_u32_e32 v14, vcc_lo, v19, v14, vcc_lo
; %bb.109:
	s_or_b32 exec_lo, exec_lo, s1
	v_mov_b32_dpp v19, v18 row_shr:2 row_mask:0xf bank_mask:0xf
	s_delay_alu instid0(VALU_DEP_2)
	v_mov_b32_dpp v18, v14 row_shr:2 row_mask:0xf bank_mask:0xf
	s_mov_b32 s1, exec_lo
	v_cmpx_lt_u32_e32 1, v17
; %bb.110:
	s_delay_alu instid0(VALU_DEP_3) | instskip(SKIP_1) | instid1(VALU_DEP_2)
	v_add_co_u32 v13, vcc_lo, v13, v19
	v_add_co_ci_u32_e32 v14, vcc_lo, 0, v14, vcc_lo
	v_add_co_u32 v13, vcc_lo, v13, 0
	s_delay_alu instid0(VALU_DEP_2)
	v_add_co_ci_u32_e32 v14, vcc_lo, v14, v18, vcc_lo
; %bb.111:
	s_or_b32 exec_lo, exec_lo, s1
	ds_store_b64 v16, v[13:14]
.LBB200_112:
	s_or_b32 exec_lo, exec_lo, s0
	v_mov_b32_e32 v17, 0
	v_mov_b32_e32 v18, 0
	s_mov_b32 s0, exec_lo
	s_waitcnt lgkmcnt(0)
	s_barrier
	buffer_gl0_inv
	v_cmpx_lt_u32_e32 31, v0
	s_cbranch_execz .LBB200_114
; %bb.113:
	v_lshl_add_u32 v13, v15, 3, -8
	ds_load_b64 v[17:18], v13
.LBB200_114:
	s_or_b32 exec_lo, exec_lo, s0
	v_dual_mov_b32 v16, 0 :: v_dual_add_nc_u32 v13, -1, v42
	s_delay_alu instid0(VALU_DEP_1) | instskip(SKIP_4) | instid1(VALU_DEP_3)
	v_cmp_gt_i32_e32 vcc_lo, 0, v13
	v_cndmask_b32_e32 v13, v13, v42, vcc_lo
	s_waitcnt lgkmcnt(0)
	v_add_co_u32 v14, vcc_lo, v17, v21
	v_add_co_ci_u32_e32 v15, vcc_lo, v18, v22, vcc_lo
	v_lshlrev_b32_e32 v13, 2, v13
	ds_bpermute_b32 v19, v13, v14
	ds_bpermute_b32 v20, v13, v15
	ds_load_b64 v[13:14], v16 offset:24
	s_and_saveexec_b32 s0, s2
	s_cbranch_execz .LBB200_116
; %bb.115:
	s_add_u32 s10, s14, 0x200
	s_addc_u32 s11, s15, 0
	s_delay_alu instid0(SALU_CYCLE_1)
	v_dual_mov_b32 v15, 2 :: v_dual_mov_b32 v22, s11
	v_mov_b32_e32 v21, s10
	s_waitcnt lgkmcnt(0)
	;;#ASMSTART
	global_store_dwordx4 v[21:22], v[13:16] off	
s_waitcnt vmcnt(0)
	;;#ASMEND
.LBB200_116:
	s_or_b32 exec_lo, exec_lo, s0
	v_cmp_eq_u32_e32 vcc_lo, 0, v42
	s_waitcnt lgkmcnt(0)
	s_barrier
	buffer_gl0_inv
	v_dual_cndmask_b32 v15, v19, v17 :: v_dual_cndmask_b32 v16, v20, v18
	s_delay_alu instid0(VALU_DEP_1) | instskip(NEXT) | instid1(VALU_DEP_2)
	v_cndmask_b32_e64 v29, v15, 0, s2
	v_cndmask_b32_e64 v30, v16, 0, s2
	v_mov_b32_e32 v15, 0
	v_mov_b32_e32 v16, 0
	s_delay_alu instid0(VALU_DEP_4) | instskip(NEXT) | instid1(VALU_DEP_4)
	v_add_co_u32 v27, vcc_lo, v29, v41
	v_add_co_ci_u32_e32 v28, vcc_lo, 0, v30, vcc_lo
	s_delay_alu instid0(VALU_DEP_2) | instskip(NEXT) | instid1(VALU_DEP_2)
	v_add_co_u32 v25, vcc_lo, v27, v40
	v_add_co_ci_u32_e32 v26, vcc_lo, 0, v28, vcc_lo
	s_delay_alu instid0(VALU_DEP_2) | instskip(NEXT) | instid1(VALU_DEP_2)
	v_add_co_u32 v23, vcc_lo, v25, v39
	v_add_co_ci_u32_e32 v24, vcc_lo, 0, v26, vcc_lo
	s_delay_alu instid0(VALU_DEP_2) | instskip(NEXT) | instid1(VALU_DEP_2)
	v_add_co_u32 v19, vcc_lo, v23, v38
	v_add_co_ci_u32_e32 v20, vcc_lo, 0, v24, vcc_lo
	s_delay_alu instid0(VALU_DEP_2) | instskip(NEXT) | instid1(VALU_DEP_2)
	v_add_co_u32 v17, vcc_lo, v19, v37
	v_add_co_ci_u32_e32 v18, vcc_lo, 0, v20, vcc_lo
	v_cmp_gt_u64_e32 vcc_lo, 0x81, v[13:14]
	s_mov_b32 s0, -1
	s_cbranch_vccz .LBB200_90
.LBB200_117:
	v_add_co_u32 v21, vcc_lo, v15, v13
	v_add_co_ci_u32_e32 v22, vcc_lo, v16, v14, vcc_lo
	s_delay_alu instid0(VALU_DEP_1) | instskip(SKIP_1) | instid1(SALU_CYCLE_1)
	v_cmp_lt_u64_e32 vcc_lo, v[29:30], v[21:22]
	s_or_b32 s1, s8, vcc_lo
	s_and_saveexec_b32 s0, s1
	s_cbranch_execz .LBB200_120
; %bb.118:
	v_and_b32_e32 v37, 1, v36
	s_delay_alu instid0(VALU_DEP_1)
	v_cmp_eq_u32_e32 vcc_lo, 1, v37
	s_and_b32 exec_lo, exec_lo, vcc_lo
	s_cbranch_execz .LBB200_120
; %bb.119:
	v_lshlrev_b64 v[37:38], 3, v[29:30]
	s_lshl_b64 s[10:11], s[6:7], 3
	s_delay_alu instid0(SALU_CYCLE_1) | instskip(SKIP_1) | instid1(VALU_DEP_1)
	s_add_u32 s1, s12, s10
	s_addc_u32 s9, s13, s11
	v_add_co_u32 v37, vcc_lo, s1, v37
	s_delay_alu instid0(VALU_DEP_2)
	v_add_co_ci_u32_e32 v38, vcc_lo, s9, v38, vcc_lo
	global_store_b64 v[37:38], v[9:10], off
.LBB200_120:
	s_or_b32 exec_lo, exec_lo, s0
	v_cmp_lt_u64_e32 vcc_lo, v[27:28], v[21:22]
	s_or_b32 s1, s8, vcc_lo
	s_delay_alu instid0(SALU_CYCLE_1)
	s_and_saveexec_b32 s0, s1
	s_cbranch_execz .LBB200_123
; %bb.121:
	v_and_b32_e32 v30, 1, v34
	s_delay_alu instid0(VALU_DEP_1)
	v_cmp_eq_u32_e32 vcc_lo, 1, v30
	s_and_b32 exec_lo, exec_lo, vcc_lo
	s_cbranch_execz .LBB200_123
; %bb.122:
	v_lshlrev_b64 v[37:38], 3, v[27:28]
	s_lshl_b64 s[10:11], s[6:7], 3
	s_delay_alu instid0(SALU_CYCLE_1) | instskip(SKIP_1) | instid1(VALU_DEP_1)
	s_add_u32 s1, s12, s10
	s_addc_u32 s9, s13, s11
	v_add_co_u32 v37, vcc_lo, s1, v37
	s_delay_alu instid0(VALU_DEP_2)
	v_add_co_ci_u32_e32 v38, vcc_lo, s9, v38, vcc_lo
	global_store_b64 v[37:38], v[11:12], off
.LBB200_123:
	s_or_b32 exec_lo, exec_lo, s0
	v_cmp_lt_u64_e32 vcc_lo, v[25:26], v[21:22]
	s_or_b32 s1, s8, vcc_lo
	s_delay_alu instid0(SALU_CYCLE_1)
	;; [unrolled: 23-line block ×5, first 2 shown]
	s_and_saveexec_b32 s0, s1
	s_cbranch_execz .LBB200_135
; %bb.133:
	v_and_b32_e32 v20, 1, v32
	s_delay_alu instid0(VALU_DEP_1)
	v_cmp_eq_u32_e32 vcc_lo, 1, v20
	s_and_b32 exec_lo, exec_lo, vcc_lo
	s_cbranch_execz .LBB200_135
; %bb.134:
	v_lshlrev_b64 v[20:21], 3, v[17:18]
	s_lshl_b64 s[8:9], s[6:7], 3
	s_delay_alu instid0(SALU_CYCLE_1) | instskip(SKIP_1) | instid1(VALU_DEP_1)
	s_add_u32 s1, s12, s8
	s_addc_u32 s8, s13, s9
	v_add_co_u32 v20, vcc_lo, s1, v20
	s_delay_alu instid0(VALU_DEP_2)
	v_add_co_ci_u32_e32 v21, vcc_lo, s8, v21, vcc_lo
	global_store_b64 v[20:21], v[3:4], off
.LBB200_135:
	s_or_b32 exec_lo, exec_lo, s0
	s_branch .LBB200_91
.LBB200_136:
	v_and_b32_e32 v18, 1, v36
	s_mov_b32 s0, exec_lo
	s_delay_alu instid0(VALU_DEP_1)
	v_cmpx_eq_u32_e32 1, v18
	s_cbranch_execz .LBB200_138
; %bb.137:
	v_sub_nc_u32_e32 v18, v29, v15
	s_delay_alu instid0(VALU_DEP_1)
	v_lshlrev_b32_e32 v18, 3, v18
	ds_store_b64 v18, v[9:10]
.LBB200_138:
	s_or_b32 exec_lo, exec_lo, s0
	v_and_b32_e32 v9, 1, v34
	s_mov_b32 s0, exec_lo
	s_delay_alu instid0(VALU_DEP_1)
	v_cmpx_eq_u32_e32 1, v9
	s_cbranch_execz .LBB200_140
; %bb.139:
	v_sub_nc_u32_e32 v9, v27, v15
	s_delay_alu instid0(VALU_DEP_1)
	v_lshlrev_b32_e32 v9, 3, v9
	ds_store_b64 v9, v[11:12]
.LBB200_140:
	s_or_b32 exec_lo, exec_lo, s0
	;; [unrolled: 12-line block ×6, first 2 shown]
	v_mov_b32_e32 v1, 0
	s_mov_b32 s1, exec_lo
	s_waitcnt lgkmcnt(0)
	s_waitcnt_vscnt null, 0x0
	s_barrier
	buffer_gl0_inv
	v_cmpx_gt_u64_e64 v[13:14], v[0:1]
	s_cbranch_execz .LBB200_151
; %bb.149:
	v_lshlrev_b64 v[4:5], 3, v[15:16]
	s_lshl_b64 s[8:9], s[6:7], 3
	v_dual_mov_b32 v3, v1 :: v_dual_mov_b32 v2, v0
	v_or_b32_e32 v0, 0x80, v0
	s_delay_alu instid0(VALU_DEP_3) | instskip(NEXT) | instid1(VALU_DEP_4)
	v_add_co_u32 v4, vcc_lo, s12, v4
	v_add_co_ci_u32_e32 v5, vcc_lo, s13, v5, vcc_lo
	s_delay_alu instid0(VALU_DEP_2) | instskip(NEXT) | instid1(VALU_DEP_2)
	v_add_co_u32 v4, vcc_lo, v4, s8
	v_add_co_ci_u32_e32 v5, vcc_lo, s9, v5, vcc_lo
	s_mov_b32 s8, 0
	.p2align	6
.LBB200_150:                            ; =>This Inner Loop Header: Depth=1
	v_lshlrev_b32_e32 v6, 3, v2
	v_lshlrev_b64 v[8:9], 3, v[2:3]
	v_mov_b32_e32 v3, v1
	v_cmp_le_u64_e32 vcc_lo, v[13:14], v[0:1]
	v_mov_b32_e32 v2, v0
	ds_load_b64 v[6:7], v6
	v_add_nc_u32_e32 v0, 0x80, v0
	v_add_co_u32 v8, s0, v4, v8
	s_delay_alu instid0(VALU_DEP_1)
	v_add_co_ci_u32_e64 v9, s0, v5, v9, s0
	s_or_b32 s8, vcc_lo, s8
	s_waitcnt lgkmcnt(0)
	global_store_b64 v[8:9], v[6:7], off
	s_and_not1_b32 exec_lo, exec_lo, s8
	s_cbranch_execnz .LBB200_150
.LBB200_151:
	s_or_b32 exec_lo, exec_lo, s1
	s_and_b32 s0, s2, s3
	s_delay_alu instid0(SALU_CYCLE_1)
	s_and_saveexec_b32 s1, s0
	s_cbranch_execz .LBB200_92
.LBB200_152:
	v_add_co_u32 v0, vcc_lo, v15, v13
	v_add_co_ci_u32_e32 v1, vcc_lo, v16, v14, vcc_lo
	v_mov_b32_e32 v2, 0
	s_delay_alu instid0(VALU_DEP_3) | instskip(NEXT) | instid1(VALU_DEP_3)
	v_add_co_u32 v0, vcc_lo, v0, s6
	v_add_co_ci_u32_e32 v1, vcc_lo, s7, v1, vcc_lo
	global_store_b64 v2, v[0:1], s[4:5]
	s_nop 0
	s_sendmsg sendmsg(MSG_DEALLOC_VGPRS)
	s_endpgm
	.section	.rodata,"a",@progbits
	.p2align	6, 0x0
	.amdhsa_kernel _ZN7rocprim17ROCPRIM_400000_NS6detail17trampoline_kernelINS0_14default_configENS1_25partition_config_selectorILNS1_17partition_subalgoE5ElNS0_10empty_typeEbEEZZNS1_14partition_implILS5_5ELb0ES3_mN6hipcub16HIPCUB_304000_NS21CountingInputIteratorIllEEPS6_NSA_22TransformInputIteratorIbN2at6native12_GLOBAL__N_19NonZeroOpIiEEPKilEENS0_5tupleIJPlS6_EEENSN_IJSD_SD_EEES6_PiJS6_EEE10hipError_tPvRmT3_T4_T5_T6_T7_T9_mT8_P12ihipStream_tbDpT10_ENKUlT_T0_E_clISt17integral_constantIbLb1EES1B_EEDaS16_S17_EUlS16_E_NS1_11comp_targetILNS1_3genE9ELNS1_11target_archE1100ELNS1_3gpuE3ELNS1_3repE0EEENS1_30default_config_static_selectorELNS0_4arch9wavefront6targetE0EEEvT1_
		.amdhsa_group_segment_fixed_size 6160
		.amdhsa_private_segment_fixed_size 0
		.amdhsa_kernarg_size 136
		.amdhsa_user_sgpr_count 15
		.amdhsa_user_sgpr_dispatch_ptr 0
		.amdhsa_user_sgpr_queue_ptr 0
		.amdhsa_user_sgpr_kernarg_segment_ptr 1
		.amdhsa_user_sgpr_dispatch_id 0
		.amdhsa_user_sgpr_private_segment_size 0
		.amdhsa_wavefront_size32 1
		.amdhsa_uses_dynamic_stack 0
		.amdhsa_enable_private_segment 0
		.amdhsa_system_sgpr_workgroup_id_x 1
		.amdhsa_system_sgpr_workgroup_id_y 0
		.amdhsa_system_sgpr_workgroup_id_z 0
		.amdhsa_system_sgpr_workgroup_info 0
		.amdhsa_system_vgpr_workitem_id 0
		.amdhsa_next_free_vgpr 57
		.amdhsa_next_free_sgpr 24
		.amdhsa_reserve_vcc 1
		.amdhsa_float_round_mode_32 0
		.amdhsa_float_round_mode_16_64 0
		.amdhsa_float_denorm_mode_32 3
		.amdhsa_float_denorm_mode_16_64 3
		.amdhsa_dx10_clamp 1
		.amdhsa_ieee_mode 1
		.amdhsa_fp16_overflow 0
		.amdhsa_workgroup_processor_mode 1
		.amdhsa_memory_ordered 1
		.amdhsa_forward_progress 0
		.amdhsa_shared_vgpr_count 0
		.amdhsa_exception_fp_ieee_invalid_op 0
		.amdhsa_exception_fp_denorm_src 0
		.amdhsa_exception_fp_ieee_div_zero 0
		.amdhsa_exception_fp_ieee_overflow 0
		.amdhsa_exception_fp_ieee_underflow 0
		.amdhsa_exception_fp_ieee_inexact 0
		.amdhsa_exception_int_div_zero 0
	.end_amdhsa_kernel
	.section	.text._ZN7rocprim17ROCPRIM_400000_NS6detail17trampoline_kernelINS0_14default_configENS1_25partition_config_selectorILNS1_17partition_subalgoE5ElNS0_10empty_typeEbEEZZNS1_14partition_implILS5_5ELb0ES3_mN6hipcub16HIPCUB_304000_NS21CountingInputIteratorIllEEPS6_NSA_22TransformInputIteratorIbN2at6native12_GLOBAL__N_19NonZeroOpIiEEPKilEENS0_5tupleIJPlS6_EEENSN_IJSD_SD_EEES6_PiJS6_EEE10hipError_tPvRmT3_T4_T5_T6_T7_T9_mT8_P12ihipStream_tbDpT10_ENKUlT_T0_E_clISt17integral_constantIbLb1EES1B_EEDaS16_S17_EUlS16_E_NS1_11comp_targetILNS1_3genE9ELNS1_11target_archE1100ELNS1_3gpuE3ELNS1_3repE0EEENS1_30default_config_static_selectorELNS0_4arch9wavefront6targetE0EEEvT1_,"axG",@progbits,_ZN7rocprim17ROCPRIM_400000_NS6detail17trampoline_kernelINS0_14default_configENS1_25partition_config_selectorILNS1_17partition_subalgoE5ElNS0_10empty_typeEbEEZZNS1_14partition_implILS5_5ELb0ES3_mN6hipcub16HIPCUB_304000_NS21CountingInputIteratorIllEEPS6_NSA_22TransformInputIteratorIbN2at6native12_GLOBAL__N_19NonZeroOpIiEEPKilEENS0_5tupleIJPlS6_EEENSN_IJSD_SD_EEES6_PiJS6_EEE10hipError_tPvRmT3_T4_T5_T6_T7_T9_mT8_P12ihipStream_tbDpT10_ENKUlT_T0_E_clISt17integral_constantIbLb1EES1B_EEDaS16_S17_EUlS16_E_NS1_11comp_targetILNS1_3genE9ELNS1_11target_archE1100ELNS1_3gpuE3ELNS1_3repE0EEENS1_30default_config_static_selectorELNS0_4arch9wavefront6targetE0EEEvT1_,comdat
.Lfunc_end200:
	.size	_ZN7rocprim17ROCPRIM_400000_NS6detail17trampoline_kernelINS0_14default_configENS1_25partition_config_selectorILNS1_17partition_subalgoE5ElNS0_10empty_typeEbEEZZNS1_14partition_implILS5_5ELb0ES3_mN6hipcub16HIPCUB_304000_NS21CountingInputIteratorIllEEPS6_NSA_22TransformInputIteratorIbN2at6native12_GLOBAL__N_19NonZeroOpIiEEPKilEENS0_5tupleIJPlS6_EEENSN_IJSD_SD_EEES6_PiJS6_EEE10hipError_tPvRmT3_T4_T5_T6_T7_T9_mT8_P12ihipStream_tbDpT10_ENKUlT_T0_E_clISt17integral_constantIbLb1EES1B_EEDaS16_S17_EUlS16_E_NS1_11comp_targetILNS1_3genE9ELNS1_11target_archE1100ELNS1_3gpuE3ELNS1_3repE0EEENS1_30default_config_static_selectorELNS0_4arch9wavefront6targetE0EEEvT1_, .Lfunc_end200-_ZN7rocprim17ROCPRIM_400000_NS6detail17trampoline_kernelINS0_14default_configENS1_25partition_config_selectorILNS1_17partition_subalgoE5ElNS0_10empty_typeEbEEZZNS1_14partition_implILS5_5ELb0ES3_mN6hipcub16HIPCUB_304000_NS21CountingInputIteratorIllEEPS6_NSA_22TransformInputIteratorIbN2at6native12_GLOBAL__N_19NonZeroOpIiEEPKilEENS0_5tupleIJPlS6_EEENSN_IJSD_SD_EEES6_PiJS6_EEE10hipError_tPvRmT3_T4_T5_T6_T7_T9_mT8_P12ihipStream_tbDpT10_ENKUlT_T0_E_clISt17integral_constantIbLb1EES1B_EEDaS16_S17_EUlS16_E_NS1_11comp_targetILNS1_3genE9ELNS1_11target_archE1100ELNS1_3gpuE3ELNS1_3repE0EEENS1_30default_config_static_selectorELNS0_4arch9wavefront6targetE0EEEvT1_
                                        ; -- End function
	.section	.AMDGPU.csdata,"",@progbits
; Kernel info:
; codeLenInByte = 6608
; NumSgprs: 26
; NumVgprs: 57
; ScratchSize: 0
; MemoryBound: 0
; FloatMode: 240
; IeeeMode: 1
; LDSByteSize: 6160 bytes/workgroup (compile time only)
; SGPRBlocks: 3
; VGPRBlocks: 7
; NumSGPRsForWavesPerEU: 26
; NumVGPRsForWavesPerEU: 57
; Occupancy: 16
; WaveLimiterHint : 1
; COMPUTE_PGM_RSRC2:SCRATCH_EN: 0
; COMPUTE_PGM_RSRC2:USER_SGPR: 15
; COMPUTE_PGM_RSRC2:TRAP_HANDLER: 0
; COMPUTE_PGM_RSRC2:TGID_X_EN: 1
; COMPUTE_PGM_RSRC2:TGID_Y_EN: 0
; COMPUTE_PGM_RSRC2:TGID_Z_EN: 0
; COMPUTE_PGM_RSRC2:TIDIG_COMP_CNT: 0
	.section	.text._ZN7rocprim17ROCPRIM_400000_NS6detail17trampoline_kernelINS0_14default_configENS1_25partition_config_selectorILNS1_17partition_subalgoE5ElNS0_10empty_typeEbEEZZNS1_14partition_implILS5_5ELb0ES3_mN6hipcub16HIPCUB_304000_NS21CountingInputIteratorIllEEPS6_NSA_22TransformInputIteratorIbN2at6native12_GLOBAL__N_19NonZeroOpIiEEPKilEENS0_5tupleIJPlS6_EEENSN_IJSD_SD_EEES6_PiJS6_EEE10hipError_tPvRmT3_T4_T5_T6_T7_T9_mT8_P12ihipStream_tbDpT10_ENKUlT_T0_E_clISt17integral_constantIbLb1EES1B_EEDaS16_S17_EUlS16_E_NS1_11comp_targetILNS1_3genE8ELNS1_11target_archE1030ELNS1_3gpuE2ELNS1_3repE0EEENS1_30default_config_static_selectorELNS0_4arch9wavefront6targetE0EEEvT1_,"axG",@progbits,_ZN7rocprim17ROCPRIM_400000_NS6detail17trampoline_kernelINS0_14default_configENS1_25partition_config_selectorILNS1_17partition_subalgoE5ElNS0_10empty_typeEbEEZZNS1_14partition_implILS5_5ELb0ES3_mN6hipcub16HIPCUB_304000_NS21CountingInputIteratorIllEEPS6_NSA_22TransformInputIteratorIbN2at6native12_GLOBAL__N_19NonZeroOpIiEEPKilEENS0_5tupleIJPlS6_EEENSN_IJSD_SD_EEES6_PiJS6_EEE10hipError_tPvRmT3_T4_T5_T6_T7_T9_mT8_P12ihipStream_tbDpT10_ENKUlT_T0_E_clISt17integral_constantIbLb1EES1B_EEDaS16_S17_EUlS16_E_NS1_11comp_targetILNS1_3genE8ELNS1_11target_archE1030ELNS1_3gpuE2ELNS1_3repE0EEENS1_30default_config_static_selectorELNS0_4arch9wavefront6targetE0EEEvT1_,comdat
	.globl	_ZN7rocprim17ROCPRIM_400000_NS6detail17trampoline_kernelINS0_14default_configENS1_25partition_config_selectorILNS1_17partition_subalgoE5ElNS0_10empty_typeEbEEZZNS1_14partition_implILS5_5ELb0ES3_mN6hipcub16HIPCUB_304000_NS21CountingInputIteratorIllEEPS6_NSA_22TransformInputIteratorIbN2at6native12_GLOBAL__N_19NonZeroOpIiEEPKilEENS0_5tupleIJPlS6_EEENSN_IJSD_SD_EEES6_PiJS6_EEE10hipError_tPvRmT3_T4_T5_T6_T7_T9_mT8_P12ihipStream_tbDpT10_ENKUlT_T0_E_clISt17integral_constantIbLb1EES1B_EEDaS16_S17_EUlS16_E_NS1_11comp_targetILNS1_3genE8ELNS1_11target_archE1030ELNS1_3gpuE2ELNS1_3repE0EEENS1_30default_config_static_selectorELNS0_4arch9wavefront6targetE0EEEvT1_ ; -- Begin function _ZN7rocprim17ROCPRIM_400000_NS6detail17trampoline_kernelINS0_14default_configENS1_25partition_config_selectorILNS1_17partition_subalgoE5ElNS0_10empty_typeEbEEZZNS1_14partition_implILS5_5ELb0ES3_mN6hipcub16HIPCUB_304000_NS21CountingInputIteratorIllEEPS6_NSA_22TransformInputIteratorIbN2at6native12_GLOBAL__N_19NonZeroOpIiEEPKilEENS0_5tupleIJPlS6_EEENSN_IJSD_SD_EEES6_PiJS6_EEE10hipError_tPvRmT3_T4_T5_T6_T7_T9_mT8_P12ihipStream_tbDpT10_ENKUlT_T0_E_clISt17integral_constantIbLb1EES1B_EEDaS16_S17_EUlS16_E_NS1_11comp_targetILNS1_3genE8ELNS1_11target_archE1030ELNS1_3gpuE2ELNS1_3repE0EEENS1_30default_config_static_selectorELNS0_4arch9wavefront6targetE0EEEvT1_
	.p2align	8
	.type	_ZN7rocprim17ROCPRIM_400000_NS6detail17trampoline_kernelINS0_14default_configENS1_25partition_config_selectorILNS1_17partition_subalgoE5ElNS0_10empty_typeEbEEZZNS1_14partition_implILS5_5ELb0ES3_mN6hipcub16HIPCUB_304000_NS21CountingInputIteratorIllEEPS6_NSA_22TransformInputIteratorIbN2at6native12_GLOBAL__N_19NonZeroOpIiEEPKilEENS0_5tupleIJPlS6_EEENSN_IJSD_SD_EEES6_PiJS6_EEE10hipError_tPvRmT3_T4_T5_T6_T7_T9_mT8_P12ihipStream_tbDpT10_ENKUlT_T0_E_clISt17integral_constantIbLb1EES1B_EEDaS16_S17_EUlS16_E_NS1_11comp_targetILNS1_3genE8ELNS1_11target_archE1030ELNS1_3gpuE2ELNS1_3repE0EEENS1_30default_config_static_selectorELNS0_4arch9wavefront6targetE0EEEvT1_,@function
_ZN7rocprim17ROCPRIM_400000_NS6detail17trampoline_kernelINS0_14default_configENS1_25partition_config_selectorILNS1_17partition_subalgoE5ElNS0_10empty_typeEbEEZZNS1_14partition_implILS5_5ELb0ES3_mN6hipcub16HIPCUB_304000_NS21CountingInputIteratorIllEEPS6_NSA_22TransformInputIteratorIbN2at6native12_GLOBAL__N_19NonZeroOpIiEEPKilEENS0_5tupleIJPlS6_EEENSN_IJSD_SD_EEES6_PiJS6_EEE10hipError_tPvRmT3_T4_T5_T6_T7_T9_mT8_P12ihipStream_tbDpT10_ENKUlT_T0_E_clISt17integral_constantIbLb1EES1B_EEDaS16_S17_EUlS16_E_NS1_11comp_targetILNS1_3genE8ELNS1_11target_archE1030ELNS1_3gpuE2ELNS1_3repE0EEENS1_30default_config_static_selectorELNS0_4arch9wavefront6targetE0EEEvT1_: ; @_ZN7rocprim17ROCPRIM_400000_NS6detail17trampoline_kernelINS0_14default_configENS1_25partition_config_selectorILNS1_17partition_subalgoE5ElNS0_10empty_typeEbEEZZNS1_14partition_implILS5_5ELb0ES3_mN6hipcub16HIPCUB_304000_NS21CountingInputIteratorIllEEPS6_NSA_22TransformInputIteratorIbN2at6native12_GLOBAL__N_19NonZeroOpIiEEPKilEENS0_5tupleIJPlS6_EEENSN_IJSD_SD_EEES6_PiJS6_EEE10hipError_tPvRmT3_T4_T5_T6_T7_T9_mT8_P12ihipStream_tbDpT10_ENKUlT_T0_E_clISt17integral_constantIbLb1EES1B_EEDaS16_S17_EUlS16_E_NS1_11comp_targetILNS1_3genE8ELNS1_11target_archE1030ELNS1_3gpuE2ELNS1_3repE0EEENS1_30default_config_static_selectorELNS0_4arch9wavefront6targetE0EEEvT1_
; %bb.0:
	.section	.rodata,"a",@progbits
	.p2align	6, 0x0
	.amdhsa_kernel _ZN7rocprim17ROCPRIM_400000_NS6detail17trampoline_kernelINS0_14default_configENS1_25partition_config_selectorILNS1_17partition_subalgoE5ElNS0_10empty_typeEbEEZZNS1_14partition_implILS5_5ELb0ES3_mN6hipcub16HIPCUB_304000_NS21CountingInputIteratorIllEEPS6_NSA_22TransformInputIteratorIbN2at6native12_GLOBAL__N_19NonZeroOpIiEEPKilEENS0_5tupleIJPlS6_EEENSN_IJSD_SD_EEES6_PiJS6_EEE10hipError_tPvRmT3_T4_T5_T6_T7_T9_mT8_P12ihipStream_tbDpT10_ENKUlT_T0_E_clISt17integral_constantIbLb1EES1B_EEDaS16_S17_EUlS16_E_NS1_11comp_targetILNS1_3genE8ELNS1_11target_archE1030ELNS1_3gpuE2ELNS1_3repE0EEENS1_30default_config_static_selectorELNS0_4arch9wavefront6targetE0EEEvT1_
		.amdhsa_group_segment_fixed_size 0
		.amdhsa_private_segment_fixed_size 0
		.amdhsa_kernarg_size 136
		.amdhsa_user_sgpr_count 15
		.amdhsa_user_sgpr_dispatch_ptr 0
		.amdhsa_user_sgpr_queue_ptr 0
		.amdhsa_user_sgpr_kernarg_segment_ptr 1
		.amdhsa_user_sgpr_dispatch_id 0
		.amdhsa_user_sgpr_private_segment_size 0
		.amdhsa_wavefront_size32 1
		.amdhsa_uses_dynamic_stack 0
		.amdhsa_enable_private_segment 0
		.amdhsa_system_sgpr_workgroup_id_x 1
		.amdhsa_system_sgpr_workgroup_id_y 0
		.amdhsa_system_sgpr_workgroup_id_z 0
		.amdhsa_system_sgpr_workgroup_info 0
		.amdhsa_system_vgpr_workitem_id 0
		.amdhsa_next_free_vgpr 1
		.amdhsa_next_free_sgpr 1
		.amdhsa_reserve_vcc 0
		.amdhsa_float_round_mode_32 0
		.amdhsa_float_round_mode_16_64 0
		.amdhsa_float_denorm_mode_32 3
		.amdhsa_float_denorm_mode_16_64 3
		.amdhsa_dx10_clamp 1
		.amdhsa_ieee_mode 1
		.amdhsa_fp16_overflow 0
		.amdhsa_workgroup_processor_mode 1
		.amdhsa_memory_ordered 1
		.amdhsa_forward_progress 0
		.amdhsa_shared_vgpr_count 0
		.amdhsa_exception_fp_ieee_invalid_op 0
		.amdhsa_exception_fp_denorm_src 0
		.amdhsa_exception_fp_ieee_div_zero 0
		.amdhsa_exception_fp_ieee_overflow 0
		.amdhsa_exception_fp_ieee_underflow 0
		.amdhsa_exception_fp_ieee_inexact 0
		.amdhsa_exception_int_div_zero 0
	.end_amdhsa_kernel
	.section	.text._ZN7rocprim17ROCPRIM_400000_NS6detail17trampoline_kernelINS0_14default_configENS1_25partition_config_selectorILNS1_17partition_subalgoE5ElNS0_10empty_typeEbEEZZNS1_14partition_implILS5_5ELb0ES3_mN6hipcub16HIPCUB_304000_NS21CountingInputIteratorIllEEPS6_NSA_22TransformInputIteratorIbN2at6native12_GLOBAL__N_19NonZeroOpIiEEPKilEENS0_5tupleIJPlS6_EEENSN_IJSD_SD_EEES6_PiJS6_EEE10hipError_tPvRmT3_T4_T5_T6_T7_T9_mT8_P12ihipStream_tbDpT10_ENKUlT_T0_E_clISt17integral_constantIbLb1EES1B_EEDaS16_S17_EUlS16_E_NS1_11comp_targetILNS1_3genE8ELNS1_11target_archE1030ELNS1_3gpuE2ELNS1_3repE0EEENS1_30default_config_static_selectorELNS0_4arch9wavefront6targetE0EEEvT1_,"axG",@progbits,_ZN7rocprim17ROCPRIM_400000_NS6detail17trampoline_kernelINS0_14default_configENS1_25partition_config_selectorILNS1_17partition_subalgoE5ElNS0_10empty_typeEbEEZZNS1_14partition_implILS5_5ELb0ES3_mN6hipcub16HIPCUB_304000_NS21CountingInputIteratorIllEEPS6_NSA_22TransformInputIteratorIbN2at6native12_GLOBAL__N_19NonZeroOpIiEEPKilEENS0_5tupleIJPlS6_EEENSN_IJSD_SD_EEES6_PiJS6_EEE10hipError_tPvRmT3_T4_T5_T6_T7_T9_mT8_P12ihipStream_tbDpT10_ENKUlT_T0_E_clISt17integral_constantIbLb1EES1B_EEDaS16_S17_EUlS16_E_NS1_11comp_targetILNS1_3genE8ELNS1_11target_archE1030ELNS1_3gpuE2ELNS1_3repE0EEENS1_30default_config_static_selectorELNS0_4arch9wavefront6targetE0EEEvT1_,comdat
.Lfunc_end201:
	.size	_ZN7rocprim17ROCPRIM_400000_NS6detail17trampoline_kernelINS0_14default_configENS1_25partition_config_selectorILNS1_17partition_subalgoE5ElNS0_10empty_typeEbEEZZNS1_14partition_implILS5_5ELb0ES3_mN6hipcub16HIPCUB_304000_NS21CountingInputIteratorIllEEPS6_NSA_22TransformInputIteratorIbN2at6native12_GLOBAL__N_19NonZeroOpIiEEPKilEENS0_5tupleIJPlS6_EEENSN_IJSD_SD_EEES6_PiJS6_EEE10hipError_tPvRmT3_T4_T5_T6_T7_T9_mT8_P12ihipStream_tbDpT10_ENKUlT_T0_E_clISt17integral_constantIbLb1EES1B_EEDaS16_S17_EUlS16_E_NS1_11comp_targetILNS1_3genE8ELNS1_11target_archE1030ELNS1_3gpuE2ELNS1_3repE0EEENS1_30default_config_static_selectorELNS0_4arch9wavefront6targetE0EEEvT1_, .Lfunc_end201-_ZN7rocprim17ROCPRIM_400000_NS6detail17trampoline_kernelINS0_14default_configENS1_25partition_config_selectorILNS1_17partition_subalgoE5ElNS0_10empty_typeEbEEZZNS1_14partition_implILS5_5ELb0ES3_mN6hipcub16HIPCUB_304000_NS21CountingInputIteratorIllEEPS6_NSA_22TransformInputIteratorIbN2at6native12_GLOBAL__N_19NonZeroOpIiEEPKilEENS0_5tupleIJPlS6_EEENSN_IJSD_SD_EEES6_PiJS6_EEE10hipError_tPvRmT3_T4_T5_T6_T7_T9_mT8_P12ihipStream_tbDpT10_ENKUlT_T0_E_clISt17integral_constantIbLb1EES1B_EEDaS16_S17_EUlS16_E_NS1_11comp_targetILNS1_3genE8ELNS1_11target_archE1030ELNS1_3gpuE2ELNS1_3repE0EEENS1_30default_config_static_selectorELNS0_4arch9wavefront6targetE0EEEvT1_
                                        ; -- End function
	.section	.AMDGPU.csdata,"",@progbits
; Kernel info:
; codeLenInByte = 0
; NumSgprs: 0
; NumVgprs: 0
; ScratchSize: 0
; MemoryBound: 0
; FloatMode: 240
; IeeeMode: 1
; LDSByteSize: 0 bytes/workgroup (compile time only)
; SGPRBlocks: 0
; VGPRBlocks: 0
; NumSGPRsForWavesPerEU: 1
; NumVGPRsForWavesPerEU: 1
; Occupancy: 16
; WaveLimiterHint : 0
; COMPUTE_PGM_RSRC2:SCRATCH_EN: 0
; COMPUTE_PGM_RSRC2:USER_SGPR: 15
; COMPUTE_PGM_RSRC2:TRAP_HANDLER: 0
; COMPUTE_PGM_RSRC2:TGID_X_EN: 1
; COMPUTE_PGM_RSRC2:TGID_Y_EN: 0
; COMPUTE_PGM_RSRC2:TGID_Z_EN: 0
; COMPUTE_PGM_RSRC2:TIDIG_COMP_CNT: 0
	.section	.text._ZN7rocprim17ROCPRIM_400000_NS6detail17trampoline_kernelINS0_14default_configENS1_25partition_config_selectorILNS1_17partition_subalgoE5ElNS0_10empty_typeEbEEZZNS1_14partition_implILS5_5ELb0ES3_mN6hipcub16HIPCUB_304000_NS21CountingInputIteratorIllEEPS6_NSA_22TransformInputIteratorIbN2at6native12_GLOBAL__N_19NonZeroOpIiEEPKilEENS0_5tupleIJPlS6_EEENSN_IJSD_SD_EEES6_PiJS6_EEE10hipError_tPvRmT3_T4_T5_T6_T7_T9_mT8_P12ihipStream_tbDpT10_ENKUlT_T0_E_clISt17integral_constantIbLb1EES1A_IbLb0EEEEDaS16_S17_EUlS16_E_NS1_11comp_targetILNS1_3genE0ELNS1_11target_archE4294967295ELNS1_3gpuE0ELNS1_3repE0EEENS1_30default_config_static_selectorELNS0_4arch9wavefront6targetE0EEEvT1_,"axG",@progbits,_ZN7rocprim17ROCPRIM_400000_NS6detail17trampoline_kernelINS0_14default_configENS1_25partition_config_selectorILNS1_17partition_subalgoE5ElNS0_10empty_typeEbEEZZNS1_14partition_implILS5_5ELb0ES3_mN6hipcub16HIPCUB_304000_NS21CountingInputIteratorIllEEPS6_NSA_22TransformInputIteratorIbN2at6native12_GLOBAL__N_19NonZeroOpIiEEPKilEENS0_5tupleIJPlS6_EEENSN_IJSD_SD_EEES6_PiJS6_EEE10hipError_tPvRmT3_T4_T5_T6_T7_T9_mT8_P12ihipStream_tbDpT10_ENKUlT_T0_E_clISt17integral_constantIbLb1EES1A_IbLb0EEEEDaS16_S17_EUlS16_E_NS1_11comp_targetILNS1_3genE0ELNS1_11target_archE4294967295ELNS1_3gpuE0ELNS1_3repE0EEENS1_30default_config_static_selectorELNS0_4arch9wavefront6targetE0EEEvT1_,comdat
	.globl	_ZN7rocprim17ROCPRIM_400000_NS6detail17trampoline_kernelINS0_14default_configENS1_25partition_config_selectorILNS1_17partition_subalgoE5ElNS0_10empty_typeEbEEZZNS1_14partition_implILS5_5ELb0ES3_mN6hipcub16HIPCUB_304000_NS21CountingInputIteratorIllEEPS6_NSA_22TransformInputIteratorIbN2at6native12_GLOBAL__N_19NonZeroOpIiEEPKilEENS0_5tupleIJPlS6_EEENSN_IJSD_SD_EEES6_PiJS6_EEE10hipError_tPvRmT3_T4_T5_T6_T7_T9_mT8_P12ihipStream_tbDpT10_ENKUlT_T0_E_clISt17integral_constantIbLb1EES1A_IbLb0EEEEDaS16_S17_EUlS16_E_NS1_11comp_targetILNS1_3genE0ELNS1_11target_archE4294967295ELNS1_3gpuE0ELNS1_3repE0EEENS1_30default_config_static_selectorELNS0_4arch9wavefront6targetE0EEEvT1_ ; -- Begin function _ZN7rocprim17ROCPRIM_400000_NS6detail17trampoline_kernelINS0_14default_configENS1_25partition_config_selectorILNS1_17partition_subalgoE5ElNS0_10empty_typeEbEEZZNS1_14partition_implILS5_5ELb0ES3_mN6hipcub16HIPCUB_304000_NS21CountingInputIteratorIllEEPS6_NSA_22TransformInputIteratorIbN2at6native12_GLOBAL__N_19NonZeroOpIiEEPKilEENS0_5tupleIJPlS6_EEENSN_IJSD_SD_EEES6_PiJS6_EEE10hipError_tPvRmT3_T4_T5_T6_T7_T9_mT8_P12ihipStream_tbDpT10_ENKUlT_T0_E_clISt17integral_constantIbLb1EES1A_IbLb0EEEEDaS16_S17_EUlS16_E_NS1_11comp_targetILNS1_3genE0ELNS1_11target_archE4294967295ELNS1_3gpuE0ELNS1_3repE0EEENS1_30default_config_static_selectorELNS0_4arch9wavefront6targetE0EEEvT1_
	.p2align	8
	.type	_ZN7rocprim17ROCPRIM_400000_NS6detail17trampoline_kernelINS0_14default_configENS1_25partition_config_selectorILNS1_17partition_subalgoE5ElNS0_10empty_typeEbEEZZNS1_14partition_implILS5_5ELb0ES3_mN6hipcub16HIPCUB_304000_NS21CountingInputIteratorIllEEPS6_NSA_22TransformInputIteratorIbN2at6native12_GLOBAL__N_19NonZeroOpIiEEPKilEENS0_5tupleIJPlS6_EEENSN_IJSD_SD_EEES6_PiJS6_EEE10hipError_tPvRmT3_T4_T5_T6_T7_T9_mT8_P12ihipStream_tbDpT10_ENKUlT_T0_E_clISt17integral_constantIbLb1EES1A_IbLb0EEEEDaS16_S17_EUlS16_E_NS1_11comp_targetILNS1_3genE0ELNS1_11target_archE4294967295ELNS1_3gpuE0ELNS1_3repE0EEENS1_30default_config_static_selectorELNS0_4arch9wavefront6targetE0EEEvT1_,@function
_ZN7rocprim17ROCPRIM_400000_NS6detail17trampoline_kernelINS0_14default_configENS1_25partition_config_selectorILNS1_17partition_subalgoE5ElNS0_10empty_typeEbEEZZNS1_14partition_implILS5_5ELb0ES3_mN6hipcub16HIPCUB_304000_NS21CountingInputIteratorIllEEPS6_NSA_22TransformInputIteratorIbN2at6native12_GLOBAL__N_19NonZeroOpIiEEPKilEENS0_5tupleIJPlS6_EEENSN_IJSD_SD_EEES6_PiJS6_EEE10hipError_tPvRmT3_T4_T5_T6_T7_T9_mT8_P12ihipStream_tbDpT10_ENKUlT_T0_E_clISt17integral_constantIbLb1EES1A_IbLb0EEEEDaS16_S17_EUlS16_E_NS1_11comp_targetILNS1_3genE0ELNS1_11target_archE4294967295ELNS1_3gpuE0ELNS1_3repE0EEENS1_30default_config_static_selectorELNS0_4arch9wavefront6targetE0EEEvT1_: ; @_ZN7rocprim17ROCPRIM_400000_NS6detail17trampoline_kernelINS0_14default_configENS1_25partition_config_selectorILNS1_17partition_subalgoE5ElNS0_10empty_typeEbEEZZNS1_14partition_implILS5_5ELb0ES3_mN6hipcub16HIPCUB_304000_NS21CountingInputIteratorIllEEPS6_NSA_22TransformInputIteratorIbN2at6native12_GLOBAL__N_19NonZeroOpIiEEPKilEENS0_5tupleIJPlS6_EEENSN_IJSD_SD_EEES6_PiJS6_EEE10hipError_tPvRmT3_T4_T5_T6_T7_T9_mT8_P12ihipStream_tbDpT10_ENKUlT_T0_E_clISt17integral_constantIbLb1EES1A_IbLb0EEEEDaS16_S17_EUlS16_E_NS1_11comp_targetILNS1_3genE0ELNS1_11target_archE4294967295ELNS1_3gpuE0ELNS1_3repE0EEENS1_30default_config_static_selectorELNS0_4arch9wavefront6targetE0EEEvT1_
; %bb.0:
	.section	.rodata,"a",@progbits
	.p2align	6, 0x0
	.amdhsa_kernel _ZN7rocprim17ROCPRIM_400000_NS6detail17trampoline_kernelINS0_14default_configENS1_25partition_config_selectorILNS1_17partition_subalgoE5ElNS0_10empty_typeEbEEZZNS1_14partition_implILS5_5ELb0ES3_mN6hipcub16HIPCUB_304000_NS21CountingInputIteratorIllEEPS6_NSA_22TransformInputIteratorIbN2at6native12_GLOBAL__N_19NonZeroOpIiEEPKilEENS0_5tupleIJPlS6_EEENSN_IJSD_SD_EEES6_PiJS6_EEE10hipError_tPvRmT3_T4_T5_T6_T7_T9_mT8_P12ihipStream_tbDpT10_ENKUlT_T0_E_clISt17integral_constantIbLb1EES1A_IbLb0EEEEDaS16_S17_EUlS16_E_NS1_11comp_targetILNS1_3genE0ELNS1_11target_archE4294967295ELNS1_3gpuE0ELNS1_3repE0EEENS1_30default_config_static_selectorELNS0_4arch9wavefront6targetE0EEEvT1_
		.amdhsa_group_segment_fixed_size 0
		.amdhsa_private_segment_fixed_size 0
		.amdhsa_kernarg_size 120
		.amdhsa_user_sgpr_count 15
		.amdhsa_user_sgpr_dispatch_ptr 0
		.amdhsa_user_sgpr_queue_ptr 0
		.amdhsa_user_sgpr_kernarg_segment_ptr 1
		.amdhsa_user_sgpr_dispatch_id 0
		.amdhsa_user_sgpr_private_segment_size 0
		.amdhsa_wavefront_size32 1
		.amdhsa_uses_dynamic_stack 0
		.amdhsa_enable_private_segment 0
		.amdhsa_system_sgpr_workgroup_id_x 1
		.amdhsa_system_sgpr_workgroup_id_y 0
		.amdhsa_system_sgpr_workgroup_id_z 0
		.amdhsa_system_sgpr_workgroup_info 0
		.amdhsa_system_vgpr_workitem_id 0
		.amdhsa_next_free_vgpr 1
		.amdhsa_next_free_sgpr 1
		.amdhsa_reserve_vcc 0
		.amdhsa_float_round_mode_32 0
		.amdhsa_float_round_mode_16_64 0
		.amdhsa_float_denorm_mode_32 3
		.amdhsa_float_denorm_mode_16_64 3
		.amdhsa_dx10_clamp 1
		.amdhsa_ieee_mode 1
		.amdhsa_fp16_overflow 0
		.amdhsa_workgroup_processor_mode 1
		.amdhsa_memory_ordered 1
		.amdhsa_forward_progress 0
		.amdhsa_shared_vgpr_count 0
		.amdhsa_exception_fp_ieee_invalid_op 0
		.amdhsa_exception_fp_denorm_src 0
		.amdhsa_exception_fp_ieee_div_zero 0
		.amdhsa_exception_fp_ieee_overflow 0
		.amdhsa_exception_fp_ieee_underflow 0
		.amdhsa_exception_fp_ieee_inexact 0
		.amdhsa_exception_int_div_zero 0
	.end_amdhsa_kernel
	.section	.text._ZN7rocprim17ROCPRIM_400000_NS6detail17trampoline_kernelINS0_14default_configENS1_25partition_config_selectorILNS1_17partition_subalgoE5ElNS0_10empty_typeEbEEZZNS1_14partition_implILS5_5ELb0ES3_mN6hipcub16HIPCUB_304000_NS21CountingInputIteratorIllEEPS6_NSA_22TransformInputIteratorIbN2at6native12_GLOBAL__N_19NonZeroOpIiEEPKilEENS0_5tupleIJPlS6_EEENSN_IJSD_SD_EEES6_PiJS6_EEE10hipError_tPvRmT3_T4_T5_T6_T7_T9_mT8_P12ihipStream_tbDpT10_ENKUlT_T0_E_clISt17integral_constantIbLb1EES1A_IbLb0EEEEDaS16_S17_EUlS16_E_NS1_11comp_targetILNS1_3genE0ELNS1_11target_archE4294967295ELNS1_3gpuE0ELNS1_3repE0EEENS1_30default_config_static_selectorELNS0_4arch9wavefront6targetE0EEEvT1_,"axG",@progbits,_ZN7rocprim17ROCPRIM_400000_NS6detail17trampoline_kernelINS0_14default_configENS1_25partition_config_selectorILNS1_17partition_subalgoE5ElNS0_10empty_typeEbEEZZNS1_14partition_implILS5_5ELb0ES3_mN6hipcub16HIPCUB_304000_NS21CountingInputIteratorIllEEPS6_NSA_22TransformInputIteratorIbN2at6native12_GLOBAL__N_19NonZeroOpIiEEPKilEENS0_5tupleIJPlS6_EEENSN_IJSD_SD_EEES6_PiJS6_EEE10hipError_tPvRmT3_T4_T5_T6_T7_T9_mT8_P12ihipStream_tbDpT10_ENKUlT_T0_E_clISt17integral_constantIbLb1EES1A_IbLb0EEEEDaS16_S17_EUlS16_E_NS1_11comp_targetILNS1_3genE0ELNS1_11target_archE4294967295ELNS1_3gpuE0ELNS1_3repE0EEENS1_30default_config_static_selectorELNS0_4arch9wavefront6targetE0EEEvT1_,comdat
.Lfunc_end202:
	.size	_ZN7rocprim17ROCPRIM_400000_NS6detail17trampoline_kernelINS0_14default_configENS1_25partition_config_selectorILNS1_17partition_subalgoE5ElNS0_10empty_typeEbEEZZNS1_14partition_implILS5_5ELb0ES3_mN6hipcub16HIPCUB_304000_NS21CountingInputIteratorIllEEPS6_NSA_22TransformInputIteratorIbN2at6native12_GLOBAL__N_19NonZeroOpIiEEPKilEENS0_5tupleIJPlS6_EEENSN_IJSD_SD_EEES6_PiJS6_EEE10hipError_tPvRmT3_T4_T5_T6_T7_T9_mT8_P12ihipStream_tbDpT10_ENKUlT_T0_E_clISt17integral_constantIbLb1EES1A_IbLb0EEEEDaS16_S17_EUlS16_E_NS1_11comp_targetILNS1_3genE0ELNS1_11target_archE4294967295ELNS1_3gpuE0ELNS1_3repE0EEENS1_30default_config_static_selectorELNS0_4arch9wavefront6targetE0EEEvT1_, .Lfunc_end202-_ZN7rocprim17ROCPRIM_400000_NS6detail17trampoline_kernelINS0_14default_configENS1_25partition_config_selectorILNS1_17partition_subalgoE5ElNS0_10empty_typeEbEEZZNS1_14partition_implILS5_5ELb0ES3_mN6hipcub16HIPCUB_304000_NS21CountingInputIteratorIllEEPS6_NSA_22TransformInputIteratorIbN2at6native12_GLOBAL__N_19NonZeroOpIiEEPKilEENS0_5tupleIJPlS6_EEENSN_IJSD_SD_EEES6_PiJS6_EEE10hipError_tPvRmT3_T4_T5_T6_T7_T9_mT8_P12ihipStream_tbDpT10_ENKUlT_T0_E_clISt17integral_constantIbLb1EES1A_IbLb0EEEEDaS16_S17_EUlS16_E_NS1_11comp_targetILNS1_3genE0ELNS1_11target_archE4294967295ELNS1_3gpuE0ELNS1_3repE0EEENS1_30default_config_static_selectorELNS0_4arch9wavefront6targetE0EEEvT1_
                                        ; -- End function
	.section	.AMDGPU.csdata,"",@progbits
; Kernel info:
; codeLenInByte = 0
; NumSgprs: 0
; NumVgprs: 0
; ScratchSize: 0
; MemoryBound: 0
; FloatMode: 240
; IeeeMode: 1
; LDSByteSize: 0 bytes/workgroup (compile time only)
; SGPRBlocks: 0
; VGPRBlocks: 0
; NumSGPRsForWavesPerEU: 1
; NumVGPRsForWavesPerEU: 1
; Occupancy: 16
; WaveLimiterHint : 0
; COMPUTE_PGM_RSRC2:SCRATCH_EN: 0
; COMPUTE_PGM_RSRC2:USER_SGPR: 15
; COMPUTE_PGM_RSRC2:TRAP_HANDLER: 0
; COMPUTE_PGM_RSRC2:TGID_X_EN: 1
; COMPUTE_PGM_RSRC2:TGID_Y_EN: 0
; COMPUTE_PGM_RSRC2:TGID_Z_EN: 0
; COMPUTE_PGM_RSRC2:TIDIG_COMP_CNT: 0
	.section	.text._ZN7rocprim17ROCPRIM_400000_NS6detail17trampoline_kernelINS0_14default_configENS1_25partition_config_selectorILNS1_17partition_subalgoE5ElNS0_10empty_typeEbEEZZNS1_14partition_implILS5_5ELb0ES3_mN6hipcub16HIPCUB_304000_NS21CountingInputIteratorIllEEPS6_NSA_22TransformInputIteratorIbN2at6native12_GLOBAL__N_19NonZeroOpIiEEPKilEENS0_5tupleIJPlS6_EEENSN_IJSD_SD_EEES6_PiJS6_EEE10hipError_tPvRmT3_T4_T5_T6_T7_T9_mT8_P12ihipStream_tbDpT10_ENKUlT_T0_E_clISt17integral_constantIbLb1EES1A_IbLb0EEEEDaS16_S17_EUlS16_E_NS1_11comp_targetILNS1_3genE5ELNS1_11target_archE942ELNS1_3gpuE9ELNS1_3repE0EEENS1_30default_config_static_selectorELNS0_4arch9wavefront6targetE0EEEvT1_,"axG",@progbits,_ZN7rocprim17ROCPRIM_400000_NS6detail17trampoline_kernelINS0_14default_configENS1_25partition_config_selectorILNS1_17partition_subalgoE5ElNS0_10empty_typeEbEEZZNS1_14partition_implILS5_5ELb0ES3_mN6hipcub16HIPCUB_304000_NS21CountingInputIteratorIllEEPS6_NSA_22TransformInputIteratorIbN2at6native12_GLOBAL__N_19NonZeroOpIiEEPKilEENS0_5tupleIJPlS6_EEENSN_IJSD_SD_EEES6_PiJS6_EEE10hipError_tPvRmT3_T4_T5_T6_T7_T9_mT8_P12ihipStream_tbDpT10_ENKUlT_T0_E_clISt17integral_constantIbLb1EES1A_IbLb0EEEEDaS16_S17_EUlS16_E_NS1_11comp_targetILNS1_3genE5ELNS1_11target_archE942ELNS1_3gpuE9ELNS1_3repE0EEENS1_30default_config_static_selectorELNS0_4arch9wavefront6targetE0EEEvT1_,comdat
	.globl	_ZN7rocprim17ROCPRIM_400000_NS6detail17trampoline_kernelINS0_14default_configENS1_25partition_config_selectorILNS1_17partition_subalgoE5ElNS0_10empty_typeEbEEZZNS1_14partition_implILS5_5ELb0ES3_mN6hipcub16HIPCUB_304000_NS21CountingInputIteratorIllEEPS6_NSA_22TransformInputIteratorIbN2at6native12_GLOBAL__N_19NonZeroOpIiEEPKilEENS0_5tupleIJPlS6_EEENSN_IJSD_SD_EEES6_PiJS6_EEE10hipError_tPvRmT3_T4_T5_T6_T7_T9_mT8_P12ihipStream_tbDpT10_ENKUlT_T0_E_clISt17integral_constantIbLb1EES1A_IbLb0EEEEDaS16_S17_EUlS16_E_NS1_11comp_targetILNS1_3genE5ELNS1_11target_archE942ELNS1_3gpuE9ELNS1_3repE0EEENS1_30default_config_static_selectorELNS0_4arch9wavefront6targetE0EEEvT1_ ; -- Begin function _ZN7rocprim17ROCPRIM_400000_NS6detail17trampoline_kernelINS0_14default_configENS1_25partition_config_selectorILNS1_17partition_subalgoE5ElNS0_10empty_typeEbEEZZNS1_14partition_implILS5_5ELb0ES3_mN6hipcub16HIPCUB_304000_NS21CountingInputIteratorIllEEPS6_NSA_22TransformInputIteratorIbN2at6native12_GLOBAL__N_19NonZeroOpIiEEPKilEENS0_5tupleIJPlS6_EEENSN_IJSD_SD_EEES6_PiJS6_EEE10hipError_tPvRmT3_T4_T5_T6_T7_T9_mT8_P12ihipStream_tbDpT10_ENKUlT_T0_E_clISt17integral_constantIbLb1EES1A_IbLb0EEEEDaS16_S17_EUlS16_E_NS1_11comp_targetILNS1_3genE5ELNS1_11target_archE942ELNS1_3gpuE9ELNS1_3repE0EEENS1_30default_config_static_selectorELNS0_4arch9wavefront6targetE0EEEvT1_
	.p2align	8
	.type	_ZN7rocprim17ROCPRIM_400000_NS6detail17trampoline_kernelINS0_14default_configENS1_25partition_config_selectorILNS1_17partition_subalgoE5ElNS0_10empty_typeEbEEZZNS1_14partition_implILS5_5ELb0ES3_mN6hipcub16HIPCUB_304000_NS21CountingInputIteratorIllEEPS6_NSA_22TransformInputIteratorIbN2at6native12_GLOBAL__N_19NonZeroOpIiEEPKilEENS0_5tupleIJPlS6_EEENSN_IJSD_SD_EEES6_PiJS6_EEE10hipError_tPvRmT3_T4_T5_T6_T7_T9_mT8_P12ihipStream_tbDpT10_ENKUlT_T0_E_clISt17integral_constantIbLb1EES1A_IbLb0EEEEDaS16_S17_EUlS16_E_NS1_11comp_targetILNS1_3genE5ELNS1_11target_archE942ELNS1_3gpuE9ELNS1_3repE0EEENS1_30default_config_static_selectorELNS0_4arch9wavefront6targetE0EEEvT1_,@function
_ZN7rocprim17ROCPRIM_400000_NS6detail17trampoline_kernelINS0_14default_configENS1_25partition_config_selectorILNS1_17partition_subalgoE5ElNS0_10empty_typeEbEEZZNS1_14partition_implILS5_5ELb0ES3_mN6hipcub16HIPCUB_304000_NS21CountingInputIteratorIllEEPS6_NSA_22TransformInputIteratorIbN2at6native12_GLOBAL__N_19NonZeroOpIiEEPKilEENS0_5tupleIJPlS6_EEENSN_IJSD_SD_EEES6_PiJS6_EEE10hipError_tPvRmT3_T4_T5_T6_T7_T9_mT8_P12ihipStream_tbDpT10_ENKUlT_T0_E_clISt17integral_constantIbLb1EES1A_IbLb0EEEEDaS16_S17_EUlS16_E_NS1_11comp_targetILNS1_3genE5ELNS1_11target_archE942ELNS1_3gpuE9ELNS1_3repE0EEENS1_30default_config_static_selectorELNS0_4arch9wavefront6targetE0EEEvT1_: ; @_ZN7rocprim17ROCPRIM_400000_NS6detail17trampoline_kernelINS0_14default_configENS1_25partition_config_selectorILNS1_17partition_subalgoE5ElNS0_10empty_typeEbEEZZNS1_14partition_implILS5_5ELb0ES3_mN6hipcub16HIPCUB_304000_NS21CountingInputIteratorIllEEPS6_NSA_22TransformInputIteratorIbN2at6native12_GLOBAL__N_19NonZeroOpIiEEPKilEENS0_5tupleIJPlS6_EEENSN_IJSD_SD_EEES6_PiJS6_EEE10hipError_tPvRmT3_T4_T5_T6_T7_T9_mT8_P12ihipStream_tbDpT10_ENKUlT_T0_E_clISt17integral_constantIbLb1EES1A_IbLb0EEEEDaS16_S17_EUlS16_E_NS1_11comp_targetILNS1_3genE5ELNS1_11target_archE942ELNS1_3gpuE9ELNS1_3repE0EEENS1_30default_config_static_selectorELNS0_4arch9wavefront6targetE0EEEvT1_
; %bb.0:
	.section	.rodata,"a",@progbits
	.p2align	6, 0x0
	.amdhsa_kernel _ZN7rocprim17ROCPRIM_400000_NS6detail17trampoline_kernelINS0_14default_configENS1_25partition_config_selectorILNS1_17partition_subalgoE5ElNS0_10empty_typeEbEEZZNS1_14partition_implILS5_5ELb0ES3_mN6hipcub16HIPCUB_304000_NS21CountingInputIteratorIllEEPS6_NSA_22TransformInputIteratorIbN2at6native12_GLOBAL__N_19NonZeroOpIiEEPKilEENS0_5tupleIJPlS6_EEENSN_IJSD_SD_EEES6_PiJS6_EEE10hipError_tPvRmT3_T4_T5_T6_T7_T9_mT8_P12ihipStream_tbDpT10_ENKUlT_T0_E_clISt17integral_constantIbLb1EES1A_IbLb0EEEEDaS16_S17_EUlS16_E_NS1_11comp_targetILNS1_3genE5ELNS1_11target_archE942ELNS1_3gpuE9ELNS1_3repE0EEENS1_30default_config_static_selectorELNS0_4arch9wavefront6targetE0EEEvT1_
		.amdhsa_group_segment_fixed_size 0
		.amdhsa_private_segment_fixed_size 0
		.amdhsa_kernarg_size 120
		.amdhsa_user_sgpr_count 15
		.amdhsa_user_sgpr_dispatch_ptr 0
		.amdhsa_user_sgpr_queue_ptr 0
		.amdhsa_user_sgpr_kernarg_segment_ptr 1
		.amdhsa_user_sgpr_dispatch_id 0
		.amdhsa_user_sgpr_private_segment_size 0
		.amdhsa_wavefront_size32 1
		.amdhsa_uses_dynamic_stack 0
		.amdhsa_enable_private_segment 0
		.amdhsa_system_sgpr_workgroup_id_x 1
		.amdhsa_system_sgpr_workgroup_id_y 0
		.amdhsa_system_sgpr_workgroup_id_z 0
		.amdhsa_system_sgpr_workgroup_info 0
		.amdhsa_system_vgpr_workitem_id 0
		.amdhsa_next_free_vgpr 1
		.amdhsa_next_free_sgpr 1
		.amdhsa_reserve_vcc 0
		.amdhsa_float_round_mode_32 0
		.amdhsa_float_round_mode_16_64 0
		.amdhsa_float_denorm_mode_32 3
		.amdhsa_float_denorm_mode_16_64 3
		.amdhsa_dx10_clamp 1
		.amdhsa_ieee_mode 1
		.amdhsa_fp16_overflow 0
		.amdhsa_workgroup_processor_mode 1
		.amdhsa_memory_ordered 1
		.amdhsa_forward_progress 0
		.amdhsa_shared_vgpr_count 0
		.amdhsa_exception_fp_ieee_invalid_op 0
		.amdhsa_exception_fp_denorm_src 0
		.amdhsa_exception_fp_ieee_div_zero 0
		.amdhsa_exception_fp_ieee_overflow 0
		.amdhsa_exception_fp_ieee_underflow 0
		.amdhsa_exception_fp_ieee_inexact 0
		.amdhsa_exception_int_div_zero 0
	.end_amdhsa_kernel
	.section	.text._ZN7rocprim17ROCPRIM_400000_NS6detail17trampoline_kernelINS0_14default_configENS1_25partition_config_selectorILNS1_17partition_subalgoE5ElNS0_10empty_typeEbEEZZNS1_14partition_implILS5_5ELb0ES3_mN6hipcub16HIPCUB_304000_NS21CountingInputIteratorIllEEPS6_NSA_22TransformInputIteratorIbN2at6native12_GLOBAL__N_19NonZeroOpIiEEPKilEENS0_5tupleIJPlS6_EEENSN_IJSD_SD_EEES6_PiJS6_EEE10hipError_tPvRmT3_T4_T5_T6_T7_T9_mT8_P12ihipStream_tbDpT10_ENKUlT_T0_E_clISt17integral_constantIbLb1EES1A_IbLb0EEEEDaS16_S17_EUlS16_E_NS1_11comp_targetILNS1_3genE5ELNS1_11target_archE942ELNS1_3gpuE9ELNS1_3repE0EEENS1_30default_config_static_selectorELNS0_4arch9wavefront6targetE0EEEvT1_,"axG",@progbits,_ZN7rocprim17ROCPRIM_400000_NS6detail17trampoline_kernelINS0_14default_configENS1_25partition_config_selectorILNS1_17partition_subalgoE5ElNS0_10empty_typeEbEEZZNS1_14partition_implILS5_5ELb0ES3_mN6hipcub16HIPCUB_304000_NS21CountingInputIteratorIllEEPS6_NSA_22TransformInputIteratorIbN2at6native12_GLOBAL__N_19NonZeroOpIiEEPKilEENS0_5tupleIJPlS6_EEENSN_IJSD_SD_EEES6_PiJS6_EEE10hipError_tPvRmT3_T4_T5_T6_T7_T9_mT8_P12ihipStream_tbDpT10_ENKUlT_T0_E_clISt17integral_constantIbLb1EES1A_IbLb0EEEEDaS16_S17_EUlS16_E_NS1_11comp_targetILNS1_3genE5ELNS1_11target_archE942ELNS1_3gpuE9ELNS1_3repE0EEENS1_30default_config_static_selectorELNS0_4arch9wavefront6targetE0EEEvT1_,comdat
.Lfunc_end203:
	.size	_ZN7rocprim17ROCPRIM_400000_NS6detail17trampoline_kernelINS0_14default_configENS1_25partition_config_selectorILNS1_17partition_subalgoE5ElNS0_10empty_typeEbEEZZNS1_14partition_implILS5_5ELb0ES3_mN6hipcub16HIPCUB_304000_NS21CountingInputIteratorIllEEPS6_NSA_22TransformInputIteratorIbN2at6native12_GLOBAL__N_19NonZeroOpIiEEPKilEENS0_5tupleIJPlS6_EEENSN_IJSD_SD_EEES6_PiJS6_EEE10hipError_tPvRmT3_T4_T5_T6_T7_T9_mT8_P12ihipStream_tbDpT10_ENKUlT_T0_E_clISt17integral_constantIbLb1EES1A_IbLb0EEEEDaS16_S17_EUlS16_E_NS1_11comp_targetILNS1_3genE5ELNS1_11target_archE942ELNS1_3gpuE9ELNS1_3repE0EEENS1_30default_config_static_selectorELNS0_4arch9wavefront6targetE0EEEvT1_, .Lfunc_end203-_ZN7rocprim17ROCPRIM_400000_NS6detail17trampoline_kernelINS0_14default_configENS1_25partition_config_selectorILNS1_17partition_subalgoE5ElNS0_10empty_typeEbEEZZNS1_14partition_implILS5_5ELb0ES3_mN6hipcub16HIPCUB_304000_NS21CountingInputIteratorIllEEPS6_NSA_22TransformInputIteratorIbN2at6native12_GLOBAL__N_19NonZeroOpIiEEPKilEENS0_5tupleIJPlS6_EEENSN_IJSD_SD_EEES6_PiJS6_EEE10hipError_tPvRmT3_T4_T5_T6_T7_T9_mT8_P12ihipStream_tbDpT10_ENKUlT_T0_E_clISt17integral_constantIbLb1EES1A_IbLb0EEEEDaS16_S17_EUlS16_E_NS1_11comp_targetILNS1_3genE5ELNS1_11target_archE942ELNS1_3gpuE9ELNS1_3repE0EEENS1_30default_config_static_selectorELNS0_4arch9wavefront6targetE0EEEvT1_
                                        ; -- End function
	.section	.AMDGPU.csdata,"",@progbits
; Kernel info:
; codeLenInByte = 0
; NumSgprs: 0
; NumVgprs: 0
; ScratchSize: 0
; MemoryBound: 0
; FloatMode: 240
; IeeeMode: 1
; LDSByteSize: 0 bytes/workgroup (compile time only)
; SGPRBlocks: 0
; VGPRBlocks: 0
; NumSGPRsForWavesPerEU: 1
; NumVGPRsForWavesPerEU: 1
; Occupancy: 16
; WaveLimiterHint : 0
; COMPUTE_PGM_RSRC2:SCRATCH_EN: 0
; COMPUTE_PGM_RSRC2:USER_SGPR: 15
; COMPUTE_PGM_RSRC2:TRAP_HANDLER: 0
; COMPUTE_PGM_RSRC2:TGID_X_EN: 1
; COMPUTE_PGM_RSRC2:TGID_Y_EN: 0
; COMPUTE_PGM_RSRC2:TGID_Z_EN: 0
; COMPUTE_PGM_RSRC2:TIDIG_COMP_CNT: 0
	.section	.text._ZN7rocprim17ROCPRIM_400000_NS6detail17trampoline_kernelINS0_14default_configENS1_25partition_config_selectorILNS1_17partition_subalgoE5ElNS0_10empty_typeEbEEZZNS1_14partition_implILS5_5ELb0ES3_mN6hipcub16HIPCUB_304000_NS21CountingInputIteratorIllEEPS6_NSA_22TransformInputIteratorIbN2at6native12_GLOBAL__N_19NonZeroOpIiEEPKilEENS0_5tupleIJPlS6_EEENSN_IJSD_SD_EEES6_PiJS6_EEE10hipError_tPvRmT3_T4_T5_T6_T7_T9_mT8_P12ihipStream_tbDpT10_ENKUlT_T0_E_clISt17integral_constantIbLb1EES1A_IbLb0EEEEDaS16_S17_EUlS16_E_NS1_11comp_targetILNS1_3genE4ELNS1_11target_archE910ELNS1_3gpuE8ELNS1_3repE0EEENS1_30default_config_static_selectorELNS0_4arch9wavefront6targetE0EEEvT1_,"axG",@progbits,_ZN7rocprim17ROCPRIM_400000_NS6detail17trampoline_kernelINS0_14default_configENS1_25partition_config_selectorILNS1_17partition_subalgoE5ElNS0_10empty_typeEbEEZZNS1_14partition_implILS5_5ELb0ES3_mN6hipcub16HIPCUB_304000_NS21CountingInputIteratorIllEEPS6_NSA_22TransformInputIteratorIbN2at6native12_GLOBAL__N_19NonZeroOpIiEEPKilEENS0_5tupleIJPlS6_EEENSN_IJSD_SD_EEES6_PiJS6_EEE10hipError_tPvRmT3_T4_T5_T6_T7_T9_mT8_P12ihipStream_tbDpT10_ENKUlT_T0_E_clISt17integral_constantIbLb1EES1A_IbLb0EEEEDaS16_S17_EUlS16_E_NS1_11comp_targetILNS1_3genE4ELNS1_11target_archE910ELNS1_3gpuE8ELNS1_3repE0EEENS1_30default_config_static_selectorELNS0_4arch9wavefront6targetE0EEEvT1_,comdat
	.globl	_ZN7rocprim17ROCPRIM_400000_NS6detail17trampoline_kernelINS0_14default_configENS1_25partition_config_selectorILNS1_17partition_subalgoE5ElNS0_10empty_typeEbEEZZNS1_14partition_implILS5_5ELb0ES3_mN6hipcub16HIPCUB_304000_NS21CountingInputIteratorIllEEPS6_NSA_22TransformInputIteratorIbN2at6native12_GLOBAL__N_19NonZeroOpIiEEPKilEENS0_5tupleIJPlS6_EEENSN_IJSD_SD_EEES6_PiJS6_EEE10hipError_tPvRmT3_T4_T5_T6_T7_T9_mT8_P12ihipStream_tbDpT10_ENKUlT_T0_E_clISt17integral_constantIbLb1EES1A_IbLb0EEEEDaS16_S17_EUlS16_E_NS1_11comp_targetILNS1_3genE4ELNS1_11target_archE910ELNS1_3gpuE8ELNS1_3repE0EEENS1_30default_config_static_selectorELNS0_4arch9wavefront6targetE0EEEvT1_ ; -- Begin function _ZN7rocprim17ROCPRIM_400000_NS6detail17trampoline_kernelINS0_14default_configENS1_25partition_config_selectorILNS1_17partition_subalgoE5ElNS0_10empty_typeEbEEZZNS1_14partition_implILS5_5ELb0ES3_mN6hipcub16HIPCUB_304000_NS21CountingInputIteratorIllEEPS6_NSA_22TransformInputIteratorIbN2at6native12_GLOBAL__N_19NonZeroOpIiEEPKilEENS0_5tupleIJPlS6_EEENSN_IJSD_SD_EEES6_PiJS6_EEE10hipError_tPvRmT3_T4_T5_T6_T7_T9_mT8_P12ihipStream_tbDpT10_ENKUlT_T0_E_clISt17integral_constantIbLb1EES1A_IbLb0EEEEDaS16_S17_EUlS16_E_NS1_11comp_targetILNS1_3genE4ELNS1_11target_archE910ELNS1_3gpuE8ELNS1_3repE0EEENS1_30default_config_static_selectorELNS0_4arch9wavefront6targetE0EEEvT1_
	.p2align	8
	.type	_ZN7rocprim17ROCPRIM_400000_NS6detail17trampoline_kernelINS0_14default_configENS1_25partition_config_selectorILNS1_17partition_subalgoE5ElNS0_10empty_typeEbEEZZNS1_14partition_implILS5_5ELb0ES3_mN6hipcub16HIPCUB_304000_NS21CountingInputIteratorIllEEPS6_NSA_22TransformInputIteratorIbN2at6native12_GLOBAL__N_19NonZeroOpIiEEPKilEENS0_5tupleIJPlS6_EEENSN_IJSD_SD_EEES6_PiJS6_EEE10hipError_tPvRmT3_T4_T5_T6_T7_T9_mT8_P12ihipStream_tbDpT10_ENKUlT_T0_E_clISt17integral_constantIbLb1EES1A_IbLb0EEEEDaS16_S17_EUlS16_E_NS1_11comp_targetILNS1_3genE4ELNS1_11target_archE910ELNS1_3gpuE8ELNS1_3repE0EEENS1_30default_config_static_selectorELNS0_4arch9wavefront6targetE0EEEvT1_,@function
_ZN7rocprim17ROCPRIM_400000_NS6detail17trampoline_kernelINS0_14default_configENS1_25partition_config_selectorILNS1_17partition_subalgoE5ElNS0_10empty_typeEbEEZZNS1_14partition_implILS5_5ELb0ES3_mN6hipcub16HIPCUB_304000_NS21CountingInputIteratorIllEEPS6_NSA_22TransformInputIteratorIbN2at6native12_GLOBAL__N_19NonZeroOpIiEEPKilEENS0_5tupleIJPlS6_EEENSN_IJSD_SD_EEES6_PiJS6_EEE10hipError_tPvRmT3_T4_T5_T6_T7_T9_mT8_P12ihipStream_tbDpT10_ENKUlT_T0_E_clISt17integral_constantIbLb1EES1A_IbLb0EEEEDaS16_S17_EUlS16_E_NS1_11comp_targetILNS1_3genE4ELNS1_11target_archE910ELNS1_3gpuE8ELNS1_3repE0EEENS1_30default_config_static_selectorELNS0_4arch9wavefront6targetE0EEEvT1_: ; @_ZN7rocprim17ROCPRIM_400000_NS6detail17trampoline_kernelINS0_14default_configENS1_25partition_config_selectorILNS1_17partition_subalgoE5ElNS0_10empty_typeEbEEZZNS1_14partition_implILS5_5ELb0ES3_mN6hipcub16HIPCUB_304000_NS21CountingInputIteratorIllEEPS6_NSA_22TransformInputIteratorIbN2at6native12_GLOBAL__N_19NonZeroOpIiEEPKilEENS0_5tupleIJPlS6_EEENSN_IJSD_SD_EEES6_PiJS6_EEE10hipError_tPvRmT3_T4_T5_T6_T7_T9_mT8_P12ihipStream_tbDpT10_ENKUlT_T0_E_clISt17integral_constantIbLb1EES1A_IbLb0EEEEDaS16_S17_EUlS16_E_NS1_11comp_targetILNS1_3genE4ELNS1_11target_archE910ELNS1_3gpuE8ELNS1_3repE0EEENS1_30default_config_static_selectorELNS0_4arch9wavefront6targetE0EEEvT1_
; %bb.0:
	.section	.rodata,"a",@progbits
	.p2align	6, 0x0
	.amdhsa_kernel _ZN7rocprim17ROCPRIM_400000_NS6detail17trampoline_kernelINS0_14default_configENS1_25partition_config_selectorILNS1_17partition_subalgoE5ElNS0_10empty_typeEbEEZZNS1_14partition_implILS5_5ELb0ES3_mN6hipcub16HIPCUB_304000_NS21CountingInputIteratorIllEEPS6_NSA_22TransformInputIteratorIbN2at6native12_GLOBAL__N_19NonZeroOpIiEEPKilEENS0_5tupleIJPlS6_EEENSN_IJSD_SD_EEES6_PiJS6_EEE10hipError_tPvRmT3_T4_T5_T6_T7_T9_mT8_P12ihipStream_tbDpT10_ENKUlT_T0_E_clISt17integral_constantIbLb1EES1A_IbLb0EEEEDaS16_S17_EUlS16_E_NS1_11comp_targetILNS1_3genE4ELNS1_11target_archE910ELNS1_3gpuE8ELNS1_3repE0EEENS1_30default_config_static_selectorELNS0_4arch9wavefront6targetE0EEEvT1_
		.amdhsa_group_segment_fixed_size 0
		.amdhsa_private_segment_fixed_size 0
		.amdhsa_kernarg_size 120
		.amdhsa_user_sgpr_count 15
		.amdhsa_user_sgpr_dispatch_ptr 0
		.amdhsa_user_sgpr_queue_ptr 0
		.amdhsa_user_sgpr_kernarg_segment_ptr 1
		.amdhsa_user_sgpr_dispatch_id 0
		.amdhsa_user_sgpr_private_segment_size 0
		.amdhsa_wavefront_size32 1
		.amdhsa_uses_dynamic_stack 0
		.amdhsa_enable_private_segment 0
		.amdhsa_system_sgpr_workgroup_id_x 1
		.amdhsa_system_sgpr_workgroup_id_y 0
		.amdhsa_system_sgpr_workgroup_id_z 0
		.amdhsa_system_sgpr_workgroup_info 0
		.amdhsa_system_vgpr_workitem_id 0
		.amdhsa_next_free_vgpr 1
		.amdhsa_next_free_sgpr 1
		.amdhsa_reserve_vcc 0
		.amdhsa_float_round_mode_32 0
		.amdhsa_float_round_mode_16_64 0
		.amdhsa_float_denorm_mode_32 3
		.amdhsa_float_denorm_mode_16_64 3
		.amdhsa_dx10_clamp 1
		.amdhsa_ieee_mode 1
		.amdhsa_fp16_overflow 0
		.amdhsa_workgroup_processor_mode 1
		.amdhsa_memory_ordered 1
		.amdhsa_forward_progress 0
		.amdhsa_shared_vgpr_count 0
		.amdhsa_exception_fp_ieee_invalid_op 0
		.amdhsa_exception_fp_denorm_src 0
		.amdhsa_exception_fp_ieee_div_zero 0
		.amdhsa_exception_fp_ieee_overflow 0
		.amdhsa_exception_fp_ieee_underflow 0
		.amdhsa_exception_fp_ieee_inexact 0
		.amdhsa_exception_int_div_zero 0
	.end_amdhsa_kernel
	.section	.text._ZN7rocprim17ROCPRIM_400000_NS6detail17trampoline_kernelINS0_14default_configENS1_25partition_config_selectorILNS1_17partition_subalgoE5ElNS0_10empty_typeEbEEZZNS1_14partition_implILS5_5ELb0ES3_mN6hipcub16HIPCUB_304000_NS21CountingInputIteratorIllEEPS6_NSA_22TransformInputIteratorIbN2at6native12_GLOBAL__N_19NonZeroOpIiEEPKilEENS0_5tupleIJPlS6_EEENSN_IJSD_SD_EEES6_PiJS6_EEE10hipError_tPvRmT3_T4_T5_T6_T7_T9_mT8_P12ihipStream_tbDpT10_ENKUlT_T0_E_clISt17integral_constantIbLb1EES1A_IbLb0EEEEDaS16_S17_EUlS16_E_NS1_11comp_targetILNS1_3genE4ELNS1_11target_archE910ELNS1_3gpuE8ELNS1_3repE0EEENS1_30default_config_static_selectorELNS0_4arch9wavefront6targetE0EEEvT1_,"axG",@progbits,_ZN7rocprim17ROCPRIM_400000_NS6detail17trampoline_kernelINS0_14default_configENS1_25partition_config_selectorILNS1_17partition_subalgoE5ElNS0_10empty_typeEbEEZZNS1_14partition_implILS5_5ELb0ES3_mN6hipcub16HIPCUB_304000_NS21CountingInputIteratorIllEEPS6_NSA_22TransformInputIteratorIbN2at6native12_GLOBAL__N_19NonZeroOpIiEEPKilEENS0_5tupleIJPlS6_EEENSN_IJSD_SD_EEES6_PiJS6_EEE10hipError_tPvRmT3_T4_T5_T6_T7_T9_mT8_P12ihipStream_tbDpT10_ENKUlT_T0_E_clISt17integral_constantIbLb1EES1A_IbLb0EEEEDaS16_S17_EUlS16_E_NS1_11comp_targetILNS1_3genE4ELNS1_11target_archE910ELNS1_3gpuE8ELNS1_3repE0EEENS1_30default_config_static_selectorELNS0_4arch9wavefront6targetE0EEEvT1_,comdat
.Lfunc_end204:
	.size	_ZN7rocprim17ROCPRIM_400000_NS6detail17trampoline_kernelINS0_14default_configENS1_25partition_config_selectorILNS1_17partition_subalgoE5ElNS0_10empty_typeEbEEZZNS1_14partition_implILS5_5ELb0ES3_mN6hipcub16HIPCUB_304000_NS21CountingInputIteratorIllEEPS6_NSA_22TransformInputIteratorIbN2at6native12_GLOBAL__N_19NonZeroOpIiEEPKilEENS0_5tupleIJPlS6_EEENSN_IJSD_SD_EEES6_PiJS6_EEE10hipError_tPvRmT3_T4_T5_T6_T7_T9_mT8_P12ihipStream_tbDpT10_ENKUlT_T0_E_clISt17integral_constantIbLb1EES1A_IbLb0EEEEDaS16_S17_EUlS16_E_NS1_11comp_targetILNS1_3genE4ELNS1_11target_archE910ELNS1_3gpuE8ELNS1_3repE0EEENS1_30default_config_static_selectorELNS0_4arch9wavefront6targetE0EEEvT1_, .Lfunc_end204-_ZN7rocprim17ROCPRIM_400000_NS6detail17trampoline_kernelINS0_14default_configENS1_25partition_config_selectorILNS1_17partition_subalgoE5ElNS0_10empty_typeEbEEZZNS1_14partition_implILS5_5ELb0ES3_mN6hipcub16HIPCUB_304000_NS21CountingInputIteratorIllEEPS6_NSA_22TransformInputIteratorIbN2at6native12_GLOBAL__N_19NonZeroOpIiEEPKilEENS0_5tupleIJPlS6_EEENSN_IJSD_SD_EEES6_PiJS6_EEE10hipError_tPvRmT3_T4_T5_T6_T7_T9_mT8_P12ihipStream_tbDpT10_ENKUlT_T0_E_clISt17integral_constantIbLb1EES1A_IbLb0EEEEDaS16_S17_EUlS16_E_NS1_11comp_targetILNS1_3genE4ELNS1_11target_archE910ELNS1_3gpuE8ELNS1_3repE0EEENS1_30default_config_static_selectorELNS0_4arch9wavefront6targetE0EEEvT1_
                                        ; -- End function
	.section	.AMDGPU.csdata,"",@progbits
; Kernel info:
; codeLenInByte = 0
; NumSgprs: 0
; NumVgprs: 0
; ScratchSize: 0
; MemoryBound: 0
; FloatMode: 240
; IeeeMode: 1
; LDSByteSize: 0 bytes/workgroup (compile time only)
; SGPRBlocks: 0
; VGPRBlocks: 0
; NumSGPRsForWavesPerEU: 1
; NumVGPRsForWavesPerEU: 1
; Occupancy: 15
; WaveLimiterHint : 0
; COMPUTE_PGM_RSRC2:SCRATCH_EN: 0
; COMPUTE_PGM_RSRC2:USER_SGPR: 15
; COMPUTE_PGM_RSRC2:TRAP_HANDLER: 0
; COMPUTE_PGM_RSRC2:TGID_X_EN: 1
; COMPUTE_PGM_RSRC2:TGID_Y_EN: 0
; COMPUTE_PGM_RSRC2:TGID_Z_EN: 0
; COMPUTE_PGM_RSRC2:TIDIG_COMP_CNT: 0
	.section	.text._ZN7rocprim17ROCPRIM_400000_NS6detail17trampoline_kernelINS0_14default_configENS1_25partition_config_selectorILNS1_17partition_subalgoE5ElNS0_10empty_typeEbEEZZNS1_14partition_implILS5_5ELb0ES3_mN6hipcub16HIPCUB_304000_NS21CountingInputIteratorIllEEPS6_NSA_22TransformInputIteratorIbN2at6native12_GLOBAL__N_19NonZeroOpIiEEPKilEENS0_5tupleIJPlS6_EEENSN_IJSD_SD_EEES6_PiJS6_EEE10hipError_tPvRmT3_T4_T5_T6_T7_T9_mT8_P12ihipStream_tbDpT10_ENKUlT_T0_E_clISt17integral_constantIbLb1EES1A_IbLb0EEEEDaS16_S17_EUlS16_E_NS1_11comp_targetILNS1_3genE3ELNS1_11target_archE908ELNS1_3gpuE7ELNS1_3repE0EEENS1_30default_config_static_selectorELNS0_4arch9wavefront6targetE0EEEvT1_,"axG",@progbits,_ZN7rocprim17ROCPRIM_400000_NS6detail17trampoline_kernelINS0_14default_configENS1_25partition_config_selectorILNS1_17partition_subalgoE5ElNS0_10empty_typeEbEEZZNS1_14partition_implILS5_5ELb0ES3_mN6hipcub16HIPCUB_304000_NS21CountingInputIteratorIllEEPS6_NSA_22TransformInputIteratorIbN2at6native12_GLOBAL__N_19NonZeroOpIiEEPKilEENS0_5tupleIJPlS6_EEENSN_IJSD_SD_EEES6_PiJS6_EEE10hipError_tPvRmT3_T4_T5_T6_T7_T9_mT8_P12ihipStream_tbDpT10_ENKUlT_T0_E_clISt17integral_constantIbLb1EES1A_IbLb0EEEEDaS16_S17_EUlS16_E_NS1_11comp_targetILNS1_3genE3ELNS1_11target_archE908ELNS1_3gpuE7ELNS1_3repE0EEENS1_30default_config_static_selectorELNS0_4arch9wavefront6targetE0EEEvT1_,comdat
	.globl	_ZN7rocprim17ROCPRIM_400000_NS6detail17trampoline_kernelINS0_14default_configENS1_25partition_config_selectorILNS1_17partition_subalgoE5ElNS0_10empty_typeEbEEZZNS1_14partition_implILS5_5ELb0ES3_mN6hipcub16HIPCUB_304000_NS21CountingInputIteratorIllEEPS6_NSA_22TransformInputIteratorIbN2at6native12_GLOBAL__N_19NonZeroOpIiEEPKilEENS0_5tupleIJPlS6_EEENSN_IJSD_SD_EEES6_PiJS6_EEE10hipError_tPvRmT3_T4_T5_T6_T7_T9_mT8_P12ihipStream_tbDpT10_ENKUlT_T0_E_clISt17integral_constantIbLb1EES1A_IbLb0EEEEDaS16_S17_EUlS16_E_NS1_11comp_targetILNS1_3genE3ELNS1_11target_archE908ELNS1_3gpuE7ELNS1_3repE0EEENS1_30default_config_static_selectorELNS0_4arch9wavefront6targetE0EEEvT1_ ; -- Begin function _ZN7rocprim17ROCPRIM_400000_NS6detail17trampoline_kernelINS0_14default_configENS1_25partition_config_selectorILNS1_17partition_subalgoE5ElNS0_10empty_typeEbEEZZNS1_14partition_implILS5_5ELb0ES3_mN6hipcub16HIPCUB_304000_NS21CountingInputIteratorIllEEPS6_NSA_22TransformInputIteratorIbN2at6native12_GLOBAL__N_19NonZeroOpIiEEPKilEENS0_5tupleIJPlS6_EEENSN_IJSD_SD_EEES6_PiJS6_EEE10hipError_tPvRmT3_T4_T5_T6_T7_T9_mT8_P12ihipStream_tbDpT10_ENKUlT_T0_E_clISt17integral_constantIbLb1EES1A_IbLb0EEEEDaS16_S17_EUlS16_E_NS1_11comp_targetILNS1_3genE3ELNS1_11target_archE908ELNS1_3gpuE7ELNS1_3repE0EEENS1_30default_config_static_selectorELNS0_4arch9wavefront6targetE0EEEvT1_
	.p2align	8
	.type	_ZN7rocprim17ROCPRIM_400000_NS6detail17trampoline_kernelINS0_14default_configENS1_25partition_config_selectorILNS1_17partition_subalgoE5ElNS0_10empty_typeEbEEZZNS1_14partition_implILS5_5ELb0ES3_mN6hipcub16HIPCUB_304000_NS21CountingInputIteratorIllEEPS6_NSA_22TransformInputIteratorIbN2at6native12_GLOBAL__N_19NonZeroOpIiEEPKilEENS0_5tupleIJPlS6_EEENSN_IJSD_SD_EEES6_PiJS6_EEE10hipError_tPvRmT3_T4_T5_T6_T7_T9_mT8_P12ihipStream_tbDpT10_ENKUlT_T0_E_clISt17integral_constantIbLb1EES1A_IbLb0EEEEDaS16_S17_EUlS16_E_NS1_11comp_targetILNS1_3genE3ELNS1_11target_archE908ELNS1_3gpuE7ELNS1_3repE0EEENS1_30default_config_static_selectorELNS0_4arch9wavefront6targetE0EEEvT1_,@function
_ZN7rocprim17ROCPRIM_400000_NS6detail17trampoline_kernelINS0_14default_configENS1_25partition_config_selectorILNS1_17partition_subalgoE5ElNS0_10empty_typeEbEEZZNS1_14partition_implILS5_5ELb0ES3_mN6hipcub16HIPCUB_304000_NS21CountingInputIteratorIllEEPS6_NSA_22TransformInputIteratorIbN2at6native12_GLOBAL__N_19NonZeroOpIiEEPKilEENS0_5tupleIJPlS6_EEENSN_IJSD_SD_EEES6_PiJS6_EEE10hipError_tPvRmT3_T4_T5_T6_T7_T9_mT8_P12ihipStream_tbDpT10_ENKUlT_T0_E_clISt17integral_constantIbLb1EES1A_IbLb0EEEEDaS16_S17_EUlS16_E_NS1_11comp_targetILNS1_3genE3ELNS1_11target_archE908ELNS1_3gpuE7ELNS1_3repE0EEENS1_30default_config_static_selectorELNS0_4arch9wavefront6targetE0EEEvT1_: ; @_ZN7rocprim17ROCPRIM_400000_NS6detail17trampoline_kernelINS0_14default_configENS1_25partition_config_selectorILNS1_17partition_subalgoE5ElNS0_10empty_typeEbEEZZNS1_14partition_implILS5_5ELb0ES3_mN6hipcub16HIPCUB_304000_NS21CountingInputIteratorIllEEPS6_NSA_22TransformInputIteratorIbN2at6native12_GLOBAL__N_19NonZeroOpIiEEPKilEENS0_5tupleIJPlS6_EEENSN_IJSD_SD_EEES6_PiJS6_EEE10hipError_tPvRmT3_T4_T5_T6_T7_T9_mT8_P12ihipStream_tbDpT10_ENKUlT_T0_E_clISt17integral_constantIbLb1EES1A_IbLb0EEEEDaS16_S17_EUlS16_E_NS1_11comp_targetILNS1_3genE3ELNS1_11target_archE908ELNS1_3gpuE7ELNS1_3repE0EEENS1_30default_config_static_selectorELNS0_4arch9wavefront6targetE0EEEvT1_
; %bb.0:
	.section	.rodata,"a",@progbits
	.p2align	6, 0x0
	.amdhsa_kernel _ZN7rocprim17ROCPRIM_400000_NS6detail17trampoline_kernelINS0_14default_configENS1_25partition_config_selectorILNS1_17partition_subalgoE5ElNS0_10empty_typeEbEEZZNS1_14partition_implILS5_5ELb0ES3_mN6hipcub16HIPCUB_304000_NS21CountingInputIteratorIllEEPS6_NSA_22TransformInputIteratorIbN2at6native12_GLOBAL__N_19NonZeroOpIiEEPKilEENS0_5tupleIJPlS6_EEENSN_IJSD_SD_EEES6_PiJS6_EEE10hipError_tPvRmT3_T4_T5_T6_T7_T9_mT8_P12ihipStream_tbDpT10_ENKUlT_T0_E_clISt17integral_constantIbLb1EES1A_IbLb0EEEEDaS16_S17_EUlS16_E_NS1_11comp_targetILNS1_3genE3ELNS1_11target_archE908ELNS1_3gpuE7ELNS1_3repE0EEENS1_30default_config_static_selectorELNS0_4arch9wavefront6targetE0EEEvT1_
		.amdhsa_group_segment_fixed_size 0
		.amdhsa_private_segment_fixed_size 0
		.amdhsa_kernarg_size 120
		.amdhsa_user_sgpr_count 15
		.amdhsa_user_sgpr_dispatch_ptr 0
		.amdhsa_user_sgpr_queue_ptr 0
		.amdhsa_user_sgpr_kernarg_segment_ptr 1
		.amdhsa_user_sgpr_dispatch_id 0
		.amdhsa_user_sgpr_private_segment_size 0
		.amdhsa_wavefront_size32 1
		.amdhsa_uses_dynamic_stack 0
		.amdhsa_enable_private_segment 0
		.amdhsa_system_sgpr_workgroup_id_x 1
		.amdhsa_system_sgpr_workgroup_id_y 0
		.amdhsa_system_sgpr_workgroup_id_z 0
		.amdhsa_system_sgpr_workgroup_info 0
		.amdhsa_system_vgpr_workitem_id 0
		.amdhsa_next_free_vgpr 1
		.amdhsa_next_free_sgpr 1
		.amdhsa_reserve_vcc 0
		.amdhsa_float_round_mode_32 0
		.amdhsa_float_round_mode_16_64 0
		.amdhsa_float_denorm_mode_32 3
		.amdhsa_float_denorm_mode_16_64 3
		.amdhsa_dx10_clamp 1
		.amdhsa_ieee_mode 1
		.amdhsa_fp16_overflow 0
		.amdhsa_workgroup_processor_mode 1
		.amdhsa_memory_ordered 1
		.amdhsa_forward_progress 0
		.amdhsa_shared_vgpr_count 0
		.amdhsa_exception_fp_ieee_invalid_op 0
		.amdhsa_exception_fp_denorm_src 0
		.amdhsa_exception_fp_ieee_div_zero 0
		.amdhsa_exception_fp_ieee_overflow 0
		.amdhsa_exception_fp_ieee_underflow 0
		.amdhsa_exception_fp_ieee_inexact 0
		.amdhsa_exception_int_div_zero 0
	.end_amdhsa_kernel
	.section	.text._ZN7rocprim17ROCPRIM_400000_NS6detail17trampoline_kernelINS0_14default_configENS1_25partition_config_selectorILNS1_17partition_subalgoE5ElNS0_10empty_typeEbEEZZNS1_14partition_implILS5_5ELb0ES3_mN6hipcub16HIPCUB_304000_NS21CountingInputIteratorIllEEPS6_NSA_22TransformInputIteratorIbN2at6native12_GLOBAL__N_19NonZeroOpIiEEPKilEENS0_5tupleIJPlS6_EEENSN_IJSD_SD_EEES6_PiJS6_EEE10hipError_tPvRmT3_T4_T5_T6_T7_T9_mT8_P12ihipStream_tbDpT10_ENKUlT_T0_E_clISt17integral_constantIbLb1EES1A_IbLb0EEEEDaS16_S17_EUlS16_E_NS1_11comp_targetILNS1_3genE3ELNS1_11target_archE908ELNS1_3gpuE7ELNS1_3repE0EEENS1_30default_config_static_selectorELNS0_4arch9wavefront6targetE0EEEvT1_,"axG",@progbits,_ZN7rocprim17ROCPRIM_400000_NS6detail17trampoline_kernelINS0_14default_configENS1_25partition_config_selectorILNS1_17partition_subalgoE5ElNS0_10empty_typeEbEEZZNS1_14partition_implILS5_5ELb0ES3_mN6hipcub16HIPCUB_304000_NS21CountingInputIteratorIllEEPS6_NSA_22TransformInputIteratorIbN2at6native12_GLOBAL__N_19NonZeroOpIiEEPKilEENS0_5tupleIJPlS6_EEENSN_IJSD_SD_EEES6_PiJS6_EEE10hipError_tPvRmT3_T4_T5_T6_T7_T9_mT8_P12ihipStream_tbDpT10_ENKUlT_T0_E_clISt17integral_constantIbLb1EES1A_IbLb0EEEEDaS16_S17_EUlS16_E_NS1_11comp_targetILNS1_3genE3ELNS1_11target_archE908ELNS1_3gpuE7ELNS1_3repE0EEENS1_30default_config_static_selectorELNS0_4arch9wavefront6targetE0EEEvT1_,comdat
.Lfunc_end205:
	.size	_ZN7rocprim17ROCPRIM_400000_NS6detail17trampoline_kernelINS0_14default_configENS1_25partition_config_selectorILNS1_17partition_subalgoE5ElNS0_10empty_typeEbEEZZNS1_14partition_implILS5_5ELb0ES3_mN6hipcub16HIPCUB_304000_NS21CountingInputIteratorIllEEPS6_NSA_22TransformInputIteratorIbN2at6native12_GLOBAL__N_19NonZeroOpIiEEPKilEENS0_5tupleIJPlS6_EEENSN_IJSD_SD_EEES6_PiJS6_EEE10hipError_tPvRmT3_T4_T5_T6_T7_T9_mT8_P12ihipStream_tbDpT10_ENKUlT_T0_E_clISt17integral_constantIbLb1EES1A_IbLb0EEEEDaS16_S17_EUlS16_E_NS1_11comp_targetILNS1_3genE3ELNS1_11target_archE908ELNS1_3gpuE7ELNS1_3repE0EEENS1_30default_config_static_selectorELNS0_4arch9wavefront6targetE0EEEvT1_, .Lfunc_end205-_ZN7rocprim17ROCPRIM_400000_NS6detail17trampoline_kernelINS0_14default_configENS1_25partition_config_selectorILNS1_17partition_subalgoE5ElNS0_10empty_typeEbEEZZNS1_14partition_implILS5_5ELb0ES3_mN6hipcub16HIPCUB_304000_NS21CountingInputIteratorIllEEPS6_NSA_22TransformInputIteratorIbN2at6native12_GLOBAL__N_19NonZeroOpIiEEPKilEENS0_5tupleIJPlS6_EEENSN_IJSD_SD_EEES6_PiJS6_EEE10hipError_tPvRmT3_T4_T5_T6_T7_T9_mT8_P12ihipStream_tbDpT10_ENKUlT_T0_E_clISt17integral_constantIbLb1EES1A_IbLb0EEEEDaS16_S17_EUlS16_E_NS1_11comp_targetILNS1_3genE3ELNS1_11target_archE908ELNS1_3gpuE7ELNS1_3repE0EEENS1_30default_config_static_selectorELNS0_4arch9wavefront6targetE0EEEvT1_
                                        ; -- End function
	.section	.AMDGPU.csdata,"",@progbits
; Kernel info:
; codeLenInByte = 0
; NumSgprs: 0
; NumVgprs: 0
; ScratchSize: 0
; MemoryBound: 0
; FloatMode: 240
; IeeeMode: 1
; LDSByteSize: 0 bytes/workgroup (compile time only)
; SGPRBlocks: 0
; VGPRBlocks: 0
; NumSGPRsForWavesPerEU: 1
; NumVGPRsForWavesPerEU: 1
; Occupancy: 16
; WaveLimiterHint : 0
; COMPUTE_PGM_RSRC2:SCRATCH_EN: 0
; COMPUTE_PGM_RSRC2:USER_SGPR: 15
; COMPUTE_PGM_RSRC2:TRAP_HANDLER: 0
; COMPUTE_PGM_RSRC2:TGID_X_EN: 1
; COMPUTE_PGM_RSRC2:TGID_Y_EN: 0
; COMPUTE_PGM_RSRC2:TGID_Z_EN: 0
; COMPUTE_PGM_RSRC2:TIDIG_COMP_CNT: 0
	.section	.text._ZN7rocprim17ROCPRIM_400000_NS6detail17trampoline_kernelINS0_14default_configENS1_25partition_config_selectorILNS1_17partition_subalgoE5ElNS0_10empty_typeEbEEZZNS1_14partition_implILS5_5ELb0ES3_mN6hipcub16HIPCUB_304000_NS21CountingInputIteratorIllEEPS6_NSA_22TransformInputIteratorIbN2at6native12_GLOBAL__N_19NonZeroOpIiEEPKilEENS0_5tupleIJPlS6_EEENSN_IJSD_SD_EEES6_PiJS6_EEE10hipError_tPvRmT3_T4_T5_T6_T7_T9_mT8_P12ihipStream_tbDpT10_ENKUlT_T0_E_clISt17integral_constantIbLb1EES1A_IbLb0EEEEDaS16_S17_EUlS16_E_NS1_11comp_targetILNS1_3genE2ELNS1_11target_archE906ELNS1_3gpuE6ELNS1_3repE0EEENS1_30default_config_static_selectorELNS0_4arch9wavefront6targetE0EEEvT1_,"axG",@progbits,_ZN7rocprim17ROCPRIM_400000_NS6detail17trampoline_kernelINS0_14default_configENS1_25partition_config_selectorILNS1_17partition_subalgoE5ElNS0_10empty_typeEbEEZZNS1_14partition_implILS5_5ELb0ES3_mN6hipcub16HIPCUB_304000_NS21CountingInputIteratorIllEEPS6_NSA_22TransformInputIteratorIbN2at6native12_GLOBAL__N_19NonZeroOpIiEEPKilEENS0_5tupleIJPlS6_EEENSN_IJSD_SD_EEES6_PiJS6_EEE10hipError_tPvRmT3_T4_T5_T6_T7_T9_mT8_P12ihipStream_tbDpT10_ENKUlT_T0_E_clISt17integral_constantIbLb1EES1A_IbLb0EEEEDaS16_S17_EUlS16_E_NS1_11comp_targetILNS1_3genE2ELNS1_11target_archE906ELNS1_3gpuE6ELNS1_3repE0EEENS1_30default_config_static_selectorELNS0_4arch9wavefront6targetE0EEEvT1_,comdat
	.globl	_ZN7rocprim17ROCPRIM_400000_NS6detail17trampoline_kernelINS0_14default_configENS1_25partition_config_selectorILNS1_17partition_subalgoE5ElNS0_10empty_typeEbEEZZNS1_14partition_implILS5_5ELb0ES3_mN6hipcub16HIPCUB_304000_NS21CountingInputIteratorIllEEPS6_NSA_22TransformInputIteratorIbN2at6native12_GLOBAL__N_19NonZeroOpIiEEPKilEENS0_5tupleIJPlS6_EEENSN_IJSD_SD_EEES6_PiJS6_EEE10hipError_tPvRmT3_T4_T5_T6_T7_T9_mT8_P12ihipStream_tbDpT10_ENKUlT_T0_E_clISt17integral_constantIbLb1EES1A_IbLb0EEEEDaS16_S17_EUlS16_E_NS1_11comp_targetILNS1_3genE2ELNS1_11target_archE906ELNS1_3gpuE6ELNS1_3repE0EEENS1_30default_config_static_selectorELNS0_4arch9wavefront6targetE0EEEvT1_ ; -- Begin function _ZN7rocprim17ROCPRIM_400000_NS6detail17trampoline_kernelINS0_14default_configENS1_25partition_config_selectorILNS1_17partition_subalgoE5ElNS0_10empty_typeEbEEZZNS1_14partition_implILS5_5ELb0ES3_mN6hipcub16HIPCUB_304000_NS21CountingInputIteratorIllEEPS6_NSA_22TransformInputIteratorIbN2at6native12_GLOBAL__N_19NonZeroOpIiEEPKilEENS0_5tupleIJPlS6_EEENSN_IJSD_SD_EEES6_PiJS6_EEE10hipError_tPvRmT3_T4_T5_T6_T7_T9_mT8_P12ihipStream_tbDpT10_ENKUlT_T0_E_clISt17integral_constantIbLb1EES1A_IbLb0EEEEDaS16_S17_EUlS16_E_NS1_11comp_targetILNS1_3genE2ELNS1_11target_archE906ELNS1_3gpuE6ELNS1_3repE0EEENS1_30default_config_static_selectorELNS0_4arch9wavefront6targetE0EEEvT1_
	.p2align	8
	.type	_ZN7rocprim17ROCPRIM_400000_NS6detail17trampoline_kernelINS0_14default_configENS1_25partition_config_selectorILNS1_17partition_subalgoE5ElNS0_10empty_typeEbEEZZNS1_14partition_implILS5_5ELb0ES3_mN6hipcub16HIPCUB_304000_NS21CountingInputIteratorIllEEPS6_NSA_22TransformInputIteratorIbN2at6native12_GLOBAL__N_19NonZeroOpIiEEPKilEENS0_5tupleIJPlS6_EEENSN_IJSD_SD_EEES6_PiJS6_EEE10hipError_tPvRmT3_T4_T5_T6_T7_T9_mT8_P12ihipStream_tbDpT10_ENKUlT_T0_E_clISt17integral_constantIbLb1EES1A_IbLb0EEEEDaS16_S17_EUlS16_E_NS1_11comp_targetILNS1_3genE2ELNS1_11target_archE906ELNS1_3gpuE6ELNS1_3repE0EEENS1_30default_config_static_selectorELNS0_4arch9wavefront6targetE0EEEvT1_,@function
_ZN7rocprim17ROCPRIM_400000_NS6detail17trampoline_kernelINS0_14default_configENS1_25partition_config_selectorILNS1_17partition_subalgoE5ElNS0_10empty_typeEbEEZZNS1_14partition_implILS5_5ELb0ES3_mN6hipcub16HIPCUB_304000_NS21CountingInputIteratorIllEEPS6_NSA_22TransformInputIteratorIbN2at6native12_GLOBAL__N_19NonZeroOpIiEEPKilEENS0_5tupleIJPlS6_EEENSN_IJSD_SD_EEES6_PiJS6_EEE10hipError_tPvRmT3_T4_T5_T6_T7_T9_mT8_P12ihipStream_tbDpT10_ENKUlT_T0_E_clISt17integral_constantIbLb1EES1A_IbLb0EEEEDaS16_S17_EUlS16_E_NS1_11comp_targetILNS1_3genE2ELNS1_11target_archE906ELNS1_3gpuE6ELNS1_3repE0EEENS1_30default_config_static_selectorELNS0_4arch9wavefront6targetE0EEEvT1_: ; @_ZN7rocprim17ROCPRIM_400000_NS6detail17trampoline_kernelINS0_14default_configENS1_25partition_config_selectorILNS1_17partition_subalgoE5ElNS0_10empty_typeEbEEZZNS1_14partition_implILS5_5ELb0ES3_mN6hipcub16HIPCUB_304000_NS21CountingInputIteratorIllEEPS6_NSA_22TransformInputIteratorIbN2at6native12_GLOBAL__N_19NonZeroOpIiEEPKilEENS0_5tupleIJPlS6_EEENSN_IJSD_SD_EEES6_PiJS6_EEE10hipError_tPvRmT3_T4_T5_T6_T7_T9_mT8_P12ihipStream_tbDpT10_ENKUlT_T0_E_clISt17integral_constantIbLb1EES1A_IbLb0EEEEDaS16_S17_EUlS16_E_NS1_11comp_targetILNS1_3genE2ELNS1_11target_archE906ELNS1_3gpuE6ELNS1_3repE0EEENS1_30default_config_static_selectorELNS0_4arch9wavefront6targetE0EEEvT1_
; %bb.0:
	.section	.rodata,"a",@progbits
	.p2align	6, 0x0
	.amdhsa_kernel _ZN7rocprim17ROCPRIM_400000_NS6detail17trampoline_kernelINS0_14default_configENS1_25partition_config_selectorILNS1_17partition_subalgoE5ElNS0_10empty_typeEbEEZZNS1_14partition_implILS5_5ELb0ES3_mN6hipcub16HIPCUB_304000_NS21CountingInputIteratorIllEEPS6_NSA_22TransformInputIteratorIbN2at6native12_GLOBAL__N_19NonZeroOpIiEEPKilEENS0_5tupleIJPlS6_EEENSN_IJSD_SD_EEES6_PiJS6_EEE10hipError_tPvRmT3_T4_T5_T6_T7_T9_mT8_P12ihipStream_tbDpT10_ENKUlT_T0_E_clISt17integral_constantIbLb1EES1A_IbLb0EEEEDaS16_S17_EUlS16_E_NS1_11comp_targetILNS1_3genE2ELNS1_11target_archE906ELNS1_3gpuE6ELNS1_3repE0EEENS1_30default_config_static_selectorELNS0_4arch9wavefront6targetE0EEEvT1_
		.amdhsa_group_segment_fixed_size 0
		.amdhsa_private_segment_fixed_size 0
		.amdhsa_kernarg_size 120
		.amdhsa_user_sgpr_count 15
		.amdhsa_user_sgpr_dispatch_ptr 0
		.amdhsa_user_sgpr_queue_ptr 0
		.amdhsa_user_sgpr_kernarg_segment_ptr 1
		.amdhsa_user_sgpr_dispatch_id 0
		.amdhsa_user_sgpr_private_segment_size 0
		.amdhsa_wavefront_size32 1
		.amdhsa_uses_dynamic_stack 0
		.amdhsa_enable_private_segment 0
		.amdhsa_system_sgpr_workgroup_id_x 1
		.amdhsa_system_sgpr_workgroup_id_y 0
		.amdhsa_system_sgpr_workgroup_id_z 0
		.amdhsa_system_sgpr_workgroup_info 0
		.amdhsa_system_vgpr_workitem_id 0
		.amdhsa_next_free_vgpr 1
		.amdhsa_next_free_sgpr 1
		.amdhsa_reserve_vcc 0
		.amdhsa_float_round_mode_32 0
		.amdhsa_float_round_mode_16_64 0
		.amdhsa_float_denorm_mode_32 3
		.amdhsa_float_denorm_mode_16_64 3
		.amdhsa_dx10_clamp 1
		.amdhsa_ieee_mode 1
		.amdhsa_fp16_overflow 0
		.amdhsa_workgroup_processor_mode 1
		.amdhsa_memory_ordered 1
		.amdhsa_forward_progress 0
		.amdhsa_shared_vgpr_count 0
		.amdhsa_exception_fp_ieee_invalid_op 0
		.amdhsa_exception_fp_denorm_src 0
		.amdhsa_exception_fp_ieee_div_zero 0
		.amdhsa_exception_fp_ieee_overflow 0
		.amdhsa_exception_fp_ieee_underflow 0
		.amdhsa_exception_fp_ieee_inexact 0
		.amdhsa_exception_int_div_zero 0
	.end_amdhsa_kernel
	.section	.text._ZN7rocprim17ROCPRIM_400000_NS6detail17trampoline_kernelINS0_14default_configENS1_25partition_config_selectorILNS1_17partition_subalgoE5ElNS0_10empty_typeEbEEZZNS1_14partition_implILS5_5ELb0ES3_mN6hipcub16HIPCUB_304000_NS21CountingInputIteratorIllEEPS6_NSA_22TransformInputIteratorIbN2at6native12_GLOBAL__N_19NonZeroOpIiEEPKilEENS0_5tupleIJPlS6_EEENSN_IJSD_SD_EEES6_PiJS6_EEE10hipError_tPvRmT3_T4_T5_T6_T7_T9_mT8_P12ihipStream_tbDpT10_ENKUlT_T0_E_clISt17integral_constantIbLb1EES1A_IbLb0EEEEDaS16_S17_EUlS16_E_NS1_11comp_targetILNS1_3genE2ELNS1_11target_archE906ELNS1_3gpuE6ELNS1_3repE0EEENS1_30default_config_static_selectorELNS0_4arch9wavefront6targetE0EEEvT1_,"axG",@progbits,_ZN7rocprim17ROCPRIM_400000_NS6detail17trampoline_kernelINS0_14default_configENS1_25partition_config_selectorILNS1_17partition_subalgoE5ElNS0_10empty_typeEbEEZZNS1_14partition_implILS5_5ELb0ES3_mN6hipcub16HIPCUB_304000_NS21CountingInputIteratorIllEEPS6_NSA_22TransformInputIteratorIbN2at6native12_GLOBAL__N_19NonZeroOpIiEEPKilEENS0_5tupleIJPlS6_EEENSN_IJSD_SD_EEES6_PiJS6_EEE10hipError_tPvRmT3_T4_T5_T6_T7_T9_mT8_P12ihipStream_tbDpT10_ENKUlT_T0_E_clISt17integral_constantIbLb1EES1A_IbLb0EEEEDaS16_S17_EUlS16_E_NS1_11comp_targetILNS1_3genE2ELNS1_11target_archE906ELNS1_3gpuE6ELNS1_3repE0EEENS1_30default_config_static_selectorELNS0_4arch9wavefront6targetE0EEEvT1_,comdat
.Lfunc_end206:
	.size	_ZN7rocprim17ROCPRIM_400000_NS6detail17trampoline_kernelINS0_14default_configENS1_25partition_config_selectorILNS1_17partition_subalgoE5ElNS0_10empty_typeEbEEZZNS1_14partition_implILS5_5ELb0ES3_mN6hipcub16HIPCUB_304000_NS21CountingInputIteratorIllEEPS6_NSA_22TransformInputIteratorIbN2at6native12_GLOBAL__N_19NonZeroOpIiEEPKilEENS0_5tupleIJPlS6_EEENSN_IJSD_SD_EEES6_PiJS6_EEE10hipError_tPvRmT3_T4_T5_T6_T7_T9_mT8_P12ihipStream_tbDpT10_ENKUlT_T0_E_clISt17integral_constantIbLb1EES1A_IbLb0EEEEDaS16_S17_EUlS16_E_NS1_11comp_targetILNS1_3genE2ELNS1_11target_archE906ELNS1_3gpuE6ELNS1_3repE0EEENS1_30default_config_static_selectorELNS0_4arch9wavefront6targetE0EEEvT1_, .Lfunc_end206-_ZN7rocprim17ROCPRIM_400000_NS6detail17trampoline_kernelINS0_14default_configENS1_25partition_config_selectorILNS1_17partition_subalgoE5ElNS0_10empty_typeEbEEZZNS1_14partition_implILS5_5ELb0ES3_mN6hipcub16HIPCUB_304000_NS21CountingInputIteratorIllEEPS6_NSA_22TransformInputIteratorIbN2at6native12_GLOBAL__N_19NonZeroOpIiEEPKilEENS0_5tupleIJPlS6_EEENSN_IJSD_SD_EEES6_PiJS6_EEE10hipError_tPvRmT3_T4_T5_T6_T7_T9_mT8_P12ihipStream_tbDpT10_ENKUlT_T0_E_clISt17integral_constantIbLb1EES1A_IbLb0EEEEDaS16_S17_EUlS16_E_NS1_11comp_targetILNS1_3genE2ELNS1_11target_archE906ELNS1_3gpuE6ELNS1_3repE0EEENS1_30default_config_static_selectorELNS0_4arch9wavefront6targetE0EEEvT1_
                                        ; -- End function
	.section	.AMDGPU.csdata,"",@progbits
; Kernel info:
; codeLenInByte = 0
; NumSgprs: 0
; NumVgprs: 0
; ScratchSize: 0
; MemoryBound: 0
; FloatMode: 240
; IeeeMode: 1
; LDSByteSize: 0 bytes/workgroup (compile time only)
; SGPRBlocks: 0
; VGPRBlocks: 0
; NumSGPRsForWavesPerEU: 1
; NumVGPRsForWavesPerEU: 1
; Occupancy: 16
; WaveLimiterHint : 0
; COMPUTE_PGM_RSRC2:SCRATCH_EN: 0
; COMPUTE_PGM_RSRC2:USER_SGPR: 15
; COMPUTE_PGM_RSRC2:TRAP_HANDLER: 0
; COMPUTE_PGM_RSRC2:TGID_X_EN: 1
; COMPUTE_PGM_RSRC2:TGID_Y_EN: 0
; COMPUTE_PGM_RSRC2:TGID_Z_EN: 0
; COMPUTE_PGM_RSRC2:TIDIG_COMP_CNT: 0
	.section	.text._ZN7rocprim17ROCPRIM_400000_NS6detail17trampoline_kernelINS0_14default_configENS1_25partition_config_selectorILNS1_17partition_subalgoE5ElNS0_10empty_typeEbEEZZNS1_14partition_implILS5_5ELb0ES3_mN6hipcub16HIPCUB_304000_NS21CountingInputIteratorIllEEPS6_NSA_22TransformInputIteratorIbN2at6native12_GLOBAL__N_19NonZeroOpIiEEPKilEENS0_5tupleIJPlS6_EEENSN_IJSD_SD_EEES6_PiJS6_EEE10hipError_tPvRmT3_T4_T5_T6_T7_T9_mT8_P12ihipStream_tbDpT10_ENKUlT_T0_E_clISt17integral_constantIbLb1EES1A_IbLb0EEEEDaS16_S17_EUlS16_E_NS1_11comp_targetILNS1_3genE10ELNS1_11target_archE1200ELNS1_3gpuE4ELNS1_3repE0EEENS1_30default_config_static_selectorELNS0_4arch9wavefront6targetE0EEEvT1_,"axG",@progbits,_ZN7rocprim17ROCPRIM_400000_NS6detail17trampoline_kernelINS0_14default_configENS1_25partition_config_selectorILNS1_17partition_subalgoE5ElNS0_10empty_typeEbEEZZNS1_14partition_implILS5_5ELb0ES3_mN6hipcub16HIPCUB_304000_NS21CountingInputIteratorIllEEPS6_NSA_22TransformInputIteratorIbN2at6native12_GLOBAL__N_19NonZeroOpIiEEPKilEENS0_5tupleIJPlS6_EEENSN_IJSD_SD_EEES6_PiJS6_EEE10hipError_tPvRmT3_T4_T5_T6_T7_T9_mT8_P12ihipStream_tbDpT10_ENKUlT_T0_E_clISt17integral_constantIbLb1EES1A_IbLb0EEEEDaS16_S17_EUlS16_E_NS1_11comp_targetILNS1_3genE10ELNS1_11target_archE1200ELNS1_3gpuE4ELNS1_3repE0EEENS1_30default_config_static_selectorELNS0_4arch9wavefront6targetE0EEEvT1_,comdat
	.globl	_ZN7rocprim17ROCPRIM_400000_NS6detail17trampoline_kernelINS0_14default_configENS1_25partition_config_selectorILNS1_17partition_subalgoE5ElNS0_10empty_typeEbEEZZNS1_14partition_implILS5_5ELb0ES3_mN6hipcub16HIPCUB_304000_NS21CountingInputIteratorIllEEPS6_NSA_22TransformInputIteratorIbN2at6native12_GLOBAL__N_19NonZeroOpIiEEPKilEENS0_5tupleIJPlS6_EEENSN_IJSD_SD_EEES6_PiJS6_EEE10hipError_tPvRmT3_T4_T5_T6_T7_T9_mT8_P12ihipStream_tbDpT10_ENKUlT_T0_E_clISt17integral_constantIbLb1EES1A_IbLb0EEEEDaS16_S17_EUlS16_E_NS1_11comp_targetILNS1_3genE10ELNS1_11target_archE1200ELNS1_3gpuE4ELNS1_3repE0EEENS1_30default_config_static_selectorELNS0_4arch9wavefront6targetE0EEEvT1_ ; -- Begin function _ZN7rocprim17ROCPRIM_400000_NS6detail17trampoline_kernelINS0_14default_configENS1_25partition_config_selectorILNS1_17partition_subalgoE5ElNS0_10empty_typeEbEEZZNS1_14partition_implILS5_5ELb0ES3_mN6hipcub16HIPCUB_304000_NS21CountingInputIteratorIllEEPS6_NSA_22TransformInputIteratorIbN2at6native12_GLOBAL__N_19NonZeroOpIiEEPKilEENS0_5tupleIJPlS6_EEENSN_IJSD_SD_EEES6_PiJS6_EEE10hipError_tPvRmT3_T4_T5_T6_T7_T9_mT8_P12ihipStream_tbDpT10_ENKUlT_T0_E_clISt17integral_constantIbLb1EES1A_IbLb0EEEEDaS16_S17_EUlS16_E_NS1_11comp_targetILNS1_3genE10ELNS1_11target_archE1200ELNS1_3gpuE4ELNS1_3repE0EEENS1_30default_config_static_selectorELNS0_4arch9wavefront6targetE0EEEvT1_
	.p2align	8
	.type	_ZN7rocprim17ROCPRIM_400000_NS6detail17trampoline_kernelINS0_14default_configENS1_25partition_config_selectorILNS1_17partition_subalgoE5ElNS0_10empty_typeEbEEZZNS1_14partition_implILS5_5ELb0ES3_mN6hipcub16HIPCUB_304000_NS21CountingInputIteratorIllEEPS6_NSA_22TransformInputIteratorIbN2at6native12_GLOBAL__N_19NonZeroOpIiEEPKilEENS0_5tupleIJPlS6_EEENSN_IJSD_SD_EEES6_PiJS6_EEE10hipError_tPvRmT3_T4_T5_T6_T7_T9_mT8_P12ihipStream_tbDpT10_ENKUlT_T0_E_clISt17integral_constantIbLb1EES1A_IbLb0EEEEDaS16_S17_EUlS16_E_NS1_11comp_targetILNS1_3genE10ELNS1_11target_archE1200ELNS1_3gpuE4ELNS1_3repE0EEENS1_30default_config_static_selectorELNS0_4arch9wavefront6targetE0EEEvT1_,@function
_ZN7rocprim17ROCPRIM_400000_NS6detail17trampoline_kernelINS0_14default_configENS1_25partition_config_selectorILNS1_17partition_subalgoE5ElNS0_10empty_typeEbEEZZNS1_14partition_implILS5_5ELb0ES3_mN6hipcub16HIPCUB_304000_NS21CountingInputIteratorIllEEPS6_NSA_22TransformInputIteratorIbN2at6native12_GLOBAL__N_19NonZeroOpIiEEPKilEENS0_5tupleIJPlS6_EEENSN_IJSD_SD_EEES6_PiJS6_EEE10hipError_tPvRmT3_T4_T5_T6_T7_T9_mT8_P12ihipStream_tbDpT10_ENKUlT_T0_E_clISt17integral_constantIbLb1EES1A_IbLb0EEEEDaS16_S17_EUlS16_E_NS1_11comp_targetILNS1_3genE10ELNS1_11target_archE1200ELNS1_3gpuE4ELNS1_3repE0EEENS1_30default_config_static_selectorELNS0_4arch9wavefront6targetE0EEEvT1_: ; @_ZN7rocprim17ROCPRIM_400000_NS6detail17trampoline_kernelINS0_14default_configENS1_25partition_config_selectorILNS1_17partition_subalgoE5ElNS0_10empty_typeEbEEZZNS1_14partition_implILS5_5ELb0ES3_mN6hipcub16HIPCUB_304000_NS21CountingInputIteratorIllEEPS6_NSA_22TransformInputIteratorIbN2at6native12_GLOBAL__N_19NonZeroOpIiEEPKilEENS0_5tupleIJPlS6_EEENSN_IJSD_SD_EEES6_PiJS6_EEE10hipError_tPvRmT3_T4_T5_T6_T7_T9_mT8_P12ihipStream_tbDpT10_ENKUlT_T0_E_clISt17integral_constantIbLb1EES1A_IbLb0EEEEDaS16_S17_EUlS16_E_NS1_11comp_targetILNS1_3genE10ELNS1_11target_archE1200ELNS1_3gpuE4ELNS1_3repE0EEENS1_30default_config_static_selectorELNS0_4arch9wavefront6targetE0EEEvT1_
; %bb.0:
	.section	.rodata,"a",@progbits
	.p2align	6, 0x0
	.amdhsa_kernel _ZN7rocprim17ROCPRIM_400000_NS6detail17trampoline_kernelINS0_14default_configENS1_25partition_config_selectorILNS1_17partition_subalgoE5ElNS0_10empty_typeEbEEZZNS1_14partition_implILS5_5ELb0ES3_mN6hipcub16HIPCUB_304000_NS21CountingInputIteratorIllEEPS6_NSA_22TransformInputIteratorIbN2at6native12_GLOBAL__N_19NonZeroOpIiEEPKilEENS0_5tupleIJPlS6_EEENSN_IJSD_SD_EEES6_PiJS6_EEE10hipError_tPvRmT3_T4_T5_T6_T7_T9_mT8_P12ihipStream_tbDpT10_ENKUlT_T0_E_clISt17integral_constantIbLb1EES1A_IbLb0EEEEDaS16_S17_EUlS16_E_NS1_11comp_targetILNS1_3genE10ELNS1_11target_archE1200ELNS1_3gpuE4ELNS1_3repE0EEENS1_30default_config_static_selectorELNS0_4arch9wavefront6targetE0EEEvT1_
		.amdhsa_group_segment_fixed_size 0
		.amdhsa_private_segment_fixed_size 0
		.amdhsa_kernarg_size 120
		.amdhsa_user_sgpr_count 15
		.amdhsa_user_sgpr_dispatch_ptr 0
		.amdhsa_user_sgpr_queue_ptr 0
		.amdhsa_user_sgpr_kernarg_segment_ptr 1
		.amdhsa_user_sgpr_dispatch_id 0
		.amdhsa_user_sgpr_private_segment_size 0
		.amdhsa_wavefront_size32 1
		.amdhsa_uses_dynamic_stack 0
		.amdhsa_enable_private_segment 0
		.amdhsa_system_sgpr_workgroup_id_x 1
		.amdhsa_system_sgpr_workgroup_id_y 0
		.amdhsa_system_sgpr_workgroup_id_z 0
		.amdhsa_system_sgpr_workgroup_info 0
		.amdhsa_system_vgpr_workitem_id 0
		.amdhsa_next_free_vgpr 1
		.amdhsa_next_free_sgpr 1
		.amdhsa_reserve_vcc 0
		.amdhsa_float_round_mode_32 0
		.amdhsa_float_round_mode_16_64 0
		.amdhsa_float_denorm_mode_32 3
		.amdhsa_float_denorm_mode_16_64 3
		.amdhsa_dx10_clamp 1
		.amdhsa_ieee_mode 1
		.amdhsa_fp16_overflow 0
		.amdhsa_workgroup_processor_mode 1
		.amdhsa_memory_ordered 1
		.amdhsa_forward_progress 0
		.amdhsa_shared_vgpr_count 0
		.amdhsa_exception_fp_ieee_invalid_op 0
		.amdhsa_exception_fp_denorm_src 0
		.amdhsa_exception_fp_ieee_div_zero 0
		.amdhsa_exception_fp_ieee_overflow 0
		.amdhsa_exception_fp_ieee_underflow 0
		.amdhsa_exception_fp_ieee_inexact 0
		.amdhsa_exception_int_div_zero 0
	.end_amdhsa_kernel
	.section	.text._ZN7rocprim17ROCPRIM_400000_NS6detail17trampoline_kernelINS0_14default_configENS1_25partition_config_selectorILNS1_17partition_subalgoE5ElNS0_10empty_typeEbEEZZNS1_14partition_implILS5_5ELb0ES3_mN6hipcub16HIPCUB_304000_NS21CountingInputIteratorIllEEPS6_NSA_22TransformInputIteratorIbN2at6native12_GLOBAL__N_19NonZeroOpIiEEPKilEENS0_5tupleIJPlS6_EEENSN_IJSD_SD_EEES6_PiJS6_EEE10hipError_tPvRmT3_T4_T5_T6_T7_T9_mT8_P12ihipStream_tbDpT10_ENKUlT_T0_E_clISt17integral_constantIbLb1EES1A_IbLb0EEEEDaS16_S17_EUlS16_E_NS1_11comp_targetILNS1_3genE10ELNS1_11target_archE1200ELNS1_3gpuE4ELNS1_3repE0EEENS1_30default_config_static_selectorELNS0_4arch9wavefront6targetE0EEEvT1_,"axG",@progbits,_ZN7rocprim17ROCPRIM_400000_NS6detail17trampoline_kernelINS0_14default_configENS1_25partition_config_selectorILNS1_17partition_subalgoE5ElNS0_10empty_typeEbEEZZNS1_14partition_implILS5_5ELb0ES3_mN6hipcub16HIPCUB_304000_NS21CountingInputIteratorIllEEPS6_NSA_22TransformInputIteratorIbN2at6native12_GLOBAL__N_19NonZeroOpIiEEPKilEENS0_5tupleIJPlS6_EEENSN_IJSD_SD_EEES6_PiJS6_EEE10hipError_tPvRmT3_T4_T5_T6_T7_T9_mT8_P12ihipStream_tbDpT10_ENKUlT_T0_E_clISt17integral_constantIbLb1EES1A_IbLb0EEEEDaS16_S17_EUlS16_E_NS1_11comp_targetILNS1_3genE10ELNS1_11target_archE1200ELNS1_3gpuE4ELNS1_3repE0EEENS1_30default_config_static_selectorELNS0_4arch9wavefront6targetE0EEEvT1_,comdat
.Lfunc_end207:
	.size	_ZN7rocprim17ROCPRIM_400000_NS6detail17trampoline_kernelINS0_14default_configENS1_25partition_config_selectorILNS1_17partition_subalgoE5ElNS0_10empty_typeEbEEZZNS1_14partition_implILS5_5ELb0ES3_mN6hipcub16HIPCUB_304000_NS21CountingInputIteratorIllEEPS6_NSA_22TransformInputIteratorIbN2at6native12_GLOBAL__N_19NonZeroOpIiEEPKilEENS0_5tupleIJPlS6_EEENSN_IJSD_SD_EEES6_PiJS6_EEE10hipError_tPvRmT3_T4_T5_T6_T7_T9_mT8_P12ihipStream_tbDpT10_ENKUlT_T0_E_clISt17integral_constantIbLb1EES1A_IbLb0EEEEDaS16_S17_EUlS16_E_NS1_11comp_targetILNS1_3genE10ELNS1_11target_archE1200ELNS1_3gpuE4ELNS1_3repE0EEENS1_30default_config_static_selectorELNS0_4arch9wavefront6targetE0EEEvT1_, .Lfunc_end207-_ZN7rocprim17ROCPRIM_400000_NS6detail17trampoline_kernelINS0_14default_configENS1_25partition_config_selectorILNS1_17partition_subalgoE5ElNS0_10empty_typeEbEEZZNS1_14partition_implILS5_5ELb0ES3_mN6hipcub16HIPCUB_304000_NS21CountingInputIteratorIllEEPS6_NSA_22TransformInputIteratorIbN2at6native12_GLOBAL__N_19NonZeroOpIiEEPKilEENS0_5tupleIJPlS6_EEENSN_IJSD_SD_EEES6_PiJS6_EEE10hipError_tPvRmT3_T4_T5_T6_T7_T9_mT8_P12ihipStream_tbDpT10_ENKUlT_T0_E_clISt17integral_constantIbLb1EES1A_IbLb0EEEEDaS16_S17_EUlS16_E_NS1_11comp_targetILNS1_3genE10ELNS1_11target_archE1200ELNS1_3gpuE4ELNS1_3repE0EEENS1_30default_config_static_selectorELNS0_4arch9wavefront6targetE0EEEvT1_
                                        ; -- End function
	.section	.AMDGPU.csdata,"",@progbits
; Kernel info:
; codeLenInByte = 0
; NumSgprs: 0
; NumVgprs: 0
; ScratchSize: 0
; MemoryBound: 0
; FloatMode: 240
; IeeeMode: 1
; LDSByteSize: 0 bytes/workgroup (compile time only)
; SGPRBlocks: 0
; VGPRBlocks: 0
; NumSGPRsForWavesPerEU: 1
; NumVGPRsForWavesPerEU: 1
; Occupancy: 16
; WaveLimiterHint : 0
; COMPUTE_PGM_RSRC2:SCRATCH_EN: 0
; COMPUTE_PGM_RSRC2:USER_SGPR: 15
; COMPUTE_PGM_RSRC2:TRAP_HANDLER: 0
; COMPUTE_PGM_RSRC2:TGID_X_EN: 1
; COMPUTE_PGM_RSRC2:TGID_Y_EN: 0
; COMPUTE_PGM_RSRC2:TGID_Z_EN: 0
; COMPUTE_PGM_RSRC2:TIDIG_COMP_CNT: 0
	.section	.text._ZN7rocprim17ROCPRIM_400000_NS6detail17trampoline_kernelINS0_14default_configENS1_25partition_config_selectorILNS1_17partition_subalgoE5ElNS0_10empty_typeEbEEZZNS1_14partition_implILS5_5ELb0ES3_mN6hipcub16HIPCUB_304000_NS21CountingInputIteratorIllEEPS6_NSA_22TransformInputIteratorIbN2at6native12_GLOBAL__N_19NonZeroOpIiEEPKilEENS0_5tupleIJPlS6_EEENSN_IJSD_SD_EEES6_PiJS6_EEE10hipError_tPvRmT3_T4_T5_T6_T7_T9_mT8_P12ihipStream_tbDpT10_ENKUlT_T0_E_clISt17integral_constantIbLb1EES1A_IbLb0EEEEDaS16_S17_EUlS16_E_NS1_11comp_targetILNS1_3genE9ELNS1_11target_archE1100ELNS1_3gpuE3ELNS1_3repE0EEENS1_30default_config_static_selectorELNS0_4arch9wavefront6targetE0EEEvT1_,"axG",@progbits,_ZN7rocprim17ROCPRIM_400000_NS6detail17trampoline_kernelINS0_14default_configENS1_25partition_config_selectorILNS1_17partition_subalgoE5ElNS0_10empty_typeEbEEZZNS1_14partition_implILS5_5ELb0ES3_mN6hipcub16HIPCUB_304000_NS21CountingInputIteratorIllEEPS6_NSA_22TransformInputIteratorIbN2at6native12_GLOBAL__N_19NonZeroOpIiEEPKilEENS0_5tupleIJPlS6_EEENSN_IJSD_SD_EEES6_PiJS6_EEE10hipError_tPvRmT3_T4_T5_T6_T7_T9_mT8_P12ihipStream_tbDpT10_ENKUlT_T0_E_clISt17integral_constantIbLb1EES1A_IbLb0EEEEDaS16_S17_EUlS16_E_NS1_11comp_targetILNS1_3genE9ELNS1_11target_archE1100ELNS1_3gpuE3ELNS1_3repE0EEENS1_30default_config_static_selectorELNS0_4arch9wavefront6targetE0EEEvT1_,comdat
	.globl	_ZN7rocprim17ROCPRIM_400000_NS6detail17trampoline_kernelINS0_14default_configENS1_25partition_config_selectorILNS1_17partition_subalgoE5ElNS0_10empty_typeEbEEZZNS1_14partition_implILS5_5ELb0ES3_mN6hipcub16HIPCUB_304000_NS21CountingInputIteratorIllEEPS6_NSA_22TransformInputIteratorIbN2at6native12_GLOBAL__N_19NonZeroOpIiEEPKilEENS0_5tupleIJPlS6_EEENSN_IJSD_SD_EEES6_PiJS6_EEE10hipError_tPvRmT3_T4_T5_T6_T7_T9_mT8_P12ihipStream_tbDpT10_ENKUlT_T0_E_clISt17integral_constantIbLb1EES1A_IbLb0EEEEDaS16_S17_EUlS16_E_NS1_11comp_targetILNS1_3genE9ELNS1_11target_archE1100ELNS1_3gpuE3ELNS1_3repE0EEENS1_30default_config_static_selectorELNS0_4arch9wavefront6targetE0EEEvT1_ ; -- Begin function _ZN7rocprim17ROCPRIM_400000_NS6detail17trampoline_kernelINS0_14default_configENS1_25partition_config_selectorILNS1_17partition_subalgoE5ElNS0_10empty_typeEbEEZZNS1_14partition_implILS5_5ELb0ES3_mN6hipcub16HIPCUB_304000_NS21CountingInputIteratorIllEEPS6_NSA_22TransformInputIteratorIbN2at6native12_GLOBAL__N_19NonZeroOpIiEEPKilEENS0_5tupleIJPlS6_EEENSN_IJSD_SD_EEES6_PiJS6_EEE10hipError_tPvRmT3_T4_T5_T6_T7_T9_mT8_P12ihipStream_tbDpT10_ENKUlT_T0_E_clISt17integral_constantIbLb1EES1A_IbLb0EEEEDaS16_S17_EUlS16_E_NS1_11comp_targetILNS1_3genE9ELNS1_11target_archE1100ELNS1_3gpuE3ELNS1_3repE0EEENS1_30default_config_static_selectorELNS0_4arch9wavefront6targetE0EEEvT1_
	.p2align	8
	.type	_ZN7rocprim17ROCPRIM_400000_NS6detail17trampoline_kernelINS0_14default_configENS1_25partition_config_selectorILNS1_17partition_subalgoE5ElNS0_10empty_typeEbEEZZNS1_14partition_implILS5_5ELb0ES3_mN6hipcub16HIPCUB_304000_NS21CountingInputIteratorIllEEPS6_NSA_22TransformInputIteratorIbN2at6native12_GLOBAL__N_19NonZeroOpIiEEPKilEENS0_5tupleIJPlS6_EEENSN_IJSD_SD_EEES6_PiJS6_EEE10hipError_tPvRmT3_T4_T5_T6_T7_T9_mT8_P12ihipStream_tbDpT10_ENKUlT_T0_E_clISt17integral_constantIbLb1EES1A_IbLb0EEEEDaS16_S17_EUlS16_E_NS1_11comp_targetILNS1_3genE9ELNS1_11target_archE1100ELNS1_3gpuE3ELNS1_3repE0EEENS1_30default_config_static_selectorELNS0_4arch9wavefront6targetE0EEEvT1_,@function
_ZN7rocprim17ROCPRIM_400000_NS6detail17trampoline_kernelINS0_14default_configENS1_25partition_config_selectorILNS1_17partition_subalgoE5ElNS0_10empty_typeEbEEZZNS1_14partition_implILS5_5ELb0ES3_mN6hipcub16HIPCUB_304000_NS21CountingInputIteratorIllEEPS6_NSA_22TransformInputIteratorIbN2at6native12_GLOBAL__N_19NonZeroOpIiEEPKilEENS0_5tupleIJPlS6_EEENSN_IJSD_SD_EEES6_PiJS6_EEE10hipError_tPvRmT3_T4_T5_T6_T7_T9_mT8_P12ihipStream_tbDpT10_ENKUlT_T0_E_clISt17integral_constantIbLb1EES1A_IbLb0EEEEDaS16_S17_EUlS16_E_NS1_11comp_targetILNS1_3genE9ELNS1_11target_archE1100ELNS1_3gpuE3ELNS1_3repE0EEENS1_30default_config_static_selectorELNS0_4arch9wavefront6targetE0EEEvT1_: ; @_ZN7rocprim17ROCPRIM_400000_NS6detail17trampoline_kernelINS0_14default_configENS1_25partition_config_selectorILNS1_17partition_subalgoE5ElNS0_10empty_typeEbEEZZNS1_14partition_implILS5_5ELb0ES3_mN6hipcub16HIPCUB_304000_NS21CountingInputIteratorIllEEPS6_NSA_22TransformInputIteratorIbN2at6native12_GLOBAL__N_19NonZeroOpIiEEPKilEENS0_5tupleIJPlS6_EEENSN_IJSD_SD_EEES6_PiJS6_EEE10hipError_tPvRmT3_T4_T5_T6_T7_T9_mT8_P12ihipStream_tbDpT10_ENKUlT_T0_E_clISt17integral_constantIbLb1EES1A_IbLb0EEEEDaS16_S17_EUlS16_E_NS1_11comp_targetILNS1_3genE9ELNS1_11target_archE1100ELNS1_3gpuE3ELNS1_3repE0EEENS1_30default_config_static_selectorELNS0_4arch9wavefront6targetE0EEEvT1_
; %bb.0:
	s_clause 0x4
	s_load_b128 s[8:11], s[0:1], 0x8
	s_load_b128 s[4:7], s[0:1], 0x48
	s_load_b32 s14, s[0:1], 0x70
	s_load_b64 s[2:3], s[0:1], 0x58
	s_load_b64 s[12:13], s[0:1], 0x20
	s_waitcnt lgkmcnt(0)
	s_add_u32 s18, s10, s8
	s_load_b64 s[6:7], s[6:7], 0x0
	s_mul_i32 s17, s14, 0x300
	s_addc_u32 s19, s11, s9
	s_add_i32 s14, s14, -1
	s_add_u32 s8, s10, s17
	s_addc_u32 s9, s11, 0
	s_cmp_eq_u32 s15, s14
	v_cmp_ge_u64_e64 s3, s[8:9], s[2:3]
	s_cselect_b32 s14, -1, 0
	s_mul_i32 s8, s15, 0x300
	s_mov_b32 s9, 0
	s_delay_alu instid0(VALU_DEP_1) | instskip(NEXT) | instid1(SALU_CYCLE_1)
	s_and_b32 s3, s14, s3
	s_xor_b32 s16, s3, -1
	s_mov_b32 s3, -1
	s_and_b32 vcc_lo, exec_lo, s16
	s_cbranch_vccz .LBB208_2
; %bb.1:
	s_add_u32 s3, s18, s8
	s_addc_u32 s20, s19, 0
	v_add_co_u32 v1, s3, s3, v0
	s_delay_alu instid0(VALU_DEP_1) | instskip(SKIP_1) | instid1(VALU_DEP_3)
	v_add_co_ci_u32_e64 v2, null, s20, 0, s3
	v_lshlrev_b32_e32 v13, 3, v0
	v_add_co_u32 v3, vcc_lo, 0x80, v1
	s_delay_alu instid0(VALU_DEP_3)
	v_add_co_ci_u32_e32 v4, vcc_lo, 0, v2, vcc_lo
	v_add_co_u32 v5, vcc_lo, 0x100, v1
	v_add_co_ci_u32_e32 v6, vcc_lo, 0, v2, vcc_lo
	v_add_co_u32 v7, vcc_lo, 0x180, v1
	v_add_co_ci_u32_e32 v8, vcc_lo, 0, v2, vcc_lo
	v_add_co_u32 v9, vcc_lo, 0x200, v1
	v_add_co_ci_u32_e32 v10, vcc_lo, 0, v2, vcc_lo
	v_add_co_u32 v11, vcc_lo, 0x280, v1
	v_add_co_ci_u32_e32 v12, vcc_lo, 0, v2, vcc_lo
	ds_store_2addr_stride64_b64 v13, v[1:2], v[3:4] offset1:2
	ds_store_2addr_stride64_b64 v13, v[5:6], v[7:8] offset0:4 offset1:6
	ds_store_2addr_stride64_b64 v13, v[9:10], v[11:12] offset0:8 offset1:10
	s_waitcnt lgkmcnt(0)
	s_mov_b32 s3, s9
	s_barrier
.LBB208_2:
	v_or_b32_e32 v17, 0x100, v0
	v_or_b32_e32 v16, 0x180, v0
	;; [unrolled: 1-line block ×4, first 2 shown]
	s_and_not1_b32 vcc_lo, exec_lo, s3
	s_cbranch_vccnz .LBB208_4
; %bb.3:
	v_or_b32_e32 v3, 0x80, v0
	s_add_u32 s3, s18, s8
	s_addc_u32 s18, s19, 0
	v_add_co_u32 v1, s19, s3, v0
	s_delay_alu instid0(VALU_DEP_1) | instskip(SKIP_1) | instid1(VALU_DEP_1)
	v_add_co_ci_u32_e64 v2, null, s18, 0, s19
	v_add_co_u32 v3, s19, s3, v3
	v_add_co_ci_u32_e64 v4, null, s18, 0, s19
	v_add_co_u32 v5, s19, s3, v17
	s_delay_alu instid0(VALU_DEP_1) | instskip(SKIP_1) | instid1(VALU_DEP_1)
	v_add_co_ci_u32_e64 v6, null, s18, 0, s19
	v_add_co_u32 v7, s19, s3, v16
	v_add_co_ci_u32_e64 v8, null, s18, 0, s19
	v_add_co_u32 v9, s19, s3, v14
	v_lshlrev_b32_e32 v15, 3, v0
	v_add_co_u32 v11, s3, s3, v13
	v_add_co_ci_u32_e64 v10, null, s18, 0, s19
	v_add_co_ci_u32_e64 v12, null, s18, 0, s3
	ds_store_2addr_stride64_b64 v15, v[1:2], v[3:4] offset1:2
	ds_store_2addr_stride64_b64 v15, v[5:6], v[7:8] offset0:4 offset1:6
	ds_store_2addr_stride64_b64 v15, v[9:10], v[11:12] offset0:8 offset1:10
	s_waitcnt lgkmcnt(0)
	s_barrier
.LBB208_4:
	v_mul_u32_u24_e32 v1, 6, v0
	s_waitcnt lgkmcnt(0)
	buffer_gl0_inv
	s_lshl_b64 s[18:19], s[10:11], 2
	s_delay_alu instid0(SALU_CYCLE_1)
	s_add_u32 s3, s12, s18
	v_lshlrev_b32_e32 v15, 3, v1
	s_addc_u32 s11, s13, s19
	s_lshl_b64 s[8:9], s[8:9], 2
	ds_load_b128 v[9:12], v15
	ds_load_b128 v[5:8], v15 offset:16
	ds_load_b128 v[1:4], v15 offset:32
	s_add_u32 s12, s3, s8
	s_addc_u32 s13, s11, s9
	s_and_b32 vcc_lo, exec_lo, s16
	s_mov_b32 s3, -1
	s_waitcnt lgkmcnt(0)
	s_barrier
	buffer_gl0_inv
	s_cbranch_vccz .LBB208_6
; %bb.5:
	v_lshlrev_b32_e32 v18, 2, v0
	s_mov_b32 s3, 0
	s_clause 0x5
	global_load_b32 v19, v18, s[12:13]
	global_load_b32 v20, v18, s[12:13] offset:512
	global_load_b32 v21, v18, s[12:13] offset:1024
	;; [unrolled: 1-line block ×5, first 2 shown]
	s_waitcnt vmcnt(5)
	v_cmp_ne_u32_e32 vcc_lo, 0, v19
	v_cndmask_b32_e64 v19, 0, 1, vcc_lo
	s_waitcnt vmcnt(4)
	v_cmp_ne_u32_e32 vcc_lo, 0, v20
	v_cndmask_b32_e64 v20, 0, 1, vcc_lo
	;; [unrolled: 3-line block ×6, first 2 shown]
	ds_store_b8 v0, v19
	ds_store_b8 v0, v20 offset:128
	ds_store_b8 v0, v21 offset:256
	;; [unrolled: 1-line block ×5, first 2 shown]
	s_waitcnt lgkmcnt(0)
	s_barrier
.LBB208_6:
	s_load_b64 s[8:9], s[0:1], 0x68
	s_and_not1_b32 vcc_lo, exec_lo, s3
	s_cbranch_vccnz .LBB208_20
; %bb.7:
	s_add_i32 s17, s17, s10
	v_dual_mov_b32 v18, 0 :: v_dual_mov_b32 v19, 0
	s_sub_i32 s2, s2, s17
	s_mov_b32 s3, exec_lo
	s_addk_i32 s2, 0x300
	s_delay_alu instid0(SALU_CYCLE_1)
	v_cmpx_gt_u32_e64 s2, v0
	s_cbranch_execz .LBB208_9
; %bb.8:
	v_lshlrev_b32_e32 v19, 2, v0
	global_load_b32 v19, v19, s[12:13]
	s_waitcnt vmcnt(0)
	v_cmp_ne_u32_e32 vcc_lo, 0, v19
	v_cndmask_b32_e64 v19, 0, 1, vcc_lo
.LBB208_9:
	s_or_b32 exec_lo, exec_lo, s3
	v_or_b32_e32 v20, 0x80, v0
	s_mov_b32 s3, exec_lo
	s_delay_alu instid0(VALU_DEP_1)
	v_cmpx_gt_u32_e64 s2, v20
	s_cbranch_execz .LBB208_11
; %bb.10:
	v_lshlrev_b32_e32 v18, 2, v0
	global_load_b32 v18, v18, s[12:13] offset:512
	s_waitcnt vmcnt(0)
	v_cmp_ne_u32_e32 vcc_lo, 0, v18
	v_cndmask_b32_e64 v18, 0, 1, vcc_lo
.LBB208_11:
	s_or_b32 exec_lo, exec_lo, s3
	v_cmp_gt_u32_e32 vcc_lo, s2, v17
	v_dual_mov_b32 v17, 0 :: v_dual_mov_b32 v20, 0
	s_and_saveexec_b32 s3, vcc_lo
	s_cbranch_execz .LBB208_13
; %bb.12:
	v_lshlrev_b32_e32 v20, 2, v0
	global_load_b32 v20, v20, s[12:13] offset:1024
	s_waitcnt vmcnt(0)
	v_cmp_ne_u32_e32 vcc_lo, 0, v20
	v_cndmask_b32_e64 v20, 0, 1, vcc_lo
.LBB208_13:
	s_or_b32 exec_lo, exec_lo, s3
	s_delay_alu instid0(SALU_CYCLE_1)
	s_mov_b32 s3, exec_lo
	v_cmpx_gt_u32_e64 s2, v16
	s_cbranch_execz .LBB208_15
; %bb.14:
	v_lshlrev_b32_e32 v16, 2, v0
	global_load_b32 v16, v16, s[12:13] offset:1536
	s_waitcnt vmcnt(0)
	v_cmp_ne_u32_e32 vcc_lo, 0, v16
	v_cndmask_b32_e64 v17, 0, 1, vcc_lo
.LBB208_15:
	s_or_b32 exec_lo, exec_lo, s3
	v_cmp_gt_u32_e32 vcc_lo, s2, v14
	v_mov_b32_e32 v14, 0
	v_mov_b32_e32 v16, 0
	s_and_saveexec_b32 s3, vcc_lo
	s_cbranch_execz .LBB208_17
; %bb.16:
	v_lshlrev_b32_e32 v16, 2, v0
	global_load_b32 v16, v16, s[12:13] offset:2048
	s_waitcnt vmcnt(0)
	v_cmp_ne_u32_e32 vcc_lo, 0, v16
	v_cndmask_b32_e64 v16, 0, 1, vcc_lo
.LBB208_17:
	s_or_b32 exec_lo, exec_lo, s3
	v_cmp_gt_u32_e32 vcc_lo, s2, v13
	s_and_saveexec_b32 s2, vcc_lo
	s_cbranch_execz .LBB208_19
; %bb.18:
	v_lshlrev_b32_e32 v13, 2, v0
	global_load_b32 v13, v13, s[12:13] offset:2560
	s_waitcnt vmcnt(0)
	v_cmp_ne_u32_e32 vcc_lo, 0, v13
	v_cndmask_b32_e64 v14, 0, 1, vcc_lo
.LBB208_19:
	s_or_b32 exec_lo, exec_lo, s2
	ds_store_b8 v0, v19
	ds_store_b8 v0, v18 offset:128
	ds_store_b8 v0, v20 offset:256
	;; [unrolled: 1-line block ×5, first 2 shown]
	s_waitcnt lgkmcnt(0)
	s_barrier
.LBB208_20:
	v_mad_i32_i24 v43, 0xffffffd6, v0, v15
	s_waitcnt lgkmcnt(0)
	buffer_gl0_inv
	v_mbcnt_lo_u32_b32 v42, -1, 0
	s_cmp_lg_u32 s15, 0
	s_mov_b32 s3, -1
	ds_load_u16 v36, v43
	ds_load_u16 v33, v43 offset:2
	ds_load_u16 v31, v43 offset:4
	v_mov_b32_e32 v14, 0
	v_and_b32_e32 v44, 15, v42
	s_waitcnt lgkmcnt(0)
	s_barrier
	buffer_gl0_inv
	v_and_b32_e32 v41, 0xff, v36
	v_lshrrev_b16 v34, 8, v36
	v_lshrrev_b16 v35, 8, v33
	v_and_b32_e32 v39, 0xff, v33
	v_lshrrev_b16 v32, 8, v31
	v_and_b32_e32 v37, 0xff, v31
	v_and_b32_e32 v40, 0xffff, v34
	;; [unrolled: 1-line block ×3, first 2 shown]
	s_delay_alu instid0(VALU_DEP_4) | instskip(NEXT) | instid1(VALU_DEP_3)
	v_and_b32_e32 v16, 0xffff, v32
	v_add_co_u32 v13, s2, v40, v41
	s_delay_alu instid0(VALU_DEP_1) | instskip(SKIP_1) | instid1(VALU_DEP_3)
	v_add_co_ci_u32_e64 v15, null, 0, 0, s2
	v_cmp_ne_u32_e64 s2, 0, v44
	v_add_co_u32 v13, vcc_lo, v13, v39
	s_delay_alu instid0(VALU_DEP_3) | instskip(NEXT) | instid1(VALU_DEP_2)
	v_add_co_ci_u32_e32 v15, vcc_lo, 0, v15, vcc_lo
	v_add_co_u32 v13, vcc_lo, v13, v38
	s_delay_alu instid0(VALU_DEP_2) | instskip(NEXT) | instid1(VALU_DEP_2)
	v_add_co_ci_u32_e32 v15, vcc_lo, 0, v15, vcc_lo
	v_add_co_u32 v13, vcc_lo, v13, v37
	s_delay_alu instid0(VALU_DEP_2) | instskip(NEXT) | instid1(VALU_DEP_2)
	v_add_co_ci_u32_e32 v15, vcc_lo, 0, v15, vcc_lo
	v_add_co_u32 v21, vcc_lo, v13, v16
	s_delay_alu instid0(VALU_DEP_2)
	v_add_co_ci_u32_e32 v22, vcc_lo, 0, v15, vcc_lo
	s_cbranch_scc0 .LBB208_89
; %bb.21:
	s_delay_alu instid0(VALU_DEP_2)
	v_mov_b32_e32 v15, v21
	v_mov_b32_dpp v13, v21 row_shr:1 row_mask:0xf bank_mask:0xf
	v_mov_b32_dpp v18, v14 row_shr:1 row_mask:0xf bank_mask:0xf
	v_dual_mov_b32 v17, v21 :: v_dual_mov_b32 v16, v22
	s_and_saveexec_b32 s3, s2
; %bb.22:
	s_delay_alu instid0(VALU_DEP_3) | instskip(SKIP_1) | instid1(VALU_DEP_2)
	v_add_co_u32 v17, vcc_lo, v21, v13
	v_add_co_ci_u32_e32 v14, vcc_lo, 0, v22, vcc_lo
	v_add_co_u32 v13, vcc_lo, 0, v17
	s_delay_alu instid0(VALU_DEP_2) | instskip(NEXT) | instid1(VALU_DEP_1)
	v_add_co_ci_u32_e32 v14, vcc_lo, v18, v14, vcc_lo
	v_dual_mov_b32 v16, v14 :: v_dual_mov_b32 v15, v13
; %bb.23:
	s_or_b32 exec_lo, exec_lo, s3
	v_mov_b32_dpp v13, v17 row_shr:2 row_mask:0xf bank_mask:0xf
	v_mov_b32_dpp v18, v14 row_shr:2 row_mask:0xf bank_mask:0xf
	s_mov_b32 s3, exec_lo
	v_cmpx_lt_u32_e32 1, v44
; %bb.24:
	s_delay_alu instid0(VALU_DEP_3) | instskip(SKIP_1) | instid1(VALU_DEP_2)
	v_add_co_u32 v17, vcc_lo, v15, v13
	v_add_co_ci_u32_e32 v14, vcc_lo, 0, v16, vcc_lo
	v_add_co_u32 v13, vcc_lo, 0, v17
	s_delay_alu instid0(VALU_DEP_2) | instskip(NEXT) | instid1(VALU_DEP_1)
	v_add_co_ci_u32_e32 v14, vcc_lo, v18, v14, vcc_lo
	v_dual_mov_b32 v16, v14 :: v_dual_mov_b32 v15, v13
; %bb.25:
	s_or_b32 exec_lo, exec_lo, s3
	v_mov_b32_dpp v13, v17 row_shr:4 row_mask:0xf bank_mask:0xf
	v_mov_b32_dpp v18, v14 row_shr:4 row_mask:0xf bank_mask:0xf
	s_mov_b32 s3, exec_lo
	v_cmpx_lt_u32_e32 3, v44
	;; [unrolled: 14-line block ×3, first 2 shown]
; %bb.28:
	s_delay_alu instid0(VALU_DEP_3) | instskip(SKIP_1) | instid1(VALU_DEP_2)
	v_add_co_u32 v17, vcc_lo, v15, v18
	v_add_co_ci_u32_e32 v14, vcc_lo, 0, v16, vcc_lo
	v_add_co_u32 v15, vcc_lo, 0, v17
	s_delay_alu instid0(VALU_DEP_2) | instskip(NEXT) | instid1(VALU_DEP_1)
	v_add_co_ci_u32_e32 v16, vcc_lo, v13, v14, vcc_lo
	v_mov_b32_e32 v14, v16
; %bb.29:
	s_or_b32 exec_lo, exec_lo, s3
	ds_swizzle_b32 v13, v17 offset:swizzle(BROADCAST,32,15)
	ds_swizzle_b32 v18, v14 offset:swizzle(BROADCAST,32,15)
	v_and_b32_e32 v19, 16, v42
	s_mov_b32 s3, exec_lo
	s_delay_alu instid0(VALU_DEP_1)
	v_cmpx_ne_u32_e32 0, v19
	s_cbranch_execz .LBB208_31
; %bb.30:
	s_waitcnt lgkmcnt(1)
	v_add_co_u32 v17, vcc_lo, v15, v13
	v_add_co_ci_u32_e32 v14, vcc_lo, 0, v16, vcc_lo
	s_delay_alu instid0(VALU_DEP_2) | instskip(SKIP_1) | instid1(VALU_DEP_2)
	v_add_co_u32 v13, vcc_lo, 0, v17
	s_waitcnt lgkmcnt(0)
	v_add_co_ci_u32_e32 v14, vcc_lo, v18, v14, vcc_lo
	s_delay_alu instid0(VALU_DEP_1)
	v_dual_mov_b32 v16, v14 :: v_dual_mov_b32 v15, v13
.LBB208_31:
	s_or_b32 exec_lo, exec_lo, s3
	s_waitcnt lgkmcnt(0)
	v_or_b32_e32 v18, 31, v0
	v_lshrrev_b32_e32 v13, 5, v0
	s_mov_b32 s3, exec_lo
	s_delay_alu instid0(VALU_DEP_2)
	v_cmpx_eq_u32_e64 v18, v0
	s_cbranch_execz .LBB208_33
; %bb.32:
	s_delay_alu instid0(VALU_DEP_2)
	v_lshlrev_b32_e32 v18, 3, v13
	ds_store_b64 v18, v[15:16]
.LBB208_33:
	s_or_b32 exec_lo, exec_lo, s3
	s_delay_alu instid0(SALU_CYCLE_1)
	s_mov_b32 s3, exec_lo
	s_waitcnt lgkmcnt(0)
	s_barrier
	buffer_gl0_inv
	v_cmpx_gt_u32_e32 4, v0
	s_cbranch_execz .LBB208_39
; %bb.34:
	v_lshlrev_b32_e32 v18, 3, v0
	s_mov_b32 s10, exec_lo
	ds_load_b64 v[15:16], v18
	s_waitcnt lgkmcnt(0)
	v_dual_mov_b32 v20, v15 :: v_dual_and_b32 v19, 3, v42
	v_mov_b32_dpp v24, v15 row_shr:1 row_mask:0xf bank_mask:0xf
	v_mov_b32_dpp v23, v16 row_shr:1 row_mask:0xf bank_mask:0xf
	s_delay_alu instid0(VALU_DEP_3)
	v_cmpx_ne_u32_e32 0, v19
; %bb.35:
	s_delay_alu instid0(VALU_DEP_3) | instskip(SKIP_1) | instid1(VALU_DEP_2)
	v_add_co_u32 v20, vcc_lo, v15, v24
	v_add_co_ci_u32_e32 v16, vcc_lo, 0, v16, vcc_lo
	v_add_co_u32 v15, vcc_lo, 0, v20
	s_delay_alu instid0(VALU_DEP_2)
	v_add_co_ci_u32_e32 v16, vcc_lo, v23, v16, vcc_lo
; %bb.36:
	s_or_b32 exec_lo, exec_lo, s10
	v_mov_b32_dpp v23, v20 row_shr:2 row_mask:0xf bank_mask:0xf
	s_delay_alu instid0(VALU_DEP_2)
	v_mov_b32_dpp v20, v16 row_shr:2 row_mask:0xf bank_mask:0xf
	s_mov_b32 s10, exec_lo
	v_cmpx_lt_u32_e32 1, v19
; %bb.37:
	s_delay_alu instid0(VALU_DEP_3) | instskip(SKIP_1) | instid1(VALU_DEP_2)
	v_add_co_u32 v15, vcc_lo, v15, v23
	v_add_co_ci_u32_e32 v16, vcc_lo, 0, v16, vcc_lo
	v_add_co_u32 v15, vcc_lo, v15, 0
	s_delay_alu instid0(VALU_DEP_2)
	v_add_co_ci_u32_e32 v16, vcc_lo, v16, v20, vcc_lo
; %bb.38:
	s_or_b32 exec_lo, exec_lo, s10
	ds_store_b64 v18, v[15:16]
.LBB208_39:
	s_or_b32 exec_lo, exec_lo, s3
	v_cmp_gt_u32_e32 vcc_lo, 32, v0
	s_mov_b32 s10, exec_lo
	s_waitcnt lgkmcnt(0)
	s_barrier
	buffer_gl0_inv
                                        ; implicit-def: $vgpr23_vgpr24
	v_cmpx_lt_u32_e32 31, v0
	s_cbranch_execz .LBB208_41
; %bb.40:
	v_lshl_add_u32 v13, v13, 3, -8
	ds_load_b64 v[23:24], v13
	s_waitcnt lgkmcnt(0)
	v_add_co_u32 v17, s3, v17, v23
	s_delay_alu instid0(VALU_DEP_1)
	v_add_co_ci_u32_e64 v14, s3, v14, v24, s3
.LBB208_41:
	s_or_b32 exec_lo, exec_lo, s10
	v_add_nc_u32_e32 v13, -1, v42
	s_delay_alu instid0(VALU_DEP_1) | instskip(NEXT) | instid1(VALU_DEP_1)
	v_cmp_gt_i32_e64 s3, 0, v13
	v_cndmask_b32_e64 v13, v13, v42, s3
	v_cmp_eq_u32_e64 s3, 0, v42
	s_delay_alu instid0(VALU_DEP_2)
	v_lshlrev_b32_e32 v13, 2, v13
	ds_bpermute_b32 v29, v13, v17
	ds_bpermute_b32 v30, v13, v14
	s_and_saveexec_b32 s10, vcc_lo
	s_cbranch_execz .LBB208_84
; %bb.42:
	v_mov_b32_e32 v16, 0
	ds_load_b64 v[13:14], v16 offset:24
	s_and_saveexec_b32 s11, s3
	s_cbranch_execz .LBB208_44
; %bb.43:
	s_add_i32 s12, s15, 32
	s_mov_b32 s13, 0
	s_delay_alu instid0(SALU_CYCLE_1) | instskip(NEXT) | instid1(SALU_CYCLE_1)
	s_lshl_b64 s[12:13], s[12:13], 4
	s_add_u32 s12, s8, s12
	s_addc_u32 s13, s9, s13
	s_delay_alu instid0(SALU_CYCLE_1)
	v_dual_mov_b32 v15, 1 :: v_dual_mov_b32 v18, s13
	v_mov_b32_e32 v17, s12
	s_waitcnt lgkmcnt(0)
	;;#ASMSTART
	global_store_dwordx4 v[17:18], v[13:16] off	
s_waitcnt vmcnt(0)
	;;#ASMEND
.LBB208_44:
	s_or_b32 exec_lo, exec_lo, s11
	v_xad_u32 v25, v42, -1, s15
	s_mov_b32 s12, 0
	s_mov_b32 s11, exec_lo
	s_delay_alu instid0(VALU_DEP_1) | instskip(NEXT) | instid1(VALU_DEP_1)
	v_add_nc_u32_e32 v15, 32, v25
	v_lshlrev_b64 v[15:16], 4, v[15:16]
	s_delay_alu instid0(VALU_DEP_1) | instskip(NEXT) | instid1(VALU_DEP_2)
	v_add_co_u32 v15, vcc_lo, s8, v15
	v_add_co_ci_u32_e32 v16, vcc_lo, s9, v16, vcc_lo
	;;#ASMSTART
	global_load_dwordx4 v[17:20], v[15:16] off glc	
s_waitcnt vmcnt(0)
	;;#ASMEND
	v_and_b32_e32 v20, 0xff, v18
	v_and_b32_e32 v26, 0xff00, v18
	v_or3_b32 v17, v17, 0, 0
	v_and_b32_e32 v27, 0xff000000, v18
	v_and_b32_e32 v18, 0xff0000, v18
	s_delay_alu instid0(VALU_DEP_4) | instskip(SKIP_2) | instid1(VALU_DEP_3)
	v_or3_b32 v20, 0, v20, v26
	v_and_b32_e32 v26, 0xff, v19
	v_or3_b32 v17, v17, 0, 0
	v_or3_b32 v18, v20, v18, v27
	s_delay_alu instid0(VALU_DEP_3)
	v_cmpx_eq_u16_e32 0, v26
	s_cbranch_execz .LBB208_50
; %bb.45:
	s_mov_b32 s13, 1
	.p2align	6
.LBB208_46:                             ; =>This Loop Header: Depth=1
                                        ;     Child Loop BB208_47 Depth 2
	s_delay_alu instid0(SALU_CYCLE_1)
	s_max_u32 s17, s13, 1
.LBB208_47:                             ;   Parent Loop BB208_46 Depth=1
                                        ; =>  This Inner Loop Header: Depth=2
	s_delay_alu instid0(SALU_CYCLE_1)
	s_add_i32 s17, s17, -1
	s_sleep 1
	s_cmp_eq_u32 s17, 0
	s_cbranch_scc0 .LBB208_47
; %bb.48:                               ;   in Loop: Header=BB208_46 Depth=1
	;;#ASMSTART
	global_load_dwordx4 v[17:20], v[15:16] off glc	
s_waitcnt vmcnt(0)
	;;#ASMEND
	v_and_b32_e32 v20, 0xff, v19
	s_cmp_lt_u32 s13, 32
	s_cselect_b32 s17, -1, 0
	s_delay_alu instid0(SALU_CYCLE_1) | instskip(NEXT) | instid1(VALU_DEP_1)
	s_cmp_lg_u32 s17, 0
	v_cmp_ne_u16_e32 vcc_lo, 0, v20
	s_addc_u32 s13, s13, 0
	s_or_b32 s12, vcc_lo, s12
	s_delay_alu instid0(SALU_CYCLE_1)
	s_and_not1_b32 exec_lo, exec_lo, s12
	s_cbranch_execnz .LBB208_46
; %bb.49:
	s_or_b32 exec_lo, exec_lo, s12
.LBB208_50:
	s_delay_alu instid0(SALU_CYCLE_1)
	s_or_b32 exec_lo, exec_lo, s11
	v_cmp_ne_u32_e32 vcc_lo, 31, v42
	v_and_b32_e32 v16, 0xff, v19
	v_lshlrev_b32_e64 v46, v42, -1
	s_mov_b32 s11, exec_lo
	v_add_co_ci_u32_e32 v15, vcc_lo, 0, v42, vcc_lo
	s_delay_alu instid0(VALU_DEP_3) | instskip(NEXT) | instid1(VALU_DEP_2)
	v_cmp_eq_u16_e32 vcc_lo, 2, v16
	v_dual_mov_b32 v16, v17 :: v_dual_lshlrev_b32 v45, 2, v15
	v_and_or_b32 v15, vcc_lo, v46, 0x80000000
	ds_bpermute_b32 v26, v45, v17
	ds_bpermute_b32 v20, v45, v18
	v_ctz_i32_b32_e32 v15, v15
	s_delay_alu instid0(VALU_DEP_1)
	v_cmpx_lt_u32_e64 v42, v15
	s_cbranch_execz .LBB208_52
; %bb.51:
	s_waitcnt lgkmcnt(1)
	v_add_co_u32 v16, vcc_lo, v17, v26
	v_add_co_ci_u32_e32 v18, vcc_lo, 0, v18, vcc_lo
	s_delay_alu instid0(VALU_DEP_2) | instskip(SKIP_1) | instid1(VALU_DEP_2)
	v_add_co_u32 v17, vcc_lo, 0, v16
	s_waitcnt lgkmcnt(0)
	v_add_co_ci_u32_e32 v18, vcc_lo, v20, v18, vcc_lo
.LBB208_52:
	s_or_b32 exec_lo, exec_lo, s11
	v_cmp_gt_u32_e32 vcc_lo, 30, v42
	v_add_nc_u32_e32 v48, 2, v42
	s_mov_b32 s11, exec_lo
	s_waitcnt lgkmcnt(0)
	v_cndmask_b32_e64 v20, 0, 1, vcc_lo
	s_delay_alu instid0(VALU_DEP_1) | instskip(NEXT) | instid1(VALU_DEP_1)
	v_lshlrev_b32_e32 v20, 1, v20
	v_add_lshl_u32 v47, v20, v42, 2
	ds_bpermute_b32 v26, v47, v16
	ds_bpermute_b32 v20, v47, v18
	v_cmpx_le_u32_e64 v48, v15
	s_cbranch_execz .LBB208_54
; %bb.53:
	s_waitcnt lgkmcnt(1)
	v_add_co_u32 v16, vcc_lo, v17, v26
	v_add_co_ci_u32_e32 v18, vcc_lo, 0, v18, vcc_lo
	s_delay_alu instid0(VALU_DEP_2) | instskip(SKIP_1) | instid1(VALU_DEP_2)
	v_add_co_u32 v17, vcc_lo, 0, v16
	s_waitcnt lgkmcnt(0)
	v_add_co_ci_u32_e32 v18, vcc_lo, v20, v18, vcc_lo
.LBB208_54:
	s_or_b32 exec_lo, exec_lo, s11
	v_cmp_gt_u32_e32 vcc_lo, 28, v42
	v_add_nc_u32_e32 v50, 4, v42
	s_mov_b32 s11, exec_lo
	s_waitcnt lgkmcnt(0)
	v_cndmask_b32_e64 v20, 0, 1, vcc_lo
	s_delay_alu instid0(VALU_DEP_1) | instskip(NEXT) | instid1(VALU_DEP_1)
	v_lshlrev_b32_e32 v20, 2, v20
	v_add_lshl_u32 v49, v20, v42, 2
	ds_bpermute_b32 v26, v49, v16
	ds_bpermute_b32 v20, v49, v18
	v_cmpx_le_u32_e64 v50, v15
	;; [unrolled: 22-line block ×4, first 2 shown]
	s_cbranch_execz .LBB208_60
; %bb.59:
	s_waitcnt lgkmcnt(1)
	v_add_co_u32 v15, vcc_lo, v17, v20
	v_add_co_ci_u32_e32 v18, vcc_lo, 0, v18, vcc_lo
	s_delay_alu instid0(VALU_DEP_2) | instskip(SKIP_1) | instid1(VALU_DEP_2)
	v_add_co_u32 v17, vcc_lo, v15, 0
	s_waitcnt lgkmcnt(0)
	v_add_co_ci_u32_e32 v18, vcc_lo, v18, v16, vcc_lo
.LBB208_60:
	s_or_b32 exec_lo, exec_lo, s11
	v_mov_b32_e32 v26, 0
	s_branch .LBB208_62
.LBB208_61:                             ;   in Loop: Header=BB208_62 Depth=1
	s_or_b32 exec_lo, exec_lo, s11
	v_add_co_u32 v17, vcc_lo, v17, v15
	v_subrev_nc_u32_e32 v25, 32, v25
	v_add_co_ci_u32_e32 v18, vcc_lo, v18, v16, vcc_lo
.LBB208_62:                             ; =>This Loop Header: Depth=1
                                        ;     Child Loop BB208_65 Depth 2
                                        ;       Child Loop BB208_66 Depth 3
	v_and_b32_e32 v15, 0xff, v19
	s_delay_alu instid0(VALU_DEP_1) | instskip(SKIP_2) | instid1(VALU_DEP_1)
	v_cmp_ne_u16_e32 vcc_lo, 2, v15
	v_cndmask_b32_e64 v15, 0, 1, vcc_lo
	;;#ASMSTART
	;;#ASMEND
	v_cmp_ne_u32_e32 vcc_lo, 0, v15
	s_waitcnt lgkmcnt(0)
	v_dual_mov_b32 v15, v17 :: v_dual_mov_b32 v16, v18
	s_cmp_lg_u32 vcc_lo, exec_lo
	s_cbranch_scc1 .LBB208_79
; %bb.63:                               ;   in Loop: Header=BB208_62 Depth=1
	v_lshlrev_b64 v[17:18], 4, v[25:26]
	s_mov_b32 s11, exec_lo
	s_delay_alu instid0(VALU_DEP_1) | instskip(NEXT) | instid1(VALU_DEP_2)
	v_add_co_u32 v27, vcc_lo, s8, v17
	v_add_co_ci_u32_e32 v28, vcc_lo, s9, v18, vcc_lo
	;;#ASMSTART
	global_load_dwordx4 v[17:20], v[27:28] off glc	
s_waitcnt vmcnt(0)
	;;#ASMEND
	v_and_b32_e32 v20, 0xff, v18
	v_and_b32_e32 v55, 0xff00, v18
	v_or3_b32 v17, v17, 0, 0
	v_and_b32_e32 v56, 0xff000000, v18
	v_and_b32_e32 v18, 0xff0000, v18
	s_delay_alu instid0(VALU_DEP_4) | instskip(SKIP_2) | instid1(VALU_DEP_3)
	v_or3_b32 v20, 0, v20, v55
	v_and_b32_e32 v55, 0xff, v19
	v_or3_b32 v17, v17, 0, 0
	v_or3_b32 v18, v20, v18, v56
	s_delay_alu instid0(VALU_DEP_3)
	v_cmpx_eq_u16_e32 0, v55
	s_cbranch_execz .LBB208_69
; %bb.64:                               ;   in Loop: Header=BB208_62 Depth=1
	s_mov_b32 s13, 1
	s_mov_b32 s12, 0
	.p2align	6
.LBB208_65:                             ;   Parent Loop BB208_62 Depth=1
                                        ; =>  This Loop Header: Depth=2
                                        ;       Child Loop BB208_66 Depth 3
	s_max_u32 s17, s13, 1
.LBB208_66:                             ;   Parent Loop BB208_62 Depth=1
                                        ;     Parent Loop BB208_65 Depth=2
                                        ; =>    This Inner Loop Header: Depth=3
	s_delay_alu instid0(SALU_CYCLE_1)
	s_add_i32 s17, s17, -1
	s_sleep 1
	s_cmp_eq_u32 s17, 0
	s_cbranch_scc0 .LBB208_66
; %bb.67:                               ;   in Loop: Header=BB208_65 Depth=2
	;;#ASMSTART
	global_load_dwordx4 v[17:20], v[27:28] off glc	
s_waitcnt vmcnt(0)
	;;#ASMEND
	v_and_b32_e32 v20, 0xff, v19
	s_cmp_lt_u32 s13, 32
	s_cselect_b32 s17, -1, 0
	s_delay_alu instid0(SALU_CYCLE_1) | instskip(NEXT) | instid1(VALU_DEP_1)
	s_cmp_lg_u32 s17, 0
	v_cmp_ne_u16_e32 vcc_lo, 0, v20
	s_addc_u32 s13, s13, 0
	s_or_b32 s12, vcc_lo, s12
	s_delay_alu instid0(SALU_CYCLE_1)
	s_and_not1_b32 exec_lo, exec_lo, s12
	s_cbranch_execnz .LBB208_65
; %bb.68:                               ;   in Loop: Header=BB208_62 Depth=1
	s_or_b32 exec_lo, exec_lo, s12
.LBB208_69:                             ;   in Loop: Header=BB208_62 Depth=1
	s_delay_alu instid0(SALU_CYCLE_1)
	s_or_b32 exec_lo, exec_lo, s11
	v_dual_mov_b32 v27, v17 :: v_dual_and_b32 v20, 0xff, v19
	ds_bpermute_b32 v55, v45, v17
	ds_bpermute_b32 v28, v45, v18
	s_mov_b32 s11, exec_lo
	v_cmp_eq_u16_e32 vcc_lo, 2, v20
	v_and_or_b32 v20, vcc_lo, v46, 0x80000000
	s_delay_alu instid0(VALU_DEP_1) | instskip(NEXT) | instid1(VALU_DEP_1)
	v_ctz_i32_b32_e32 v20, v20
	v_cmpx_lt_u32_e64 v42, v20
	s_cbranch_execz .LBB208_71
; %bb.70:                               ;   in Loop: Header=BB208_62 Depth=1
	s_waitcnt lgkmcnt(1)
	v_add_co_u32 v27, vcc_lo, v17, v55
	v_add_co_ci_u32_e32 v18, vcc_lo, 0, v18, vcc_lo
	s_delay_alu instid0(VALU_DEP_2) | instskip(SKIP_1) | instid1(VALU_DEP_2)
	v_add_co_u32 v17, vcc_lo, 0, v27
	s_waitcnt lgkmcnt(0)
	v_add_co_ci_u32_e32 v18, vcc_lo, v28, v18, vcc_lo
.LBB208_71:                             ;   in Loop: Header=BB208_62 Depth=1
	s_or_b32 exec_lo, exec_lo, s11
	s_waitcnt lgkmcnt(1)
	ds_bpermute_b32 v55, v47, v27
	s_waitcnt lgkmcnt(1)
	ds_bpermute_b32 v28, v47, v18
	s_mov_b32 s11, exec_lo
	v_cmpx_le_u32_e64 v48, v20
	s_cbranch_execz .LBB208_73
; %bb.72:                               ;   in Loop: Header=BB208_62 Depth=1
	s_waitcnt lgkmcnt(1)
	v_add_co_u32 v27, vcc_lo, v17, v55
	v_add_co_ci_u32_e32 v18, vcc_lo, 0, v18, vcc_lo
	s_delay_alu instid0(VALU_DEP_2) | instskip(SKIP_1) | instid1(VALU_DEP_2)
	v_add_co_u32 v17, vcc_lo, 0, v27
	s_waitcnt lgkmcnt(0)
	v_add_co_ci_u32_e32 v18, vcc_lo, v28, v18, vcc_lo
.LBB208_73:                             ;   in Loop: Header=BB208_62 Depth=1
	s_or_b32 exec_lo, exec_lo, s11
	s_waitcnt lgkmcnt(1)
	ds_bpermute_b32 v55, v49, v27
	s_waitcnt lgkmcnt(1)
	ds_bpermute_b32 v28, v49, v18
	s_mov_b32 s11, exec_lo
	v_cmpx_le_u32_e64 v50, v20
	;; [unrolled: 17-line block ×3, first 2 shown]
	s_cbranch_execz .LBB208_77
; %bb.76:                               ;   in Loop: Header=BB208_62 Depth=1
	s_waitcnt lgkmcnt(1)
	v_add_co_u32 v27, vcc_lo, v17, v55
	v_add_co_ci_u32_e32 v18, vcc_lo, 0, v18, vcc_lo
	s_delay_alu instid0(VALU_DEP_2) | instskip(SKIP_1) | instid1(VALU_DEP_2)
	v_add_co_u32 v17, vcc_lo, 0, v27
	s_waitcnt lgkmcnt(0)
	v_add_co_ci_u32_e32 v18, vcc_lo, v28, v18, vcc_lo
.LBB208_77:                             ;   in Loop: Header=BB208_62 Depth=1
	s_or_b32 exec_lo, exec_lo, s11
	s_waitcnt lgkmcnt(0)
	ds_bpermute_b32 v28, v53, v27
	ds_bpermute_b32 v27, v53, v18
	s_mov_b32 s11, exec_lo
	v_cmpx_le_u32_e64 v54, v20
	s_cbranch_execz .LBB208_61
; %bb.78:                               ;   in Loop: Header=BB208_62 Depth=1
	s_waitcnt lgkmcnt(1)
	v_add_co_u32 v17, vcc_lo, v17, v28
	v_add_co_ci_u32_e32 v18, vcc_lo, 0, v18, vcc_lo
	s_delay_alu instid0(VALU_DEP_2) | instskip(SKIP_1) | instid1(VALU_DEP_2)
	v_add_co_u32 v17, vcc_lo, v17, 0
	s_waitcnt lgkmcnt(0)
	v_add_co_ci_u32_e32 v18, vcc_lo, v18, v27, vcc_lo
	s_branch .LBB208_61
.LBB208_79:                             ;   in Loop: Header=BB208_62 Depth=1
                                        ; implicit-def: $vgpr17_vgpr18
	s_cbranch_execz .LBB208_62
; %bb.80:
	s_and_saveexec_b32 s11, s3
	s_cbranch_execz .LBB208_82
; %bb.81:
	s_add_i32 s12, s15, 32
	s_mov_b32 s13, 0
	v_add_co_u32 v17, vcc_lo, v15, v13
	s_lshl_b64 s[12:13], s[12:13], 4
	v_dual_mov_b32 v19, 2 :: v_dual_mov_b32 v20, 0
	s_add_u32 s12, s8, s12
	s_addc_u32 s13, s9, s13
	v_add_co_ci_u32_e32 v18, vcc_lo, v16, v14, vcc_lo
	v_dual_mov_b32 v26, s13 :: v_dual_mov_b32 v25, s12
	;;#ASMSTART
	global_store_dwordx4 v[25:26], v[17:20] off	
s_waitcnt vmcnt(0)
	;;#ASMEND
	ds_store_b128 v20, v[13:16] offset:6144
.LBB208_82:
	s_or_b32 exec_lo, exec_lo, s11
	v_cmp_eq_u32_e32 vcc_lo, 0, v0
	s_and_b32 exec_lo, exec_lo, vcc_lo
	s_cbranch_execz .LBB208_84
; %bb.83:
	v_mov_b32_e32 v13, 0
	ds_store_b64 v13, v[15:16] offset:24
.LBB208_84:
	s_or_b32 exec_lo, exec_lo, s10
	s_waitcnt lgkmcnt(1)
	v_cndmask_b32_e64 v16, v29, v23, s3
	v_cmp_ne_u32_e32 vcc_lo, 0, v0
	v_mov_b32_e32 v15, 0
	s_waitcnt lgkmcnt(0)
	s_barrier
	buffer_gl0_inv
	v_cndmask_b32_e32 v16, 0, v16, vcc_lo
	ds_load_b64 v[13:14], v15 offset:24
	v_cndmask_b32_e64 v17, v30, v24, s3
	s_waitcnt lgkmcnt(0)
	s_barrier
	buffer_gl0_inv
	v_cndmask_b32_e32 v17, 0, v17, vcc_lo
	v_add_co_u32 v29, vcc_lo, v13, v16
	s_delay_alu instid0(VALU_DEP_2) | instskip(SKIP_3) | instid1(VALU_DEP_2)
	v_add_co_ci_u32_e32 v30, vcc_lo, v14, v17, vcc_lo
	ds_load_b128 v[13:16], v15 offset:6144
	v_add_co_u32 v27, vcc_lo, v29, v41
	v_add_co_ci_u32_e32 v28, vcc_lo, 0, v30, vcc_lo
	v_add_co_u32 v25, vcc_lo, v27, v40
	s_delay_alu instid0(VALU_DEP_2) | instskip(NEXT) | instid1(VALU_DEP_2)
	v_add_co_ci_u32_e32 v26, vcc_lo, 0, v28, vcc_lo
	v_add_co_u32 v23, vcc_lo, v25, v39
	s_delay_alu instid0(VALU_DEP_2) | instskip(NEXT) | instid1(VALU_DEP_2)
	;; [unrolled: 3-line block ×3, first 2 shown]
	v_add_co_ci_u32_e32 v20, vcc_lo, 0, v24, vcc_lo
	v_add_co_u32 v17, vcc_lo, v19, v37
	s_delay_alu instid0(VALU_DEP_2)
	v_add_co_ci_u32_e32 v18, vcc_lo, 0, v20, vcc_lo
	s_load_b64 s[10:11], s[0:1], 0x30
.LBB208_85:
	s_waitcnt lgkmcnt(0)
	v_cmp_gt_u64_e32 vcc_lo, 0x81, v[13:14]
	s_mov_b32 s0, -1
	s_cbranch_vccnz .LBB208_113
.LBB208_86:
	s_and_b32 vcc_lo, exec_lo, s0
	s_cbranch_vccnz .LBB208_132
.LBB208_87:
	v_cmp_eq_u32_e32 vcc_lo, 0, v0
	s_and_b32 s0, vcc_lo, s14
	s_delay_alu instid0(SALU_CYCLE_1)
	s_and_saveexec_b32 s1, s0
	s_cbranch_execnz .LBB208_148
.LBB208_88:
	s_nop 0
	s_sendmsg sendmsg(MSG_DEALLOC_VGPRS)
	s_endpgm
.LBB208_89:
                                        ; kill: def $vgpr13_vgpr14 killed $sgpr0_sgpr1 killed $exec
                                        ; implicit-def: $vgpr17_vgpr18
                                        ; implicit-def: $vgpr19_vgpr20
                                        ; implicit-def: $vgpr23_vgpr24
                                        ; implicit-def: $vgpr25_vgpr26
                                        ; implicit-def: $vgpr27_vgpr28
                                        ; implicit-def: $vgpr29_vgpr30
                                        ; implicit-def: $vgpr15_vgpr16
	s_load_b64 s[10:11], s[0:1], 0x30
	s_and_b32 vcc_lo, exec_lo, s3
	s_cbranch_vccz .LBB208_85
; %bb.90:
	s_waitcnt lgkmcnt(0)
	v_dual_mov_b32 v14, 0 :: v_dual_mov_b32 v15, v21
	v_mov_b32_dpp v16, v21 row_shr:1 row_mask:0xf bank_mask:0xf
	s_delay_alu instid0(VALU_DEP_2)
	v_mov_b32_dpp v13, v14 row_shr:1 row_mask:0xf bank_mask:0xf
	s_and_saveexec_b32 s0, s2
; %bb.91:
	s_delay_alu instid0(VALU_DEP_2) | instskip(SKIP_1) | instid1(VALU_DEP_2)
	v_add_co_u32 v15, vcc_lo, v21, v16
	v_add_co_ci_u32_e32 v14, vcc_lo, 0, v22, vcc_lo
	v_add_co_u32 v21, vcc_lo, 0, v15
	s_delay_alu instid0(VALU_DEP_2) | instskip(NEXT) | instid1(VALU_DEP_1)
	v_add_co_ci_u32_e32 v22, vcc_lo, v13, v14, vcc_lo
	v_mov_b32_e32 v14, v22
; %bb.92:
	s_or_b32 exec_lo, exec_lo, s0
	v_mov_b32_dpp v13, v15 row_shr:2 row_mask:0xf bank_mask:0xf
	s_delay_alu instid0(VALU_DEP_2)
	v_mov_b32_dpp v16, v14 row_shr:2 row_mask:0xf bank_mask:0xf
	s_mov_b32 s0, exec_lo
	v_cmpx_lt_u32_e32 1, v44
; %bb.93:
	s_delay_alu instid0(VALU_DEP_3) | instskip(SKIP_1) | instid1(VALU_DEP_2)
	v_add_co_u32 v15, vcc_lo, v21, v13
	v_add_co_ci_u32_e32 v14, vcc_lo, 0, v22, vcc_lo
	v_add_co_u32 v13, vcc_lo, 0, v15
	s_delay_alu instid0(VALU_DEP_2) | instskip(NEXT) | instid1(VALU_DEP_1)
	v_add_co_ci_u32_e32 v14, vcc_lo, v16, v14, vcc_lo
	v_dual_mov_b32 v22, v14 :: v_dual_mov_b32 v21, v13
; %bb.94:
	s_or_b32 exec_lo, exec_lo, s0
	v_mov_b32_dpp v13, v15 row_shr:4 row_mask:0xf bank_mask:0xf
	v_mov_b32_dpp v16, v14 row_shr:4 row_mask:0xf bank_mask:0xf
	s_mov_b32 s0, exec_lo
	v_cmpx_lt_u32_e32 3, v44
; %bb.95:
	s_delay_alu instid0(VALU_DEP_3) | instskip(SKIP_1) | instid1(VALU_DEP_2)
	v_add_co_u32 v15, vcc_lo, v21, v13
	v_add_co_ci_u32_e32 v14, vcc_lo, 0, v22, vcc_lo
	v_add_co_u32 v13, vcc_lo, 0, v15
	s_delay_alu instid0(VALU_DEP_2) | instskip(NEXT) | instid1(VALU_DEP_1)
	v_add_co_ci_u32_e32 v14, vcc_lo, v16, v14, vcc_lo
	v_dual_mov_b32 v22, v14 :: v_dual_mov_b32 v21, v13
; %bb.96:
	s_or_b32 exec_lo, exec_lo, s0
	v_mov_b32_dpp v16, v15 row_shr:8 row_mask:0xf bank_mask:0xf
	v_mov_b32_dpp v13, v14 row_shr:8 row_mask:0xf bank_mask:0xf
	s_mov_b32 s0, exec_lo
	v_cmpx_lt_u32_e32 7, v44
; %bb.97:
	s_delay_alu instid0(VALU_DEP_3) | instskip(SKIP_1) | instid1(VALU_DEP_2)
	v_add_co_u32 v15, vcc_lo, v21, v16
	v_add_co_ci_u32_e32 v14, vcc_lo, 0, v22, vcc_lo
	v_add_co_u32 v21, vcc_lo, 0, v15
	s_delay_alu instid0(VALU_DEP_2) | instskip(NEXT) | instid1(VALU_DEP_1)
	v_add_co_ci_u32_e32 v22, vcc_lo, v13, v14, vcc_lo
	v_mov_b32_e32 v14, v22
; %bb.98:
	s_or_b32 exec_lo, exec_lo, s0
	ds_swizzle_b32 v15, v15 offset:swizzle(BROADCAST,32,15)
	ds_swizzle_b32 v13, v14 offset:swizzle(BROADCAST,32,15)
	v_and_b32_e32 v14, 16, v42
	s_mov_b32 s0, exec_lo
	s_delay_alu instid0(VALU_DEP_1)
	v_cmpx_ne_u32_e32 0, v14
	s_cbranch_execz .LBB208_100
; %bb.99:
	s_waitcnt lgkmcnt(1)
	v_add_co_u32 v14, vcc_lo, v21, v15
	v_add_co_ci_u32_e32 v15, vcc_lo, 0, v22, vcc_lo
	s_delay_alu instid0(VALU_DEP_2) | instskip(SKIP_1) | instid1(VALU_DEP_2)
	v_add_co_u32 v21, vcc_lo, v14, 0
	s_waitcnt lgkmcnt(0)
	v_add_co_ci_u32_e32 v22, vcc_lo, v15, v13, vcc_lo
.LBB208_100:
	s_or_b32 exec_lo, exec_lo, s0
	s_waitcnt lgkmcnt(0)
	v_or_b32_e32 v13, 31, v0
	v_lshrrev_b32_e32 v15, 5, v0
	s_mov_b32 s0, exec_lo
	s_delay_alu instid0(VALU_DEP_2)
	v_cmpx_eq_u32_e64 v13, v0
	s_cbranch_execz .LBB208_102
; %bb.101:
	s_delay_alu instid0(VALU_DEP_2)
	v_lshlrev_b32_e32 v13, 3, v15
	ds_store_b64 v13, v[21:22]
.LBB208_102:
	s_or_b32 exec_lo, exec_lo, s0
	s_delay_alu instid0(SALU_CYCLE_1)
	s_mov_b32 s0, exec_lo
	s_waitcnt lgkmcnt(0)
	s_barrier
	buffer_gl0_inv
	v_cmpx_gt_u32_e32 4, v0
	s_cbranch_execz .LBB208_108
; %bb.103:
	v_lshlrev_b32_e32 v13, 1, v0
	s_mov_b32 s1, exec_lo
	s_delay_alu instid0(VALU_DEP_1)
	v_add_nc_u32_e32 v16, v43, v13
	ds_load_b64 v[13:14], v16
	s_waitcnt lgkmcnt(0)
	v_dual_mov_b32 v18, v13 :: v_dual_and_b32 v17, 3, v42
	v_mov_b32_dpp v20, v13 row_shr:1 row_mask:0xf bank_mask:0xf
	v_mov_b32_dpp v19, v14 row_shr:1 row_mask:0xf bank_mask:0xf
	s_delay_alu instid0(VALU_DEP_3)
	v_cmpx_ne_u32_e32 0, v17
; %bb.104:
	s_delay_alu instid0(VALU_DEP_3) | instskip(SKIP_1) | instid1(VALU_DEP_2)
	v_add_co_u32 v18, vcc_lo, v13, v20
	v_add_co_ci_u32_e32 v14, vcc_lo, 0, v14, vcc_lo
	v_add_co_u32 v13, vcc_lo, 0, v18
	s_delay_alu instid0(VALU_DEP_2)
	v_add_co_ci_u32_e32 v14, vcc_lo, v19, v14, vcc_lo
; %bb.105:
	s_or_b32 exec_lo, exec_lo, s1
	v_mov_b32_dpp v19, v18 row_shr:2 row_mask:0xf bank_mask:0xf
	s_delay_alu instid0(VALU_DEP_2)
	v_mov_b32_dpp v18, v14 row_shr:2 row_mask:0xf bank_mask:0xf
	s_mov_b32 s1, exec_lo
	v_cmpx_lt_u32_e32 1, v17
; %bb.106:
	s_delay_alu instid0(VALU_DEP_3) | instskip(SKIP_1) | instid1(VALU_DEP_2)
	v_add_co_u32 v13, vcc_lo, v13, v19
	v_add_co_ci_u32_e32 v14, vcc_lo, 0, v14, vcc_lo
	v_add_co_u32 v13, vcc_lo, v13, 0
	s_delay_alu instid0(VALU_DEP_2)
	v_add_co_ci_u32_e32 v14, vcc_lo, v14, v18, vcc_lo
; %bb.107:
	s_or_b32 exec_lo, exec_lo, s1
	ds_store_b64 v16, v[13:14]
.LBB208_108:
	s_or_b32 exec_lo, exec_lo, s0
	v_mov_b32_e32 v17, 0
	v_mov_b32_e32 v18, 0
	s_mov_b32 s0, exec_lo
	s_waitcnt lgkmcnt(0)
	s_barrier
	buffer_gl0_inv
	v_cmpx_lt_u32_e32 31, v0
	s_cbranch_execz .LBB208_110
; %bb.109:
	v_lshl_add_u32 v13, v15, 3, -8
	ds_load_b64 v[17:18], v13
.LBB208_110:
	s_or_b32 exec_lo, exec_lo, s0
	v_dual_mov_b32 v16, 0 :: v_dual_add_nc_u32 v13, -1, v42
	s_delay_alu instid0(VALU_DEP_1) | instskip(SKIP_4) | instid1(VALU_DEP_3)
	v_cmp_gt_i32_e32 vcc_lo, 0, v13
	v_cndmask_b32_e32 v13, v13, v42, vcc_lo
	s_waitcnt lgkmcnt(0)
	v_add_co_u32 v14, vcc_lo, v17, v21
	v_add_co_ci_u32_e32 v15, vcc_lo, v18, v22, vcc_lo
	v_lshlrev_b32_e32 v13, 2, v13
	v_cmp_eq_u32_e32 vcc_lo, 0, v0
	ds_bpermute_b32 v19, v13, v14
	ds_bpermute_b32 v20, v13, v15
	ds_load_b64 v[13:14], v16 offset:24
	s_and_saveexec_b32 s0, vcc_lo
	s_cbranch_execz .LBB208_112
; %bb.111:
	s_add_u32 s2, s8, 0x200
	s_addc_u32 s3, s9, 0
	s_delay_alu instid0(SALU_CYCLE_1)
	v_dual_mov_b32 v15, 2 :: v_dual_mov_b32 v22, s3
	v_mov_b32_e32 v21, s2
	s_waitcnt lgkmcnt(0)
	;;#ASMSTART
	global_store_dwordx4 v[21:22], v[13:16] off	
s_waitcnt vmcnt(0)
	;;#ASMEND
.LBB208_112:
	s_or_b32 exec_lo, exec_lo, s0
	v_cmp_eq_u32_e64 s0, 0, v42
	s_waitcnt lgkmcnt(0)
	s_barrier
	buffer_gl0_inv
	v_cndmask_b32_e64 v15, v19, v17, s0
	v_cndmask_b32_e64 v16, v20, v18, s0
	s_delay_alu instid0(VALU_DEP_2) | instskip(NEXT) | instid1(VALU_DEP_2)
	v_cndmask_b32_e64 v29, v15, 0, vcc_lo
	v_cndmask_b32_e64 v30, v16, 0, vcc_lo
	v_mov_b32_e32 v15, 0
	v_mov_b32_e32 v16, 0
	s_delay_alu instid0(VALU_DEP_4) | instskip(NEXT) | instid1(VALU_DEP_4)
	v_add_co_u32 v27, vcc_lo, v29, v41
	v_add_co_ci_u32_e32 v28, vcc_lo, 0, v30, vcc_lo
	s_delay_alu instid0(VALU_DEP_2) | instskip(NEXT) | instid1(VALU_DEP_2)
	v_add_co_u32 v25, vcc_lo, v27, v40
	v_add_co_ci_u32_e32 v26, vcc_lo, 0, v28, vcc_lo
	s_delay_alu instid0(VALU_DEP_2) | instskip(NEXT) | instid1(VALU_DEP_2)
	;; [unrolled: 3-line block ×4, first 2 shown]
	v_add_co_u32 v17, vcc_lo, v19, v37
	v_add_co_ci_u32_e32 v18, vcc_lo, 0, v20, vcc_lo
	v_cmp_gt_u64_e32 vcc_lo, 0x81, v[13:14]
	s_mov_b32 s0, -1
	s_cbranch_vccz .LBB208_86
.LBB208_113:
	v_add_co_u32 v21, vcc_lo, v15, v13
	v_add_co_ci_u32_e32 v22, vcc_lo, v16, v14, vcc_lo
	s_delay_alu instid0(VALU_DEP_1) | instskip(SKIP_1) | instid1(SALU_CYCLE_1)
	v_cmp_lt_u64_e32 vcc_lo, v[29:30], v[21:22]
	s_or_b32 s1, s16, vcc_lo
	s_and_saveexec_b32 s0, s1
	s_cbranch_execz .LBB208_116
; %bb.114:
	v_and_b32_e32 v37, 1, v36
	s_delay_alu instid0(VALU_DEP_1)
	v_cmp_eq_u32_e32 vcc_lo, 1, v37
	s_and_b32 exec_lo, exec_lo, vcc_lo
	s_cbranch_execz .LBB208_116
; %bb.115:
	v_lshlrev_b64 v[37:38], 3, v[29:30]
	s_lshl_b64 s[2:3], s[6:7], 3
	s_delay_alu instid0(SALU_CYCLE_1) | instskip(SKIP_1) | instid1(VALU_DEP_1)
	s_add_u32 s1, s10, s2
	s_addc_u32 s2, s11, s3
	v_add_co_u32 v37, vcc_lo, s1, v37
	s_delay_alu instid0(VALU_DEP_2)
	v_add_co_ci_u32_e32 v38, vcc_lo, s2, v38, vcc_lo
	global_store_b64 v[37:38], v[9:10], off
.LBB208_116:
	s_or_b32 exec_lo, exec_lo, s0
	v_cmp_lt_u64_e32 vcc_lo, v[27:28], v[21:22]
	s_or_b32 s1, s16, vcc_lo
	s_delay_alu instid0(SALU_CYCLE_1)
	s_and_saveexec_b32 s0, s1
	s_cbranch_execz .LBB208_119
; %bb.117:
	v_and_b32_e32 v30, 1, v34
	s_delay_alu instid0(VALU_DEP_1)
	v_cmp_eq_u32_e32 vcc_lo, 1, v30
	s_and_b32 exec_lo, exec_lo, vcc_lo
	s_cbranch_execz .LBB208_119
; %bb.118:
	v_lshlrev_b64 v[37:38], 3, v[27:28]
	s_lshl_b64 s[2:3], s[6:7], 3
	s_delay_alu instid0(SALU_CYCLE_1) | instskip(SKIP_1) | instid1(VALU_DEP_1)
	s_add_u32 s1, s10, s2
	s_addc_u32 s2, s11, s3
	v_add_co_u32 v37, vcc_lo, s1, v37
	s_delay_alu instid0(VALU_DEP_2)
	v_add_co_ci_u32_e32 v38, vcc_lo, s2, v38, vcc_lo
	global_store_b64 v[37:38], v[11:12], off
.LBB208_119:
	s_or_b32 exec_lo, exec_lo, s0
	v_cmp_lt_u64_e32 vcc_lo, v[25:26], v[21:22]
	s_or_b32 s1, s16, vcc_lo
	s_delay_alu instid0(SALU_CYCLE_1)
	;; [unrolled: 23-line block ×5, first 2 shown]
	s_and_saveexec_b32 s0, s1
	s_cbranch_execz .LBB208_131
; %bb.129:
	v_and_b32_e32 v20, 1, v32
	s_delay_alu instid0(VALU_DEP_1)
	v_cmp_eq_u32_e32 vcc_lo, 1, v20
	s_and_b32 exec_lo, exec_lo, vcc_lo
	s_cbranch_execz .LBB208_131
; %bb.130:
	v_lshlrev_b64 v[20:21], 3, v[17:18]
	s_lshl_b64 s[2:3], s[6:7], 3
	s_delay_alu instid0(SALU_CYCLE_1) | instskip(SKIP_1) | instid1(VALU_DEP_1)
	s_add_u32 s1, s10, s2
	s_addc_u32 s2, s11, s3
	v_add_co_u32 v20, vcc_lo, s1, v20
	s_delay_alu instid0(VALU_DEP_2)
	v_add_co_ci_u32_e32 v21, vcc_lo, s2, v21, vcc_lo
	global_store_b64 v[20:21], v[3:4], off
.LBB208_131:
	s_or_b32 exec_lo, exec_lo, s0
	s_branch .LBB208_87
.LBB208_132:
	v_and_b32_e32 v18, 1, v36
	s_mov_b32 s0, exec_lo
	s_delay_alu instid0(VALU_DEP_1)
	v_cmpx_eq_u32_e32 1, v18
	s_cbranch_execz .LBB208_134
; %bb.133:
	v_sub_nc_u32_e32 v18, v29, v15
	s_delay_alu instid0(VALU_DEP_1)
	v_lshlrev_b32_e32 v18, 3, v18
	ds_store_b64 v18, v[9:10]
.LBB208_134:
	s_or_b32 exec_lo, exec_lo, s0
	v_and_b32_e32 v9, 1, v34
	s_mov_b32 s0, exec_lo
	s_delay_alu instid0(VALU_DEP_1)
	v_cmpx_eq_u32_e32 1, v9
	s_cbranch_execz .LBB208_136
; %bb.135:
	v_sub_nc_u32_e32 v9, v27, v15
	s_delay_alu instid0(VALU_DEP_1)
	v_lshlrev_b32_e32 v9, 3, v9
	ds_store_b64 v9, v[11:12]
.LBB208_136:
	s_or_b32 exec_lo, exec_lo, s0
	;; [unrolled: 12-line block ×6, first 2 shown]
	v_mov_b32_e32 v3, 0
	s_mov_b32 s1, exec_lo
	s_waitcnt lgkmcnt(0)
	s_waitcnt_vscnt null, 0x0
	s_barrier
	buffer_gl0_inv
	v_mov_b32_e32 v1, v3
	s_delay_alu instid0(VALU_DEP_1)
	v_cmpx_gt_u64_e64 v[13:14], v[0:1]
	s_cbranch_execz .LBB208_147
; %bb.145:
	v_lshlrev_b64 v[4:5], 3, v[15:16]
	s_lshl_b64 s[2:3], s[6:7], 3
	v_or_b32_e32 v2, 0x80, v0
	s_delay_alu instid0(VALU_DEP_2) | instskip(NEXT) | instid1(VALU_DEP_3)
	v_add_co_u32 v4, vcc_lo, s10, v4
	v_add_co_ci_u32_e32 v5, vcc_lo, s11, v5, vcc_lo
	s_delay_alu instid0(VALU_DEP_2) | instskip(NEXT) | instid1(VALU_DEP_2)
	v_add_co_u32 v6, vcc_lo, v4, s2
	v_add_co_ci_u32_e32 v7, vcc_lo, s3, v5, vcc_lo
	v_dual_mov_b32 v5, v1 :: v_dual_mov_b32 v4, v0
	s_mov_b32 s2, 0
	.p2align	6
.LBB208_146:                            ; =>This Inner Loop Header: Depth=1
	s_delay_alu instid0(VALU_DEP_1) | instskip(NEXT) | instid1(VALU_DEP_2)
	v_lshlrev_b32_e32 v1, 3, v4
	v_lshlrev_b64 v[10:11], 3, v[4:5]
	v_dual_mov_b32 v5, v3 :: v_dual_mov_b32 v4, v2
	v_cmp_le_u64_e32 vcc_lo, v[13:14], v[2:3]
	v_add_nc_u32_e32 v2, 0x80, v2
	ds_load_b64 v[8:9], v1
	v_add_co_u32 v10, s0, v6, v10
	s_delay_alu instid0(VALU_DEP_1)
	v_add_co_ci_u32_e64 v11, s0, v7, v11, s0
	s_or_b32 s2, vcc_lo, s2
	s_waitcnt lgkmcnt(0)
	global_store_b64 v[10:11], v[8:9], off
	s_and_not1_b32 exec_lo, exec_lo, s2
	s_cbranch_execnz .LBB208_146
.LBB208_147:
	s_or_b32 exec_lo, exec_lo, s1
	v_cmp_eq_u32_e32 vcc_lo, 0, v0
	s_and_b32 s0, vcc_lo, s14
	s_delay_alu instid0(SALU_CYCLE_1)
	s_and_saveexec_b32 s1, s0
	s_cbranch_execz .LBB208_88
.LBB208_148:
	v_add_co_u32 v0, vcc_lo, v15, v13
	v_add_co_ci_u32_e32 v1, vcc_lo, v16, v14, vcc_lo
	v_mov_b32_e32 v2, 0
	s_delay_alu instid0(VALU_DEP_3) | instskip(NEXT) | instid1(VALU_DEP_3)
	v_add_co_u32 v0, vcc_lo, v0, s6
	v_add_co_ci_u32_e32 v1, vcc_lo, s7, v1, vcc_lo
	global_store_b64 v2, v[0:1], s[4:5]
	s_nop 0
	s_sendmsg sendmsg(MSG_DEALLOC_VGPRS)
	s_endpgm
	.section	.rodata,"a",@progbits
	.p2align	6, 0x0
	.amdhsa_kernel _ZN7rocprim17ROCPRIM_400000_NS6detail17trampoline_kernelINS0_14default_configENS1_25partition_config_selectorILNS1_17partition_subalgoE5ElNS0_10empty_typeEbEEZZNS1_14partition_implILS5_5ELb0ES3_mN6hipcub16HIPCUB_304000_NS21CountingInputIteratorIllEEPS6_NSA_22TransformInputIteratorIbN2at6native12_GLOBAL__N_19NonZeroOpIiEEPKilEENS0_5tupleIJPlS6_EEENSN_IJSD_SD_EEES6_PiJS6_EEE10hipError_tPvRmT3_T4_T5_T6_T7_T9_mT8_P12ihipStream_tbDpT10_ENKUlT_T0_E_clISt17integral_constantIbLb1EES1A_IbLb0EEEEDaS16_S17_EUlS16_E_NS1_11comp_targetILNS1_3genE9ELNS1_11target_archE1100ELNS1_3gpuE3ELNS1_3repE0EEENS1_30default_config_static_selectorELNS0_4arch9wavefront6targetE0EEEvT1_
		.amdhsa_group_segment_fixed_size 6160
		.amdhsa_private_segment_fixed_size 0
		.amdhsa_kernarg_size 120
		.amdhsa_user_sgpr_count 15
		.amdhsa_user_sgpr_dispatch_ptr 0
		.amdhsa_user_sgpr_queue_ptr 0
		.amdhsa_user_sgpr_kernarg_segment_ptr 1
		.amdhsa_user_sgpr_dispatch_id 0
		.amdhsa_user_sgpr_private_segment_size 0
		.amdhsa_wavefront_size32 1
		.amdhsa_uses_dynamic_stack 0
		.amdhsa_enable_private_segment 0
		.amdhsa_system_sgpr_workgroup_id_x 1
		.amdhsa_system_sgpr_workgroup_id_y 0
		.amdhsa_system_sgpr_workgroup_id_z 0
		.amdhsa_system_sgpr_workgroup_info 0
		.amdhsa_system_vgpr_workitem_id 0
		.amdhsa_next_free_vgpr 57
		.amdhsa_next_free_sgpr 21
		.amdhsa_reserve_vcc 1
		.amdhsa_float_round_mode_32 0
		.amdhsa_float_round_mode_16_64 0
		.amdhsa_float_denorm_mode_32 3
		.amdhsa_float_denorm_mode_16_64 3
		.amdhsa_dx10_clamp 1
		.amdhsa_ieee_mode 1
		.amdhsa_fp16_overflow 0
		.amdhsa_workgroup_processor_mode 1
		.amdhsa_memory_ordered 1
		.amdhsa_forward_progress 0
		.amdhsa_shared_vgpr_count 0
		.amdhsa_exception_fp_ieee_invalid_op 0
		.amdhsa_exception_fp_denorm_src 0
		.amdhsa_exception_fp_ieee_div_zero 0
		.amdhsa_exception_fp_ieee_overflow 0
		.amdhsa_exception_fp_ieee_underflow 0
		.amdhsa_exception_fp_ieee_inexact 0
		.amdhsa_exception_int_div_zero 0
	.end_amdhsa_kernel
	.section	.text._ZN7rocprim17ROCPRIM_400000_NS6detail17trampoline_kernelINS0_14default_configENS1_25partition_config_selectorILNS1_17partition_subalgoE5ElNS0_10empty_typeEbEEZZNS1_14partition_implILS5_5ELb0ES3_mN6hipcub16HIPCUB_304000_NS21CountingInputIteratorIllEEPS6_NSA_22TransformInputIteratorIbN2at6native12_GLOBAL__N_19NonZeroOpIiEEPKilEENS0_5tupleIJPlS6_EEENSN_IJSD_SD_EEES6_PiJS6_EEE10hipError_tPvRmT3_T4_T5_T6_T7_T9_mT8_P12ihipStream_tbDpT10_ENKUlT_T0_E_clISt17integral_constantIbLb1EES1A_IbLb0EEEEDaS16_S17_EUlS16_E_NS1_11comp_targetILNS1_3genE9ELNS1_11target_archE1100ELNS1_3gpuE3ELNS1_3repE0EEENS1_30default_config_static_selectorELNS0_4arch9wavefront6targetE0EEEvT1_,"axG",@progbits,_ZN7rocprim17ROCPRIM_400000_NS6detail17trampoline_kernelINS0_14default_configENS1_25partition_config_selectorILNS1_17partition_subalgoE5ElNS0_10empty_typeEbEEZZNS1_14partition_implILS5_5ELb0ES3_mN6hipcub16HIPCUB_304000_NS21CountingInputIteratorIllEEPS6_NSA_22TransformInputIteratorIbN2at6native12_GLOBAL__N_19NonZeroOpIiEEPKilEENS0_5tupleIJPlS6_EEENSN_IJSD_SD_EEES6_PiJS6_EEE10hipError_tPvRmT3_T4_T5_T6_T7_T9_mT8_P12ihipStream_tbDpT10_ENKUlT_T0_E_clISt17integral_constantIbLb1EES1A_IbLb0EEEEDaS16_S17_EUlS16_E_NS1_11comp_targetILNS1_3genE9ELNS1_11target_archE1100ELNS1_3gpuE3ELNS1_3repE0EEENS1_30default_config_static_selectorELNS0_4arch9wavefront6targetE0EEEvT1_,comdat
.Lfunc_end208:
	.size	_ZN7rocprim17ROCPRIM_400000_NS6detail17trampoline_kernelINS0_14default_configENS1_25partition_config_selectorILNS1_17partition_subalgoE5ElNS0_10empty_typeEbEEZZNS1_14partition_implILS5_5ELb0ES3_mN6hipcub16HIPCUB_304000_NS21CountingInputIteratorIllEEPS6_NSA_22TransformInputIteratorIbN2at6native12_GLOBAL__N_19NonZeroOpIiEEPKilEENS0_5tupleIJPlS6_EEENSN_IJSD_SD_EEES6_PiJS6_EEE10hipError_tPvRmT3_T4_T5_T6_T7_T9_mT8_P12ihipStream_tbDpT10_ENKUlT_T0_E_clISt17integral_constantIbLb1EES1A_IbLb0EEEEDaS16_S17_EUlS16_E_NS1_11comp_targetILNS1_3genE9ELNS1_11target_archE1100ELNS1_3gpuE3ELNS1_3repE0EEENS1_30default_config_static_selectorELNS0_4arch9wavefront6targetE0EEEvT1_, .Lfunc_end208-_ZN7rocprim17ROCPRIM_400000_NS6detail17trampoline_kernelINS0_14default_configENS1_25partition_config_selectorILNS1_17partition_subalgoE5ElNS0_10empty_typeEbEEZZNS1_14partition_implILS5_5ELb0ES3_mN6hipcub16HIPCUB_304000_NS21CountingInputIteratorIllEEPS6_NSA_22TransformInputIteratorIbN2at6native12_GLOBAL__N_19NonZeroOpIiEEPKilEENS0_5tupleIJPlS6_EEENSN_IJSD_SD_EEES6_PiJS6_EEE10hipError_tPvRmT3_T4_T5_T6_T7_T9_mT8_P12ihipStream_tbDpT10_ENKUlT_T0_E_clISt17integral_constantIbLb1EES1A_IbLb0EEEEDaS16_S17_EUlS16_E_NS1_11comp_targetILNS1_3genE9ELNS1_11target_archE1100ELNS1_3gpuE3ELNS1_3repE0EEENS1_30default_config_static_selectorELNS0_4arch9wavefront6targetE0EEEvT1_
                                        ; -- End function
	.section	.AMDGPU.csdata,"",@progbits
; Kernel info:
; codeLenInByte = 6476
; NumSgprs: 23
; NumVgprs: 57
; ScratchSize: 0
; MemoryBound: 0
; FloatMode: 240
; IeeeMode: 1
; LDSByteSize: 6160 bytes/workgroup (compile time only)
; SGPRBlocks: 2
; VGPRBlocks: 7
; NumSGPRsForWavesPerEU: 23
; NumVGPRsForWavesPerEU: 57
; Occupancy: 16
; WaveLimiterHint : 1
; COMPUTE_PGM_RSRC2:SCRATCH_EN: 0
; COMPUTE_PGM_RSRC2:USER_SGPR: 15
; COMPUTE_PGM_RSRC2:TRAP_HANDLER: 0
; COMPUTE_PGM_RSRC2:TGID_X_EN: 1
; COMPUTE_PGM_RSRC2:TGID_Y_EN: 0
; COMPUTE_PGM_RSRC2:TGID_Z_EN: 0
; COMPUTE_PGM_RSRC2:TIDIG_COMP_CNT: 0
	.section	.text._ZN7rocprim17ROCPRIM_400000_NS6detail17trampoline_kernelINS0_14default_configENS1_25partition_config_selectorILNS1_17partition_subalgoE5ElNS0_10empty_typeEbEEZZNS1_14partition_implILS5_5ELb0ES3_mN6hipcub16HIPCUB_304000_NS21CountingInputIteratorIllEEPS6_NSA_22TransformInputIteratorIbN2at6native12_GLOBAL__N_19NonZeroOpIiEEPKilEENS0_5tupleIJPlS6_EEENSN_IJSD_SD_EEES6_PiJS6_EEE10hipError_tPvRmT3_T4_T5_T6_T7_T9_mT8_P12ihipStream_tbDpT10_ENKUlT_T0_E_clISt17integral_constantIbLb1EES1A_IbLb0EEEEDaS16_S17_EUlS16_E_NS1_11comp_targetILNS1_3genE8ELNS1_11target_archE1030ELNS1_3gpuE2ELNS1_3repE0EEENS1_30default_config_static_selectorELNS0_4arch9wavefront6targetE0EEEvT1_,"axG",@progbits,_ZN7rocprim17ROCPRIM_400000_NS6detail17trampoline_kernelINS0_14default_configENS1_25partition_config_selectorILNS1_17partition_subalgoE5ElNS0_10empty_typeEbEEZZNS1_14partition_implILS5_5ELb0ES3_mN6hipcub16HIPCUB_304000_NS21CountingInputIteratorIllEEPS6_NSA_22TransformInputIteratorIbN2at6native12_GLOBAL__N_19NonZeroOpIiEEPKilEENS0_5tupleIJPlS6_EEENSN_IJSD_SD_EEES6_PiJS6_EEE10hipError_tPvRmT3_T4_T5_T6_T7_T9_mT8_P12ihipStream_tbDpT10_ENKUlT_T0_E_clISt17integral_constantIbLb1EES1A_IbLb0EEEEDaS16_S17_EUlS16_E_NS1_11comp_targetILNS1_3genE8ELNS1_11target_archE1030ELNS1_3gpuE2ELNS1_3repE0EEENS1_30default_config_static_selectorELNS0_4arch9wavefront6targetE0EEEvT1_,comdat
	.globl	_ZN7rocprim17ROCPRIM_400000_NS6detail17trampoline_kernelINS0_14default_configENS1_25partition_config_selectorILNS1_17partition_subalgoE5ElNS0_10empty_typeEbEEZZNS1_14partition_implILS5_5ELb0ES3_mN6hipcub16HIPCUB_304000_NS21CountingInputIteratorIllEEPS6_NSA_22TransformInputIteratorIbN2at6native12_GLOBAL__N_19NonZeroOpIiEEPKilEENS0_5tupleIJPlS6_EEENSN_IJSD_SD_EEES6_PiJS6_EEE10hipError_tPvRmT3_T4_T5_T6_T7_T9_mT8_P12ihipStream_tbDpT10_ENKUlT_T0_E_clISt17integral_constantIbLb1EES1A_IbLb0EEEEDaS16_S17_EUlS16_E_NS1_11comp_targetILNS1_3genE8ELNS1_11target_archE1030ELNS1_3gpuE2ELNS1_3repE0EEENS1_30default_config_static_selectorELNS0_4arch9wavefront6targetE0EEEvT1_ ; -- Begin function _ZN7rocprim17ROCPRIM_400000_NS6detail17trampoline_kernelINS0_14default_configENS1_25partition_config_selectorILNS1_17partition_subalgoE5ElNS0_10empty_typeEbEEZZNS1_14partition_implILS5_5ELb0ES3_mN6hipcub16HIPCUB_304000_NS21CountingInputIteratorIllEEPS6_NSA_22TransformInputIteratorIbN2at6native12_GLOBAL__N_19NonZeroOpIiEEPKilEENS0_5tupleIJPlS6_EEENSN_IJSD_SD_EEES6_PiJS6_EEE10hipError_tPvRmT3_T4_T5_T6_T7_T9_mT8_P12ihipStream_tbDpT10_ENKUlT_T0_E_clISt17integral_constantIbLb1EES1A_IbLb0EEEEDaS16_S17_EUlS16_E_NS1_11comp_targetILNS1_3genE8ELNS1_11target_archE1030ELNS1_3gpuE2ELNS1_3repE0EEENS1_30default_config_static_selectorELNS0_4arch9wavefront6targetE0EEEvT1_
	.p2align	8
	.type	_ZN7rocprim17ROCPRIM_400000_NS6detail17trampoline_kernelINS0_14default_configENS1_25partition_config_selectorILNS1_17partition_subalgoE5ElNS0_10empty_typeEbEEZZNS1_14partition_implILS5_5ELb0ES3_mN6hipcub16HIPCUB_304000_NS21CountingInputIteratorIllEEPS6_NSA_22TransformInputIteratorIbN2at6native12_GLOBAL__N_19NonZeroOpIiEEPKilEENS0_5tupleIJPlS6_EEENSN_IJSD_SD_EEES6_PiJS6_EEE10hipError_tPvRmT3_T4_T5_T6_T7_T9_mT8_P12ihipStream_tbDpT10_ENKUlT_T0_E_clISt17integral_constantIbLb1EES1A_IbLb0EEEEDaS16_S17_EUlS16_E_NS1_11comp_targetILNS1_3genE8ELNS1_11target_archE1030ELNS1_3gpuE2ELNS1_3repE0EEENS1_30default_config_static_selectorELNS0_4arch9wavefront6targetE0EEEvT1_,@function
_ZN7rocprim17ROCPRIM_400000_NS6detail17trampoline_kernelINS0_14default_configENS1_25partition_config_selectorILNS1_17partition_subalgoE5ElNS0_10empty_typeEbEEZZNS1_14partition_implILS5_5ELb0ES3_mN6hipcub16HIPCUB_304000_NS21CountingInputIteratorIllEEPS6_NSA_22TransformInputIteratorIbN2at6native12_GLOBAL__N_19NonZeroOpIiEEPKilEENS0_5tupleIJPlS6_EEENSN_IJSD_SD_EEES6_PiJS6_EEE10hipError_tPvRmT3_T4_T5_T6_T7_T9_mT8_P12ihipStream_tbDpT10_ENKUlT_T0_E_clISt17integral_constantIbLb1EES1A_IbLb0EEEEDaS16_S17_EUlS16_E_NS1_11comp_targetILNS1_3genE8ELNS1_11target_archE1030ELNS1_3gpuE2ELNS1_3repE0EEENS1_30default_config_static_selectorELNS0_4arch9wavefront6targetE0EEEvT1_: ; @_ZN7rocprim17ROCPRIM_400000_NS6detail17trampoline_kernelINS0_14default_configENS1_25partition_config_selectorILNS1_17partition_subalgoE5ElNS0_10empty_typeEbEEZZNS1_14partition_implILS5_5ELb0ES3_mN6hipcub16HIPCUB_304000_NS21CountingInputIteratorIllEEPS6_NSA_22TransformInputIteratorIbN2at6native12_GLOBAL__N_19NonZeroOpIiEEPKilEENS0_5tupleIJPlS6_EEENSN_IJSD_SD_EEES6_PiJS6_EEE10hipError_tPvRmT3_T4_T5_T6_T7_T9_mT8_P12ihipStream_tbDpT10_ENKUlT_T0_E_clISt17integral_constantIbLb1EES1A_IbLb0EEEEDaS16_S17_EUlS16_E_NS1_11comp_targetILNS1_3genE8ELNS1_11target_archE1030ELNS1_3gpuE2ELNS1_3repE0EEENS1_30default_config_static_selectorELNS0_4arch9wavefront6targetE0EEEvT1_
; %bb.0:
	.section	.rodata,"a",@progbits
	.p2align	6, 0x0
	.amdhsa_kernel _ZN7rocprim17ROCPRIM_400000_NS6detail17trampoline_kernelINS0_14default_configENS1_25partition_config_selectorILNS1_17partition_subalgoE5ElNS0_10empty_typeEbEEZZNS1_14partition_implILS5_5ELb0ES3_mN6hipcub16HIPCUB_304000_NS21CountingInputIteratorIllEEPS6_NSA_22TransformInputIteratorIbN2at6native12_GLOBAL__N_19NonZeroOpIiEEPKilEENS0_5tupleIJPlS6_EEENSN_IJSD_SD_EEES6_PiJS6_EEE10hipError_tPvRmT3_T4_T5_T6_T7_T9_mT8_P12ihipStream_tbDpT10_ENKUlT_T0_E_clISt17integral_constantIbLb1EES1A_IbLb0EEEEDaS16_S17_EUlS16_E_NS1_11comp_targetILNS1_3genE8ELNS1_11target_archE1030ELNS1_3gpuE2ELNS1_3repE0EEENS1_30default_config_static_selectorELNS0_4arch9wavefront6targetE0EEEvT1_
		.amdhsa_group_segment_fixed_size 0
		.amdhsa_private_segment_fixed_size 0
		.amdhsa_kernarg_size 120
		.amdhsa_user_sgpr_count 15
		.amdhsa_user_sgpr_dispatch_ptr 0
		.amdhsa_user_sgpr_queue_ptr 0
		.amdhsa_user_sgpr_kernarg_segment_ptr 1
		.amdhsa_user_sgpr_dispatch_id 0
		.amdhsa_user_sgpr_private_segment_size 0
		.amdhsa_wavefront_size32 1
		.amdhsa_uses_dynamic_stack 0
		.amdhsa_enable_private_segment 0
		.amdhsa_system_sgpr_workgroup_id_x 1
		.amdhsa_system_sgpr_workgroup_id_y 0
		.amdhsa_system_sgpr_workgroup_id_z 0
		.amdhsa_system_sgpr_workgroup_info 0
		.amdhsa_system_vgpr_workitem_id 0
		.amdhsa_next_free_vgpr 1
		.amdhsa_next_free_sgpr 1
		.amdhsa_reserve_vcc 0
		.amdhsa_float_round_mode_32 0
		.amdhsa_float_round_mode_16_64 0
		.amdhsa_float_denorm_mode_32 3
		.amdhsa_float_denorm_mode_16_64 3
		.amdhsa_dx10_clamp 1
		.amdhsa_ieee_mode 1
		.amdhsa_fp16_overflow 0
		.amdhsa_workgroup_processor_mode 1
		.amdhsa_memory_ordered 1
		.amdhsa_forward_progress 0
		.amdhsa_shared_vgpr_count 0
		.amdhsa_exception_fp_ieee_invalid_op 0
		.amdhsa_exception_fp_denorm_src 0
		.amdhsa_exception_fp_ieee_div_zero 0
		.amdhsa_exception_fp_ieee_overflow 0
		.amdhsa_exception_fp_ieee_underflow 0
		.amdhsa_exception_fp_ieee_inexact 0
		.amdhsa_exception_int_div_zero 0
	.end_amdhsa_kernel
	.section	.text._ZN7rocprim17ROCPRIM_400000_NS6detail17trampoline_kernelINS0_14default_configENS1_25partition_config_selectorILNS1_17partition_subalgoE5ElNS0_10empty_typeEbEEZZNS1_14partition_implILS5_5ELb0ES3_mN6hipcub16HIPCUB_304000_NS21CountingInputIteratorIllEEPS6_NSA_22TransformInputIteratorIbN2at6native12_GLOBAL__N_19NonZeroOpIiEEPKilEENS0_5tupleIJPlS6_EEENSN_IJSD_SD_EEES6_PiJS6_EEE10hipError_tPvRmT3_T4_T5_T6_T7_T9_mT8_P12ihipStream_tbDpT10_ENKUlT_T0_E_clISt17integral_constantIbLb1EES1A_IbLb0EEEEDaS16_S17_EUlS16_E_NS1_11comp_targetILNS1_3genE8ELNS1_11target_archE1030ELNS1_3gpuE2ELNS1_3repE0EEENS1_30default_config_static_selectorELNS0_4arch9wavefront6targetE0EEEvT1_,"axG",@progbits,_ZN7rocprim17ROCPRIM_400000_NS6detail17trampoline_kernelINS0_14default_configENS1_25partition_config_selectorILNS1_17partition_subalgoE5ElNS0_10empty_typeEbEEZZNS1_14partition_implILS5_5ELb0ES3_mN6hipcub16HIPCUB_304000_NS21CountingInputIteratorIllEEPS6_NSA_22TransformInputIteratorIbN2at6native12_GLOBAL__N_19NonZeroOpIiEEPKilEENS0_5tupleIJPlS6_EEENSN_IJSD_SD_EEES6_PiJS6_EEE10hipError_tPvRmT3_T4_T5_T6_T7_T9_mT8_P12ihipStream_tbDpT10_ENKUlT_T0_E_clISt17integral_constantIbLb1EES1A_IbLb0EEEEDaS16_S17_EUlS16_E_NS1_11comp_targetILNS1_3genE8ELNS1_11target_archE1030ELNS1_3gpuE2ELNS1_3repE0EEENS1_30default_config_static_selectorELNS0_4arch9wavefront6targetE0EEEvT1_,comdat
.Lfunc_end209:
	.size	_ZN7rocprim17ROCPRIM_400000_NS6detail17trampoline_kernelINS0_14default_configENS1_25partition_config_selectorILNS1_17partition_subalgoE5ElNS0_10empty_typeEbEEZZNS1_14partition_implILS5_5ELb0ES3_mN6hipcub16HIPCUB_304000_NS21CountingInputIteratorIllEEPS6_NSA_22TransformInputIteratorIbN2at6native12_GLOBAL__N_19NonZeroOpIiEEPKilEENS0_5tupleIJPlS6_EEENSN_IJSD_SD_EEES6_PiJS6_EEE10hipError_tPvRmT3_T4_T5_T6_T7_T9_mT8_P12ihipStream_tbDpT10_ENKUlT_T0_E_clISt17integral_constantIbLb1EES1A_IbLb0EEEEDaS16_S17_EUlS16_E_NS1_11comp_targetILNS1_3genE8ELNS1_11target_archE1030ELNS1_3gpuE2ELNS1_3repE0EEENS1_30default_config_static_selectorELNS0_4arch9wavefront6targetE0EEEvT1_, .Lfunc_end209-_ZN7rocprim17ROCPRIM_400000_NS6detail17trampoline_kernelINS0_14default_configENS1_25partition_config_selectorILNS1_17partition_subalgoE5ElNS0_10empty_typeEbEEZZNS1_14partition_implILS5_5ELb0ES3_mN6hipcub16HIPCUB_304000_NS21CountingInputIteratorIllEEPS6_NSA_22TransformInputIteratorIbN2at6native12_GLOBAL__N_19NonZeroOpIiEEPKilEENS0_5tupleIJPlS6_EEENSN_IJSD_SD_EEES6_PiJS6_EEE10hipError_tPvRmT3_T4_T5_T6_T7_T9_mT8_P12ihipStream_tbDpT10_ENKUlT_T0_E_clISt17integral_constantIbLb1EES1A_IbLb0EEEEDaS16_S17_EUlS16_E_NS1_11comp_targetILNS1_3genE8ELNS1_11target_archE1030ELNS1_3gpuE2ELNS1_3repE0EEENS1_30default_config_static_selectorELNS0_4arch9wavefront6targetE0EEEvT1_
                                        ; -- End function
	.section	.AMDGPU.csdata,"",@progbits
; Kernel info:
; codeLenInByte = 0
; NumSgprs: 0
; NumVgprs: 0
; ScratchSize: 0
; MemoryBound: 0
; FloatMode: 240
; IeeeMode: 1
; LDSByteSize: 0 bytes/workgroup (compile time only)
; SGPRBlocks: 0
; VGPRBlocks: 0
; NumSGPRsForWavesPerEU: 1
; NumVGPRsForWavesPerEU: 1
; Occupancy: 16
; WaveLimiterHint : 0
; COMPUTE_PGM_RSRC2:SCRATCH_EN: 0
; COMPUTE_PGM_RSRC2:USER_SGPR: 15
; COMPUTE_PGM_RSRC2:TRAP_HANDLER: 0
; COMPUTE_PGM_RSRC2:TGID_X_EN: 1
; COMPUTE_PGM_RSRC2:TGID_Y_EN: 0
; COMPUTE_PGM_RSRC2:TGID_Z_EN: 0
; COMPUTE_PGM_RSRC2:TIDIG_COMP_CNT: 0
	.section	.text._ZN7rocprim17ROCPRIM_400000_NS6detail17trampoline_kernelINS0_14default_configENS1_25partition_config_selectorILNS1_17partition_subalgoE5ElNS0_10empty_typeEbEEZZNS1_14partition_implILS5_5ELb0ES3_mN6hipcub16HIPCUB_304000_NS21CountingInputIteratorIllEEPS6_NSA_22TransformInputIteratorIbN2at6native12_GLOBAL__N_19NonZeroOpIiEEPKilEENS0_5tupleIJPlS6_EEENSN_IJSD_SD_EEES6_PiJS6_EEE10hipError_tPvRmT3_T4_T5_T6_T7_T9_mT8_P12ihipStream_tbDpT10_ENKUlT_T0_E_clISt17integral_constantIbLb0EES1A_IbLb1EEEEDaS16_S17_EUlS16_E_NS1_11comp_targetILNS1_3genE0ELNS1_11target_archE4294967295ELNS1_3gpuE0ELNS1_3repE0EEENS1_30default_config_static_selectorELNS0_4arch9wavefront6targetE0EEEvT1_,"axG",@progbits,_ZN7rocprim17ROCPRIM_400000_NS6detail17trampoline_kernelINS0_14default_configENS1_25partition_config_selectorILNS1_17partition_subalgoE5ElNS0_10empty_typeEbEEZZNS1_14partition_implILS5_5ELb0ES3_mN6hipcub16HIPCUB_304000_NS21CountingInputIteratorIllEEPS6_NSA_22TransformInputIteratorIbN2at6native12_GLOBAL__N_19NonZeroOpIiEEPKilEENS0_5tupleIJPlS6_EEENSN_IJSD_SD_EEES6_PiJS6_EEE10hipError_tPvRmT3_T4_T5_T6_T7_T9_mT8_P12ihipStream_tbDpT10_ENKUlT_T0_E_clISt17integral_constantIbLb0EES1A_IbLb1EEEEDaS16_S17_EUlS16_E_NS1_11comp_targetILNS1_3genE0ELNS1_11target_archE4294967295ELNS1_3gpuE0ELNS1_3repE0EEENS1_30default_config_static_selectorELNS0_4arch9wavefront6targetE0EEEvT1_,comdat
	.globl	_ZN7rocprim17ROCPRIM_400000_NS6detail17trampoline_kernelINS0_14default_configENS1_25partition_config_selectorILNS1_17partition_subalgoE5ElNS0_10empty_typeEbEEZZNS1_14partition_implILS5_5ELb0ES3_mN6hipcub16HIPCUB_304000_NS21CountingInputIteratorIllEEPS6_NSA_22TransformInputIteratorIbN2at6native12_GLOBAL__N_19NonZeroOpIiEEPKilEENS0_5tupleIJPlS6_EEENSN_IJSD_SD_EEES6_PiJS6_EEE10hipError_tPvRmT3_T4_T5_T6_T7_T9_mT8_P12ihipStream_tbDpT10_ENKUlT_T0_E_clISt17integral_constantIbLb0EES1A_IbLb1EEEEDaS16_S17_EUlS16_E_NS1_11comp_targetILNS1_3genE0ELNS1_11target_archE4294967295ELNS1_3gpuE0ELNS1_3repE0EEENS1_30default_config_static_selectorELNS0_4arch9wavefront6targetE0EEEvT1_ ; -- Begin function _ZN7rocprim17ROCPRIM_400000_NS6detail17trampoline_kernelINS0_14default_configENS1_25partition_config_selectorILNS1_17partition_subalgoE5ElNS0_10empty_typeEbEEZZNS1_14partition_implILS5_5ELb0ES3_mN6hipcub16HIPCUB_304000_NS21CountingInputIteratorIllEEPS6_NSA_22TransformInputIteratorIbN2at6native12_GLOBAL__N_19NonZeroOpIiEEPKilEENS0_5tupleIJPlS6_EEENSN_IJSD_SD_EEES6_PiJS6_EEE10hipError_tPvRmT3_T4_T5_T6_T7_T9_mT8_P12ihipStream_tbDpT10_ENKUlT_T0_E_clISt17integral_constantIbLb0EES1A_IbLb1EEEEDaS16_S17_EUlS16_E_NS1_11comp_targetILNS1_3genE0ELNS1_11target_archE4294967295ELNS1_3gpuE0ELNS1_3repE0EEENS1_30default_config_static_selectorELNS0_4arch9wavefront6targetE0EEEvT1_
	.p2align	8
	.type	_ZN7rocprim17ROCPRIM_400000_NS6detail17trampoline_kernelINS0_14default_configENS1_25partition_config_selectorILNS1_17partition_subalgoE5ElNS0_10empty_typeEbEEZZNS1_14partition_implILS5_5ELb0ES3_mN6hipcub16HIPCUB_304000_NS21CountingInputIteratorIllEEPS6_NSA_22TransformInputIteratorIbN2at6native12_GLOBAL__N_19NonZeroOpIiEEPKilEENS0_5tupleIJPlS6_EEENSN_IJSD_SD_EEES6_PiJS6_EEE10hipError_tPvRmT3_T4_T5_T6_T7_T9_mT8_P12ihipStream_tbDpT10_ENKUlT_T0_E_clISt17integral_constantIbLb0EES1A_IbLb1EEEEDaS16_S17_EUlS16_E_NS1_11comp_targetILNS1_3genE0ELNS1_11target_archE4294967295ELNS1_3gpuE0ELNS1_3repE0EEENS1_30default_config_static_selectorELNS0_4arch9wavefront6targetE0EEEvT1_,@function
_ZN7rocprim17ROCPRIM_400000_NS6detail17trampoline_kernelINS0_14default_configENS1_25partition_config_selectorILNS1_17partition_subalgoE5ElNS0_10empty_typeEbEEZZNS1_14partition_implILS5_5ELb0ES3_mN6hipcub16HIPCUB_304000_NS21CountingInputIteratorIllEEPS6_NSA_22TransformInputIteratorIbN2at6native12_GLOBAL__N_19NonZeroOpIiEEPKilEENS0_5tupleIJPlS6_EEENSN_IJSD_SD_EEES6_PiJS6_EEE10hipError_tPvRmT3_T4_T5_T6_T7_T9_mT8_P12ihipStream_tbDpT10_ENKUlT_T0_E_clISt17integral_constantIbLb0EES1A_IbLb1EEEEDaS16_S17_EUlS16_E_NS1_11comp_targetILNS1_3genE0ELNS1_11target_archE4294967295ELNS1_3gpuE0ELNS1_3repE0EEENS1_30default_config_static_selectorELNS0_4arch9wavefront6targetE0EEEvT1_: ; @_ZN7rocprim17ROCPRIM_400000_NS6detail17trampoline_kernelINS0_14default_configENS1_25partition_config_selectorILNS1_17partition_subalgoE5ElNS0_10empty_typeEbEEZZNS1_14partition_implILS5_5ELb0ES3_mN6hipcub16HIPCUB_304000_NS21CountingInputIteratorIllEEPS6_NSA_22TransformInputIteratorIbN2at6native12_GLOBAL__N_19NonZeroOpIiEEPKilEENS0_5tupleIJPlS6_EEENSN_IJSD_SD_EEES6_PiJS6_EEE10hipError_tPvRmT3_T4_T5_T6_T7_T9_mT8_P12ihipStream_tbDpT10_ENKUlT_T0_E_clISt17integral_constantIbLb0EES1A_IbLb1EEEEDaS16_S17_EUlS16_E_NS1_11comp_targetILNS1_3genE0ELNS1_11target_archE4294967295ELNS1_3gpuE0ELNS1_3repE0EEENS1_30default_config_static_selectorELNS0_4arch9wavefront6targetE0EEEvT1_
; %bb.0:
	.section	.rodata,"a",@progbits
	.p2align	6, 0x0
	.amdhsa_kernel _ZN7rocprim17ROCPRIM_400000_NS6detail17trampoline_kernelINS0_14default_configENS1_25partition_config_selectorILNS1_17partition_subalgoE5ElNS0_10empty_typeEbEEZZNS1_14partition_implILS5_5ELb0ES3_mN6hipcub16HIPCUB_304000_NS21CountingInputIteratorIllEEPS6_NSA_22TransformInputIteratorIbN2at6native12_GLOBAL__N_19NonZeroOpIiEEPKilEENS0_5tupleIJPlS6_EEENSN_IJSD_SD_EEES6_PiJS6_EEE10hipError_tPvRmT3_T4_T5_T6_T7_T9_mT8_P12ihipStream_tbDpT10_ENKUlT_T0_E_clISt17integral_constantIbLb0EES1A_IbLb1EEEEDaS16_S17_EUlS16_E_NS1_11comp_targetILNS1_3genE0ELNS1_11target_archE4294967295ELNS1_3gpuE0ELNS1_3repE0EEENS1_30default_config_static_selectorELNS0_4arch9wavefront6targetE0EEEvT1_
		.amdhsa_group_segment_fixed_size 0
		.amdhsa_private_segment_fixed_size 0
		.amdhsa_kernarg_size 136
		.amdhsa_user_sgpr_count 15
		.amdhsa_user_sgpr_dispatch_ptr 0
		.amdhsa_user_sgpr_queue_ptr 0
		.amdhsa_user_sgpr_kernarg_segment_ptr 1
		.amdhsa_user_sgpr_dispatch_id 0
		.amdhsa_user_sgpr_private_segment_size 0
		.amdhsa_wavefront_size32 1
		.amdhsa_uses_dynamic_stack 0
		.amdhsa_enable_private_segment 0
		.amdhsa_system_sgpr_workgroup_id_x 1
		.amdhsa_system_sgpr_workgroup_id_y 0
		.amdhsa_system_sgpr_workgroup_id_z 0
		.amdhsa_system_sgpr_workgroup_info 0
		.amdhsa_system_vgpr_workitem_id 0
		.amdhsa_next_free_vgpr 1
		.amdhsa_next_free_sgpr 1
		.amdhsa_reserve_vcc 0
		.amdhsa_float_round_mode_32 0
		.amdhsa_float_round_mode_16_64 0
		.amdhsa_float_denorm_mode_32 3
		.amdhsa_float_denorm_mode_16_64 3
		.amdhsa_dx10_clamp 1
		.amdhsa_ieee_mode 1
		.amdhsa_fp16_overflow 0
		.amdhsa_workgroup_processor_mode 1
		.amdhsa_memory_ordered 1
		.amdhsa_forward_progress 0
		.amdhsa_shared_vgpr_count 0
		.amdhsa_exception_fp_ieee_invalid_op 0
		.amdhsa_exception_fp_denorm_src 0
		.amdhsa_exception_fp_ieee_div_zero 0
		.amdhsa_exception_fp_ieee_overflow 0
		.amdhsa_exception_fp_ieee_underflow 0
		.amdhsa_exception_fp_ieee_inexact 0
		.amdhsa_exception_int_div_zero 0
	.end_amdhsa_kernel
	.section	.text._ZN7rocprim17ROCPRIM_400000_NS6detail17trampoline_kernelINS0_14default_configENS1_25partition_config_selectorILNS1_17partition_subalgoE5ElNS0_10empty_typeEbEEZZNS1_14partition_implILS5_5ELb0ES3_mN6hipcub16HIPCUB_304000_NS21CountingInputIteratorIllEEPS6_NSA_22TransformInputIteratorIbN2at6native12_GLOBAL__N_19NonZeroOpIiEEPKilEENS0_5tupleIJPlS6_EEENSN_IJSD_SD_EEES6_PiJS6_EEE10hipError_tPvRmT3_T4_T5_T6_T7_T9_mT8_P12ihipStream_tbDpT10_ENKUlT_T0_E_clISt17integral_constantIbLb0EES1A_IbLb1EEEEDaS16_S17_EUlS16_E_NS1_11comp_targetILNS1_3genE0ELNS1_11target_archE4294967295ELNS1_3gpuE0ELNS1_3repE0EEENS1_30default_config_static_selectorELNS0_4arch9wavefront6targetE0EEEvT1_,"axG",@progbits,_ZN7rocprim17ROCPRIM_400000_NS6detail17trampoline_kernelINS0_14default_configENS1_25partition_config_selectorILNS1_17partition_subalgoE5ElNS0_10empty_typeEbEEZZNS1_14partition_implILS5_5ELb0ES3_mN6hipcub16HIPCUB_304000_NS21CountingInputIteratorIllEEPS6_NSA_22TransformInputIteratorIbN2at6native12_GLOBAL__N_19NonZeroOpIiEEPKilEENS0_5tupleIJPlS6_EEENSN_IJSD_SD_EEES6_PiJS6_EEE10hipError_tPvRmT3_T4_T5_T6_T7_T9_mT8_P12ihipStream_tbDpT10_ENKUlT_T0_E_clISt17integral_constantIbLb0EES1A_IbLb1EEEEDaS16_S17_EUlS16_E_NS1_11comp_targetILNS1_3genE0ELNS1_11target_archE4294967295ELNS1_3gpuE0ELNS1_3repE0EEENS1_30default_config_static_selectorELNS0_4arch9wavefront6targetE0EEEvT1_,comdat
.Lfunc_end210:
	.size	_ZN7rocprim17ROCPRIM_400000_NS6detail17trampoline_kernelINS0_14default_configENS1_25partition_config_selectorILNS1_17partition_subalgoE5ElNS0_10empty_typeEbEEZZNS1_14partition_implILS5_5ELb0ES3_mN6hipcub16HIPCUB_304000_NS21CountingInputIteratorIllEEPS6_NSA_22TransformInputIteratorIbN2at6native12_GLOBAL__N_19NonZeroOpIiEEPKilEENS0_5tupleIJPlS6_EEENSN_IJSD_SD_EEES6_PiJS6_EEE10hipError_tPvRmT3_T4_T5_T6_T7_T9_mT8_P12ihipStream_tbDpT10_ENKUlT_T0_E_clISt17integral_constantIbLb0EES1A_IbLb1EEEEDaS16_S17_EUlS16_E_NS1_11comp_targetILNS1_3genE0ELNS1_11target_archE4294967295ELNS1_3gpuE0ELNS1_3repE0EEENS1_30default_config_static_selectorELNS0_4arch9wavefront6targetE0EEEvT1_, .Lfunc_end210-_ZN7rocprim17ROCPRIM_400000_NS6detail17trampoline_kernelINS0_14default_configENS1_25partition_config_selectorILNS1_17partition_subalgoE5ElNS0_10empty_typeEbEEZZNS1_14partition_implILS5_5ELb0ES3_mN6hipcub16HIPCUB_304000_NS21CountingInputIteratorIllEEPS6_NSA_22TransformInputIteratorIbN2at6native12_GLOBAL__N_19NonZeroOpIiEEPKilEENS0_5tupleIJPlS6_EEENSN_IJSD_SD_EEES6_PiJS6_EEE10hipError_tPvRmT3_T4_T5_T6_T7_T9_mT8_P12ihipStream_tbDpT10_ENKUlT_T0_E_clISt17integral_constantIbLb0EES1A_IbLb1EEEEDaS16_S17_EUlS16_E_NS1_11comp_targetILNS1_3genE0ELNS1_11target_archE4294967295ELNS1_3gpuE0ELNS1_3repE0EEENS1_30default_config_static_selectorELNS0_4arch9wavefront6targetE0EEEvT1_
                                        ; -- End function
	.section	.AMDGPU.csdata,"",@progbits
; Kernel info:
; codeLenInByte = 0
; NumSgprs: 0
; NumVgprs: 0
; ScratchSize: 0
; MemoryBound: 0
; FloatMode: 240
; IeeeMode: 1
; LDSByteSize: 0 bytes/workgroup (compile time only)
; SGPRBlocks: 0
; VGPRBlocks: 0
; NumSGPRsForWavesPerEU: 1
; NumVGPRsForWavesPerEU: 1
; Occupancy: 16
; WaveLimiterHint : 0
; COMPUTE_PGM_RSRC2:SCRATCH_EN: 0
; COMPUTE_PGM_RSRC2:USER_SGPR: 15
; COMPUTE_PGM_RSRC2:TRAP_HANDLER: 0
; COMPUTE_PGM_RSRC2:TGID_X_EN: 1
; COMPUTE_PGM_RSRC2:TGID_Y_EN: 0
; COMPUTE_PGM_RSRC2:TGID_Z_EN: 0
; COMPUTE_PGM_RSRC2:TIDIG_COMP_CNT: 0
	.section	.text._ZN7rocprim17ROCPRIM_400000_NS6detail17trampoline_kernelINS0_14default_configENS1_25partition_config_selectorILNS1_17partition_subalgoE5ElNS0_10empty_typeEbEEZZNS1_14partition_implILS5_5ELb0ES3_mN6hipcub16HIPCUB_304000_NS21CountingInputIteratorIllEEPS6_NSA_22TransformInputIteratorIbN2at6native12_GLOBAL__N_19NonZeroOpIiEEPKilEENS0_5tupleIJPlS6_EEENSN_IJSD_SD_EEES6_PiJS6_EEE10hipError_tPvRmT3_T4_T5_T6_T7_T9_mT8_P12ihipStream_tbDpT10_ENKUlT_T0_E_clISt17integral_constantIbLb0EES1A_IbLb1EEEEDaS16_S17_EUlS16_E_NS1_11comp_targetILNS1_3genE5ELNS1_11target_archE942ELNS1_3gpuE9ELNS1_3repE0EEENS1_30default_config_static_selectorELNS0_4arch9wavefront6targetE0EEEvT1_,"axG",@progbits,_ZN7rocprim17ROCPRIM_400000_NS6detail17trampoline_kernelINS0_14default_configENS1_25partition_config_selectorILNS1_17partition_subalgoE5ElNS0_10empty_typeEbEEZZNS1_14partition_implILS5_5ELb0ES3_mN6hipcub16HIPCUB_304000_NS21CountingInputIteratorIllEEPS6_NSA_22TransformInputIteratorIbN2at6native12_GLOBAL__N_19NonZeroOpIiEEPKilEENS0_5tupleIJPlS6_EEENSN_IJSD_SD_EEES6_PiJS6_EEE10hipError_tPvRmT3_T4_T5_T6_T7_T9_mT8_P12ihipStream_tbDpT10_ENKUlT_T0_E_clISt17integral_constantIbLb0EES1A_IbLb1EEEEDaS16_S17_EUlS16_E_NS1_11comp_targetILNS1_3genE5ELNS1_11target_archE942ELNS1_3gpuE9ELNS1_3repE0EEENS1_30default_config_static_selectorELNS0_4arch9wavefront6targetE0EEEvT1_,comdat
	.globl	_ZN7rocprim17ROCPRIM_400000_NS6detail17trampoline_kernelINS0_14default_configENS1_25partition_config_selectorILNS1_17partition_subalgoE5ElNS0_10empty_typeEbEEZZNS1_14partition_implILS5_5ELb0ES3_mN6hipcub16HIPCUB_304000_NS21CountingInputIteratorIllEEPS6_NSA_22TransformInputIteratorIbN2at6native12_GLOBAL__N_19NonZeroOpIiEEPKilEENS0_5tupleIJPlS6_EEENSN_IJSD_SD_EEES6_PiJS6_EEE10hipError_tPvRmT3_T4_T5_T6_T7_T9_mT8_P12ihipStream_tbDpT10_ENKUlT_T0_E_clISt17integral_constantIbLb0EES1A_IbLb1EEEEDaS16_S17_EUlS16_E_NS1_11comp_targetILNS1_3genE5ELNS1_11target_archE942ELNS1_3gpuE9ELNS1_3repE0EEENS1_30default_config_static_selectorELNS0_4arch9wavefront6targetE0EEEvT1_ ; -- Begin function _ZN7rocprim17ROCPRIM_400000_NS6detail17trampoline_kernelINS0_14default_configENS1_25partition_config_selectorILNS1_17partition_subalgoE5ElNS0_10empty_typeEbEEZZNS1_14partition_implILS5_5ELb0ES3_mN6hipcub16HIPCUB_304000_NS21CountingInputIteratorIllEEPS6_NSA_22TransformInputIteratorIbN2at6native12_GLOBAL__N_19NonZeroOpIiEEPKilEENS0_5tupleIJPlS6_EEENSN_IJSD_SD_EEES6_PiJS6_EEE10hipError_tPvRmT3_T4_T5_T6_T7_T9_mT8_P12ihipStream_tbDpT10_ENKUlT_T0_E_clISt17integral_constantIbLb0EES1A_IbLb1EEEEDaS16_S17_EUlS16_E_NS1_11comp_targetILNS1_3genE5ELNS1_11target_archE942ELNS1_3gpuE9ELNS1_3repE0EEENS1_30default_config_static_selectorELNS0_4arch9wavefront6targetE0EEEvT1_
	.p2align	8
	.type	_ZN7rocprim17ROCPRIM_400000_NS6detail17trampoline_kernelINS0_14default_configENS1_25partition_config_selectorILNS1_17partition_subalgoE5ElNS0_10empty_typeEbEEZZNS1_14partition_implILS5_5ELb0ES3_mN6hipcub16HIPCUB_304000_NS21CountingInputIteratorIllEEPS6_NSA_22TransformInputIteratorIbN2at6native12_GLOBAL__N_19NonZeroOpIiEEPKilEENS0_5tupleIJPlS6_EEENSN_IJSD_SD_EEES6_PiJS6_EEE10hipError_tPvRmT3_T4_T5_T6_T7_T9_mT8_P12ihipStream_tbDpT10_ENKUlT_T0_E_clISt17integral_constantIbLb0EES1A_IbLb1EEEEDaS16_S17_EUlS16_E_NS1_11comp_targetILNS1_3genE5ELNS1_11target_archE942ELNS1_3gpuE9ELNS1_3repE0EEENS1_30default_config_static_selectorELNS0_4arch9wavefront6targetE0EEEvT1_,@function
_ZN7rocprim17ROCPRIM_400000_NS6detail17trampoline_kernelINS0_14default_configENS1_25partition_config_selectorILNS1_17partition_subalgoE5ElNS0_10empty_typeEbEEZZNS1_14partition_implILS5_5ELb0ES3_mN6hipcub16HIPCUB_304000_NS21CountingInputIteratorIllEEPS6_NSA_22TransformInputIteratorIbN2at6native12_GLOBAL__N_19NonZeroOpIiEEPKilEENS0_5tupleIJPlS6_EEENSN_IJSD_SD_EEES6_PiJS6_EEE10hipError_tPvRmT3_T4_T5_T6_T7_T9_mT8_P12ihipStream_tbDpT10_ENKUlT_T0_E_clISt17integral_constantIbLb0EES1A_IbLb1EEEEDaS16_S17_EUlS16_E_NS1_11comp_targetILNS1_3genE5ELNS1_11target_archE942ELNS1_3gpuE9ELNS1_3repE0EEENS1_30default_config_static_selectorELNS0_4arch9wavefront6targetE0EEEvT1_: ; @_ZN7rocprim17ROCPRIM_400000_NS6detail17trampoline_kernelINS0_14default_configENS1_25partition_config_selectorILNS1_17partition_subalgoE5ElNS0_10empty_typeEbEEZZNS1_14partition_implILS5_5ELb0ES3_mN6hipcub16HIPCUB_304000_NS21CountingInputIteratorIllEEPS6_NSA_22TransformInputIteratorIbN2at6native12_GLOBAL__N_19NonZeroOpIiEEPKilEENS0_5tupleIJPlS6_EEENSN_IJSD_SD_EEES6_PiJS6_EEE10hipError_tPvRmT3_T4_T5_T6_T7_T9_mT8_P12ihipStream_tbDpT10_ENKUlT_T0_E_clISt17integral_constantIbLb0EES1A_IbLb1EEEEDaS16_S17_EUlS16_E_NS1_11comp_targetILNS1_3genE5ELNS1_11target_archE942ELNS1_3gpuE9ELNS1_3repE0EEENS1_30default_config_static_selectorELNS0_4arch9wavefront6targetE0EEEvT1_
; %bb.0:
	.section	.rodata,"a",@progbits
	.p2align	6, 0x0
	.amdhsa_kernel _ZN7rocprim17ROCPRIM_400000_NS6detail17trampoline_kernelINS0_14default_configENS1_25partition_config_selectorILNS1_17partition_subalgoE5ElNS0_10empty_typeEbEEZZNS1_14partition_implILS5_5ELb0ES3_mN6hipcub16HIPCUB_304000_NS21CountingInputIteratorIllEEPS6_NSA_22TransformInputIteratorIbN2at6native12_GLOBAL__N_19NonZeroOpIiEEPKilEENS0_5tupleIJPlS6_EEENSN_IJSD_SD_EEES6_PiJS6_EEE10hipError_tPvRmT3_T4_T5_T6_T7_T9_mT8_P12ihipStream_tbDpT10_ENKUlT_T0_E_clISt17integral_constantIbLb0EES1A_IbLb1EEEEDaS16_S17_EUlS16_E_NS1_11comp_targetILNS1_3genE5ELNS1_11target_archE942ELNS1_3gpuE9ELNS1_3repE0EEENS1_30default_config_static_selectorELNS0_4arch9wavefront6targetE0EEEvT1_
		.amdhsa_group_segment_fixed_size 0
		.amdhsa_private_segment_fixed_size 0
		.amdhsa_kernarg_size 136
		.amdhsa_user_sgpr_count 15
		.amdhsa_user_sgpr_dispatch_ptr 0
		.amdhsa_user_sgpr_queue_ptr 0
		.amdhsa_user_sgpr_kernarg_segment_ptr 1
		.amdhsa_user_sgpr_dispatch_id 0
		.amdhsa_user_sgpr_private_segment_size 0
		.amdhsa_wavefront_size32 1
		.amdhsa_uses_dynamic_stack 0
		.amdhsa_enable_private_segment 0
		.amdhsa_system_sgpr_workgroup_id_x 1
		.amdhsa_system_sgpr_workgroup_id_y 0
		.amdhsa_system_sgpr_workgroup_id_z 0
		.amdhsa_system_sgpr_workgroup_info 0
		.amdhsa_system_vgpr_workitem_id 0
		.amdhsa_next_free_vgpr 1
		.amdhsa_next_free_sgpr 1
		.amdhsa_reserve_vcc 0
		.amdhsa_float_round_mode_32 0
		.amdhsa_float_round_mode_16_64 0
		.amdhsa_float_denorm_mode_32 3
		.amdhsa_float_denorm_mode_16_64 3
		.amdhsa_dx10_clamp 1
		.amdhsa_ieee_mode 1
		.amdhsa_fp16_overflow 0
		.amdhsa_workgroup_processor_mode 1
		.amdhsa_memory_ordered 1
		.amdhsa_forward_progress 0
		.amdhsa_shared_vgpr_count 0
		.amdhsa_exception_fp_ieee_invalid_op 0
		.amdhsa_exception_fp_denorm_src 0
		.amdhsa_exception_fp_ieee_div_zero 0
		.amdhsa_exception_fp_ieee_overflow 0
		.amdhsa_exception_fp_ieee_underflow 0
		.amdhsa_exception_fp_ieee_inexact 0
		.amdhsa_exception_int_div_zero 0
	.end_amdhsa_kernel
	.section	.text._ZN7rocprim17ROCPRIM_400000_NS6detail17trampoline_kernelINS0_14default_configENS1_25partition_config_selectorILNS1_17partition_subalgoE5ElNS0_10empty_typeEbEEZZNS1_14partition_implILS5_5ELb0ES3_mN6hipcub16HIPCUB_304000_NS21CountingInputIteratorIllEEPS6_NSA_22TransformInputIteratorIbN2at6native12_GLOBAL__N_19NonZeroOpIiEEPKilEENS0_5tupleIJPlS6_EEENSN_IJSD_SD_EEES6_PiJS6_EEE10hipError_tPvRmT3_T4_T5_T6_T7_T9_mT8_P12ihipStream_tbDpT10_ENKUlT_T0_E_clISt17integral_constantIbLb0EES1A_IbLb1EEEEDaS16_S17_EUlS16_E_NS1_11comp_targetILNS1_3genE5ELNS1_11target_archE942ELNS1_3gpuE9ELNS1_3repE0EEENS1_30default_config_static_selectorELNS0_4arch9wavefront6targetE0EEEvT1_,"axG",@progbits,_ZN7rocprim17ROCPRIM_400000_NS6detail17trampoline_kernelINS0_14default_configENS1_25partition_config_selectorILNS1_17partition_subalgoE5ElNS0_10empty_typeEbEEZZNS1_14partition_implILS5_5ELb0ES3_mN6hipcub16HIPCUB_304000_NS21CountingInputIteratorIllEEPS6_NSA_22TransformInputIteratorIbN2at6native12_GLOBAL__N_19NonZeroOpIiEEPKilEENS0_5tupleIJPlS6_EEENSN_IJSD_SD_EEES6_PiJS6_EEE10hipError_tPvRmT3_T4_T5_T6_T7_T9_mT8_P12ihipStream_tbDpT10_ENKUlT_T0_E_clISt17integral_constantIbLb0EES1A_IbLb1EEEEDaS16_S17_EUlS16_E_NS1_11comp_targetILNS1_3genE5ELNS1_11target_archE942ELNS1_3gpuE9ELNS1_3repE0EEENS1_30default_config_static_selectorELNS0_4arch9wavefront6targetE0EEEvT1_,comdat
.Lfunc_end211:
	.size	_ZN7rocprim17ROCPRIM_400000_NS6detail17trampoline_kernelINS0_14default_configENS1_25partition_config_selectorILNS1_17partition_subalgoE5ElNS0_10empty_typeEbEEZZNS1_14partition_implILS5_5ELb0ES3_mN6hipcub16HIPCUB_304000_NS21CountingInputIteratorIllEEPS6_NSA_22TransformInputIteratorIbN2at6native12_GLOBAL__N_19NonZeroOpIiEEPKilEENS0_5tupleIJPlS6_EEENSN_IJSD_SD_EEES6_PiJS6_EEE10hipError_tPvRmT3_T4_T5_T6_T7_T9_mT8_P12ihipStream_tbDpT10_ENKUlT_T0_E_clISt17integral_constantIbLb0EES1A_IbLb1EEEEDaS16_S17_EUlS16_E_NS1_11comp_targetILNS1_3genE5ELNS1_11target_archE942ELNS1_3gpuE9ELNS1_3repE0EEENS1_30default_config_static_selectorELNS0_4arch9wavefront6targetE0EEEvT1_, .Lfunc_end211-_ZN7rocprim17ROCPRIM_400000_NS6detail17trampoline_kernelINS0_14default_configENS1_25partition_config_selectorILNS1_17partition_subalgoE5ElNS0_10empty_typeEbEEZZNS1_14partition_implILS5_5ELb0ES3_mN6hipcub16HIPCUB_304000_NS21CountingInputIteratorIllEEPS6_NSA_22TransformInputIteratorIbN2at6native12_GLOBAL__N_19NonZeroOpIiEEPKilEENS0_5tupleIJPlS6_EEENSN_IJSD_SD_EEES6_PiJS6_EEE10hipError_tPvRmT3_T4_T5_T6_T7_T9_mT8_P12ihipStream_tbDpT10_ENKUlT_T0_E_clISt17integral_constantIbLb0EES1A_IbLb1EEEEDaS16_S17_EUlS16_E_NS1_11comp_targetILNS1_3genE5ELNS1_11target_archE942ELNS1_3gpuE9ELNS1_3repE0EEENS1_30default_config_static_selectorELNS0_4arch9wavefront6targetE0EEEvT1_
                                        ; -- End function
	.section	.AMDGPU.csdata,"",@progbits
; Kernel info:
; codeLenInByte = 0
; NumSgprs: 0
; NumVgprs: 0
; ScratchSize: 0
; MemoryBound: 0
; FloatMode: 240
; IeeeMode: 1
; LDSByteSize: 0 bytes/workgroup (compile time only)
; SGPRBlocks: 0
; VGPRBlocks: 0
; NumSGPRsForWavesPerEU: 1
; NumVGPRsForWavesPerEU: 1
; Occupancy: 16
; WaveLimiterHint : 0
; COMPUTE_PGM_RSRC2:SCRATCH_EN: 0
; COMPUTE_PGM_RSRC2:USER_SGPR: 15
; COMPUTE_PGM_RSRC2:TRAP_HANDLER: 0
; COMPUTE_PGM_RSRC2:TGID_X_EN: 1
; COMPUTE_PGM_RSRC2:TGID_Y_EN: 0
; COMPUTE_PGM_RSRC2:TGID_Z_EN: 0
; COMPUTE_PGM_RSRC2:TIDIG_COMP_CNT: 0
	.section	.text._ZN7rocprim17ROCPRIM_400000_NS6detail17trampoline_kernelINS0_14default_configENS1_25partition_config_selectorILNS1_17partition_subalgoE5ElNS0_10empty_typeEbEEZZNS1_14partition_implILS5_5ELb0ES3_mN6hipcub16HIPCUB_304000_NS21CountingInputIteratorIllEEPS6_NSA_22TransformInputIteratorIbN2at6native12_GLOBAL__N_19NonZeroOpIiEEPKilEENS0_5tupleIJPlS6_EEENSN_IJSD_SD_EEES6_PiJS6_EEE10hipError_tPvRmT3_T4_T5_T6_T7_T9_mT8_P12ihipStream_tbDpT10_ENKUlT_T0_E_clISt17integral_constantIbLb0EES1A_IbLb1EEEEDaS16_S17_EUlS16_E_NS1_11comp_targetILNS1_3genE4ELNS1_11target_archE910ELNS1_3gpuE8ELNS1_3repE0EEENS1_30default_config_static_selectorELNS0_4arch9wavefront6targetE0EEEvT1_,"axG",@progbits,_ZN7rocprim17ROCPRIM_400000_NS6detail17trampoline_kernelINS0_14default_configENS1_25partition_config_selectorILNS1_17partition_subalgoE5ElNS0_10empty_typeEbEEZZNS1_14partition_implILS5_5ELb0ES3_mN6hipcub16HIPCUB_304000_NS21CountingInputIteratorIllEEPS6_NSA_22TransformInputIteratorIbN2at6native12_GLOBAL__N_19NonZeroOpIiEEPKilEENS0_5tupleIJPlS6_EEENSN_IJSD_SD_EEES6_PiJS6_EEE10hipError_tPvRmT3_T4_T5_T6_T7_T9_mT8_P12ihipStream_tbDpT10_ENKUlT_T0_E_clISt17integral_constantIbLb0EES1A_IbLb1EEEEDaS16_S17_EUlS16_E_NS1_11comp_targetILNS1_3genE4ELNS1_11target_archE910ELNS1_3gpuE8ELNS1_3repE0EEENS1_30default_config_static_selectorELNS0_4arch9wavefront6targetE0EEEvT1_,comdat
	.globl	_ZN7rocprim17ROCPRIM_400000_NS6detail17trampoline_kernelINS0_14default_configENS1_25partition_config_selectorILNS1_17partition_subalgoE5ElNS0_10empty_typeEbEEZZNS1_14partition_implILS5_5ELb0ES3_mN6hipcub16HIPCUB_304000_NS21CountingInputIteratorIllEEPS6_NSA_22TransformInputIteratorIbN2at6native12_GLOBAL__N_19NonZeroOpIiEEPKilEENS0_5tupleIJPlS6_EEENSN_IJSD_SD_EEES6_PiJS6_EEE10hipError_tPvRmT3_T4_T5_T6_T7_T9_mT8_P12ihipStream_tbDpT10_ENKUlT_T0_E_clISt17integral_constantIbLb0EES1A_IbLb1EEEEDaS16_S17_EUlS16_E_NS1_11comp_targetILNS1_3genE4ELNS1_11target_archE910ELNS1_3gpuE8ELNS1_3repE0EEENS1_30default_config_static_selectorELNS0_4arch9wavefront6targetE0EEEvT1_ ; -- Begin function _ZN7rocprim17ROCPRIM_400000_NS6detail17trampoline_kernelINS0_14default_configENS1_25partition_config_selectorILNS1_17partition_subalgoE5ElNS0_10empty_typeEbEEZZNS1_14partition_implILS5_5ELb0ES3_mN6hipcub16HIPCUB_304000_NS21CountingInputIteratorIllEEPS6_NSA_22TransformInputIteratorIbN2at6native12_GLOBAL__N_19NonZeroOpIiEEPKilEENS0_5tupleIJPlS6_EEENSN_IJSD_SD_EEES6_PiJS6_EEE10hipError_tPvRmT3_T4_T5_T6_T7_T9_mT8_P12ihipStream_tbDpT10_ENKUlT_T0_E_clISt17integral_constantIbLb0EES1A_IbLb1EEEEDaS16_S17_EUlS16_E_NS1_11comp_targetILNS1_3genE4ELNS1_11target_archE910ELNS1_3gpuE8ELNS1_3repE0EEENS1_30default_config_static_selectorELNS0_4arch9wavefront6targetE0EEEvT1_
	.p2align	8
	.type	_ZN7rocprim17ROCPRIM_400000_NS6detail17trampoline_kernelINS0_14default_configENS1_25partition_config_selectorILNS1_17partition_subalgoE5ElNS0_10empty_typeEbEEZZNS1_14partition_implILS5_5ELb0ES3_mN6hipcub16HIPCUB_304000_NS21CountingInputIteratorIllEEPS6_NSA_22TransformInputIteratorIbN2at6native12_GLOBAL__N_19NonZeroOpIiEEPKilEENS0_5tupleIJPlS6_EEENSN_IJSD_SD_EEES6_PiJS6_EEE10hipError_tPvRmT3_T4_T5_T6_T7_T9_mT8_P12ihipStream_tbDpT10_ENKUlT_T0_E_clISt17integral_constantIbLb0EES1A_IbLb1EEEEDaS16_S17_EUlS16_E_NS1_11comp_targetILNS1_3genE4ELNS1_11target_archE910ELNS1_3gpuE8ELNS1_3repE0EEENS1_30default_config_static_selectorELNS0_4arch9wavefront6targetE0EEEvT1_,@function
_ZN7rocprim17ROCPRIM_400000_NS6detail17trampoline_kernelINS0_14default_configENS1_25partition_config_selectorILNS1_17partition_subalgoE5ElNS0_10empty_typeEbEEZZNS1_14partition_implILS5_5ELb0ES3_mN6hipcub16HIPCUB_304000_NS21CountingInputIteratorIllEEPS6_NSA_22TransformInputIteratorIbN2at6native12_GLOBAL__N_19NonZeroOpIiEEPKilEENS0_5tupleIJPlS6_EEENSN_IJSD_SD_EEES6_PiJS6_EEE10hipError_tPvRmT3_T4_T5_T6_T7_T9_mT8_P12ihipStream_tbDpT10_ENKUlT_T0_E_clISt17integral_constantIbLb0EES1A_IbLb1EEEEDaS16_S17_EUlS16_E_NS1_11comp_targetILNS1_3genE4ELNS1_11target_archE910ELNS1_3gpuE8ELNS1_3repE0EEENS1_30default_config_static_selectorELNS0_4arch9wavefront6targetE0EEEvT1_: ; @_ZN7rocprim17ROCPRIM_400000_NS6detail17trampoline_kernelINS0_14default_configENS1_25partition_config_selectorILNS1_17partition_subalgoE5ElNS0_10empty_typeEbEEZZNS1_14partition_implILS5_5ELb0ES3_mN6hipcub16HIPCUB_304000_NS21CountingInputIteratorIllEEPS6_NSA_22TransformInputIteratorIbN2at6native12_GLOBAL__N_19NonZeroOpIiEEPKilEENS0_5tupleIJPlS6_EEENSN_IJSD_SD_EEES6_PiJS6_EEE10hipError_tPvRmT3_T4_T5_T6_T7_T9_mT8_P12ihipStream_tbDpT10_ENKUlT_T0_E_clISt17integral_constantIbLb0EES1A_IbLb1EEEEDaS16_S17_EUlS16_E_NS1_11comp_targetILNS1_3genE4ELNS1_11target_archE910ELNS1_3gpuE8ELNS1_3repE0EEENS1_30default_config_static_selectorELNS0_4arch9wavefront6targetE0EEEvT1_
; %bb.0:
	.section	.rodata,"a",@progbits
	.p2align	6, 0x0
	.amdhsa_kernel _ZN7rocprim17ROCPRIM_400000_NS6detail17trampoline_kernelINS0_14default_configENS1_25partition_config_selectorILNS1_17partition_subalgoE5ElNS0_10empty_typeEbEEZZNS1_14partition_implILS5_5ELb0ES3_mN6hipcub16HIPCUB_304000_NS21CountingInputIteratorIllEEPS6_NSA_22TransformInputIteratorIbN2at6native12_GLOBAL__N_19NonZeroOpIiEEPKilEENS0_5tupleIJPlS6_EEENSN_IJSD_SD_EEES6_PiJS6_EEE10hipError_tPvRmT3_T4_T5_T6_T7_T9_mT8_P12ihipStream_tbDpT10_ENKUlT_T0_E_clISt17integral_constantIbLb0EES1A_IbLb1EEEEDaS16_S17_EUlS16_E_NS1_11comp_targetILNS1_3genE4ELNS1_11target_archE910ELNS1_3gpuE8ELNS1_3repE0EEENS1_30default_config_static_selectorELNS0_4arch9wavefront6targetE0EEEvT1_
		.amdhsa_group_segment_fixed_size 0
		.amdhsa_private_segment_fixed_size 0
		.amdhsa_kernarg_size 136
		.amdhsa_user_sgpr_count 15
		.amdhsa_user_sgpr_dispatch_ptr 0
		.amdhsa_user_sgpr_queue_ptr 0
		.amdhsa_user_sgpr_kernarg_segment_ptr 1
		.amdhsa_user_sgpr_dispatch_id 0
		.amdhsa_user_sgpr_private_segment_size 0
		.amdhsa_wavefront_size32 1
		.amdhsa_uses_dynamic_stack 0
		.amdhsa_enable_private_segment 0
		.amdhsa_system_sgpr_workgroup_id_x 1
		.amdhsa_system_sgpr_workgroup_id_y 0
		.amdhsa_system_sgpr_workgroup_id_z 0
		.amdhsa_system_sgpr_workgroup_info 0
		.amdhsa_system_vgpr_workitem_id 0
		.amdhsa_next_free_vgpr 1
		.amdhsa_next_free_sgpr 1
		.amdhsa_reserve_vcc 0
		.amdhsa_float_round_mode_32 0
		.amdhsa_float_round_mode_16_64 0
		.amdhsa_float_denorm_mode_32 3
		.amdhsa_float_denorm_mode_16_64 3
		.amdhsa_dx10_clamp 1
		.amdhsa_ieee_mode 1
		.amdhsa_fp16_overflow 0
		.amdhsa_workgroup_processor_mode 1
		.amdhsa_memory_ordered 1
		.amdhsa_forward_progress 0
		.amdhsa_shared_vgpr_count 0
		.amdhsa_exception_fp_ieee_invalid_op 0
		.amdhsa_exception_fp_denorm_src 0
		.amdhsa_exception_fp_ieee_div_zero 0
		.amdhsa_exception_fp_ieee_overflow 0
		.amdhsa_exception_fp_ieee_underflow 0
		.amdhsa_exception_fp_ieee_inexact 0
		.amdhsa_exception_int_div_zero 0
	.end_amdhsa_kernel
	.section	.text._ZN7rocprim17ROCPRIM_400000_NS6detail17trampoline_kernelINS0_14default_configENS1_25partition_config_selectorILNS1_17partition_subalgoE5ElNS0_10empty_typeEbEEZZNS1_14partition_implILS5_5ELb0ES3_mN6hipcub16HIPCUB_304000_NS21CountingInputIteratorIllEEPS6_NSA_22TransformInputIteratorIbN2at6native12_GLOBAL__N_19NonZeroOpIiEEPKilEENS0_5tupleIJPlS6_EEENSN_IJSD_SD_EEES6_PiJS6_EEE10hipError_tPvRmT3_T4_T5_T6_T7_T9_mT8_P12ihipStream_tbDpT10_ENKUlT_T0_E_clISt17integral_constantIbLb0EES1A_IbLb1EEEEDaS16_S17_EUlS16_E_NS1_11comp_targetILNS1_3genE4ELNS1_11target_archE910ELNS1_3gpuE8ELNS1_3repE0EEENS1_30default_config_static_selectorELNS0_4arch9wavefront6targetE0EEEvT1_,"axG",@progbits,_ZN7rocprim17ROCPRIM_400000_NS6detail17trampoline_kernelINS0_14default_configENS1_25partition_config_selectorILNS1_17partition_subalgoE5ElNS0_10empty_typeEbEEZZNS1_14partition_implILS5_5ELb0ES3_mN6hipcub16HIPCUB_304000_NS21CountingInputIteratorIllEEPS6_NSA_22TransformInputIteratorIbN2at6native12_GLOBAL__N_19NonZeroOpIiEEPKilEENS0_5tupleIJPlS6_EEENSN_IJSD_SD_EEES6_PiJS6_EEE10hipError_tPvRmT3_T4_T5_T6_T7_T9_mT8_P12ihipStream_tbDpT10_ENKUlT_T0_E_clISt17integral_constantIbLb0EES1A_IbLb1EEEEDaS16_S17_EUlS16_E_NS1_11comp_targetILNS1_3genE4ELNS1_11target_archE910ELNS1_3gpuE8ELNS1_3repE0EEENS1_30default_config_static_selectorELNS0_4arch9wavefront6targetE0EEEvT1_,comdat
.Lfunc_end212:
	.size	_ZN7rocprim17ROCPRIM_400000_NS6detail17trampoline_kernelINS0_14default_configENS1_25partition_config_selectorILNS1_17partition_subalgoE5ElNS0_10empty_typeEbEEZZNS1_14partition_implILS5_5ELb0ES3_mN6hipcub16HIPCUB_304000_NS21CountingInputIteratorIllEEPS6_NSA_22TransformInputIteratorIbN2at6native12_GLOBAL__N_19NonZeroOpIiEEPKilEENS0_5tupleIJPlS6_EEENSN_IJSD_SD_EEES6_PiJS6_EEE10hipError_tPvRmT3_T4_T5_T6_T7_T9_mT8_P12ihipStream_tbDpT10_ENKUlT_T0_E_clISt17integral_constantIbLb0EES1A_IbLb1EEEEDaS16_S17_EUlS16_E_NS1_11comp_targetILNS1_3genE4ELNS1_11target_archE910ELNS1_3gpuE8ELNS1_3repE0EEENS1_30default_config_static_selectorELNS0_4arch9wavefront6targetE0EEEvT1_, .Lfunc_end212-_ZN7rocprim17ROCPRIM_400000_NS6detail17trampoline_kernelINS0_14default_configENS1_25partition_config_selectorILNS1_17partition_subalgoE5ElNS0_10empty_typeEbEEZZNS1_14partition_implILS5_5ELb0ES3_mN6hipcub16HIPCUB_304000_NS21CountingInputIteratorIllEEPS6_NSA_22TransformInputIteratorIbN2at6native12_GLOBAL__N_19NonZeroOpIiEEPKilEENS0_5tupleIJPlS6_EEENSN_IJSD_SD_EEES6_PiJS6_EEE10hipError_tPvRmT3_T4_T5_T6_T7_T9_mT8_P12ihipStream_tbDpT10_ENKUlT_T0_E_clISt17integral_constantIbLb0EES1A_IbLb1EEEEDaS16_S17_EUlS16_E_NS1_11comp_targetILNS1_3genE4ELNS1_11target_archE910ELNS1_3gpuE8ELNS1_3repE0EEENS1_30default_config_static_selectorELNS0_4arch9wavefront6targetE0EEEvT1_
                                        ; -- End function
	.section	.AMDGPU.csdata,"",@progbits
; Kernel info:
; codeLenInByte = 0
; NumSgprs: 0
; NumVgprs: 0
; ScratchSize: 0
; MemoryBound: 0
; FloatMode: 240
; IeeeMode: 1
; LDSByteSize: 0 bytes/workgroup (compile time only)
; SGPRBlocks: 0
; VGPRBlocks: 0
; NumSGPRsForWavesPerEU: 1
; NumVGPRsForWavesPerEU: 1
; Occupancy: 15
; WaveLimiterHint : 0
; COMPUTE_PGM_RSRC2:SCRATCH_EN: 0
; COMPUTE_PGM_RSRC2:USER_SGPR: 15
; COMPUTE_PGM_RSRC2:TRAP_HANDLER: 0
; COMPUTE_PGM_RSRC2:TGID_X_EN: 1
; COMPUTE_PGM_RSRC2:TGID_Y_EN: 0
; COMPUTE_PGM_RSRC2:TGID_Z_EN: 0
; COMPUTE_PGM_RSRC2:TIDIG_COMP_CNT: 0
	.section	.text._ZN7rocprim17ROCPRIM_400000_NS6detail17trampoline_kernelINS0_14default_configENS1_25partition_config_selectorILNS1_17partition_subalgoE5ElNS0_10empty_typeEbEEZZNS1_14partition_implILS5_5ELb0ES3_mN6hipcub16HIPCUB_304000_NS21CountingInputIteratorIllEEPS6_NSA_22TransformInputIteratorIbN2at6native12_GLOBAL__N_19NonZeroOpIiEEPKilEENS0_5tupleIJPlS6_EEENSN_IJSD_SD_EEES6_PiJS6_EEE10hipError_tPvRmT3_T4_T5_T6_T7_T9_mT8_P12ihipStream_tbDpT10_ENKUlT_T0_E_clISt17integral_constantIbLb0EES1A_IbLb1EEEEDaS16_S17_EUlS16_E_NS1_11comp_targetILNS1_3genE3ELNS1_11target_archE908ELNS1_3gpuE7ELNS1_3repE0EEENS1_30default_config_static_selectorELNS0_4arch9wavefront6targetE0EEEvT1_,"axG",@progbits,_ZN7rocprim17ROCPRIM_400000_NS6detail17trampoline_kernelINS0_14default_configENS1_25partition_config_selectorILNS1_17partition_subalgoE5ElNS0_10empty_typeEbEEZZNS1_14partition_implILS5_5ELb0ES3_mN6hipcub16HIPCUB_304000_NS21CountingInputIteratorIllEEPS6_NSA_22TransformInputIteratorIbN2at6native12_GLOBAL__N_19NonZeroOpIiEEPKilEENS0_5tupleIJPlS6_EEENSN_IJSD_SD_EEES6_PiJS6_EEE10hipError_tPvRmT3_T4_T5_T6_T7_T9_mT8_P12ihipStream_tbDpT10_ENKUlT_T0_E_clISt17integral_constantIbLb0EES1A_IbLb1EEEEDaS16_S17_EUlS16_E_NS1_11comp_targetILNS1_3genE3ELNS1_11target_archE908ELNS1_3gpuE7ELNS1_3repE0EEENS1_30default_config_static_selectorELNS0_4arch9wavefront6targetE0EEEvT1_,comdat
	.globl	_ZN7rocprim17ROCPRIM_400000_NS6detail17trampoline_kernelINS0_14default_configENS1_25partition_config_selectorILNS1_17partition_subalgoE5ElNS0_10empty_typeEbEEZZNS1_14partition_implILS5_5ELb0ES3_mN6hipcub16HIPCUB_304000_NS21CountingInputIteratorIllEEPS6_NSA_22TransformInputIteratorIbN2at6native12_GLOBAL__N_19NonZeroOpIiEEPKilEENS0_5tupleIJPlS6_EEENSN_IJSD_SD_EEES6_PiJS6_EEE10hipError_tPvRmT3_T4_T5_T6_T7_T9_mT8_P12ihipStream_tbDpT10_ENKUlT_T0_E_clISt17integral_constantIbLb0EES1A_IbLb1EEEEDaS16_S17_EUlS16_E_NS1_11comp_targetILNS1_3genE3ELNS1_11target_archE908ELNS1_3gpuE7ELNS1_3repE0EEENS1_30default_config_static_selectorELNS0_4arch9wavefront6targetE0EEEvT1_ ; -- Begin function _ZN7rocprim17ROCPRIM_400000_NS6detail17trampoline_kernelINS0_14default_configENS1_25partition_config_selectorILNS1_17partition_subalgoE5ElNS0_10empty_typeEbEEZZNS1_14partition_implILS5_5ELb0ES3_mN6hipcub16HIPCUB_304000_NS21CountingInputIteratorIllEEPS6_NSA_22TransformInputIteratorIbN2at6native12_GLOBAL__N_19NonZeroOpIiEEPKilEENS0_5tupleIJPlS6_EEENSN_IJSD_SD_EEES6_PiJS6_EEE10hipError_tPvRmT3_T4_T5_T6_T7_T9_mT8_P12ihipStream_tbDpT10_ENKUlT_T0_E_clISt17integral_constantIbLb0EES1A_IbLb1EEEEDaS16_S17_EUlS16_E_NS1_11comp_targetILNS1_3genE3ELNS1_11target_archE908ELNS1_3gpuE7ELNS1_3repE0EEENS1_30default_config_static_selectorELNS0_4arch9wavefront6targetE0EEEvT1_
	.p2align	8
	.type	_ZN7rocprim17ROCPRIM_400000_NS6detail17trampoline_kernelINS0_14default_configENS1_25partition_config_selectorILNS1_17partition_subalgoE5ElNS0_10empty_typeEbEEZZNS1_14partition_implILS5_5ELb0ES3_mN6hipcub16HIPCUB_304000_NS21CountingInputIteratorIllEEPS6_NSA_22TransformInputIteratorIbN2at6native12_GLOBAL__N_19NonZeroOpIiEEPKilEENS0_5tupleIJPlS6_EEENSN_IJSD_SD_EEES6_PiJS6_EEE10hipError_tPvRmT3_T4_T5_T6_T7_T9_mT8_P12ihipStream_tbDpT10_ENKUlT_T0_E_clISt17integral_constantIbLb0EES1A_IbLb1EEEEDaS16_S17_EUlS16_E_NS1_11comp_targetILNS1_3genE3ELNS1_11target_archE908ELNS1_3gpuE7ELNS1_3repE0EEENS1_30default_config_static_selectorELNS0_4arch9wavefront6targetE0EEEvT1_,@function
_ZN7rocprim17ROCPRIM_400000_NS6detail17trampoline_kernelINS0_14default_configENS1_25partition_config_selectorILNS1_17partition_subalgoE5ElNS0_10empty_typeEbEEZZNS1_14partition_implILS5_5ELb0ES3_mN6hipcub16HIPCUB_304000_NS21CountingInputIteratorIllEEPS6_NSA_22TransformInputIteratorIbN2at6native12_GLOBAL__N_19NonZeroOpIiEEPKilEENS0_5tupleIJPlS6_EEENSN_IJSD_SD_EEES6_PiJS6_EEE10hipError_tPvRmT3_T4_T5_T6_T7_T9_mT8_P12ihipStream_tbDpT10_ENKUlT_T0_E_clISt17integral_constantIbLb0EES1A_IbLb1EEEEDaS16_S17_EUlS16_E_NS1_11comp_targetILNS1_3genE3ELNS1_11target_archE908ELNS1_3gpuE7ELNS1_3repE0EEENS1_30default_config_static_selectorELNS0_4arch9wavefront6targetE0EEEvT1_: ; @_ZN7rocprim17ROCPRIM_400000_NS6detail17trampoline_kernelINS0_14default_configENS1_25partition_config_selectorILNS1_17partition_subalgoE5ElNS0_10empty_typeEbEEZZNS1_14partition_implILS5_5ELb0ES3_mN6hipcub16HIPCUB_304000_NS21CountingInputIteratorIllEEPS6_NSA_22TransformInputIteratorIbN2at6native12_GLOBAL__N_19NonZeroOpIiEEPKilEENS0_5tupleIJPlS6_EEENSN_IJSD_SD_EEES6_PiJS6_EEE10hipError_tPvRmT3_T4_T5_T6_T7_T9_mT8_P12ihipStream_tbDpT10_ENKUlT_T0_E_clISt17integral_constantIbLb0EES1A_IbLb1EEEEDaS16_S17_EUlS16_E_NS1_11comp_targetILNS1_3genE3ELNS1_11target_archE908ELNS1_3gpuE7ELNS1_3repE0EEENS1_30default_config_static_selectorELNS0_4arch9wavefront6targetE0EEEvT1_
; %bb.0:
	.section	.rodata,"a",@progbits
	.p2align	6, 0x0
	.amdhsa_kernel _ZN7rocprim17ROCPRIM_400000_NS6detail17trampoline_kernelINS0_14default_configENS1_25partition_config_selectorILNS1_17partition_subalgoE5ElNS0_10empty_typeEbEEZZNS1_14partition_implILS5_5ELb0ES3_mN6hipcub16HIPCUB_304000_NS21CountingInputIteratorIllEEPS6_NSA_22TransformInputIteratorIbN2at6native12_GLOBAL__N_19NonZeroOpIiEEPKilEENS0_5tupleIJPlS6_EEENSN_IJSD_SD_EEES6_PiJS6_EEE10hipError_tPvRmT3_T4_T5_T6_T7_T9_mT8_P12ihipStream_tbDpT10_ENKUlT_T0_E_clISt17integral_constantIbLb0EES1A_IbLb1EEEEDaS16_S17_EUlS16_E_NS1_11comp_targetILNS1_3genE3ELNS1_11target_archE908ELNS1_3gpuE7ELNS1_3repE0EEENS1_30default_config_static_selectorELNS0_4arch9wavefront6targetE0EEEvT1_
		.amdhsa_group_segment_fixed_size 0
		.amdhsa_private_segment_fixed_size 0
		.amdhsa_kernarg_size 136
		.amdhsa_user_sgpr_count 15
		.amdhsa_user_sgpr_dispatch_ptr 0
		.amdhsa_user_sgpr_queue_ptr 0
		.amdhsa_user_sgpr_kernarg_segment_ptr 1
		.amdhsa_user_sgpr_dispatch_id 0
		.amdhsa_user_sgpr_private_segment_size 0
		.amdhsa_wavefront_size32 1
		.amdhsa_uses_dynamic_stack 0
		.amdhsa_enable_private_segment 0
		.amdhsa_system_sgpr_workgroup_id_x 1
		.amdhsa_system_sgpr_workgroup_id_y 0
		.amdhsa_system_sgpr_workgroup_id_z 0
		.amdhsa_system_sgpr_workgroup_info 0
		.amdhsa_system_vgpr_workitem_id 0
		.amdhsa_next_free_vgpr 1
		.amdhsa_next_free_sgpr 1
		.amdhsa_reserve_vcc 0
		.amdhsa_float_round_mode_32 0
		.amdhsa_float_round_mode_16_64 0
		.amdhsa_float_denorm_mode_32 3
		.amdhsa_float_denorm_mode_16_64 3
		.amdhsa_dx10_clamp 1
		.amdhsa_ieee_mode 1
		.amdhsa_fp16_overflow 0
		.amdhsa_workgroup_processor_mode 1
		.amdhsa_memory_ordered 1
		.amdhsa_forward_progress 0
		.amdhsa_shared_vgpr_count 0
		.amdhsa_exception_fp_ieee_invalid_op 0
		.amdhsa_exception_fp_denorm_src 0
		.amdhsa_exception_fp_ieee_div_zero 0
		.amdhsa_exception_fp_ieee_overflow 0
		.amdhsa_exception_fp_ieee_underflow 0
		.amdhsa_exception_fp_ieee_inexact 0
		.amdhsa_exception_int_div_zero 0
	.end_amdhsa_kernel
	.section	.text._ZN7rocprim17ROCPRIM_400000_NS6detail17trampoline_kernelINS0_14default_configENS1_25partition_config_selectorILNS1_17partition_subalgoE5ElNS0_10empty_typeEbEEZZNS1_14partition_implILS5_5ELb0ES3_mN6hipcub16HIPCUB_304000_NS21CountingInputIteratorIllEEPS6_NSA_22TransformInputIteratorIbN2at6native12_GLOBAL__N_19NonZeroOpIiEEPKilEENS0_5tupleIJPlS6_EEENSN_IJSD_SD_EEES6_PiJS6_EEE10hipError_tPvRmT3_T4_T5_T6_T7_T9_mT8_P12ihipStream_tbDpT10_ENKUlT_T0_E_clISt17integral_constantIbLb0EES1A_IbLb1EEEEDaS16_S17_EUlS16_E_NS1_11comp_targetILNS1_3genE3ELNS1_11target_archE908ELNS1_3gpuE7ELNS1_3repE0EEENS1_30default_config_static_selectorELNS0_4arch9wavefront6targetE0EEEvT1_,"axG",@progbits,_ZN7rocprim17ROCPRIM_400000_NS6detail17trampoline_kernelINS0_14default_configENS1_25partition_config_selectorILNS1_17partition_subalgoE5ElNS0_10empty_typeEbEEZZNS1_14partition_implILS5_5ELb0ES3_mN6hipcub16HIPCUB_304000_NS21CountingInputIteratorIllEEPS6_NSA_22TransformInputIteratorIbN2at6native12_GLOBAL__N_19NonZeroOpIiEEPKilEENS0_5tupleIJPlS6_EEENSN_IJSD_SD_EEES6_PiJS6_EEE10hipError_tPvRmT3_T4_T5_T6_T7_T9_mT8_P12ihipStream_tbDpT10_ENKUlT_T0_E_clISt17integral_constantIbLb0EES1A_IbLb1EEEEDaS16_S17_EUlS16_E_NS1_11comp_targetILNS1_3genE3ELNS1_11target_archE908ELNS1_3gpuE7ELNS1_3repE0EEENS1_30default_config_static_selectorELNS0_4arch9wavefront6targetE0EEEvT1_,comdat
.Lfunc_end213:
	.size	_ZN7rocprim17ROCPRIM_400000_NS6detail17trampoline_kernelINS0_14default_configENS1_25partition_config_selectorILNS1_17partition_subalgoE5ElNS0_10empty_typeEbEEZZNS1_14partition_implILS5_5ELb0ES3_mN6hipcub16HIPCUB_304000_NS21CountingInputIteratorIllEEPS6_NSA_22TransformInputIteratorIbN2at6native12_GLOBAL__N_19NonZeroOpIiEEPKilEENS0_5tupleIJPlS6_EEENSN_IJSD_SD_EEES6_PiJS6_EEE10hipError_tPvRmT3_T4_T5_T6_T7_T9_mT8_P12ihipStream_tbDpT10_ENKUlT_T0_E_clISt17integral_constantIbLb0EES1A_IbLb1EEEEDaS16_S17_EUlS16_E_NS1_11comp_targetILNS1_3genE3ELNS1_11target_archE908ELNS1_3gpuE7ELNS1_3repE0EEENS1_30default_config_static_selectorELNS0_4arch9wavefront6targetE0EEEvT1_, .Lfunc_end213-_ZN7rocprim17ROCPRIM_400000_NS6detail17trampoline_kernelINS0_14default_configENS1_25partition_config_selectorILNS1_17partition_subalgoE5ElNS0_10empty_typeEbEEZZNS1_14partition_implILS5_5ELb0ES3_mN6hipcub16HIPCUB_304000_NS21CountingInputIteratorIllEEPS6_NSA_22TransformInputIteratorIbN2at6native12_GLOBAL__N_19NonZeroOpIiEEPKilEENS0_5tupleIJPlS6_EEENSN_IJSD_SD_EEES6_PiJS6_EEE10hipError_tPvRmT3_T4_T5_T6_T7_T9_mT8_P12ihipStream_tbDpT10_ENKUlT_T0_E_clISt17integral_constantIbLb0EES1A_IbLb1EEEEDaS16_S17_EUlS16_E_NS1_11comp_targetILNS1_3genE3ELNS1_11target_archE908ELNS1_3gpuE7ELNS1_3repE0EEENS1_30default_config_static_selectorELNS0_4arch9wavefront6targetE0EEEvT1_
                                        ; -- End function
	.section	.AMDGPU.csdata,"",@progbits
; Kernel info:
; codeLenInByte = 0
; NumSgprs: 0
; NumVgprs: 0
; ScratchSize: 0
; MemoryBound: 0
; FloatMode: 240
; IeeeMode: 1
; LDSByteSize: 0 bytes/workgroup (compile time only)
; SGPRBlocks: 0
; VGPRBlocks: 0
; NumSGPRsForWavesPerEU: 1
; NumVGPRsForWavesPerEU: 1
; Occupancy: 16
; WaveLimiterHint : 0
; COMPUTE_PGM_RSRC2:SCRATCH_EN: 0
; COMPUTE_PGM_RSRC2:USER_SGPR: 15
; COMPUTE_PGM_RSRC2:TRAP_HANDLER: 0
; COMPUTE_PGM_RSRC2:TGID_X_EN: 1
; COMPUTE_PGM_RSRC2:TGID_Y_EN: 0
; COMPUTE_PGM_RSRC2:TGID_Z_EN: 0
; COMPUTE_PGM_RSRC2:TIDIG_COMP_CNT: 0
	.section	.text._ZN7rocprim17ROCPRIM_400000_NS6detail17trampoline_kernelINS0_14default_configENS1_25partition_config_selectorILNS1_17partition_subalgoE5ElNS0_10empty_typeEbEEZZNS1_14partition_implILS5_5ELb0ES3_mN6hipcub16HIPCUB_304000_NS21CountingInputIteratorIllEEPS6_NSA_22TransformInputIteratorIbN2at6native12_GLOBAL__N_19NonZeroOpIiEEPKilEENS0_5tupleIJPlS6_EEENSN_IJSD_SD_EEES6_PiJS6_EEE10hipError_tPvRmT3_T4_T5_T6_T7_T9_mT8_P12ihipStream_tbDpT10_ENKUlT_T0_E_clISt17integral_constantIbLb0EES1A_IbLb1EEEEDaS16_S17_EUlS16_E_NS1_11comp_targetILNS1_3genE2ELNS1_11target_archE906ELNS1_3gpuE6ELNS1_3repE0EEENS1_30default_config_static_selectorELNS0_4arch9wavefront6targetE0EEEvT1_,"axG",@progbits,_ZN7rocprim17ROCPRIM_400000_NS6detail17trampoline_kernelINS0_14default_configENS1_25partition_config_selectorILNS1_17partition_subalgoE5ElNS0_10empty_typeEbEEZZNS1_14partition_implILS5_5ELb0ES3_mN6hipcub16HIPCUB_304000_NS21CountingInputIteratorIllEEPS6_NSA_22TransformInputIteratorIbN2at6native12_GLOBAL__N_19NonZeroOpIiEEPKilEENS0_5tupleIJPlS6_EEENSN_IJSD_SD_EEES6_PiJS6_EEE10hipError_tPvRmT3_T4_T5_T6_T7_T9_mT8_P12ihipStream_tbDpT10_ENKUlT_T0_E_clISt17integral_constantIbLb0EES1A_IbLb1EEEEDaS16_S17_EUlS16_E_NS1_11comp_targetILNS1_3genE2ELNS1_11target_archE906ELNS1_3gpuE6ELNS1_3repE0EEENS1_30default_config_static_selectorELNS0_4arch9wavefront6targetE0EEEvT1_,comdat
	.globl	_ZN7rocprim17ROCPRIM_400000_NS6detail17trampoline_kernelINS0_14default_configENS1_25partition_config_selectorILNS1_17partition_subalgoE5ElNS0_10empty_typeEbEEZZNS1_14partition_implILS5_5ELb0ES3_mN6hipcub16HIPCUB_304000_NS21CountingInputIteratorIllEEPS6_NSA_22TransformInputIteratorIbN2at6native12_GLOBAL__N_19NonZeroOpIiEEPKilEENS0_5tupleIJPlS6_EEENSN_IJSD_SD_EEES6_PiJS6_EEE10hipError_tPvRmT3_T4_T5_T6_T7_T9_mT8_P12ihipStream_tbDpT10_ENKUlT_T0_E_clISt17integral_constantIbLb0EES1A_IbLb1EEEEDaS16_S17_EUlS16_E_NS1_11comp_targetILNS1_3genE2ELNS1_11target_archE906ELNS1_3gpuE6ELNS1_3repE0EEENS1_30default_config_static_selectorELNS0_4arch9wavefront6targetE0EEEvT1_ ; -- Begin function _ZN7rocprim17ROCPRIM_400000_NS6detail17trampoline_kernelINS0_14default_configENS1_25partition_config_selectorILNS1_17partition_subalgoE5ElNS0_10empty_typeEbEEZZNS1_14partition_implILS5_5ELb0ES3_mN6hipcub16HIPCUB_304000_NS21CountingInputIteratorIllEEPS6_NSA_22TransformInputIteratorIbN2at6native12_GLOBAL__N_19NonZeroOpIiEEPKilEENS0_5tupleIJPlS6_EEENSN_IJSD_SD_EEES6_PiJS6_EEE10hipError_tPvRmT3_T4_T5_T6_T7_T9_mT8_P12ihipStream_tbDpT10_ENKUlT_T0_E_clISt17integral_constantIbLb0EES1A_IbLb1EEEEDaS16_S17_EUlS16_E_NS1_11comp_targetILNS1_3genE2ELNS1_11target_archE906ELNS1_3gpuE6ELNS1_3repE0EEENS1_30default_config_static_selectorELNS0_4arch9wavefront6targetE0EEEvT1_
	.p2align	8
	.type	_ZN7rocprim17ROCPRIM_400000_NS6detail17trampoline_kernelINS0_14default_configENS1_25partition_config_selectorILNS1_17partition_subalgoE5ElNS0_10empty_typeEbEEZZNS1_14partition_implILS5_5ELb0ES3_mN6hipcub16HIPCUB_304000_NS21CountingInputIteratorIllEEPS6_NSA_22TransformInputIteratorIbN2at6native12_GLOBAL__N_19NonZeroOpIiEEPKilEENS0_5tupleIJPlS6_EEENSN_IJSD_SD_EEES6_PiJS6_EEE10hipError_tPvRmT3_T4_T5_T6_T7_T9_mT8_P12ihipStream_tbDpT10_ENKUlT_T0_E_clISt17integral_constantIbLb0EES1A_IbLb1EEEEDaS16_S17_EUlS16_E_NS1_11comp_targetILNS1_3genE2ELNS1_11target_archE906ELNS1_3gpuE6ELNS1_3repE0EEENS1_30default_config_static_selectorELNS0_4arch9wavefront6targetE0EEEvT1_,@function
_ZN7rocprim17ROCPRIM_400000_NS6detail17trampoline_kernelINS0_14default_configENS1_25partition_config_selectorILNS1_17partition_subalgoE5ElNS0_10empty_typeEbEEZZNS1_14partition_implILS5_5ELb0ES3_mN6hipcub16HIPCUB_304000_NS21CountingInputIteratorIllEEPS6_NSA_22TransformInputIteratorIbN2at6native12_GLOBAL__N_19NonZeroOpIiEEPKilEENS0_5tupleIJPlS6_EEENSN_IJSD_SD_EEES6_PiJS6_EEE10hipError_tPvRmT3_T4_T5_T6_T7_T9_mT8_P12ihipStream_tbDpT10_ENKUlT_T0_E_clISt17integral_constantIbLb0EES1A_IbLb1EEEEDaS16_S17_EUlS16_E_NS1_11comp_targetILNS1_3genE2ELNS1_11target_archE906ELNS1_3gpuE6ELNS1_3repE0EEENS1_30default_config_static_selectorELNS0_4arch9wavefront6targetE0EEEvT1_: ; @_ZN7rocprim17ROCPRIM_400000_NS6detail17trampoline_kernelINS0_14default_configENS1_25partition_config_selectorILNS1_17partition_subalgoE5ElNS0_10empty_typeEbEEZZNS1_14partition_implILS5_5ELb0ES3_mN6hipcub16HIPCUB_304000_NS21CountingInputIteratorIllEEPS6_NSA_22TransformInputIteratorIbN2at6native12_GLOBAL__N_19NonZeroOpIiEEPKilEENS0_5tupleIJPlS6_EEENSN_IJSD_SD_EEES6_PiJS6_EEE10hipError_tPvRmT3_T4_T5_T6_T7_T9_mT8_P12ihipStream_tbDpT10_ENKUlT_T0_E_clISt17integral_constantIbLb0EES1A_IbLb1EEEEDaS16_S17_EUlS16_E_NS1_11comp_targetILNS1_3genE2ELNS1_11target_archE906ELNS1_3gpuE6ELNS1_3repE0EEENS1_30default_config_static_selectorELNS0_4arch9wavefront6targetE0EEEvT1_
; %bb.0:
	.section	.rodata,"a",@progbits
	.p2align	6, 0x0
	.amdhsa_kernel _ZN7rocprim17ROCPRIM_400000_NS6detail17trampoline_kernelINS0_14default_configENS1_25partition_config_selectorILNS1_17partition_subalgoE5ElNS0_10empty_typeEbEEZZNS1_14partition_implILS5_5ELb0ES3_mN6hipcub16HIPCUB_304000_NS21CountingInputIteratorIllEEPS6_NSA_22TransformInputIteratorIbN2at6native12_GLOBAL__N_19NonZeroOpIiEEPKilEENS0_5tupleIJPlS6_EEENSN_IJSD_SD_EEES6_PiJS6_EEE10hipError_tPvRmT3_T4_T5_T6_T7_T9_mT8_P12ihipStream_tbDpT10_ENKUlT_T0_E_clISt17integral_constantIbLb0EES1A_IbLb1EEEEDaS16_S17_EUlS16_E_NS1_11comp_targetILNS1_3genE2ELNS1_11target_archE906ELNS1_3gpuE6ELNS1_3repE0EEENS1_30default_config_static_selectorELNS0_4arch9wavefront6targetE0EEEvT1_
		.amdhsa_group_segment_fixed_size 0
		.amdhsa_private_segment_fixed_size 0
		.amdhsa_kernarg_size 136
		.amdhsa_user_sgpr_count 15
		.amdhsa_user_sgpr_dispatch_ptr 0
		.amdhsa_user_sgpr_queue_ptr 0
		.amdhsa_user_sgpr_kernarg_segment_ptr 1
		.amdhsa_user_sgpr_dispatch_id 0
		.amdhsa_user_sgpr_private_segment_size 0
		.amdhsa_wavefront_size32 1
		.amdhsa_uses_dynamic_stack 0
		.amdhsa_enable_private_segment 0
		.amdhsa_system_sgpr_workgroup_id_x 1
		.amdhsa_system_sgpr_workgroup_id_y 0
		.amdhsa_system_sgpr_workgroup_id_z 0
		.amdhsa_system_sgpr_workgroup_info 0
		.amdhsa_system_vgpr_workitem_id 0
		.amdhsa_next_free_vgpr 1
		.amdhsa_next_free_sgpr 1
		.amdhsa_reserve_vcc 0
		.amdhsa_float_round_mode_32 0
		.amdhsa_float_round_mode_16_64 0
		.amdhsa_float_denorm_mode_32 3
		.amdhsa_float_denorm_mode_16_64 3
		.amdhsa_dx10_clamp 1
		.amdhsa_ieee_mode 1
		.amdhsa_fp16_overflow 0
		.amdhsa_workgroup_processor_mode 1
		.amdhsa_memory_ordered 1
		.amdhsa_forward_progress 0
		.amdhsa_shared_vgpr_count 0
		.amdhsa_exception_fp_ieee_invalid_op 0
		.amdhsa_exception_fp_denorm_src 0
		.amdhsa_exception_fp_ieee_div_zero 0
		.amdhsa_exception_fp_ieee_overflow 0
		.amdhsa_exception_fp_ieee_underflow 0
		.amdhsa_exception_fp_ieee_inexact 0
		.amdhsa_exception_int_div_zero 0
	.end_amdhsa_kernel
	.section	.text._ZN7rocprim17ROCPRIM_400000_NS6detail17trampoline_kernelINS0_14default_configENS1_25partition_config_selectorILNS1_17partition_subalgoE5ElNS0_10empty_typeEbEEZZNS1_14partition_implILS5_5ELb0ES3_mN6hipcub16HIPCUB_304000_NS21CountingInputIteratorIllEEPS6_NSA_22TransformInputIteratorIbN2at6native12_GLOBAL__N_19NonZeroOpIiEEPKilEENS0_5tupleIJPlS6_EEENSN_IJSD_SD_EEES6_PiJS6_EEE10hipError_tPvRmT3_T4_T5_T6_T7_T9_mT8_P12ihipStream_tbDpT10_ENKUlT_T0_E_clISt17integral_constantIbLb0EES1A_IbLb1EEEEDaS16_S17_EUlS16_E_NS1_11comp_targetILNS1_3genE2ELNS1_11target_archE906ELNS1_3gpuE6ELNS1_3repE0EEENS1_30default_config_static_selectorELNS0_4arch9wavefront6targetE0EEEvT1_,"axG",@progbits,_ZN7rocprim17ROCPRIM_400000_NS6detail17trampoline_kernelINS0_14default_configENS1_25partition_config_selectorILNS1_17partition_subalgoE5ElNS0_10empty_typeEbEEZZNS1_14partition_implILS5_5ELb0ES3_mN6hipcub16HIPCUB_304000_NS21CountingInputIteratorIllEEPS6_NSA_22TransformInputIteratorIbN2at6native12_GLOBAL__N_19NonZeroOpIiEEPKilEENS0_5tupleIJPlS6_EEENSN_IJSD_SD_EEES6_PiJS6_EEE10hipError_tPvRmT3_T4_T5_T6_T7_T9_mT8_P12ihipStream_tbDpT10_ENKUlT_T0_E_clISt17integral_constantIbLb0EES1A_IbLb1EEEEDaS16_S17_EUlS16_E_NS1_11comp_targetILNS1_3genE2ELNS1_11target_archE906ELNS1_3gpuE6ELNS1_3repE0EEENS1_30default_config_static_selectorELNS0_4arch9wavefront6targetE0EEEvT1_,comdat
.Lfunc_end214:
	.size	_ZN7rocprim17ROCPRIM_400000_NS6detail17trampoline_kernelINS0_14default_configENS1_25partition_config_selectorILNS1_17partition_subalgoE5ElNS0_10empty_typeEbEEZZNS1_14partition_implILS5_5ELb0ES3_mN6hipcub16HIPCUB_304000_NS21CountingInputIteratorIllEEPS6_NSA_22TransformInputIteratorIbN2at6native12_GLOBAL__N_19NonZeroOpIiEEPKilEENS0_5tupleIJPlS6_EEENSN_IJSD_SD_EEES6_PiJS6_EEE10hipError_tPvRmT3_T4_T5_T6_T7_T9_mT8_P12ihipStream_tbDpT10_ENKUlT_T0_E_clISt17integral_constantIbLb0EES1A_IbLb1EEEEDaS16_S17_EUlS16_E_NS1_11comp_targetILNS1_3genE2ELNS1_11target_archE906ELNS1_3gpuE6ELNS1_3repE0EEENS1_30default_config_static_selectorELNS0_4arch9wavefront6targetE0EEEvT1_, .Lfunc_end214-_ZN7rocprim17ROCPRIM_400000_NS6detail17trampoline_kernelINS0_14default_configENS1_25partition_config_selectorILNS1_17partition_subalgoE5ElNS0_10empty_typeEbEEZZNS1_14partition_implILS5_5ELb0ES3_mN6hipcub16HIPCUB_304000_NS21CountingInputIteratorIllEEPS6_NSA_22TransformInputIteratorIbN2at6native12_GLOBAL__N_19NonZeroOpIiEEPKilEENS0_5tupleIJPlS6_EEENSN_IJSD_SD_EEES6_PiJS6_EEE10hipError_tPvRmT3_T4_T5_T6_T7_T9_mT8_P12ihipStream_tbDpT10_ENKUlT_T0_E_clISt17integral_constantIbLb0EES1A_IbLb1EEEEDaS16_S17_EUlS16_E_NS1_11comp_targetILNS1_3genE2ELNS1_11target_archE906ELNS1_3gpuE6ELNS1_3repE0EEENS1_30default_config_static_selectorELNS0_4arch9wavefront6targetE0EEEvT1_
                                        ; -- End function
	.section	.AMDGPU.csdata,"",@progbits
; Kernel info:
; codeLenInByte = 0
; NumSgprs: 0
; NumVgprs: 0
; ScratchSize: 0
; MemoryBound: 0
; FloatMode: 240
; IeeeMode: 1
; LDSByteSize: 0 bytes/workgroup (compile time only)
; SGPRBlocks: 0
; VGPRBlocks: 0
; NumSGPRsForWavesPerEU: 1
; NumVGPRsForWavesPerEU: 1
; Occupancy: 16
; WaveLimiterHint : 0
; COMPUTE_PGM_RSRC2:SCRATCH_EN: 0
; COMPUTE_PGM_RSRC2:USER_SGPR: 15
; COMPUTE_PGM_RSRC2:TRAP_HANDLER: 0
; COMPUTE_PGM_RSRC2:TGID_X_EN: 1
; COMPUTE_PGM_RSRC2:TGID_Y_EN: 0
; COMPUTE_PGM_RSRC2:TGID_Z_EN: 0
; COMPUTE_PGM_RSRC2:TIDIG_COMP_CNT: 0
	.section	.text._ZN7rocprim17ROCPRIM_400000_NS6detail17trampoline_kernelINS0_14default_configENS1_25partition_config_selectorILNS1_17partition_subalgoE5ElNS0_10empty_typeEbEEZZNS1_14partition_implILS5_5ELb0ES3_mN6hipcub16HIPCUB_304000_NS21CountingInputIteratorIllEEPS6_NSA_22TransformInputIteratorIbN2at6native12_GLOBAL__N_19NonZeroOpIiEEPKilEENS0_5tupleIJPlS6_EEENSN_IJSD_SD_EEES6_PiJS6_EEE10hipError_tPvRmT3_T4_T5_T6_T7_T9_mT8_P12ihipStream_tbDpT10_ENKUlT_T0_E_clISt17integral_constantIbLb0EES1A_IbLb1EEEEDaS16_S17_EUlS16_E_NS1_11comp_targetILNS1_3genE10ELNS1_11target_archE1200ELNS1_3gpuE4ELNS1_3repE0EEENS1_30default_config_static_selectorELNS0_4arch9wavefront6targetE0EEEvT1_,"axG",@progbits,_ZN7rocprim17ROCPRIM_400000_NS6detail17trampoline_kernelINS0_14default_configENS1_25partition_config_selectorILNS1_17partition_subalgoE5ElNS0_10empty_typeEbEEZZNS1_14partition_implILS5_5ELb0ES3_mN6hipcub16HIPCUB_304000_NS21CountingInputIteratorIllEEPS6_NSA_22TransformInputIteratorIbN2at6native12_GLOBAL__N_19NonZeroOpIiEEPKilEENS0_5tupleIJPlS6_EEENSN_IJSD_SD_EEES6_PiJS6_EEE10hipError_tPvRmT3_T4_T5_T6_T7_T9_mT8_P12ihipStream_tbDpT10_ENKUlT_T0_E_clISt17integral_constantIbLb0EES1A_IbLb1EEEEDaS16_S17_EUlS16_E_NS1_11comp_targetILNS1_3genE10ELNS1_11target_archE1200ELNS1_3gpuE4ELNS1_3repE0EEENS1_30default_config_static_selectorELNS0_4arch9wavefront6targetE0EEEvT1_,comdat
	.globl	_ZN7rocprim17ROCPRIM_400000_NS6detail17trampoline_kernelINS0_14default_configENS1_25partition_config_selectorILNS1_17partition_subalgoE5ElNS0_10empty_typeEbEEZZNS1_14partition_implILS5_5ELb0ES3_mN6hipcub16HIPCUB_304000_NS21CountingInputIteratorIllEEPS6_NSA_22TransformInputIteratorIbN2at6native12_GLOBAL__N_19NonZeroOpIiEEPKilEENS0_5tupleIJPlS6_EEENSN_IJSD_SD_EEES6_PiJS6_EEE10hipError_tPvRmT3_T4_T5_T6_T7_T9_mT8_P12ihipStream_tbDpT10_ENKUlT_T0_E_clISt17integral_constantIbLb0EES1A_IbLb1EEEEDaS16_S17_EUlS16_E_NS1_11comp_targetILNS1_3genE10ELNS1_11target_archE1200ELNS1_3gpuE4ELNS1_3repE0EEENS1_30default_config_static_selectorELNS0_4arch9wavefront6targetE0EEEvT1_ ; -- Begin function _ZN7rocprim17ROCPRIM_400000_NS6detail17trampoline_kernelINS0_14default_configENS1_25partition_config_selectorILNS1_17partition_subalgoE5ElNS0_10empty_typeEbEEZZNS1_14partition_implILS5_5ELb0ES3_mN6hipcub16HIPCUB_304000_NS21CountingInputIteratorIllEEPS6_NSA_22TransformInputIteratorIbN2at6native12_GLOBAL__N_19NonZeroOpIiEEPKilEENS0_5tupleIJPlS6_EEENSN_IJSD_SD_EEES6_PiJS6_EEE10hipError_tPvRmT3_T4_T5_T6_T7_T9_mT8_P12ihipStream_tbDpT10_ENKUlT_T0_E_clISt17integral_constantIbLb0EES1A_IbLb1EEEEDaS16_S17_EUlS16_E_NS1_11comp_targetILNS1_3genE10ELNS1_11target_archE1200ELNS1_3gpuE4ELNS1_3repE0EEENS1_30default_config_static_selectorELNS0_4arch9wavefront6targetE0EEEvT1_
	.p2align	8
	.type	_ZN7rocprim17ROCPRIM_400000_NS6detail17trampoline_kernelINS0_14default_configENS1_25partition_config_selectorILNS1_17partition_subalgoE5ElNS0_10empty_typeEbEEZZNS1_14partition_implILS5_5ELb0ES3_mN6hipcub16HIPCUB_304000_NS21CountingInputIteratorIllEEPS6_NSA_22TransformInputIteratorIbN2at6native12_GLOBAL__N_19NonZeroOpIiEEPKilEENS0_5tupleIJPlS6_EEENSN_IJSD_SD_EEES6_PiJS6_EEE10hipError_tPvRmT3_T4_T5_T6_T7_T9_mT8_P12ihipStream_tbDpT10_ENKUlT_T0_E_clISt17integral_constantIbLb0EES1A_IbLb1EEEEDaS16_S17_EUlS16_E_NS1_11comp_targetILNS1_3genE10ELNS1_11target_archE1200ELNS1_3gpuE4ELNS1_3repE0EEENS1_30default_config_static_selectorELNS0_4arch9wavefront6targetE0EEEvT1_,@function
_ZN7rocprim17ROCPRIM_400000_NS6detail17trampoline_kernelINS0_14default_configENS1_25partition_config_selectorILNS1_17partition_subalgoE5ElNS0_10empty_typeEbEEZZNS1_14partition_implILS5_5ELb0ES3_mN6hipcub16HIPCUB_304000_NS21CountingInputIteratorIllEEPS6_NSA_22TransformInputIteratorIbN2at6native12_GLOBAL__N_19NonZeroOpIiEEPKilEENS0_5tupleIJPlS6_EEENSN_IJSD_SD_EEES6_PiJS6_EEE10hipError_tPvRmT3_T4_T5_T6_T7_T9_mT8_P12ihipStream_tbDpT10_ENKUlT_T0_E_clISt17integral_constantIbLb0EES1A_IbLb1EEEEDaS16_S17_EUlS16_E_NS1_11comp_targetILNS1_3genE10ELNS1_11target_archE1200ELNS1_3gpuE4ELNS1_3repE0EEENS1_30default_config_static_selectorELNS0_4arch9wavefront6targetE0EEEvT1_: ; @_ZN7rocprim17ROCPRIM_400000_NS6detail17trampoline_kernelINS0_14default_configENS1_25partition_config_selectorILNS1_17partition_subalgoE5ElNS0_10empty_typeEbEEZZNS1_14partition_implILS5_5ELb0ES3_mN6hipcub16HIPCUB_304000_NS21CountingInputIteratorIllEEPS6_NSA_22TransformInputIteratorIbN2at6native12_GLOBAL__N_19NonZeroOpIiEEPKilEENS0_5tupleIJPlS6_EEENSN_IJSD_SD_EEES6_PiJS6_EEE10hipError_tPvRmT3_T4_T5_T6_T7_T9_mT8_P12ihipStream_tbDpT10_ENKUlT_T0_E_clISt17integral_constantIbLb0EES1A_IbLb1EEEEDaS16_S17_EUlS16_E_NS1_11comp_targetILNS1_3genE10ELNS1_11target_archE1200ELNS1_3gpuE4ELNS1_3repE0EEENS1_30default_config_static_selectorELNS0_4arch9wavefront6targetE0EEEvT1_
; %bb.0:
	.section	.rodata,"a",@progbits
	.p2align	6, 0x0
	.amdhsa_kernel _ZN7rocprim17ROCPRIM_400000_NS6detail17trampoline_kernelINS0_14default_configENS1_25partition_config_selectorILNS1_17partition_subalgoE5ElNS0_10empty_typeEbEEZZNS1_14partition_implILS5_5ELb0ES3_mN6hipcub16HIPCUB_304000_NS21CountingInputIteratorIllEEPS6_NSA_22TransformInputIteratorIbN2at6native12_GLOBAL__N_19NonZeroOpIiEEPKilEENS0_5tupleIJPlS6_EEENSN_IJSD_SD_EEES6_PiJS6_EEE10hipError_tPvRmT3_T4_T5_T6_T7_T9_mT8_P12ihipStream_tbDpT10_ENKUlT_T0_E_clISt17integral_constantIbLb0EES1A_IbLb1EEEEDaS16_S17_EUlS16_E_NS1_11comp_targetILNS1_3genE10ELNS1_11target_archE1200ELNS1_3gpuE4ELNS1_3repE0EEENS1_30default_config_static_selectorELNS0_4arch9wavefront6targetE0EEEvT1_
		.amdhsa_group_segment_fixed_size 0
		.amdhsa_private_segment_fixed_size 0
		.amdhsa_kernarg_size 136
		.amdhsa_user_sgpr_count 15
		.amdhsa_user_sgpr_dispatch_ptr 0
		.amdhsa_user_sgpr_queue_ptr 0
		.amdhsa_user_sgpr_kernarg_segment_ptr 1
		.amdhsa_user_sgpr_dispatch_id 0
		.amdhsa_user_sgpr_private_segment_size 0
		.amdhsa_wavefront_size32 1
		.amdhsa_uses_dynamic_stack 0
		.amdhsa_enable_private_segment 0
		.amdhsa_system_sgpr_workgroup_id_x 1
		.amdhsa_system_sgpr_workgroup_id_y 0
		.amdhsa_system_sgpr_workgroup_id_z 0
		.amdhsa_system_sgpr_workgroup_info 0
		.amdhsa_system_vgpr_workitem_id 0
		.amdhsa_next_free_vgpr 1
		.amdhsa_next_free_sgpr 1
		.amdhsa_reserve_vcc 0
		.amdhsa_float_round_mode_32 0
		.amdhsa_float_round_mode_16_64 0
		.amdhsa_float_denorm_mode_32 3
		.amdhsa_float_denorm_mode_16_64 3
		.amdhsa_dx10_clamp 1
		.amdhsa_ieee_mode 1
		.amdhsa_fp16_overflow 0
		.amdhsa_workgroup_processor_mode 1
		.amdhsa_memory_ordered 1
		.amdhsa_forward_progress 0
		.amdhsa_shared_vgpr_count 0
		.amdhsa_exception_fp_ieee_invalid_op 0
		.amdhsa_exception_fp_denorm_src 0
		.amdhsa_exception_fp_ieee_div_zero 0
		.amdhsa_exception_fp_ieee_overflow 0
		.amdhsa_exception_fp_ieee_underflow 0
		.amdhsa_exception_fp_ieee_inexact 0
		.amdhsa_exception_int_div_zero 0
	.end_amdhsa_kernel
	.section	.text._ZN7rocprim17ROCPRIM_400000_NS6detail17trampoline_kernelINS0_14default_configENS1_25partition_config_selectorILNS1_17partition_subalgoE5ElNS0_10empty_typeEbEEZZNS1_14partition_implILS5_5ELb0ES3_mN6hipcub16HIPCUB_304000_NS21CountingInputIteratorIllEEPS6_NSA_22TransformInputIteratorIbN2at6native12_GLOBAL__N_19NonZeroOpIiEEPKilEENS0_5tupleIJPlS6_EEENSN_IJSD_SD_EEES6_PiJS6_EEE10hipError_tPvRmT3_T4_T5_T6_T7_T9_mT8_P12ihipStream_tbDpT10_ENKUlT_T0_E_clISt17integral_constantIbLb0EES1A_IbLb1EEEEDaS16_S17_EUlS16_E_NS1_11comp_targetILNS1_3genE10ELNS1_11target_archE1200ELNS1_3gpuE4ELNS1_3repE0EEENS1_30default_config_static_selectorELNS0_4arch9wavefront6targetE0EEEvT1_,"axG",@progbits,_ZN7rocprim17ROCPRIM_400000_NS6detail17trampoline_kernelINS0_14default_configENS1_25partition_config_selectorILNS1_17partition_subalgoE5ElNS0_10empty_typeEbEEZZNS1_14partition_implILS5_5ELb0ES3_mN6hipcub16HIPCUB_304000_NS21CountingInputIteratorIllEEPS6_NSA_22TransformInputIteratorIbN2at6native12_GLOBAL__N_19NonZeroOpIiEEPKilEENS0_5tupleIJPlS6_EEENSN_IJSD_SD_EEES6_PiJS6_EEE10hipError_tPvRmT3_T4_T5_T6_T7_T9_mT8_P12ihipStream_tbDpT10_ENKUlT_T0_E_clISt17integral_constantIbLb0EES1A_IbLb1EEEEDaS16_S17_EUlS16_E_NS1_11comp_targetILNS1_3genE10ELNS1_11target_archE1200ELNS1_3gpuE4ELNS1_3repE0EEENS1_30default_config_static_selectorELNS0_4arch9wavefront6targetE0EEEvT1_,comdat
.Lfunc_end215:
	.size	_ZN7rocprim17ROCPRIM_400000_NS6detail17trampoline_kernelINS0_14default_configENS1_25partition_config_selectorILNS1_17partition_subalgoE5ElNS0_10empty_typeEbEEZZNS1_14partition_implILS5_5ELb0ES3_mN6hipcub16HIPCUB_304000_NS21CountingInputIteratorIllEEPS6_NSA_22TransformInputIteratorIbN2at6native12_GLOBAL__N_19NonZeroOpIiEEPKilEENS0_5tupleIJPlS6_EEENSN_IJSD_SD_EEES6_PiJS6_EEE10hipError_tPvRmT3_T4_T5_T6_T7_T9_mT8_P12ihipStream_tbDpT10_ENKUlT_T0_E_clISt17integral_constantIbLb0EES1A_IbLb1EEEEDaS16_S17_EUlS16_E_NS1_11comp_targetILNS1_3genE10ELNS1_11target_archE1200ELNS1_3gpuE4ELNS1_3repE0EEENS1_30default_config_static_selectorELNS0_4arch9wavefront6targetE0EEEvT1_, .Lfunc_end215-_ZN7rocprim17ROCPRIM_400000_NS6detail17trampoline_kernelINS0_14default_configENS1_25partition_config_selectorILNS1_17partition_subalgoE5ElNS0_10empty_typeEbEEZZNS1_14partition_implILS5_5ELb0ES3_mN6hipcub16HIPCUB_304000_NS21CountingInputIteratorIllEEPS6_NSA_22TransformInputIteratorIbN2at6native12_GLOBAL__N_19NonZeroOpIiEEPKilEENS0_5tupleIJPlS6_EEENSN_IJSD_SD_EEES6_PiJS6_EEE10hipError_tPvRmT3_T4_T5_T6_T7_T9_mT8_P12ihipStream_tbDpT10_ENKUlT_T0_E_clISt17integral_constantIbLb0EES1A_IbLb1EEEEDaS16_S17_EUlS16_E_NS1_11comp_targetILNS1_3genE10ELNS1_11target_archE1200ELNS1_3gpuE4ELNS1_3repE0EEENS1_30default_config_static_selectorELNS0_4arch9wavefront6targetE0EEEvT1_
                                        ; -- End function
	.section	.AMDGPU.csdata,"",@progbits
; Kernel info:
; codeLenInByte = 0
; NumSgprs: 0
; NumVgprs: 0
; ScratchSize: 0
; MemoryBound: 0
; FloatMode: 240
; IeeeMode: 1
; LDSByteSize: 0 bytes/workgroup (compile time only)
; SGPRBlocks: 0
; VGPRBlocks: 0
; NumSGPRsForWavesPerEU: 1
; NumVGPRsForWavesPerEU: 1
; Occupancy: 16
; WaveLimiterHint : 0
; COMPUTE_PGM_RSRC2:SCRATCH_EN: 0
; COMPUTE_PGM_RSRC2:USER_SGPR: 15
; COMPUTE_PGM_RSRC2:TRAP_HANDLER: 0
; COMPUTE_PGM_RSRC2:TGID_X_EN: 1
; COMPUTE_PGM_RSRC2:TGID_Y_EN: 0
; COMPUTE_PGM_RSRC2:TGID_Z_EN: 0
; COMPUTE_PGM_RSRC2:TIDIG_COMP_CNT: 0
	.section	.text._ZN7rocprim17ROCPRIM_400000_NS6detail17trampoline_kernelINS0_14default_configENS1_25partition_config_selectorILNS1_17partition_subalgoE5ElNS0_10empty_typeEbEEZZNS1_14partition_implILS5_5ELb0ES3_mN6hipcub16HIPCUB_304000_NS21CountingInputIteratorIllEEPS6_NSA_22TransformInputIteratorIbN2at6native12_GLOBAL__N_19NonZeroOpIiEEPKilEENS0_5tupleIJPlS6_EEENSN_IJSD_SD_EEES6_PiJS6_EEE10hipError_tPvRmT3_T4_T5_T6_T7_T9_mT8_P12ihipStream_tbDpT10_ENKUlT_T0_E_clISt17integral_constantIbLb0EES1A_IbLb1EEEEDaS16_S17_EUlS16_E_NS1_11comp_targetILNS1_3genE9ELNS1_11target_archE1100ELNS1_3gpuE3ELNS1_3repE0EEENS1_30default_config_static_selectorELNS0_4arch9wavefront6targetE0EEEvT1_,"axG",@progbits,_ZN7rocprim17ROCPRIM_400000_NS6detail17trampoline_kernelINS0_14default_configENS1_25partition_config_selectorILNS1_17partition_subalgoE5ElNS0_10empty_typeEbEEZZNS1_14partition_implILS5_5ELb0ES3_mN6hipcub16HIPCUB_304000_NS21CountingInputIteratorIllEEPS6_NSA_22TransformInputIteratorIbN2at6native12_GLOBAL__N_19NonZeroOpIiEEPKilEENS0_5tupleIJPlS6_EEENSN_IJSD_SD_EEES6_PiJS6_EEE10hipError_tPvRmT3_T4_T5_T6_T7_T9_mT8_P12ihipStream_tbDpT10_ENKUlT_T0_E_clISt17integral_constantIbLb0EES1A_IbLb1EEEEDaS16_S17_EUlS16_E_NS1_11comp_targetILNS1_3genE9ELNS1_11target_archE1100ELNS1_3gpuE3ELNS1_3repE0EEENS1_30default_config_static_selectorELNS0_4arch9wavefront6targetE0EEEvT1_,comdat
	.globl	_ZN7rocprim17ROCPRIM_400000_NS6detail17trampoline_kernelINS0_14default_configENS1_25partition_config_selectorILNS1_17partition_subalgoE5ElNS0_10empty_typeEbEEZZNS1_14partition_implILS5_5ELb0ES3_mN6hipcub16HIPCUB_304000_NS21CountingInputIteratorIllEEPS6_NSA_22TransformInputIteratorIbN2at6native12_GLOBAL__N_19NonZeroOpIiEEPKilEENS0_5tupleIJPlS6_EEENSN_IJSD_SD_EEES6_PiJS6_EEE10hipError_tPvRmT3_T4_T5_T6_T7_T9_mT8_P12ihipStream_tbDpT10_ENKUlT_T0_E_clISt17integral_constantIbLb0EES1A_IbLb1EEEEDaS16_S17_EUlS16_E_NS1_11comp_targetILNS1_3genE9ELNS1_11target_archE1100ELNS1_3gpuE3ELNS1_3repE0EEENS1_30default_config_static_selectorELNS0_4arch9wavefront6targetE0EEEvT1_ ; -- Begin function _ZN7rocprim17ROCPRIM_400000_NS6detail17trampoline_kernelINS0_14default_configENS1_25partition_config_selectorILNS1_17partition_subalgoE5ElNS0_10empty_typeEbEEZZNS1_14partition_implILS5_5ELb0ES3_mN6hipcub16HIPCUB_304000_NS21CountingInputIteratorIllEEPS6_NSA_22TransformInputIteratorIbN2at6native12_GLOBAL__N_19NonZeroOpIiEEPKilEENS0_5tupleIJPlS6_EEENSN_IJSD_SD_EEES6_PiJS6_EEE10hipError_tPvRmT3_T4_T5_T6_T7_T9_mT8_P12ihipStream_tbDpT10_ENKUlT_T0_E_clISt17integral_constantIbLb0EES1A_IbLb1EEEEDaS16_S17_EUlS16_E_NS1_11comp_targetILNS1_3genE9ELNS1_11target_archE1100ELNS1_3gpuE3ELNS1_3repE0EEENS1_30default_config_static_selectorELNS0_4arch9wavefront6targetE0EEEvT1_
	.p2align	8
	.type	_ZN7rocprim17ROCPRIM_400000_NS6detail17trampoline_kernelINS0_14default_configENS1_25partition_config_selectorILNS1_17partition_subalgoE5ElNS0_10empty_typeEbEEZZNS1_14partition_implILS5_5ELb0ES3_mN6hipcub16HIPCUB_304000_NS21CountingInputIteratorIllEEPS6_NSA_22TransformInputIteratorIbN2at6native12_GLOBAL__N_19NonZeroOpIiEEPKilEENS0_5tupleIJPlS6_EEENSN_IJSD_SD_EEES6_PiJS6_EEE10hipError_tPvRmT3_T4_T5_T6_T7_T9_mT8_P12ihipStream_tbDpT10_ENKUlT_T0_E_clISt17integral_constantIbLb0EES1A_IbLb1EEEEDaS16_S17_EUlS16_E_NS1_11comp_targetILNS1_3genE9ELNS1_11target_archE1100ELNS1_3gpuE3ELNS1_3repE0EEENS1_30default_config_static_selectorELNS0_4arch9wavefront6targetE0EEEvT1_,@function
_ZN7rocprim17ROCPRIM_400000_NS6detail17trampoline_kernelINS0_14default_configENS1_25partition_config_selectorILNS1_17partition_subalgoE5ElNS0_10empty_typeEbEEZZNS1_14partition_implILS5_5ELb0ES3_mN6hipcub16HIPCUB_304000_NS21CountingInputIteratorIllEEPS6_NSA_22TransformInputIteratorIbN2at6native12_GLOBAL__N_19NonZeroOpIiEEPKilEENS0_5tupleIJPlS6_EEENSN_IJSD_SD_EEES6_PiJS6_EEE10hipError_tPvRmT3_T4_T5_T6_T7_T9_mT8_P12ihipStream_tbDpT10_ENKUlT_T0_E_clISt17integral_constantIbLb0EES1A_IbLb1EEEEDaS16_S17_EUlS16_E_NS1_11comp_targetILNS1_3genE9ELNS1_11target_archE1100ELNS1_3gpuE3ELNS1_3repE0EEENS1_30default_config_static_selectorELNS0_4arch9wavefront6targetE0EEEvT1_: ; @_ZN7rocprim17ROCPRIM_400000_NS6detail17trampoline_kernelINS0_14default_configENS1_25partition_config_selectorILNS1_17partition_subalgoE5ElNS0_10empty_typeEbEEZZNS1_14partition_implILS5_5ELb0ES3_mN6hipcub16HIPCUB_304000_NS21CountingInputIteratorIllEEPS6_NSA_22TransformInputIteratorIbN2at6native12_GLOBAL__N_19NonZeroOpIiEEPKilEENS0_5tupleIJPlS6_EEENSN_IJSD_SD_EEES6_PiJS6_EEE10hipError_tPvRmT3_T4_T5_T6_T7_T9_mT8_P12ihipStream_tbDpT10_ENKUlT_T0_E_clISt17integral_constantIbLb0EES1A_IbLb1EEEEDaS16_S17_EUlS16_E_NS1_11comp_targetILNS1_3genE9ELNS1_11target_archE1100ELNS1_3gpuE3ELNS1_3repE0EEENS1_30default_config_static_selectorELNS0_4arch9wavefront6targetE0EEEvT1_
; %bb.0:
	s_clause 0x4
	s_load_b64 s[18:19], s[0:1], 0x20
	s_load_b64 s[12:13], s[0:1], 0x30
	;; [unrolled: 1-line block ×3, first 2 shown]
	s_load_b128 s[4:7], s[0:1], 0x48
	s_load_b64 s[14:15], s[0:1], 0x68
	v_cmp_eq_u32_e64 s2, 0, v0
	s_delay_alu instid0(VALU_DEP_1)
	s_and_saveexec_b32 s3, s2
	s_cbranch_execz .LBB216_4
; %bb.1:
	s_mov_b32 s9, exec_lo
	s_mov_b32 s8, exec_lo
	v_mbcnt_lo_u32_b32 v1, s9, 0
                                        ; implicit-def: $vgpr2
	s_delay_alu instid0(VALU_DEP_1)
	v_cmpx_eq_u32_e32 0, v1
	s_cbranch_execz .LBB216_3
; %bb.2:
	s_load_b64 s[10:11], s[0:1], 0x78
	s_bcnt1_i32_b32 s9, s9
	s_delay_alu instid0(SALU_CYCLE_1)
	v_dual_mov_b32 v2, 0 :: v_dual_mov_b32 v3, s9
	s_waitcnt lgkmcnt(0)
	global_atomic_add_u32 v2, v2, v3, s[10:11] glc
.LBB216_3:
	s_or_b32 exec_lo, exec_lo, s8
	s_waitcnt vmcnt(0)
	v_readfirstlane_b32 s8, v2
	s_delay_alu instid0(VALU_DEP_1)
	v_dual_mov_b32 v2, 0 :: v_dual_add_nc_u32 v1, s8, v1
	ds_store_b32 v2, v1
.LBB216_4:
	s_or_b32 exec_lo, exec_lo, s3
	v_mov_b32_e32 v1, 0
	s_clause 0x1
	s_load_b128 s[8:11], s[0:1], 0x8
	s_load_b32 s0, s[0:1], 0x70
	s_waitcnt lgkmcnt(0)
	s_barrier
	buffer_gl0_inv
	ds_load_b32 v3, v1
	s_waitcnt lgkmcnt(0)
	s_barrier
	buffer_gl0_inv
	global_load_b64 v[1:2], v1, s[6:7]
	s_add_u32 s21, s10, s8
	s_mul_i32 s20, s0, 0x300
	s_addc_u32 s22, s11, s9
	s_add_i32 s3, s0, -1
	s_add_u32 s0, s10, s20
	v_readfirstlane_b32 s9, v3
	s_addc_u32 s1, s11, 0
	s_delay_alu instid0(SALU_CYCLE_1) | instskip(SKIP_1) | instid1(VALU_DEP_2)
	v_cmp_ge_u64_e64 s0, s[0:1], s[16:17]
	s_mov_b32 s17, -1
	s_cmp_eq_u32 s9, s3
	s_cselect_b32 s3, -1, 0
	s_delay_alu instid0(VALU_DEP_1) | instid1(SALU_CYCLE_1)
	s_and_b32 s1, s0, s3
	s_mul_i32 s0, s9, 0x300
	s_xor_b32 s8, s1, -1
	s_mov_b32 s1, 0
	s_and_b32 vcc_lo, exec_lo, s8
	s_waitcnt vmcnt(0)
	v_readfirstlane_b32 s6, v1
	v_readfirstlane_b32 s7, v2
	s_cbranch_vccz .LBB216_6
; %bb.5:
	s_add_u32 s17, s0, s21
	s_addc_u32 s23, 0, s22
	v_add_co_u32 v1, s17, s17, v0
	s_delay_alu instid0(VALU_DEP_1) | instskip(SKIP_1) | instid1(VALU_DEP_3)
	v_add_co_ci_u32_e64 v2, null, s23, 0, s17
	v_lshlrev_b32_e32 v13, 3, v0
	v_add_co_u32 v3, vcc_lo, 0x80, v1
	s_delay_alu instid0(VALU_DEP_3)
	v_add_co_ci_u32_e32 v4, vcc_lo, 0, v2, vcc_lo
	v_add_co_u32 v5, vcc_lo, 0x100, v1
	v_add_co_ci_u32_e32 v6, vcc_lo, 0, v2, vcc_lo
	v_add_co_u32 v7, vcc_lo, 0x180, v1
	;; [unrolled: 2-line block ×4, first 2 shown]
	v_add_co_ci_u32_e32 v12, vcc_lo, 0, v2, vcc_lo
	ds_store_2addr_stride64_b64 v13, v[1:2], v[3:4] offset1:2
	ds_store_2addr_stride64_b64 v13, v[5:6], v[7:8] offset0:4 offset1:6
	ds_store_2addr_stride64_b64 v13, v[9:10], v[11:12] offset0:8 offset1:10
	s_waitcnt lgkmcnt(0)
	s_mov_b32 s17, s1
	s_barrier
.LBB216_6:
	v_or_b32_e32 v17, 0x100, v0
	v_or_b32_e32 v16, 0x180, v0
	;; [unrolled: 1-line block ×4, first 2 shown]
	s_and_not1_b32 vcc_lo, exec_lo, s17
	s_cbranch_vccnz .LBB216_8
; %bb.7:
	v_or_b32_e32 v3, 0x80, v0
	s_add_u32 s17, s21, s0
	s_addc_u32 s21, s22, 0
	v_add_co_u32 v1, s22, s17, v0
	s_delay_alu instid0(VALU_DEP_1) | instskip(SKIP_1) | instid1(VALU_DEP_1)
	v_add_co_ci_u32_e64 v2, null, s21, 0, s22
	v_add_co_u32 v3, s22, s17, v3
	v_add_co_ci_u32_e64 v4, null, s21, 0, s22
	v_add_co_u32 v5, s22, s17, v17
	s_delay_alu instid0(VALU_DEP_1) | instskip(SKIP_1) | instid1(VALU_DEP_1)
	v_add_co_ci_u32_e64 v6, null, s21, 0, s22
	v_add_co_u32 v7, s22, s17, v16
	v_add_co_ci_u32_e64 v8, null, s21, 0, s22
	v_add_co_u32 v9, s22, s17, v14
	v_lshlrev_b32_e32 v15, 3, v0
	v_add_co_u32 v11, s17, s17, v13
	v_add_co_ci_u32_e64 v10, null, s21, 0, s22
	v_add_co_ci_u32_e64 v12, null, s21, 0, s17
	ds_store_2addr_stride64_b64 v15, v[1:2], v[3:4] offset1:2
	ds_store_2addr_stride64_b64 v15, v[5:6], v[7:8] offset0:4 offset1:6
	ds_store_2addr_stride64_b64 v15, v[9:10], v[11:12] offset0:8 offset1:10
	s_waitcnt lgkmcnt(0)
	s_barrier
.LBB216_8:
	v_mul_u32_u24_e32 v1, 6, v0
	buffer_gl0_inv
	s_lshl_b64 s[22:23], s[10:11], 2
	v_lshlrev_b32_e32 v18, 2, v0
	s_add_u32 s11, s18, s22
	v_lshlrev_b32_e32 v15, 3, v1
	s_addc_u32 s17, s19, s23
	s_lshl_b64 s[0:1], s[0:1], 2
	ds_load_b128 v[9:12], v15
	ds_load_b128 v[5:8], v15 offset:16
	ds_load_b128 v[1:4], v15 offset:32
	s_add_u32 s0, s11, s0
	s_addc_u32 s1, s17, s1
	s_and_b32 vcc_lo, exec_lo, s8
	s_mov_b32 s11, -1
	s_waitcnt lgkmcnt(0)
	s_barrier
	buffer_gl0_inv
	s_cbranch_vccz .LBB216_10
; %bb.9:
	s_clause 0x5
	global_load_b32 v19, v18, s[0:1]
	global_load_b32 v20, v18, s[0:1] offset:512
	global_load_b32 v21, v18, s[0:1] offset:1024
	;; [unrolled: 1-line block ×5, first 2 shown]
	s_mov_b32 s11, 0
	s_waitcnt vmcnt(5)
	v_cmp_ne_u32_e32 vcc_lo, 0, v19
	v_cndmask_b32_e64 v19, 0, 1, vcc_lo
	s_waitcnt vmcnt(4)
	v_cmp_ne_u32_e32 vcc_lo, 0, v20
	v_cndmask_b32_e64 v20, 0, 1, vcc_lo
	;; [unrolled: 3-line block ×6, first 2 shown]
	ds_store_b8 v0, v19
	ds_store_b8 v0, v20 offset:128
	ds_store_b8 v0, v21 offset:256
	;; [unrolled: 1-line block ×5, first 2 shown]
	s_waitcnt lgkmcnt(0)
	s_barrier
.LBB216_10:
	s_and_not1_b32 vcc_lo, exec_lo, s11
	s_cbranch_vccnz .LBB216_24
; %bb.11:
	s_add_i32 s20, s20, s10
	v_dual_mov_b32 v19, 0 :: v_dual_mov_b32 v20, 0
	s_sub_i32 s10, s16, s20
	s_mov_b32 s11, exec_lo
	s_addk_i32 s10, 0x300
	s_delay_alu instid0(SALU_CYCLE_1)
	v_cmpx_gt_u32_e64 s10, v0
	s_cbranch_execz .LBB216_13
; %bb.12:
	global_load_b32 v20, v18, s[0:1]
	s_waitcnt vmcnt(0)
	v_cmp_ne_u32_e32 vcc_lo, 0, v20
	v_cndmask_b32_e64 v20, 0, 1, vcc_lo
.LBB216_13:
	s_or_b32 exec_lo, exec_lo, s11
	v_or_b32_e32 v21, 0x80, v0
	s_mov_b32 s11, exec_lo
	s_delay_alu instid0(VALU_DEP_1)
	v_cmpx_gt_u32_e64 s10, v21
	s_cbranch_execz .LBB216_15
; %bb.14:
	global_load_b32 v19, v18, s[0:1] offset:512
	s_waitcnt vmcnt(0)
	v_cmp_ne_u32_e32 vcc_lo, 0, v19
	v_cndmask_b32_e64 v19, 0, 1, vcc_lo
.LBB216_15:
	s_or_b32 exec_lo, exec_lo, s11
	v_cmp_gt_u32_e32 vcc_lo, s10, v17
	v_mov_b32_e32 v17, 0
	v_mov_b32_e32 v21, 0
	s_and_saveexec_b32 s11, vcc_lo
	s_cbranch_execz .LBB216_17
; %bb.16:
	global_load_b32 v21, v18, s[0:1] offset:1024
	s_waitcnt vmcnt(0)
	v_cmp_ne_u32_e32 vcc_lo, 0, v21
	v_cndmask_b32_e64 v21, 0, 1, vcc_lo
.LBB216_17:
	s_or_b32 exec_lo, exec_lo, s11
	s_delay_alu instid0(SALU_CYCLE_1)
	s_mov_b32 s11, exec_lo
	v_cmpx_gt_u32_e64 s10, v16
	s_cbranch_execz .LBB216_19
; %bb.18:
	global_load_b32 v16, v18, s[0:1] offset:1536
	s_waitcnt vmcnt(0)
	v_cmp_ne_u32_e32 vcc_lo, 0, v16
	v_cndmask_b32_e64 v17, 0, 1, vcc_lo
.LBB216_19:
	s_or_b32 exec_lo, exec_lo, s11
	v_cmp_gt_u32_e32 vcc_lo, s10, v14
	v_mov_b32_e32 v14, 0
	v_mov_b32_e32 v16, 0
	s_and_saveexec_b32 s11, vcc_lo
	s_cbranch_execz .LBB216_21
; %bb.20:
	global_load_b32 v16, v18, s[0:1] offset:2048
	s_waitcnt vmcnt(0)
	v_cmp_ne_u32_e32 vcc_lo, 0, v16
	v_cndmask_b32_e64 v16, 0, 1, vcc_lo
.LBB216_21:
	s_or_b32 exec_lo, exec_lo, s11
	v_cmp_gt_u32_e32 vcc_lo, s10, v13
	s_and_saveexec_b32 s10, vcc_lo
	s_cbranch_execz .LBB216_23
; %bb.22:
	global_load_b32 v13, v18, s[0:1] offset:2560
	s_waitcnt vmcnt(0)
	v_cmp_ne_u32_e32 vcc_lo, 0, v13
	v_cndmask_b32_e64 v14, 0, 1, vcc_lo
.LBB216_23:
	s_or_b32 exec_lo, exec_lo, s10
	ds_store_b8 v0, v20
	ds_store_b8 v0, v19 offset:128
	ds_store_b8 v0, v21 offset:256
	;; [unrolled: 1-line block ×5, first 2 shown]
	s_waitcnt lgkmcnt(0)
	s_barrier
.LBB216_24:
	v_mad_i32_i24 v43, 0xffffffd6, v0, v15
	buffer_gl0_inv
	v_mbcnt_lo_u32_b32 v42, -1, 0
	s_cmp_lg_u32 s9, 0
	s_mov_b32 s1, -1
	ds_load_u16 v36, v43
	ds_load_u16 v33, v43 offset:2
	ds_load_u16 v31, v43 offset:4
	v_mov_b32_e32 v14, 0
	v_and_b32_e32 v44, 15, v42
	s_waitcnt lgkmcnt(0)
	s_barrier
	buffer_gl0_inv
	v_and_b32_e32 v41, 0xff, v36
	v_lshrrev_b16 v34, 8, v36
	v_lshrrev_b16 v35, 8, v33
	v_and_b32_e32 v39, 0xff, v33
	v_lshrrev_b16 v32, 8, v31
	v_and_b32_e32 v37, 0xff, v31
	v_and_b32_e32 v40, 0xffff, v34
	;; [unrolled: 1-line block ×3, first 2 shown]
	s_delay_alu instid0(VALU_DEP_4) | instskip(NEXT) | instid1(VALU_DEP_3)
	v_and_b32_e32 v16, 0xffff, v32
	v_add_co_u32 v13, s0, v40, v41
	s_delay_alu instid0(VALU_DEP_1) | instskip(SKIP_1) | instid1(VALU_DEP_3)
	v_add_co_ci_u32_e64 v15, null, 0, 0, s0
	v_cmp_ne_u32_e64 s0, 0, v44
	v_add_co_u32 v13, vcc_lo, v13, v39
	s_delay_alu instid0(VALU_DEP_3) | instskip(NEXT) | instid1(VALU_DEP_2)
	v_add_co_ci_u32_e32 v15, vcc_lo, 0, v15, vcc_lo
	v_add_co_u32 v13, vcc_lo, v13, v38
	s_delay_alu instid0(VALU_DEP_2) | instskip(NEXT) | instid1(VALU_DEP_2)
	v_add_co_ci_u32_e32 v15, vcc_lo, 0, v15, vcc_lo
	v_add_co_u32 v13, vcc_lo, v13, v37
	s_delay_alu instid0(VALU_DEP_2) | instskip(NEXT) | instid1(VALU_DEP_2)
	v_add_co_ci_u32_e32 v15, vcc_lo, 0, v15, vcc_lo
	v_add_co_u32 v21, vcc_lo, v13, v16
	s_delay_alu instid0(VALU_DEP_2)
	v_add_co_ci_u32_e32 v22, vcc_lo, 0, v15, vcc_lo
	s_cbranch_scc0 .LBB216_88
; %bb.25:
	s_delay_alu instid0(VALU_DEP_2)
	v_mov_b32_e32 v15, v21
	v_mov_b32_dpp v13, v21 row_shr:1 row_mask:0xf bank_mask:0xf
	v_mov_b32_dpp v18, v14 row_shr:1 row_mask:0xf bank_mask:0xf
	v_dual_mov_b32 v17, v21 :: v_dual_mov_b32 v16, v22
	s_and_saveexec_b32 s1, s0
; %bb.26:
	s_delay_alu instid0(VALU_DEP_3) | instskip(SKIP_1) | instid1(VALU_DEP_2)
	v_add_co_u32 v17, vcc_lo, v21, v13
	v_add_co_ci_u32_e32 v14, vcc_lo, 0, v22, vcc_lo
	v_add_co_u32 v13, vcc_lo, 0, v17
	s_delay_alu instid0(VALU_DEP_2) | instskip(NEXT) | instid1(VALU_DEP_1)
	v_add_co_ci_u32_e32 v14, vcc_lo, v18, v14, vcc_lo
	v_dual_mov_b32 v16, v14 :: v_dual_mov_b32 v15, v13
; %bb.27:
	s_or_b32 exec_lo, exec_lo, s1
	v_mov_b32_dpp v13, v17 row_shr:2 row_mask:0xf bank_mask:0xf
	v_mov_b32_dpp v18, v14 row_shr:2 row_mask:0xf bank_mask:0xf
	s_mov_b32 s1, exec_lo
	v_cmpx_lt_u32_e32 1, v44
; %bb.28:
	s_delay_alu instid0(VALU_DEP_3) | instskip(SKIP_1) | instid1(VALU_DEP_2)
	v_add_co_u32 v17, vcc_lo, v15, v13
	v_add_co_ci_u32_e32 v14, vcc_lo, 0, v16, vcc_lo
	v_add_co_u32 v13, vcc_lo, 0, v17
	s_delay_alu instid0(VALU_DEP_2) | instskip(NEXT) | instid1(VALU_DEP_1)
	v_add_co_ci_u32_e32 v14, vcc_lo, v18, v14, vcc_lo
	v_dual_mov_b32 v16, v14 :: v_dual_mov_b32 v15, v13
; %bb.29:
	s_or_b32 exec_lo, exec_lo, s1
	v_mov_b32_dpp v13, v17 row_shr:4 row_mask:0xf bank_mask:0xf
	v_mov_b32_dpp v18, v14 row_shr:4 row_mask:0xf bank_mask:0xf
	s_mov_b32 s1, exec_lo
	v_cmpx_lt_u32_e32 3, v44
	;; [unrolled: 14-line block ×3, first 2 shown]
; %bb.32:
	s_delay_alu instid0(VALU_DEP_3) | instskip(SKIP_1) | instid1(VALU_DEP_2)
	v_add_co_u32 v17, vcc_lo, v15, v18
	v_add_co_ci_u32_e32 v14, vcc_lo, 0, v16, vcc_lo
	v_add_co_u32 v15, vcc_lo, 0, v17
	s_delay_alu instid0(VALU_DEP_2) | instskip(NEXT) | instid1(VALU_DEP_1)
	v_add_co_ci_u32_e32 v16, vcc_lo, v13, v14, vcc_lo
	v_mov_b32_e32 v14, v16
; %bb.33:
	s_or_b32 exec_lo, exec_lo, s1
	ds_swizzle_b32 v13, v17 offset:swizzle(BROADCAST,32,15)
	ds_swizzle_b32 v18, v14 offset:swizzle(BROADCAST,32,15)
	v_and_b32_e32 v19, 16, v42
	s_mov_b32 s1, exec_lo
	s_delay_alu instid0(VALU_DEP_1)
	v_cmpx_ne_u32_e32 0, v19
	s_cbranch_execz .LBB216_35
; %bb.34:
	s_waitcnt lgkmcnt(1)
	v_add_co_u32 v17, vcc_lo, v15, v13
	v_add_co_ci_u32_e32 v14, vcc_lo, 0, v16, vcc_lo
	s_delay_alu instid0(VALU_DEP_2) | instskip(SKIP_1) | instid1(VALU_DEP_2)
	v_add_co_u32 v13, vcc_lo, 0, v17
	s_waitcnt lgkmcnt(0)
	v_add_co_ci_u32_e32 v14, vcc_lo, v18, v14, vcc_lo
	s_delay_alu instid0(VALU_DEP_1)
	v_dual_mov_b32 v16, v14 :: v_dual_mov_b32 v15, v13
.LBB216_35:
	s_or_b32 exec_lo, exec_lo, s1
	s_waitcnt lgkmcnt(0)
	v_or_b32_e32 v18, 31, v0
	v_lshrrev_b32_e32 v13, 5, v0
	s_mov_b32 s1, exec_lo
	s_delay_alu instid0(VALU_DEP_2)
	v_cmpx_eq_u32_e64 v18, v0
	s_cbranch_execz .LBB216_37
; %bb.36:
	s_delay_alu instid0(VALU_DEP_2)
	v_lshlrev_b32_e32 v18, 3, v13
	ds_store_b64 v18, v[15:16]
.LBB216_37:
	s_or_b32 exec_lo, exec_lo, s1
	s_delay_alu instid0(SALU_CYCLE_1)
	s_mov_b32 s1, exec_lo
	s_waitcnt lgkmcnt(0)
	s_barrier
	buffer_gl0_inv
	v_cmpx_gt_u32_e32 4, v0
	s_cbranch_execz .LBB216_43
; %bb.38:
	v_lshlrev_b32_e32 v18, 3, v0
	s_mov_b32 s10, exec_lo
	ds_load_b64 v[15:16], v18
	s_waitcnt lgkmcnt(0)
	v_dual_mov_b32 v20, v15 :: v_dual_and_b32 v19, 3, v42
	v_mov_b32_dpp v24, v15 row_shr:1 row_mask:0xf bank_mask:0xf
	v_mov_b32_dpp v23, v16 row_shr:1 row_mask:0xf bank_mask:0xf
	s_delay_alu instid0(VALU_DEP_3)
	v_cmpx_ne_u32_e32 0, v19
; %bb.39:
	s_delay_alu instid0(VALU_DEP_3) | instskip(SKIP_1) | instid1(VALU_DEP_2)
	v_add_co_u32 v20, vcc_lo, v15, v24
	v_add_co_ci_u32_e32 v16, vcc_lo, 0, v16, vcc_lo
	v_add_co_u32 v15, vcc_lo, 0, v20
	s_delay_alu instid0(VALU_DEP_2)
	v_add_co_ci_u32_e32 v16, vcc_lo, v23, v16, vcc_lo
; %bb.40:
	s_or_b32 exec_lo, exec_lo, s10
	v_mov_b32_dpp v23, v20 row_shr:2 row_mask:0xf bank_mask:0xf
	s_delay_alu instid0(VALU_DEP_2)
	v_mov_b32_dpp v20, v16 row_shr:2 row_mask:0xf bank_mask:0xf
	s_mov_b32 s10, exec_lo
	v_cmpx_lt_u32_e32 1, v19
; %bb.41:
	s_delay_alu instid0(VALU_DEP_3) | instskip(SKIP_1) | instid1(VALU_DEP_2)
	v_add_co_u32 v15, vcc_lo, v15, v23
	v_add_co_ci_u32_e32 v16, vcc_lo, 0, v16, vcc_lo
	v_add_co_u32 v15, vcc_lo, v15, 0
	s_delay_alu instid0(VALU_DEP_2)
	v_add_co_ci_u32_e32 v16, vcc_lo, v16, v20, vcc_lo
; %bb.42:
	s_or_b32 exec_lo, exec_lo, s10
	ds_store_b64 v18, v[15:16]
.LBB216_43:
	s_or_b32 exec_lo, exec_lo, s1
	v_cmp_gt_u32_e32 vcc_lo, 32, v0
	s_mov_b32 s10, exec_lo
	s_waitcnt lgkmcnt(0)
	s_barrier
	buffer_gl0_inv
                                        ; implicit-def: $vgpr23_vgpr24
	v_cmpx_lt_u32_e32 31, v0
	s_cbranch_execz .LBB216_45
; %bb.44:
	v_lshl_add_u32 v13, v13, 3, -8
	ds_load_b64 v[23:24], v13
	s_waitcnt lgkmcnt(0)
	v_add_co_u32 v17, s1, v17, v23
	s_delay_alu instid0(VALU_DEP_1)
	v_add_co_ci_u32_e64 v14, s1, v14, v24, s1
.LBB216_45:
	s_or_b32 exec_lo, exec_lo, s10
	v_add_nc_u32_e32 v13, -1, v42
	s_delay_alu instid0(VALU_DEP_1) | instskip(NEXT) | instid1(VALU_DEP_1)
	v_cmp_gt_i32_e64 s1, 0, v13
	v_cndmask_b32_e64 v13, v13, v42, s1
	v_cmp_eq_u32_e64 s1, 0, v42
	s_delay_alu instid0(VALU_DEP_2)
	v_lshlrev_b32_e32 v13, 2, v13
	ds_bpermute_b32 v29, v13, v17
	ds_bpermute_b32 v30, v13, v14
	s_and_saveexec_b32 s10, vcc_lo
	s_cbranch_execz .LBB216_83
; %bb.46:
	v_mov_b32_e32 v16, 0
	ds_load_b64 v[13:14], v16 offset:24
	s_and_saveexec_b32 s11, s1
	s_cbranch_execz .LBB216_48
; %bb.47:
	s_add_i32 s16, s9, 32
	s_mov_b32 s17, 0
	s_delay_alu instid0(SALU_CYCLE_1) | instskip(NEXT) | instid1(SALU_CYCLE_1)
	s_lshl_b64 s[16:17], s[16:17], 4
	s_add_u32 s16, s14, s16
	s_addc_u32 s17, s15, s17
	s_delay_alu instid0(SALU_CYCLE_1)
	v_dual_mov_b32 v15, 1 :: v_dual_mov_b32 v18, s17
	v_mov_b32_e32 v17, s16
	s_waitcnt lgkmcnt(0)
	;;#ASMSTART
	global_store_dwordx4 v[17:18], v[13:16] off	
s_waitcnt vmcnt(0)
	;;#ASMEND
.LBB216_48:
	s_or_b32 exec_lo, exec_lo, s11
	v_xad_u32 v25, v42, -1, s9
	s_mov_b32 s16, 0
	s_mov_b32 s11, exec_lo
	s_delay_alu instid0(VALU_DEP_1) | instskip(NEXT) | instid1(VALU_DEP_1)
	v_add_nc_u32_e32 v15, 32, v25
	v_lshlrev_b64 v[15:16], 4, v[15:16]
	s_delay_alu instid0(VALU_DEP_1) | instskip(NEXT) | instid1(VALU_DEP_2)
	v_add_co_u32 v15, vcc_lo, s14, v15
	v_add_co_ci_u32_e32 v16, vcc_lo, s15, v16, vcc_lo
	;;#ASMSTART
	global_load_dwordx4 v[17:20], v[15:16] off glc	
s_waitcnt vmcnt(0)
	;;#ASMEND
	v_and_b32_e32 v20, 0xff, v18
	v_and_b32_e32 v26, 0xff00, v18
	v_or3_b32 v17, v17, 0, 0
	v_and_b32_e32 v27, 0xff000000, v18
	v_and_b32_e32 v18, 0xff0000, v18
	s_delay_alu instid0(VALU_DEP_4) | instskip(SKIP_2) | instid1(VALU_DEP_3)
	v_or3_b32 v20, 0, v20, v26
	v_and_b32_e32 v26, 0xff, v19
	v_or3_b32 v17, v17, 0, 0
	v_or3_b32 v18, v20, v18, v27
	s_delay_alu instid0(VALU_DEP_3)
	v_cmpx_eq_u16_e32 0, v26
	s_cbranch_execz .LBB216_51
.LBB216_49:                             ; =>This Inner Loop Header: Depth=1
	;;#ASMSTART
	global_load_dwordx4 v[17:20], v[15:16] off glc	
s_waitcnt vmcnt(0)
	;;#ASMEND
	v_and_b32_e32 v20, 0xff, v19
	s_delay_alu instid0(VALU_DEP_1) | instskip(SKIP_1) | instid1(SALU_CYCLE_1)
	v_cmp_ne_u16_e32 vcc_lo, 0, v20
	s_or_b32 s16, vcc_lo, s16
	s_and_not1_b32 exec_lo, exec_lo, s16
	s_cbranch_execnz .LBB216_49
; %bb.50:
	s_or_b32 exec_lo, exec_lo, s16
.LBB216_51:
	s_delay_alu instid0(SALU_CYCLE_1)
	s_or_b32 exec_lo, exec_lo, s11
	v_cmp_ne_u32_e32 vcc_lo, 31, v42
	v_and_b32_e32 v16, 0xff, v19
	v_lshlrev_b32_e64 v46, v42, -1
	s_mov_b32 s11, exec_lo
	v_add_co_ci_u32_e32 v15, vcc_lo, 0, v42, vcc_lo
	s_delay_alu instid0(VALU_DEP_3) | instskip(NEXT) | instid1(VALU_DEP_2)
	v_cmp_eq_u16_e32 vcc_lo, 2, v16
	v_dual_mov_b32 v16, v17 :: v_dual_lshlrev_b32 v45, 2, v15
	v_and_or_b32 v15, vcc_lo, v46, 0x80000000
	ds_bpermute_b32 v26, v45, v17
	ds_bpermute_b32 v20, v45, v18
	v_ctz_i32_b32_e32 v15, v15
	s_delay_alu instid0(VALU_DEP_1)
	v_cmpx_lt_u32_e64 v42, v15
	s_cbranch_execz .LBB216_53
; %bb.52:
	s_waitcnt lgkmcnt(1)
	v_add_co_u32 v16, vcc_lo, v17, v26
	v_add_co_ci_u32_e32 v18, vcc_lo, 0, v18, vcc_lo
	s_delay_alu instid0(VALU_DEP_2) | instskip(SKIP_1) | instid1(VALU_DEP_2)
	v_add_co_u32 v17, vcc_lo, 0, v16
	s_waitcnt lgkmcnt(0)
	v_add_co_ci_u32_e32 v18, vcc_lo, v20, v18, vcc_lo
.LBB216_53:
	s_or_b32 exec_lo, exec_lo, s11
	v_cmp_gt_u32_e32 vcc_lo, 30, v42
	v_add_nc_u32_e32 v48, 2, v42
	s_mov_b32 s11, exec_lo
	s_waitcnt lgkmcnt(0)
	v_cndmask_b32_e64 v20, 0, 1, vcc_lo
	s_delay_alu instid0(VALU_DEP_1) | instskip(NEXT) | instid1(VALU_DEP_1)
	v_lshlrev_b32_e32 v20, 1, v20
	v_add_lshl_u32 v47, v20, v42, 2
	ds_bpermute_b32 v26, v47, v16
	ds_bpermute_b32 v20, v47, v18
	v_cmpx_le_u32_e64 v48, v15
	s_cbranch_execz .LBB216_55
; %bb.54:
	s_waitcnt lgkmcnt(1)
	v_add_co_u32 v16, vcc_lo, v17, v26
	v_add_co_ci_u32_e32 v18, vcc_lo, 0, v18, vcc_lo
	s_delay_alu instid0(VALU_DEP_2) | instskip(SKIP_1) | instid1(VALU_DEP_2)
	v_add_co_u32 v17, vcc_lo, 0, v16
	s_waitcnt lgkmcnt(0)
	v_add_co_ci_u32_e32 v18, vcc_lo, v20, v18, vcc_lo
.LBB216_55:
	s_or_b32 exec_lo, exec_lo, s11
	v_cmp_gt_u32_e32 vcc_lo, 28, v42
	v_add_nc_u32_e32 v50, 4, v42
	s_mov_b32 s11, exec_lo
	s_waitcnt lgkmcnt(0)
	v_cndmask_b32_e64 v20, 0, 1, vcc_lo
	s_delay_alu instid0(VALU_DEP_1) | instskip(NEXT) | instid1(VALU_DEP_1)
	v_lshlrev_b32_e32 v20, 2, v20
	v_add_lshl_u32 v49, v20, v42, 2
	ds_bpermute_b32 v26, v49, v16
	ds_bpermute_b32 v20, v49, v18
	v_cmpx_le_u32_e64 v50, v15
	;; [unrolled: 22-line block ×4, first 2 shown]
	s_cbranch_execz .LBB216_61
; %bb.60:
	s_waitcnt lgkmcnt(1)
	v_add_co_u32 v15, vcc_lo, v17, v20
	v_add_co_ci_u32_e32 v18, vcc_lo, 0, v18, vcc_lo
	s_delay_alu instid0(VALU_DEP_2) | instskip(SKIP_1) | instid1(VALU_DEP_2)
	v_add_co_u32 v17, vcc_lo, v15, 0
	s_waitcnt lgkmcnt(0)
	v_add_co_ci_u32_e32 v18, vcc_lo, v18, v16, vcc_lo
.LBB216_61:
	s_or_b32 exec_lo, exec_lo, s11
	v_mov_b32_e32 v26, 0
	s_branch .LBB216_63
.LBB216_62:                             ;   in Loop: Header=BB216_63 Depth=1
	s_or_b32 exec_lo, exec_lo, s11
	v_add_co_u32 v17, vcc_lo, v17, v15
	v_subrev_nc_u32_e32 v25, 32, v25
	v_add_co_ci_u32_e32 v18, vcc_lo, v18, v16, vcc_lo
.LBB216_63:                             ; =>This Loop Header: Depth=1
                                        ;     Child Loop BB216_66 Depth 2
	v_and_b32_e32 v15, 0xff, v19
	s_delay_alu instid0(VALU_DEP_1) | instskip(SKIP_2) | instid1(VALU_DEP_1)
	v_cmp_ne_u16_e32 vcc_lo, 2, v15
	v_cndmask_b32_e64 v15, 0, 1, vcc_lo
	;;#ASMSTART
	;;#ASMEND
	v_cmp_ne_u32_e32 vcc_lo, 0, v15
	s_waitcnt lgkmcnt(0)
	v_dual_mov_b32 v15, v17 :: v_dual_mov_b32 v16, v18
	s_cmp_lg_u32 vcc_lo, exec_lo
	s_cbranch_scc1 .LBB216_78
; %bb.64:                               ;   in Loop: Header=BB216_63 Depth=1
	v_lshlrev_b64 v[17:18], 4, v[25:26]
	s_mov_b32 s11, exec_lo
	s_delay_alu instid0(VALU_DEP_1) | instskip(NEXT) | instid1(VALU_DEP_2)
	v_add_co_u32 v27, vcc_lo, s14, v17
	v_add_co_ci_u32_e32 v28, vcc_lo, s15, v18, vcc_lo
	;;#ASMSTART
	global_load_dwordx4 v[17:20], v[27:28] off glc	
s_waitcnt vmcnt(0)
	;;#ASMEND
	v_and_b32_e32 v20, 0xff, v18
	v_and_b32_e32 v55, 0xff00, v18
	v_or3_b32 v17, v17, 0, 0
	v_and_b32_e32 v56, 0xff000000, v18
	v_and_b32_e32 v18, 0xff0000, v18
	s_delay_alu instid0(VALU_DEP_4) | instskip(SKIP_2) | instid1(VALU_DEP_3)
	v_or3_b32 v20, 0, v20, v55
	v_and_b32_e32 v55, 0xff, v19
	v_or3_b32 v17, v17, 0, 0
	v_or3_b32 v18, v20, v18, v56
	s_delay_alu instid0(VALU_DEP_3)
	v_cmpx_eq_u16_e32 0, v55
	s_cbranch_execz .LBB216_68
; %bb.65:                               ;   in Loop: Header=BB216_63 Depth=1
	s_mov_b32 s16, 0
.LBB216_66:                             ;   Parent Loop BB216_63 Depth=1
                                        ; =>  This Inner Loop Header: Depth=2
	;;#ASMSTART
	global_load_dwordx4 v[17:20], v[27:28] off glc	
s_waitcnt vmcnt(0)
	;;#ASMEND
	v_and_b32_e32 v20, 0xff, v19
	s_delay_alu instid0(VALU_DEP_1) | instskip(SKIP_1) | instid1(SALU_CYCLE_1)
	v_cmp_ne_u16_e32 vcc_lo, 0, v20
	s_or_b32 s16, vcc_lo, s16
	s_and_not1_b32 exec_lo, exec_lo, s16
	s_cbranch_execnz .LBB216_66
; %bb.67:                               ;   in Loop: Header=BB216_63 Depth=1
	s_or_b32 exec_lo, exec_lo, s16
.LBB216_68:                             ;   in Loop: Header=BB216_63 Depth=1
	s_delay_alu instid0(SALU_CYCLE_1)
	s_or_b32 exec_lo, exec_lo, s11
	v_dual_mov_b32 v27, v17 :: v_dual_and_b32 v20, 0xff, v19
	ds_bpermute_b32 v55, v45, v17
	ds_bpermute_b32 v28, v45, v18
	s_mov_b32 s11, exec_lo
	v_cmp_eq_u16_e32 vcc_lo, 2, v20
	v_and_or_b32 v20, vcc_lo, v46, 0x80000000
	s_delay_alu instid0(VALU_DEP_1) | instskip(NEXT) | instid1(VALU_DEP_1)
	v_ctz_i32_b32_e32 v20, v20
	v_cmpx_lt_u32_e64 v42, v20
	s_cbranch_execz .LBB216_70
; %bb.69:                               ;   in Loop: Header=BB216_63 Depth=1
	s_waitcnt lgkmcnt(1)
	v_add_co_u32 v27, vcc_lo, v17, v55
	v_add_co_ci_u32_e32 v18, vcc_lo, 0, v18, vcc_lo
	s_delay_alu instid0(VALU_DEP_2) | instskip(SKIP_1) | instid1(VALU_DEP_2)
	v_add_co_u32 v17, vcc_lo, 0, v27
	s_waitcnt lgkmcnt(0)
	v_add_co_ci_u32_e32 v18, vcc_lo, v28, v18, vcc_lo
.LBB216_70:                             ;   in Loop: Header=BB216_63 Depth=1
	s_or_b32 exec_lo, exec_lo, s11
	s_waitcnt lgkmcnt(1)
	ds_bpermute_b32 v55, v47, v27
	s_waitcnt lgkmcnt(1)
	ds_bpermute_b32 v28, v47, v18
	s_mov_b32 s11, exec_lo
	v_cmpx_le_u32_e64 v48, v20
	s_cbranch_execz .LBB216_72
; %bb.71:                               ;   in Loop: Header=BB216_63 Depth=1
	s_waitcnt lgkmcnt(1)
	v_add_co_u32 v27, vcc_lo, v17, v55
	v_add_co_ci_u32_e32 v18, vcc_lo, 0, v18, vcc_lo
	s_delay_alu instid0(VALU_DEP_2) | instskip(SKIP_1) | instid1(VALU_DEP_2)
	v_add_co_u32 v17, vcc_lo, 0, v27
	s_waitcnt lgkmcnt(0)
	v_add_co_ci_u32_e32 v18, vcc_lo, v28, v18, vcc_lo
.LBB216_72:                             ;   in Loop: Header=BB216_63 Depth=1
	s_or_b32 exec_lo, exec_lo, s11
	s_waitcnt lgkmcnt(1)
	ds_bpermute_b32 v55, v49, v27
	s_waitcnt lgkmcnt(1)
	ds_bpermute_b32 v28, v49, v18
	s_mov_b32 s11, exec_lo
	v_cmpx_le_u32_e64 v50, v20
	;; [unrolled: 17-line block ×3, first 2 shown]
	s_cbranch_execz .LBB216_76
; %bb.75:                               ;   in Loop: Header=BB216_63 Depth=1
	s_waitcnt lgkmcnt(1)
	v_add_co_u32 v27, vcc_lo, v17, v55
	v_add_co_ci_u32_e32 v18, vcc_lo, 0, v18, vcc_lo
	s_delay_alu instid0(VALU_DEP_2) | instskip(SKIP_1) | instid1(VALU_DEP_2)
	v_add_co_u32 v17, vcc_lo, 0, v27
	s_waitcnt lgkmcnt(0)
	v_add_co_ci_u32_e32 v18, vcc_lo, v28, v18, vcc_lo
.LBB216_76:                             ;   in Loop: Header=BB216_63 Depth=1
	s_or_b32 exec_lo, exec_lo, s11
	s_waitcnt lgkmcnt(0)
	ds_bpermute_b32 v28, v53, v27
	ds_bpermute_b32 v27, v53, v18
	s_mov_b32 s11, exec_lo
	v_cmpx_le_u32_e64 v54, v20
	s_cbranch_execz .LBB216_62
; %bb.77:                               ;   in Loop: Header=BB216_63 Depth=1
	s_waitcnt lgkmcnt(1)
	v_add_co_u32 v17, vcc_lo, v17, v28
	v_add_co_ci_u32_e32 v18, vcc_lo, 0, v18, vcc_lo
	s_delay_alu instid0(VALU_DEP_2) | instskip(SKIP_1) | instid1(VALU_DEP_2)
	v_add_co_u32 v17, vcc_lo, v17, 0
	s_waitcnt lgkmcnt(0)
	v_add_co_ci_u32_e32 v18, vcc_lo, v18, v27, vcc_lo
	s_branch .LBB216_62
.LBB216_78:                             ;   in Loop: Header=BB216_63 Depth=1
                                        ; implicit-def: $vgpr17_vgpr18
	s_cbranch_execz .LBB216_63
; %bb.79:
	s_and_saveexec_b32 s11, s1
	s_cbranch_execz .LBB216_81
; %bb.80:
	s_add_i32 s16, s9, 32
	s_mov_b32 s17, 0
	v_add_co_u32 v17, vcc_lo, v15, v13
	s_lshl_b64 s[16:17], s[16:17], 4
	v_dual_mov_b32 v19, 2 :: v_dual_mov_b32 v20, 0
	s_add_u32 s16, s14, s16
	s_addc_u32 s17, s15, s17
	v_add_co_ci_u32_e32 v18, vcc_lo, v16, v14, vcc_lo
	v_dual_mov_b32 v26, s17 :: v_dual_mov_b32 v25, s16
	;;#ASMSTART
	global_store_dwordx4 v[25:26], v[17:20] off	
s_waitcnt vmcnt(0)
	;;#ASMEND
	ds_store_b128 v20, v[13:16] offset:6144
.LBB216_81:
	s_or_b32 exec_lo, exec_lo, s11
	s_delay_alu instid0(SALU_CYCLE_1)
	s_and_b32 exec_lo, exec_lo, s2
	s_cbranch_execz .LBB216_83
; %bb.82:
	v_mov_b32_e32 v13, 0
	ds_store_b64 v13, v[15:16] offset:24
.LBB216_83:
	s_or_b32 exec_lo, exec_lo, s10
	v_mov_b32_e32 v15, 0
	s_waitcnt lgkmcnt(0)
	s_barrier
	buffer_gl0_inv
	v_cndmask_b32_e64 v16, v29, v23, s1
	ds_load_b64 v[13:14], v15 offset:24
	v_cndmask_b32_e64 v17, v30, v24, s1
	s_waitcnt lgkmcnt(0)
	s_barrier
	v_cndmask_b32_e64 v16, v16, 0, s2
	buffer_gl0_inv
	v_cndmask_b32_e64 v17, v17, 0, s2
	v_add_co_u32 v29, vcc_lo, v13, v16
	s_delay_alu instid0(VALU_DEP_2) | instskip(SKIP_3) | instid1(VALU_DEP_2)
	v_add_co_ci_u32_e32 v30, vcc_lo, v14, v17, vcc_lo
	ds_load_b128 v[13:16], v15 offset:6144
	v_add_co_u32 v27, vcc_lo, v29, v41
	v_add_co_ci_u32_e32 v28, vcc_lo, 0, v30, vcc_lo
	v_add_co_u32 v25, vcc_lo, v27, v40
	s_delay_alu instid0(VALU_DEP_2) | instskip(NEXT) | instid1(VALU_DEP_2)
	v_add_co_ci_u32_e32 v26, vcc_lo, 0, v28, vcc_lo
	v_add_co_u32 v23, vcc_lo, v25, v39
	s_delay_alu instid0(VALU_DEP_2) | instskip(NEXT) | instid1(VALU_DEP_2)
	;; [unrolled: 3-line block ×3, first 2 shown]
	v_add_co_ci_u32_e32 v20, vcc_lo, 0, v24, vcc_lo
	v_add_co_u32 v17, vcc_lo, v19, v37
	s_delay_alu instid0(VALU_DEP_2)
	v_add_co_ci_u32_e32 v18, vcc_lo, 0, v20, vcc_lo
.LBB216_84:
	s_waitcnt lgkmcnt(0)
	v_cmp_gt_u64_e32 vcc_lo, 0x81, v[13:14]
	s_mov_b32 s0, -1
	s_cbranch_vccnz .LBB216_112
.LBB216_85:
	s_and_b32 vcc_lo, exec_lo, s0
	s_cbranch_vccnz .LBB216_131
.LBB216_86:
	s_and_b32 s0, s2, s3
	s_delay_alu instid0(SALU_CYCLE_1)
	s_and_saveexec_b32 s1, s0
	s_cbranch_execnz .LBB216_147
.LBB216_87:
	s_nop 0
	s_sendmsg sendmsg(MSG_DEALLOC_VGPRS)
	s_endpgm
.LBB216_88:
                                        ; kill: def $vgpr13_vgpr14 killed $sgpr0_sgpr1 killed $exec
                                        ; implicit-def: $vgpr17_vgpr18
                                        ; implicit-def: $vgpr19_vgpr20
                                        ; implicit-def: $vgpr23_vgpr24
                                        ; implicit-def: $vgpr25_vgpr26
                                        ; implicit-def: $vgpr27_vgpr28
                                        ; implicit-def: $vgpr29_vgpr30
                                        ; implicit-def: $vgpr15_vgpr16
	s_and_b32 vcc_lo, exec_lo, s1
	s_cbranch_vccz .LBB216_84
; %bb.89:
	s_waitcnt lgkmcnt(0)
	v_dual_mov_b32 v14, 0 :: v_dual_mov_b32 v15, v21
	v_mov_b32_dpp v16, v21 row_shr:1 row_mask:0xf bank_mask:0xf
	s_delay_alu instid0(VALU_DEP_2)
	v_mov_b32_dpp v13, v14 row_shr:1 row_mask:0xf bank_mask:0xf
	s_and_saveexec_b32 s1, s0
; %bb.90:
	s_delay_alu instid0(VALU_DEP_2) | instskip(SKIP_1) | instid1(VALU_DEP_2)
	v_add_co_u32 v15, vcc_lo, v21, v16
	v_add_co_ci_u32_e32 v14, vcc_lo, 0, v22, vcc_lo
	v_add_co_u32 v21, vcc_lo, 0, v15
	s_delay_alu instid0(VALU_DEP_2) | instskip(NEXT) | instid1(VALU_DEP_1)
	v_add_co_ci_u32_e32 v22, vcc_lo, v13, v14, vcc_lo
	v_mov_b32_e32 v14, v22
; %bb.91:
	s_or_b32 exec_lo, exec_lo, s1
	v_mov_b32_dpp v13, v15 row_shr:2 row_mask:0xf bank_mask:0xf
	s_delay_alu instid0(VALU_DEP_2)
	v_mov_b32_dpp v16, v14 row_shr:2 row_mask:0xf bank_mask:0xf
	s_mov_b32 s0, exec_lo
	v_cmpx_lt_u32_e32 1, v44
; %bb.92:
	s_delay_alu instid0(VALU_DEP_3) | instskip(SKIP_1) | instid1(VALU_DEP_2)
	v_add_co_u32 v15, vcc_lo, v21, v13
	v_add_co_ci_u32_e32 v14, vcc_lo, 0, v22, vcc_lo
	v_add_co_u32 v13, vcc_lo, 0, v15
	s_delay_alu instid0(VALU_DEP_2) | instskip(NEXT) | instid1(VALU_DEP_1)
	v_add_co_ci_u32_e32 v14, vcc_lo, v16, v14, vcc_lo
	v_dual_mov_b32 v22, v14 :: v_dual_mov_b32 v21, v13
; %bb.93:
	s_or_b32 exec_lo, exec_lo, s0
	v_mov_b32_dpp v13, v15 row_shr:4 row_mask:0xf bank_mask:0xf
	v_mov_b32_dpp v16, v14 row_shr:4 row_mask:0xf bank_mask:0xf
	s_mov_b32 s0, exec_lo
	v_cmpx_lt_u32_e32 3, v44
; %bb.94:
	s_delay_alu instid0(VALU_DEP_3) | instskip(SKIP_1) | instid1(VALU_DEP_2)
	v_add_co_u32 v15, vcc_lo, v21, v13
	v_add_co_ci_u32_e32 v14, vcc_lo, 0, v22, vcc_lo
	v_add_co_u32 v13, vcc_lo, 0, v15
	s_delay_alu instid0(VALU_DEP_2) | instskip(NEXT) | instid1(VALU_DEP_1)
	v_add_co_ci_u32_e32 v14, vcc_lo, v16, v14, vcc_lo
	v_dual_mov_b32 v22, v14 :: v_dual_mov_b32 v21, v13
; %bb.95:
	s_or_b32 exec_lo, exec_lo, s0
	v_mov_b32_dpp v16, v15 row_shr:8 row_mask:0xf bank_mask:0xf
	v_mov_b32_dpp v13, v14 row_shr:8 row_mask:0xf bank_mask:0xf
	s_mov_b32 s0, exec_lo
	v_cmpx_lt_u32_e32 7, v44
; %bb.96:
	s_delay_alu instid0(VALU_DEP_3) | instskip(SKIP_1) | instid1(VALU_DEP_2)
	v_add_co_u32 v15, vcc_lo, v21, v16
	v_add_co_ci_u32_e32 v14, vcc_lo, 0, v22, vcc_lo
	v_add_co_u32 v21, vcc_lo, 0, v15
	s_delay_alu instid0(VALU_DEP_2) | instskip(NEXT) | instid1(VALU_DEP_1)
	v_add_co_ci_u32_e32 v22, vcc_lo, v13, v14, vcc_lo
	v_mov_b32_e32 v14, v22
; %bb.97:
	s_or_b32 exec_lo, exec_lo, s0
	ds_swizzle_b32 v15, v15 offset:swizzle(BROADCAST,32,15)
	ds_swizzle_b32 v13, v14 offset:swizzle(BROADCAST,32,15)
	v_and_b32_e32 v14, 16, v42
	s_mov_b32 s0, exec_lo
	s_delay_alu instid0(VALU_DEP_1)
	v_cmpx_ne_u32_e32 0, v14
	s_cbranch_execz .LBB216_99
; %bb.98:
	s_waitcnt lgkmcnt(1)
	v_add_co_u32 v14, vcc_lo, v21, v15
	v_add_co_ci_u32_e32 v15, vcc_lo, 0, v22, vcc_lo
	s_delay_alu instid0(VALU_DEP_2) | instskip(SKIP_1) | instid1(VALU_DEP_2)
	v_add_co_u32 v21, vcc_lo, v14, 0
	s_waitcnt lgkmcnt(0)
	v_add_co_ci_u32_e32 v22, vcc_lo, v15, v13, vcc_lo
.LBB216_99:
	s_or_b32 exec_lo, exec_lo, s0
	s_waitcnt lgkmcnt(0)
	v_or_b32_e32 v13, 31, v0
	v_lshrrev_b32_e32 v15, 5, v0
	s_mov_b32 s0, exec_lo
	s_delay_alu instid0(VALU_DEP_2)
	v_cmpx_eq_u32_e64 v13, v0
	s_cbranch_execz .LBB216_101
; %bb.100:
	s_delay_alu instid0(VALU_DEP_2)
	v_lshlrev_b32_e32 v13, 3, v15
	ds_store_b64 v13, v[21:22]
.LBB216_101:
	s_or_b32 exec_lo, exec_lo, s0
	s_delay_alu instid0(SALU_CYCLE_1)
	s_mov_b32 s0, exec_lo
	s_waitcnt lgkmcnt(0)
	s_barrier
	buffer_gl0_inv
	v_cmpx_gt_u32_e32 4, v0
	s_cbranch_execz .LBB216_107
; %bb.102:
	v_lshlrev_b32_e32 v13, 1, v0
	s_mov_b32 s1, exec_lo
	s_delay_alu instid0(VALU_DEP_1)
	v_add_nc_u32_e32 v16, v43, v13
	ds_load_b64 v[13:14], v16
	s_waitcnt lgkmcnt(0)
	v_dual_mov_b32 v18, v13 :: v_dual_and_b32 v17, 3, v42
	v_mov_b32_dpp v20, v13 row_shr:1 row_mask:0xf bank_mask:0xf
	v_mov_b32_dpp v19, v14 row_shr:1 row_mask:0xf bank_mask:0xf
	s_delay_alu instid0(VALU_DEP_3)
	v_cmpx_ne_u32_e32 0, v17
; %bb.103:
	s_delay_alu instid0(VALU_DEP_3) | instskip(SKIP_1) | instid1(VALU_DEP_2)
	v_add_co_u32 v18, vcc_lo, v13, v20
	v_add_co_ci_u32_e32 v14, vcc_lo, 0, v14, vcc_lo
	v_add_co_u32 v13, vcc_lo, 0, v18
	s_delay_alu instid0(VALU_DEP_2)
	v_add_co_ci_u32_e32 v14, vcc_lo, v19, v14, vcc_lo
; %bb.104:
	s_or_b32 exec_lo, exec_lo, s1
	v_mov_b32_dpp v19, v18 row_shr:2 row_mask:0xf bank_mask:0xf
	s_delay_alu instid0(VALU_DEP_2)
	v_mov_b32_dpp v18, v14 row_shr:2 row_mask:0xf bank_mask:0xf
	s_mov_b32 s1, exec_lo
	v_cmpx_lt_u32_e32 1, v17
; %bb.105:
	s_delay_alu instid0(VALU_DEP_3) | instskip(SKIP_1) | instid1(VALU_DEP_2)
	v_add_co_u32 v13, vcc_lo, v13, v19
	v_add_co_ci_u32_e32 v14, vcc_lo, 0, v14, vcc_lo
	v_add_co_u32 v13, vcc_lo, v13, 0
	s_delay_alu instid0(VALU_DEP_2)
	v_add_co_ci_u32_e32 v14, vcc_lo, v14, v18, vcc_lo
; %bb.106:
	s_or_b32 exec_lo, exec_lo, s1
	ds_store_b64 v16, v[13:14]
.LBB216_107:
	s_or_b32 exec_lo, exec_lo, s0
	v_mov_b32_e32 v17, 0
	v_mov_b32_e32 v18, 0
	s_mov_b32 s0, exec_lo
	s_waitcnt lgkmcnt(0)
	s_barrier
	buffer_gl0_inv
	v_cmpx_lt_u32_e32 31, v0
	s_cbranch_execz .LBB216_109
; %bb.108:
	v_lshl_add_u32 v13, v15, 3, -8
	ds_load_b64 v[17:18], v13
.LBB216_109:
	s_or_b32 exec_lo, exec_lo, s0
	v_dual_mov_b32 v16, 0 :: v_dual_add_nc_u32 v13, -1, v42
	s_delay_alu instid0(VALU_DEP_1) | instskip(SKIP_4) | instid1(VALU_DEP_3)
	v_cmp_gt_i32_e32 vcc_lo, 0, v13
	v_cndmask_b32_e32 v13, v13, v42, vcc_lo
	s_waitcnt lgkmcnt(0)
	v_add_co_u32 v14, vcc_lo, v17, v21
	v_add_co_ci_u32_e32 v15, vcc_lo, v18, v22, vcc_lo
	v_lshlrev_b32_e32 v13, 2, v13
	ds_bpermute_b32 v19, v13, v14
	ds_bpermute_b32 v20, v13, v15
	ds_load_b64 v[13:14], v16 offset:24
	s_and_saveexec_b32 s0, s2
	s_cbranch_execz .LBB216_111
; %bb.110:
	s_add_u32 s10, s14, 0x200
	s_addc_u32 s11, s15, 0
	s_delay_alu instid0(SALU_CYCLE_1)
	v_dual_mov_b32 v15, 2 :: v_dual_mov_b32 v22, s11
	v_mov_b32_e32 v21, s10
	s_waitcnt lgkmcnt(0)
	;;#ASMSTART
	global_store_dwordx4 v[21:22], v[13:16] off	
s_waitcnt vmcnt(0)
	;;#ASMEND
.LBB216_111:
	s_or_b32 exec_lo, exec_lo, s0
	v_cmp_eq_u32_e32 vcc_lo, 0, v42
	s_waitcnt lgkmcnt(0)
	s_barrier
	buffer_gl0_inv
	v_dual_cndmask_b32 v15, v19, v17 :: v_dual_cndmask_b32 v16, v20, v18
	s_delay_alu instid0(VALU_DEP_1) | instskip(NEXT) | instid1(VALU_DEP_2)
	v_cndmask_b32_e64 v29, v15, 0, s2
	v_cndmask_b32_e64 v30, v16, 0, s2
	v_mov_b32_e32 v15, 0
	v_mov_b32_e32 v16, 0
	s_delay_alu instid0(VALU_DEP_4) | instskip(NEXT) | instid1(VALU_DEP_4)
	v_add_co_u32 v27, vcc_lo, v29, v41
	v_add_co_ci_u32_e32 v28, vcc_lo, 0, v30, vcc_lo
	s_delay_alu instid0(VALU_DEP_2) | instskip(NEXT) | instid1(VALU_DEP_2)
	v_add_co_u32 v25, vcc_lo, v27, v40
	v_add_co_ci_u32_e32 v26, vcc_lo, 0, v28, vcc_lo
	s_delay_alu instid0(VALU_DEP_2) | instskip(NEXT) | instid1(VALU_DEP_2)
	;; [unrolled: 3-line block ×4, first 2 shown]
	v_add_co_u32 v17, vcc_lo, v19, v37
	v_add_co_ci_u32_e32 v18, vcc_lo, 0, v20, vcc_lo
	v_cmp_gt_u64_e32 vcc_lo, 0x81, v[13:14]
	s_mov_b32 s0, -1
	s_cbranch_vccz .LBB216_85
.LBB216_112:
	v_add_co_u32 v21, vcc_lo, v15, v13
	v_add_co_ci_u32_e32 v22, vcc_lo, v16, v14, vcc_lo
	s_delay_alu instid0(VALU_DEP_1) | instskip(SKIP_1) | instid1(SALU_CYCLE_1)
	v_cmp_lt_u64_e32 vcc_lo, v[29:30], v[21:22]
	s_or_b32 s1, s8, vcc_lo
	s_and_saveexec_b32 s0, s1
	s_cbranch_execz .LBB216_115
; %bb.113:
	v_and_b32_e32 v37, 1, v36
	s_delay_alu instid0(VALU_DEP_1)
	v_cmp_eq_u32_e32 vcc_lo, 1, v37
	s_and_b32 exec_lo, exec_lo, vcc_lo
	s_cbranch_execz .LBB216_115
; %bb.114:
	v_lshlrev_b64 v[37:38], 3, v[29:30]
	s_lshl_b64 s[10:11], s[6:7], 3
	s_delay_alu instid0(SALU_CYCLE_1) | instskip(SKIP_1) | instid1(VALU_DEP_1)
	s_add_u32 s1, s12, s10
	s_addc_u32 s9, s13, s11
	v_add_co_u32 v37, vcc_lo, s1, v37
	s_delay_alu instid0(VALU_DEP_2)
	v_add_co_ci_u32_e32 v38, vcc_lo, s9, v38, vcc_lo
	global_store_b64 v[37:38], v[9:10], off
.LBB216_115:
	s_or_b32 exec_lo, exec_lo, s0
	v_cmp_lt_u64_e32 vcc_lo, v[27:28], v[21:22]
	s_or_b32 s1, s8, vcc_lo
	s_delay_alu instid0(SALU_CYCLE_1)
	s_and_saveexec_b32 s0, s1
	s_cbranch_execz .LBB216_118
; %bb.116:
	v_and_b32_e32 v30, 1, v34
	s_delay_alu instid0(VALU_DEP_1)
	v_cmp_eq_u32_e32 vcc_lo, 1, v30
	s_and_b32 exec_lo, exec_lo, vcc_lo
	s_cbranch_execz .LBB216_118
; %bb.117:
	v_lshlrev_b64 v[37:38], 3, v[27:28]
	s_lshl_b64 s[10:11], s[6:7], 3
	s_delay_alu instid0(SALU_CYCLE_1) | instskip(SKIP_1) | instid1(VALU_DEP_1)
	s_add_u32 s1, s12, s10
	s_addc_u32 s9, s13, s11
	v_add_co_u32 v37, vcc_lo, s1, v37
	s_delay_alu instid0(VALU_DEP_2)
	v_add_co_ci_u32_e32 v38, vcc_lo, s9, v38, vcc_lo
	global_store_b64 v[37:38], v[11:12], off
.LBB216_118:
	s_or_b32 exec_lo, exec_lo, s0
	v_cmp_lt_u64_e32 vcc_lo, v[25:26], v[21:22]
	s_or_b32 s1, s8, vcc_lo
	s_delay_alu instid0(SALU_CYCLE_1)
	;; [unrolled: 23-line block ×5, first 2 shown]
	s_and_saveexec_b32 s0, s1
	s_cbranch_execz .LBB216_130
; %bb.128:
	v_and_b32_e32 v20, 1, v32
	s_delay_alu instid0(VALU_DEP_1)
	v_cmp_eq_u32_e32 vcc_lo, 1, v20
	s_and_b32 exec_lo, exec_lo, vcc_lo
	s_cbranch_execz .LBB216_130
; %bb.129:
	v_lshlrev_b64 v[20:21], 3, v[17:18]
	s_lshl_b64 s[8:9], s[6:7], 3
	s_delay_alu instid0(SALU_CYCLE_1) | instskip(SKIP_1) | instid1(VALU_DEP_1)
	s_add_u32 s1, s12, s8
	s_addc_u32 s8, s13, s9
	v_add_co_u32 v20, vcc_lo, s1, v20
	s_delay_alu instid0(VALU_DEP_2)
	v_add_co_ci_u32_e32 v21, vcc_lo, s8, v21, vcc_lo
	global_store_b64 v[20:21], v[3:4], off
.LBB216_130:
	s_or_b32 exec_lo, exec_lo, s0
	s_branch .LBB216_86
.LBB216_131:
	v_and_b32_e32 v18, 1, v36
	s_mov_b32 s0, exec_lo
	s_delay_alu instid0(VALU_DEP_1)
	v_cmpx_eq_u32_e32 1, v18
	s_cbranch_execz .LBB216_133
; %bb.132:
	v_sub_nc_u32_e32 v18, v29, v15
	s_delay_alu instid0(VALU_DEP_1)
	v_lshlrev_b32_e32 v18, 3, v18
	ds_store_b64 v18, v[9:10]
.LBB216_133:
	s_or_b32 exec_lo, exec_lo, s0
	v_and_b32_e32 v9, 1, v34
	s_mov_b32 s0, exec_lo
	s_delay_alu instid0(VALU_DEP_1)
	v_cmpx_eq_u32_e32 1, v9
	s_cbranch_execz .LBB216_135
; %bb.134:
	v_sub_nc_u32_e32 v9, v27, v15
	s_delay_alu instid0(VALU_DEP_1)
	v_lshlrev_b32_e32 v9, 3, v9
	ds_store_b64 v9, v[11:12]
.LBB216_135:
	s_or_b32 exec_lo, exec_lo, s0
	;; [unrolled: 12-line block ×6, first 2 shown]
	v_mov_b32_e32 v1, 0
	s_mov_b32 s1, exec_lo
	s_waitcnt lgkmcnt(0)
	s_waitcnt_vscnt null, 0x0
	s_barrier
	buffer_gl0_inv
	v_cmpx_gt_u64_e64 v[13:14], v[0:1]
	s_cbranch_execz .LBB216_146
; %bb.144:
	v_lshlrev_b64 v[4:5], 3, v[15:16]
	s_lshl_b64 s[8:9], s[6:7], 3
	v_dual_mov_b32 v3, v1 :: v_dual_mov_b32 v2, v0
	v_or_b32_e32 v0, 0x80, v0
	s_delay_alu instid0(VALU_DEP_3) | instskip(NEXT) | instid1(VALU_DEP_4)
	v_add_co_u32 v4, vcc_lo, s12, v4
	v_add_co_ci_u32_e32 v5, vcc_lo, s13, v5, vcc_lo
	s_delay_alu instid0(VALU_DEP_2) | instskip(NEXT) | instid1(VALU_DEP_2)
	v_add_co_u32 v4, vcc_lo, v4, s8
	v_add_co_ci_u32_e32 v5, vcc_lo, s9, v5, vcc_lo
	s_mov_b32 s8, 0
	.p2align	6
.LBB216_145:                            ; =>This Inner Loop Header: Depth=1
	v_lshlrev_b32_e32 v6, 3, v2
	v_lshlrev_b64 v[8:9], 3, v[2:3]
	v_mov_b32_e32 v3, v1
	v_cmp_le_u64_e32 vcc_lo, v[13:14], v[0:1]
	v_mov_b32_e32 v2, v0
	ds_load_b64 v[6:7], v6
	v_add_nc_u32_e32 v0, 0x80, v0
	v_add_co_u32 v8, s0, v4, v8
	s_delay_alu instid0(VALU_DEP_1)
	v_add_co_ci_u32_e64 v9, s0, v5, v9, s0
	s_or_b32 s8, vcc_lo, s8
	s_waitcnt lgkmcnt(0)
	global_store_b64 v[8:9], v[6:7], off
	s_and_not1_b32 exec_lo, exec_lo, s8
	s_cbranch_execnz .LBB216_145
.LBB216_146:
	s_or_b32 exec_lo, exec_lo, s1
	s_and_b32 s0, s2, s3
	s_delay_alu instid0(SALU_CYCLE_1)
	s_and_saveexec_b32 s1, s0
	s_cbranch_execz .LBB216_87
.LBB216_147:
	v_add_co_u32 v0, vcc_lo, v15, v13
	v_add_co_ci_u32_e32 v1, vcc_lo, v16, v14, vcc_lo
	v_mov_b32_e32 v2, 0
	s_delay_alu instid0(VALU_DEP_3) | instskip(NEXT) | instid1(VALU_DEP_3)
	v_add_co_u32 v0, vcc_lo, v0, s6
	v_add_co_ci_u32_e32 v1, vcc_lo, s7, v1, vcc_lo
	global_store_b64 v2, v[0:1], s[4:5]
	s_nop 0
	s_sendmsg sendmsg(MSG_DEALLOC_VGPRS)
	s_endpgm
	.section	.rodata,"a",@progbits
	.p2align	6, 0x0
	.amdhsa_kernel _ZN7rocprim17ROCPRIM_400000_NS6detail17trampoline_kernelINS0_14default_configENS1_25partition_config_selectorILNS1_17partition_subalgoE5ElNS0_10empty_typeEbEEZZNS1_14partition_implILS5_5ELb0ES3_mN6hipcub16HIPCUB_304000_NS21CountingInputIteratorIllEEPS6_NSA_22TransformInputIteratorIbN2at6native12_GLOBAL__N_19NonZeroOpIiEEPKilEENS0_5tupleIJPlS6_EEENSN_IJSD_SD_EEES6_PiJS6_EEE10hipError_tPvRmT3_T4_T5_T6_T7_T9_mT8_P12ihipStream_tbDpT10_ENKUlT_T0_E_clISt17integral_constantIbLb0EES1A_IbLb1EEEEDaS16_S17_EUlS16_E_NS1_11comp_targetILNS1_3genE9ELNS1_11target_archE1100ELNS1_3gpuE3ELNS1_3repE0EEENS1_30default_config_static_selectorELNS0_4arch9wavefront6targetE0EEEvT1_
		.amdhsa_group_segment_fixed_size 6160
		.amdhsa_private_segment_fixed_size 0
		.amdhsa_kernarg_size 136
		.amdhsa_user_sgpr_count 15
		.amdhsa_user_sgpr_dispatch_ptr 0
		.amdhsa_user_sgpr_queue_ptr 0
		.amdhsa_user_sgpr_kernarg_segment_ptr 1
		.amdhsa_user_sgpr_dispatch_id 0
		.amdhsa_user_sgpr_private_segment_size 0
		.amdhsa_wavefront_size32 1
		.amdhsa_uses_dynamic_stack 0
		.amdhsa_enable_private_segment 0
		.amdhsa_system_sgpr_workgroup_id_x 1
		.amdhsa_system_sgpr_workgroup_id_y 0
		.amdhsa_system_sgpr_workgroup_id_z 0
		.amdhsa_system_sgpr_workgroup_info 0
		.amdhsa_system_vgpr_workitem_id 0
		.amdhsa_next_free_vgpr 57
		.amdhsa_next_free_sgpr 24
		.amdhsa_reserve_vcc 1
		.amdhsa_float_round_mode_32 0
		.amdhsa_float_round_mode_16_64 0
		.amdhsa_float_denorm_mode_32 3
		.amdhsa_float_denorm_mode_16_64 3
		.amdhsa_dx10_clamp 1
		.amdhsa_ieee_mode 1
		.amdhsa_fp16_overflow 0
		.amdhsa_workgroup_processor_mode 1
		.amdhsa_memory_ordered 1
		.amdhsa_forward_progress 0
		.amdhsa_shared_vgpr_count 0
		.amdhsa_exception_fp_ieee_invalid_op 0
		.amdhsa_exception_fp_denorm_src 0
		.amdhsa_exception_fp_ieee_div_zero 0
		.amdhsa_exception_fp_ieee_overflow 0
		.amdhsa_exception_fp_ieee_underflow 0
		.amdhsa_exception_fp_ieee_inexact 0
		.amdhsa_exception_int_div_zero 0
	.end_amdhsa_kernel
	.section	.text._ZN7rocprim17ROCPRIM_400000_NS6detail17trampoline_kernelINS0_14default_configENS1_25partition_config_selectorILNS1_17partition_subalgoE5ElNS0_10empty_typeEbEEZZNS1_14partition_implILS5_5ELb0ES3_mN6hipcub16HIPCUB_304000_NS21CountingInputIteratorIllEEPS6_NSA_22TransformInputIteratorIbN2at6native12_GLOBAL__N_19NonZeroOpIiEEPKilEENS0_5tupleIJPlS6_EEENSN_IJSD_SD_EEES6_PiJS6_EEE10hipError_tPvRmT3_T4_T5_T6_T7_T9_mT8_P12ihipStream_tbDpT10_ENKUlT_T0_E_clISt17integral_constantIbLb0EES1A_IbLb1EEEEDaS16_S17_EUlS16_E_NS1_11comp_targetILNS1_3genE9ELNS1_11target_archE1100ELNS1_3gpuE3ELNS1_3repE0EEENS1_30default_config_static_selectorELNS0_4arch9wavefront6targetE0EEEvT1_,"axG",@progbits,_ZN7rocprim17ROCPRIM_400000_NS6detail17trampoline_kernelINS0_14default_configENS1_25partition_config_selectorILNS1_17partition_subalgoE5ElNS0_10empty_typeEbEEZZNS1_14partition_implILS5_5ELb0ES3_mN6hipcub16HIPCUB_304000_NS21CountingInputIteratorIllEEPS6_NSA_22TransformInputIteratorIbN2at6native12_GLOBAL__N_19NonZeroOpIiEEPKilEENS0_5tupleIJPlS6_EEENSN_IJSD_SD_EEES6_PiJS6_EEE10hipError_tPvRmT3_T4_T5_T6_T7_T9_mT8_P12ihipStream_tbDpT10_ENKUlT_T0_E_clISt17integral_constantIbLb0EES1A_IbLb1EEEEDaS16_S17_EUlS16_E_NS1_11comp_targetILNS1_3genE9ELNS1_11target_archE1100ELNS1_3gpuE3ELNS1_3repE0EEENS1_30default_config_static_selectorELNS0_4arch9wavefront6targetE0EEEvT1_,comdat
.Lfunc_end216:
	.size	_ZN7rocprim17ROCPRIM_400000_NS6detail17trampoline_kernelINS0_14default_configENS1_25partition_config_selectorILNS1_17partition_subalgoE5ElNS0_10empty_typeEbEEZZNS1_14partition_implILS5_5ELb0ES3_mN6hipcub16HIPCUB_304000_NS21CountingInputIteratorIllEEPS6_NSA_22TransformInputIteratorIbN2at6native12_GLOBAL__N_19NonZeroOpIiEEPKilEENS0_5tupleIJPlS6_EEENSN_IJSD_SD_EEES6_PiJS6_EEE10hipError_tPvRmT3_T4_T5_T6_T7_T9_mT8_P12ihipStream_tbDpT10_ENKUlT_T0_E_clISt17integral_constantIbLb0EES1A_IbLb1EEEEDaS16_S17_EUlS16_E_NS1_11comp_targetILNS1_3genE9ELNS1_11target_archE1100ELNS1_3gpuE3ELNS1_3repE0EEENS1_30default_config_static_selectorELNS0_4arch9wavefront6targetE0EEEvT1_, .Lfunc_end216-_ZN7rocprim17ROCPRIM_400000_NS6detail17trampoline_kernelINS0_14default_configENS1_25partition_config_selectorILNS1_17partition_subalgoE5ElNS0_10empty_typeEbEEZZNS1_14partition_implILS5_5ELb0ES3_mN6hipcub16HIPCUB_304000_NS21CountingInputIteratorIllEEPS6_NSA_22TransformInputIteratorIbN2at6native12_GLOBAL__N_19NonZeroOpIiEEPKilEENS0_5tupleIJPlS6_EEENSN_IJSD_SD_EEES6_PiJS6_EEE10hipError_tPvRmT3_T4_T5_T6_T7_T9_mT8_P12ihipStream_tbDpT10_ENKUlT_T0_E_clISt17integral_constantIbLb0EES1A_IbLb1EEEEDaS16_S17_EUlS16_E_NS1_11comp_targetILNS1_3genE9ELNS1_11target_archE1100ELNS1_3gpuE3ELNS1_3repE0EEENS1_30default_config_static_selectorELNS0_4arch9wavefront6targetE0EEEvT1_
                                        ; -- End function
	.section	.AMDGPU.csdata,"",@progbits
; Kernel info:
; codeLenInByte = 6480
; NumSgprs: 26
; NumVgprs: 57
; ScratchSize: 0
; MemoryBound: 0
; FloatMode: 240
; IeeeMode: 1
; LDSByteSize: 6160 bytes/workgroup (compile time only)
; SGPRBlocks: 3
; VGPRBlocks: 7
; NumSGPRsForWavesPerEU: 26
; NumVGPRsForWavesPerEU: 57
; Occupancy: 16
; WaveLimiterHint : 1
; COMPUTE_PGM_RSRC2:SCRATCH_EN: 0
; COMPUTE_PGM_RSRC2:USER_SGPR: 15
; COMPUTE_PGM_RSRC2:TRAP_HANDLER: 0
; COMPUTE_PGM_RSRC2:TGID_X_EN: 1
; COMPUTE_PGM_RSRC2:TGID_Y_EN: 0
; COMPUTE_PGM_RSRC2:TGID_Z_EN: 0
; COMPUTE_PGM_RSRC2:TIDIG_COMP_CNT: 0
	.section	.text._ZN7rocprim17ROCPRIM_400000_NS6detail17trampoline_kernelINS0_14default_configENS1_25partition_config_selectorILNS1_17partition_subalgoE5ElNS0_10empty_typeEbEEZZNS1_14partition_implILS5_5ELb0ES3_mN6hipcub16HIPCUB_304000_NS21CountingInputIteratorIllEEPS6_NSA_22TransformInputIteratorIbN2at6native12_GLOBAL__N_19NonZeroOpIiEEPKilEENS0_5tupleIJPlS6_EEENSN_IJSD_SD_EEES6_PiJS6_EEE10hipError_tPvRmT3_T4_T5_T6_T7_T9_mT8_P12ihipStream_tbDpT10_ENKUlT_T0_E_clISt17integral_constantIbLb0EES1A_IbLb1EEEEDaS16_S17_EUlS16_E_NS1_11comp_targetILNS1_3genE8ELNS1_11target_archE1030ELNS1_3gpuE2ELNS1_3repE0EEENS1_30default_config_static_selectorELNS0_4arch9wavefront6targetE0EEEvT1_,"axG",@progbits,_ZN7rocprim17ROCPRIM_400000_NS6detail17trampoline_kernelINS0_14default_configENS1_25partition_config_selectorILNS1_17partition_subalgoE5ElNS0_10empty_typeEbEEZZNS1_14partition_implILS5_5ELb0ES3_mN6hipcub16HIPCUB_304000_NS21CountingInputIteratorIllEEPS6_NSA_22TransformInputIteratorIbN2at6native12_GLOBAL__N_19NonZeroOpIiEEPKilEENS0_5tupleIJPlS6_EEENSN_IJSD_SD_EEES6_PiJS6_EEE10hipError_tPvRmT3_T4_T5_T6_T7_T9_mT8_P12ihipStream_tbDpT10_ENKUlT_T0_E_clISt17integral_constantIbLb0EES1A_IbLb1EEEEDaS16_S17_EUlS16_E_NS1_11comp_targetILNS1_3genE8ELNS1_11target_archE1030ELNS1_3gpuE2ELNS1_3repE0EEENS1_30default_config_static_selectorELNS0_4arch9wavefront6targetE0EEEvT1_,comdat
	.globl	_ZN7rocprim17ROCPRIM_400000_NS6detail17trampoline_kernelINS0_14default_configENS1_25partition_config_selectorILNS1_17partition_subalgoE5ElNS0_10empty_typeEbEEZZNS1_14partition_implILS5_5ELb0ES3_mN6hipcub16HIPCUB_304000_NS21CountingInputIteratorIllEEPS6_NSA_22TransformInputIteratorIbN2at6native12_GLOBAL__N_19NonZeroOpIiEEPKilEENS0_5tupleIJPlS6_EEENSN_IJSD_SD_EEES6_PiJS6_EEE10hipError_tPvRmT3_T4_T5_T6_T7_T9_mT8_P12ihipStream_tbDpT10_ENKUlT_T0_E_clISt17integral_constantIbLb0EES1A_IbLb1EEEEDaS16_S17_EUlS16_E_NS1_11comp_targetILNS1_3genE8ELNS1_11target_archE1030ELNS1_3gpuE2ELNS1_3repE0EEENS1_30default_config_static_selectorELNS0_4arch9wavefront6targetE0EEEvT1_ ; -- Begin function _ZN7rocprim17ROCPRIM_400000_NS6detail17trampoline_kernelINS0_14default_configENS1_25partition_config_selectorILNS1_17partition_subalgoE5ElNS0_10empty_typeEbEEZZNS1_14partition_implILS5_5ELb0ES3_mN6hipcub16HIPCUB_304000_NS21CountingInputIteratorIllEEPS6_NSA_22TransformInputIteratorIbN2at6native12_GLOBAL__N_19NonZeroOpIiEEPKilEENS0_5tupleIJPlS6_EEENSN_IJSD_SD_EEES6_PiJS6_EEE10hipError_tPvRmT3_T4_T5_T6_T7_T9_mT8_P12ihipStream_tbDpT10_ENKUlT_T0_E_clISt17integral_constantIbLb0EES1A_IbLb1EEEEDaS16_S17_EUlS16_E_NS1_11comp_targetILNS1_3genE8ELNS1_11target_archE1030ELNS1_3gpuE2ELNS1_3repE0EEENS1_30default_config_static_selectorELNS0_4arch9wavefront6targetE0EEEvT1_
	.p2align	8
	.type	_ZN7rocprim17ROCPRIM_400000_NS6detail17trampoline_kernelINS0_14default_configENS1_25partition_config_selectorILNS1_17partition_subalgoE5ElNS0_10empty_typeEbEEZZNS1_14partition_implILS5_5ELb0ES3_mN6hipcub16HIPCUB_304000_NS21CountingInputIteratorIllEEPS6_NSA_22TransformInputIteratorIbN2at6native12_GLOBAL__N_19NonZeroOpIiEEPKilEENS0_5tupleIJPlS6_EEENSN_IJSD_SD_EEES6_PiJS6_EEE10hipError_tPvRmT3_T4_T5_T6_T7_T9_mT8_P12ihipStream_tbDpT10_ENKUlT_T0_E_clISt17integral_constantIbLb0EES1A_IbLb1EEEEDaS16_S17_EUlS16_E_NS1_11comp_targetILNS1_3genE8ELNS1_11target_archE1030ELNS1_3gpuE2ELNS1_3repE0EEENS1_30default_config_static_selectorELNS0_4arch9wavefront6targetE0EEEvT1_,@function
_ZN7rocprim17ROCPRIM_400000_NS6detail17trampoline_kernelINS0_14default_configENS1_25partition_config_selectorILNS1_17partition_subalgoE5ElNS0_10empty_typeEbEEZZNS1_14partition_implILS5_5ELb0ES3_mN6hipcub16HIPCUB_304000_NS21CountingInputIteratorIllEEPS6_NSA_22TransformInputIteratorIbN2at6native12_GLOBAL__N_19NonZeroOpIiEEPKilEENS0_5tupleIJPlS6_EEENSN_IJSD_SD_EEES6_PiJS6_EEE10hipError_tPvRmT3_T4_T5_T6_T7_T9_mT8_P12ihipStream_tbDpT10_ENKUlT_T0_E_clISt17integral_constantIbLb0EES1A_IbLb1EEEEDaS16_S17_EUlS16_E_NS1_11comp_targetILNS1_3genE8ELNS1_11target_archE1030ELNS1_3gpuE2ELNS1_3repE0EEENS1_30default_config_static_selectorELNS0_4arch9wavefront6targetE0EEEvT1_: ; @_ZN7rocprim17ROCPRIM_400000_NS6detail17trampoline_kernelINS0_14default_configENS1_25partition_config_selectorILNS1_17partition_subalgoE5ElNS0_10empty_typeEbEEZZNS1_14partition_implILS5_5ELb0ES3_mN6hipcub16HIPCUB_304000_NS21CountingInputIteratorIllEEPS6_NSA_22TransformInputIteratorIbN2at6native12_GLOBAL__N_19NonZeroOpIiEEPKilEENS0_5tupleIJPlS6_EEENSN_IJSD_SD_EEES6_PiJS6_EEE10hipError_tPvRmT3_T4_T5_T6_T7_T9_mT8_P12ihipStream_tbDpT10_ENKUlT_T0_E_clISt17integral_constantIbLb0EES1A_IbLb1EEEEDaS16_S17_EUlS16_E_NS1_11comp_targetILNS1_3genE8ELNS1_11target_archE1030ELNS1_3gpuE2ELNS1_3repE0EEENS1_30default_config_static_selectorELNS0_4arch9wavefront6targetE0EEEvT1_
; %bb.0:
	.section	.rodata,"a",@progbits
	.p2align	6, 0x0
	.amdhsa_kernel _ZN7rocprim17ROCPRIM_400000_NS6detail17trampoline_kernelINS0_14default_configENS1_25partition_config_selectorILNS1_17partition_subalgoE5ElNS0_10empty_typeEbEEZZNS1_14partition_implILS5_5ELb0ES3_mN6hipcub16HIPCUB_304000_NS21CountingInputIteratorIllEEPS6_NSA_22TransformInputIteratorIbN2at6native12_GLOBAL__N_19NonZeroOpIiEEPKilEENS0_5tupleIJPlS6_EEENSN_IJSD_SD_EEES6_PiJS6_EEE10hipError_tPvRmT3_T4_T5_T6_T7_T9_mT8_P12ihipStream_tbDpT10_ENKUlT_T0_E_clISt17integral_constantIbLb0EES1A_IbLb1EEEEDaS16_S17_EUlS16_E_NS1_11comp_targetILNS1_3genE8ELNS1_11target_archE1030ELNS1_3gpuE2ELNS1_3repE0EEENS1_30default_config_static_selectorELNS0_4arch9wavefront6targetE0EEEvT1_
		.amdhsa_group_segment_fixed_size 0
		.amdhsa_private_segment_fixed_size 0
		.amdhsa_kernarg_size 136
		.amdhsa_user_sgpr_count 15
		.amdhsa_user_sgpr_dispatch_ptr 0
		.amdhsa_user_sgpr_queue_ptr 0
		.amdhsa_user_sgpr_kernarg_segment_ptr 1
		.amdhsa_user_sgpr_dispatch_id 0
		.amdhsa_user_sgpr_private_segment_size 0
		.amdhsa_wavefront_size32 1
		.amdhsa_uses_dynamic_stack 0
		.amdhsa_enable_private_segment 0
		.amdhsa_system_sgpr_workgroup_id_x 1
		.amdhsa_system_sgpr_workgroup_id_y 0
		.amdhsa_system_sgpr_workgroup_id_z 0
		.amdhsa_system_sgpr_workgroup_info 0
		.amdhsa_system_vgpr_workitem_id 0
		.amdhsa_next_free_vgpr 1
		.amdhsa_next_free_sgpr 1
		.amdhsa_reserve_vcc 0
		.amdhsa_float_round_mode_32 0
		.amdhsa_float_round_mode_16_64 0
		.amdhsa_float_denorm_mode_32 3
		.amdhsa_float_denorm_mode_16_64 3
		.amdhsa_dx10_clamp 1
		.amdhsa_ieee_mode 1
		.amdhsa_fp16_overflow 0
		.amdhsa_workgroup_processor_mode 1
		.amdhsa_memory_ordered 1
		.amdhsa_forward_progress 0
		.amdhsa_shared_vgpr_count 0
		.amdhsa_exception_fp_ieee_invalid_op 0
		.amdhsa_exception_fp_denorm_src 0
		.amdhsa_exception_fp_ieee_div_zero 0
		.amdhsa_exception_fp_ieee_overflow 0
		.amdhsa_exception_fp_ieee_underflow 0
		.amdhsa_exception_fp_ieee_inexact 0
		.amdhsa_exception_int_div_zero 0
	.end_amdhsa_kernel
	.section	.text._ZN7rocprim17ROCPRIM_400000_NS6detail17trampoline_kernelINS0_14default_configENS1_25partition_config_selectorILNS1_17partition_subalgoE5ElNS0_10empty_typeEbEEZZNS1_14partition_implILS5_5ELb0ES3_mN6hipcub16HIPCUB_304000_NS21CountingInputIteratorIllEEPS6_NSA_22TransformInputIteratorIbN2at6native12_GLOBAL__N_19NonZeroOpIiEEPKilEENS0_5tupleIJPlS6_EEENSN_IJSD_SD_EEES6_PiJS6_EEE10hipError_tPvRmT3_T4_T5_T6_T7_T9_mT8_P12ihipStream_tbDpT10_ENKUlT_T0_E_clISt17integral_constantIbLb0EES1A_IbLb1EEEEDaS16_S17_EUlS16_E_NS1_11comp_targetILNS1_3genE8ELNS1_11target_archE1030ELNS1_3gpuE2ELNS1_3repE0EEENS1_30default_config_static_selectorELNS0_4arch9wavefront6targetE0EEEvT1_,"axG",@progbits,_ZN7rocprim17ROCPRIM_400000_NS6detail17trampoline_kernelINS0_14default_configENS1_25partition_config_selectorILNS1_17partition_subalgoE5ElNS0_10empty_typeEbEEZZNS1_14partition_implILS5_5ELb0ES3_mN6hipcub16HIPCUB_304000_NS21CountingInputIteratorIllEEPS6_NSA_22TransformInputIteratorIbN2at6native12_GLOBAL__N_19NonZeroOpIiEEPKilEENS0_5tupleIJPlS6_EEENSN_IJSD_SD_EEES6_PiJS6_EEE10hipError_tPvRmT3_T4_T5_T6_T7_T9_mT8_P12ihipStream_tbDpT10_ENKUlT_T0_E_clISt17integral_constantIbLb0EES1A_IbLb1EEEEDaS16_S17_EUlS16_E_NS1_11comp_targetILNS1_3genE8ELNS1_11target_archE1030ELNS1_3gpuE2ELNS1_3repE0EEENS1_30default_config_static_selectorELNS0_4arch9wavefront6targetE0EEEvT1_,comdat
.Lfunc_end217:
	.size	_ZN7rocprim17ROCPRIM_400000_NS6detail17trampoline_kernelINS0_14default_configENS1_25partition_config_selectorILNS1_17partition_subalgoE5ElNS0_10empty_typeEbEEZZNS1_14partition_implILS5_5ELb0ES3_mN6hipcub16HIPCUB_304000_NS21CountingInputIteratorIllEEPS6_NSA_22TransformInputIteratorIbN2at6native12_GLOBAL__N_19NonZeroOpIiEEPKilEENS0_5tupleIJPlS6_EEENSN_IJSD_SD_EEES6_PiJS6_EEE10hipError_tPvRmT3_T4_T5_T6_T7_T9_mT8_P12ihipStream_tbDpT10_ENKUlT_T0_E_clISt17integral_constantIbLb0EES1A_IbLb1EEEEDaS16_S17_EUlS16_E_NS1_11comp_targetILNS1_3genE8ELNS1_11target_archE1030ELNS1_3gpuE2ELNS1_3repE0EEENS1_30default_config_static_selectorELNS0_4arch9wavefront6targetE0EEEvT1_, .Lfunc_end217-_ZN7rocprim17ROCPRIM_400000_NS6detail17trampoline_kernelINS0_14default_configENS1_25partition_config_selectorILNS1_17partition_subalgoE5ElNS0_10empty_typeEbEEZZNS1_14partition_implILS5_5ELb0ES3_mN6hipcub16HIPCUB_304000_NS21CountingInputIteratorIllEEPS6_NSA_22TransformInputIteratorIbN2at6native12_GLOBAL__N_19NonZeroOpIiEEPKilEENS0_5tupleIJPlS6_EEENSN_IJSD_SD_EEES6_PiJS6_EEE10hipError_tPvRmT3_T4_T5_T6_T7_T9_mT8_P12ihipStream_tbDpT10_ENKUlT_T0_E_clISt17integral_constantIbLb0EES1A_IbLb1EEEEDaS16_S17_EUlS16_E_NS1_11comp_targetILNS1_3genE8ELNS1_11target_archE1030ELNS1_3gpuE2ELNS1_3repE0EEENS1_30default_config_static_selectorELNS0_4arch9wavefront6targetE0EEEvT1_
                                        ; -- End function
	.section	.AMDGPU.csdata,"",@progbits
; Kernel info:
; codeLenInByte = 0
; NumSgprs: 0
; NumVgprs: 0
; ScratchSize: 0
; MemoryBound: 0
; FloatMode: 240
; IeeeMode: 1
; LDSByteSize: 0 bytes/workgroup (compile time only)
; SGPRBlocks: 0
; VGPRBlocks: 0
; NumSGPRsForWavesPerEU: 1
; NumVGPRsForWavesPerEU: 1
; Occupancy: 16
; WaveLimiterHint : 0
; COMPUTE_PGM_RSRC2:SCRATCH_EN: 0
; COMPUTE_PGM_RSRC2:USER_SGPR: 15
; COMPUTE_PGM_RSRC2:TRAP_HANDLER: 0
; COMPUTE_PGM_RSRC2:TGID_X_EN: 1
; COMPUTE_PGM_RSRC2:TGID_Y_EN: 0
; COMPUTE_PGM_RSRC2:TGID_Z_EN: 0
; COMPUTE_PGM_RSRC2:TIDIG_COMP_CNT: 0
	.section	.text._ZN7rocprim17ROCPRIM_400000_NS6detail17trampoline_kernelINS0_14default_configENS1_22reduce_config_selectorIiEEZNS1_11reduce_implILb1ES3_PiS7_iN6hipcub16HIPCUB_304000_NS6detail34convert_binary_result_type_wrapperINS9_3SumENS9_22TransformInputIteratorIbN2at6native12_GLOBAL__N_19NonZeroOpIlEEPKllEEiEEEE10hipError_tPvRmT1_T2_T3_mT4_P12ihipStream_tbEUlT_E0_NS1_11comp_targetILNS1_3genE0ELNS1_11target_archE4294967295ELNS1_3gpuE0ELNS1_3repE0EEENS1_30default_config_static_selectorELNS0_4arch9wavefront6targetE0EEEvSQ_,"axG",@progbits,_ZN7rocprim17ROCPRIM_400000_NS6detail17trampoline_kernelINS0_14default_configENS1_22reduce_config_selectorIiEEZNS1_11reduce_implILb1ES3_PiS7_iN6hipcub16HIPCUB_304000_NS6detail34convert_binary_result_type_wrapperINS9_3SumENS9_22TransformInputIteratorIbN2at6native12_GLOBAL__N_19NonZeroOpIlEEPKllEEiEEEE10hipError_tPvRmT1_T2_T3_mT4_P12ihipStream_tbEUlT_E0_NS1_11comp_targetILNS1_3genE0ELNS1_11target_archE4294967295ELNS1_3gpuE0ELNS1_3repE0EEENS1_30default_config_static_selectorELNS0_4arch9wavefront6targetE0EEEvSQ_,comdat
	.globl	_ZN7rocprim17ROCPRIM_400000_NS6detail17trampoline_kernelINS0_14default_configENS1_22reduce_config_selectorIiEEZNS1_11reduce_implILb1ES3_PiS7_iN6hipcub16HIPCUB_304000_NS6detail34convert_binary_result_type_wrapperINS9_3SumENS9_22TransformInputIteratorIbN2at6native12_GLOBAL__N_19NonZeroOpIlEEPKllEEiEEEE10hipError_tPvRmT1_T2_T3_mT4_P12ihipStream_tbEUlT_E0_NS1_11comp_targetILNS1_3genE0ELNS1_11target_archE4294967295ELNS1_3gpuE0ELNS1_3repE0EEENS1_30default_config_static_selectorELNS0_4arch9wavefront6targetE0EEEvSQ_ ; -- Begin function _ZN7rocprim17ROCPRIM_400000_NS6detail17trampoline_kernelINS0_14default_configENS1_22reduce_config_selectorIiEEZNS1_11reduce_implILb1ES3_PiS7_iN6hipcub16HIPCUB_304000_NS6detail34convert_binary_result_type_wrapperINS9_3SumENS9_22TransformInputIteratorIbN2at6native12_GLOBAL__N_19NonZeroOpIlEEPKllEEiEEEE10hipError_tPvRmT1_T2_T3_mT4_P12ihipStream_tbEUlT_E0_NS1_11comp_targetILNS1_3genE0ELNS1_11target_archE4294967295ELNS1_3gpuE0ELNS1_3repE0EEENS1_30default_config_static_selectorELNS0_4arch9wavefront6targetE0EEEvSQ_
	.p2align	8
	.type	_ZN7rocprim17ROCPRIM_400000_NS6detail17trampoline_kernelINS0_14default_configENS1_22reduce_config_selectorIiEEZNS1_11reduce_implILb1ES3_PiS7_iN6hipcub16HIPCUB_304000_NS6detail34convert_binary_result_type_wrapperINS9_3SumENS9_22TransformInputIteratorIbN2at6native12_GLOBAL__N_19NonZeroOpIlEEPKllEEiEEEE10hipError_tPvRmT1_T2_T3_mT4_P12ihipStream_tbEUlT_E0_NS1_11comp_targetILNS1_3genE0ELNS1_11target_archE4294967295ELNS1_3gpuE0ELNS1_3repE0EEENS1_30default_config_static_selectorELNS0_4arch9wavefront6targetE0EEEvSQ_,@function
_ZN7rocprim17ROCPRIM_400000_NS6detail17trampoline_kernelINS0_14default_configENS1_22reduce_config_selectorIiEEZNS1_11reduce_implILb1ES3_PiS7_iN6hipcub16HIPCUB_304000_NS6detail34convert_binary_result_type_wrapperINS9_3SumENS9_22TransformInputIteratorIbN2at6native12_GLOBAL__N_19NonZeroOpIlEEPKllEEiEEEE10hipError_tPvRmT1_T2_T3_mT4_P12ihipStream_tbEUlT_E0_NS1_11comp_targetILNS1_3genE0ELNS1_11target_archE4294967295ELNS1_3gpuE0ELNS1_3repE0EEENS1_30default_config_static_selectorELNS0_4arch9wavefront6targetE0EEEvSQ_: ; @_ZN7rocprim17ROCPRIM_400000_NS6detail17trampoline_kernelINS0_14default_configENS1_22reduce_config_selectorIiEEZNS1_11reduce_implILb1ES3_PiS7_iN6hipcub16HIPCUB_304000_NS6detail34convert_binary_result_type_wrapperINS9_3SumENS9_22TransformInputIteratorIbN2at6native12_GLOBAL__N_19NonZeroOpIlEEPKllEEiEEEE10hipError_tPvRmT1_T2_T3_mT4_P12ihipStream_tbEUlT_E0_NS1_11comp_targetILNS1_3genE0ELNS1_11target_archE4294967295ELNS1_3gpuE0ELNS1_3repE0EEENS1_30default_config_static_selectorELNS0_4arch9wavefront6targetE0EEEvSQ_
; %bb.0:
	.section	.rodata,"a",@progbits
	.p2align	6, 0x0
	.amdhsa_kernel _ZN7rocprim17ROCPRIM_400000_NS6detail17trampoline_kernelINS0_14default_configENS1_22reduce_config_selectorIiEEZNS1_11reduce_implILb1ES3_PiS7_iN6hipcub16HIPCUB_304000_NS6detail34convert_binary_result_type_wrapperINS9_3SumENS9_22TransformInputIteratorIbN2at6native12_GLOBAL__N_19NonZeroOpIlEEPKllEEiEEEE10hipError_tPvRmT1_T2_T3_mT4_P12ihipStream_tbEUlT_E0_NS1_11comp_targetILNS1_3genE0ELNS1_11target_archE4294967295ELNS1_3gpuE0ELNS1_3repE0EEENS1_30default_config_static_selectorELNS0_4arch9wavefront6targetE0EEEvSQ_
		.amdhsa_group_segment_fixed_size 0
		.amdhsa_private_segment_fixed_size 0
		.amdhsa_kernarg_size 56
		.amdhsa_user_sgpr_count 15
		.amdhsa_user_sgpr_dispatch_ptr 0
		.amdhsa_user_sgpr_queue_ptr 0
		.amdhsa_user_sgpr_kernarg_segment_ptr 1
		.amdhsa_user_sgpr_dispatch_id 0
		.amdhsa_user_sgpr_private_segment_size 0
		.amdhsa_wavefront_size32 1
		.amdhsa_uses_dynamic_stack 0
		.amdhsa_enable_private_segment 0
		.amdhsa_system_sgpr_workgroup_id_x 1
		.amdhsa_system_sgpr_workgroup_id_y 0
		.amdhsa_system_sgpr_workgroup_id_z 0
		.amdhsa_system_sgpr_workgroup_info 0
		.amdhsa_system_vgpr_workitem_id 0
		.amdhsa_next_free_vgpr 1
		.amdhsa_next_free_sgpr 1
		.amdhsa_reserve_vcc 0
		.amdhsa_float_round_mode_32 0
		.amdhsa_float_round_mode_16_64 0
		.amdhsa_float_denorm_mode_32 3
		.amdhsa_float_denorm_mode_16_64 3
		.amdhsa_dx10_clamp 1
		.amdhsa_ieee_mode 1
		.amdhsa_fp16_overflow 0
		.amdhsa_workgroup_processor_mode 1
		.amdhsa_memory_ordered 1
		.amdhsa_forward_progress 0
		.amdhsa_shared_vgpr_count 0
		.amdhsa_exception_fp_ieee_invalid_op 0
		.amdhsa_exception_fp_denorm_src 0
		.amdhsa_exception_fp_ieee_div_zero 0
		.amdhsa_exception_fp_ieee_overflow 0
		.amdhsa_exception_fp_ieee_underflow 0
		.amdhsa_exception_fp_ieee_inexact 0
		.amdhsa_exception_int_div_zero 0
	.end_amdhsa_kernel
	.section	.text._ZN7rocprim17ROCPRIM_400000_NS6detail17trampoline_kernelINS0_14default_configENS1_22reduce_config_selectorIiEEZNS1_11reduce_implILb1ES3_PiS7_iN6hipcub16HIPCUB_304000_NS6detail34convert_binary_result_type_wrapperINS9_3SumENS9_22TransformInputIteratorIbN2at6native12_GLOBAL__N_19NonZeroOpIlEEPKllEEiEEEE10hipError_tPvRmT1_T2_T3_mT4_P12ihipStream_tbEUlT_E0_NS1_11comp_targetILNS1_3genE0ELNS1_11target_archE4294967295ELNS1_3gpuE0ELNS1_3repE0EEENS1_30default_config_static_selectorELNS0_4arch9wavefront6targetE0EEEvSQ_,"axG",@progbits,_ZN7rocprim17ROCPRIM_400000_NS6detail17trampoline_kernelINS0_14default_configENS1_22reduce_config_selectorIiEEZNS1_11reduce_implILb1ES3_PiS7_iN6hipcub16HIPCUB_304000_NS6detail34convert_binary_result_type_wrapperINS9_3SumENS9_22TransformInputIteratorIbN2at6native12_GLOBAL__N_19NonZeroOpIlEEPKllEEiEEEE10hipError_tPvRmT1_T2_T3_mT4_P12ihipStream_tbEUlT_E0_NS1_11comp_targetILNS1_3genE0ELNS1_11target_archE4294967295ELNS1_3gpuE0ELNS1_3repE0EEENS1_30default_config_static_selectorELNS0_4arch9wavefront6targetE0EEEvSQ_,comdat
.Lfunc_end218:
	.size	_ZN7rocprim17ROCPRIM_400000_NS6detail17trampoline_kernelINS0_14default_configENS1_22reduce_config_selectorIiEEZNS1_11reduce_implILb1ES3_PiS7_iN6hipcub16HIPCUB_304000_NS6detail34convert_binary_result_type_wrapperINS9_3SumENS9_22TransformInputIteratorIbN2at6native12_GLOBAL__N_19NonZeroOpIlEEPKllEEiEEEE10hipError_tPvRmT1_T2_T3_mT4_P12ihipStream_tbEUlT_E0_NS1_11comp_targetILNS1_3genE0ELNS1_11target_archE4294967295ELNS1_3gpuE0ELNS1_3repE0EEENS1_30default_config_static_selectorELNS0_4arch9wavefront6targetE0EEEvSQ_, .Lfunc_end218-_ZN7rocprim17ROCPRIM_400000_NS6detail17trampoline_kernelINS0_14default_configENS1_22reduce_config_selectorIiEEZNS1_11reduce_implILb1ES3_PiS7_iN6hipcub16HIPCUB_304000_NS6detail34convert_binary_result_type_wrapperINS9_3SumENS9_22TransformInputIteratorIbN2at6native12_GLOBAL__N_19NonZeroOpIlEEPKllEEiEEEE10hipError_tPvRmT1_T2_T3_mT4_P12ihipStream_tbEUlT_E0_NS1_11comp_targetILNS1_3genE0ELNS1_11target_archE4294967295ELNS1_3gpuE0ELNS1_3repE0EEENS1_30default_config_static_selectorELNS0_4arch9wavefront6targetE0EEEvSQ_
                                        ; -- End function
	.section	.AMDGPU.csdata,"",@progbits
; Kernel info:
; codeLenInByte = 0
; NumSgprs: 0
; NumVgprs: 0
; ScratchSize: 0
; MemoryBound: 0
; FloatMode: 240
; IeeeMode: 1
; LDSByteSize: 0 bytes/workgroup (compile time only)
; SGPRBlocks: 0
; VGPRBlocks: 0
; NumSGPRsForWavesPerEU: 1
; NumVGPRsForWavesPerEU: 1
; Occupancy: 16
; WaveLimiterHint : 0
; COMPUTE_PGM_RSRC2:SCRATCH_EN: 0
; COMPUTE_PGM_RSRC2:USER_SGPR: 15
; COMPUTE_PGM_RSRC2:TRAP_HANDLER: 0
; COMPUTE_PGM_RSRC2:TGID_X_EN: 1
; COMPUTE_PGM_RSRC2:TGID_Y_EN: 0
; COMPUTE_PGM_RSRC2:TGID_Z_EN: 0
; COMPUTE_PGM_RSRC2:TIDIG_COMP_CNT: 0
	.section	.text._ZN7rocprim17ROCPRIM_400000_NS6detail17trampoline_kernelINS0_14default_configENS1_22reduce_config_selectorIiEEZNS1_11reduce_implILb1ES3_PiS7_iN6hipcub16HIPCUB_304000_NS6detail34convert_binary_result_type_wrapperINS9_3SumENS9_22TransformInputIteratorIbN2at6native12_GLOBAL__N_19NonZeroOpIlEEPKllEEiEEEE10hipError_tPvRmT1_T2_T3_mT4_P12ihipStream_tbEUlT_E0_NS1_11comp_targetILNS1_3genE5ELNS1_11target_archE942ELNS1_3gpuE9ELNS1_3repE0EEENS1_30default_config_static_selectorELNS0_4arch9wavefront6targetE0EEEvSQ_,"axG",@progbits,_ZN7rocprim17ROCPRIM_400000_NS6detail17trampoline_kernelINS0_14default_configENS1_22reduce_config_selectorIiEEZNS1_11reduce_implILb1ES3_PiS7_iN6hipcub16HIPCUB_304000_NS6detail34convert_binary_result_type_wrapperINS9_3SumENS9_22TransformInputIteratorIbN2at6native12_GLOBAL__N_19NonZeroOpIlEEPKllEEiEEEE10hipError_tPvRmT1_T2_T3_mT4_P12ihipStream_tbEUlT_E0_NS1_11comp_targetILNS1_3genE5ELNS1_11target_archE942ELNS1_3gpuE9ELNS1_3repE0EEENS1_30default_config_static_selectorELNS0_4arch9wavefront6targetE0EEEvSQ_,comdat
	.globl	_ZN7rocprim17ROCPRIM_400000_NS6detail17trampoline_kernelINS0_14default_configENS1_22reduce_config_selectorIiEEZNS1_11reduce_implILb1ES3_PiS7_iN6hipcub16HIPCUB_304000_NS6detail34convert_binary_result_type_wrapperINS9_3SumENS9_22TransformInputIteratorIbN2at6native12_GLOBAL__N_19NonZeroOpIlEEPKllEEiEEEE10hipError_tPvRmT1_T2_T3_mT4_P12ihipStream_tbEUlT_E0_NS1_11comp_targetILNS1_3genE5ELNS1_11target_archE942ELNS1_3gpuE9ELNS1_3repE0EEENS1_30default_config_static_selectorELNS0_4arch9wavefront6targetE0EEEvSQ_ ; -- Begin function _ZN7rocprim17ROCPRIM_400000_NS6detail17trampoline_kernelINS0_14default_configENS1_22reduce_config_selectorIiEEZNS1_11reduce_implILb1ES3_PiS7_iN6hipcub16HIPCUB_304000_NS6detail34convert_binary_result_type_wrapperINS9_3SumENS9_22TransformInputIteratorIbN2at6native12_GLOBAL__N_19NonZeroOpIlEEPKllEEiEEEE10hipError_tPvRmT1_T2_T3_mT4_P12ihipStream_tbEUlT_E0_NS1_11comp_targetILNS1_3genE5ELNS1_11target_archE942ELNS1_3gpuE9ELNS1_3repE0EEENS1_30default_config_static_selectorELNS0_4arch9wavefront6targetE0EEEvSQ_
	.p2align	8
	.type	_ZN7rocprim17ROCPRIM_400000_NS6detail17trampoline_kernelINS0_14default_configENS1_22reduce_config_selectorIiEEZNS1_11reduce_implILb1ES3_PiS7_iN6hipcub16HIPCUB_304000_NS6detail34convert_binary_result_type_wrapperINS9_3SumENS9_22TransformInputIteratorIbN2at6native12_GLOBAL__N_19NonZeroOpIlEEPKllEEiEEEE10hipError_tPvRmT1_T2_T3_mT4_P12ihipStream_tbEUlT_E0_NS1_11comp_targetILNS1_3genE5ELNS1_11target_archE942ELNS1_3gpuE9ELNS1_3repE0EEENS1_30default_config_static_selectorELNS0_4arch9wavefront6targetE0EEEvSQ_,@function
_ZN7rocprim17ROCPRIM_400000_NS6detail17trampoline_kernelINS0_14default_configENS1_22reduce_config_selectorIiEEZNS1_11reduce_implILb1ES3_PiS7_iN6hipcub16HIPCUB_304000_NS6detail34convert_binary_result_type_wrapperINS9_3SumENS9_22TransformInputIteratorIbN2at6native12_GLOBAL__N_19NonZeroOpIlEEPKllEEiEEEE10hipError_tPvRmT1_T2_T3_mT4_P12ihipStream_tbEUlT_E0_NS1_11comp_targetILNS1_3genE5ELNS1_11target_archE942ELNS1_3gpuE9ELNS1_3repE0EEENS1_30default_config_static_selectorELNS0_4arch9wavefront6targetE0EEEvSQ_: ; @_ZN7rocprim17ROCPRIM_400000_NS6detail17trampoline_kernelINS0_14default_configENS1_22reduce_config_selectorIiEEZNS1_11reduce_implILb1ES3_PiS7_iN6hipcub16HIPCUB_304000_NS6detail34convert_binary_result_type_wrapperINS9_3SumENS9_22TransformInputIteratorIbN2at6native12_GLOBAL__N_19NonZeroOpIlEEPKllEEiEEEE10hipError_tPvRmT1_T2_T3_mT4_P12ihipStream_tbEUlT_E0_NS1_11comp_targetILNS1_3genE5ELNS1_11target_archE942ELNS1_3gpuE9ELNS1_3repE0EEENS1_30default_config_static_selectorELNS0_4arch9wavefront6targetE0EEEvSQ_
; %bb.0:
	.section	.rodata,"a",@progbits
	.p2align	6, 0x0
	.amdhsa_kernel _ZN7rocprim17ROCPRIM_400000_NS6detail17trampoline_kernelINS0_14default_configENS1_22reduce_config_selectorIiEEZNS1_11reduce_implILb1ES3_PiS7_iN6hipcub16HIPCUB_304000_NS6detail34convert_binary_result_type_wrapperINS9_3SumENS9_22TransformInputIteratorIbN2at6native12_GLOBAL__N_19NonZeroOpIlEEPKllEEiEEEE10hipError_tPvRmT1_T2_T3_mT4_P12ihipStream_tbEUlT_E0_NS1_11comp_targetILNS1_3genE5ELNS1_11target_archE942ELNS1_3gpuE9ELNS1_3repE0EEENS1_30default_config_static_selectorELNS0_4arch9wavefront6targetE0EEEvSQ_
		.amdhsa_group_segment_fixed_size 0
		.amdhsa_private_segment_fixed_size 0
		.amdhsa_kernarg_size 56
		.amdhsa_user_sgpr_count 15
		.amdhsa_user_sgpr_dispatch_ptr 0
		.amdhsa_user_sgpr_queue_ptr 0
		.amdhsa_user_sgpr_kernarg_segment_ptr 1
		.amdhsa_user_sgpr_dispatch_id 0
		.amdhsa_user_sgpr_private_segment_size 0
		.amdhsa_wavefront_size32 1
		.amdhsa_uses_dynamic_stack 0
		.amdhsa_enable_private_segment 0
		.amdhsa_system_sgpr_workgroup_id_x 1
		.amdhsa_system_sgpr_workgroup_id_y 0
		.amdhsa_system_sgpr_workgroup_id_z 0
		.amdhsa_system_sgpr_workgroup_info 0
		.amdhsa_system_vgpr_workitem_id 0
		.amdhsa_next_free_vgpr 1
		.amdhsa_next_free_sgpr 1
		.amdhsa_reserve_vcc 0
		.amdhsa_float_round_mode_32 0
		.amdhsa_float_round_mode_16_64 0
		.amdhsa_float_denorm_mode_32 3
		.amdhsa_float_denorm_mode_16_64 3
		.amdhsa_dx10_clamp 1
		.amdhsa_ieee_mode 1
		.amdhsa_fp16_overflow 0
		.amdhsa_workgroup_processor_mode 1
		.amdhsa_memory_ordered 1
		.amdhsa_forward_progress 0
		.amdhsa_shared_vgpr_count 0
		.amdhsa_exception_fp_ieee_invalid_op 0
		.amdhsa_exception_fp_denorm_src 0
		.amdhsa_exception_fp_ieee_div_zero 0
		.amdhsa_exception_fp_ieee_overflow 0
		.amdhsa_exception_fp_ieee_underflow 0
		.amdhsa_exception_fp_ieee_inexact 0
		.amdhsa_exception_int_div_zero 0
	.end_amdhsa_kernel
	.section	.text._ZN7rocprim17ROCPRIM_400000_NS6detail17trampoline_kernelINS0_14default_configENS1_22reduce_config_selectorIiEEZNS1_11reduce_implILb1ES3_PiS7_iN6hipcub16HIPCUB_304000_NS6detail34convert_binary_result_type_wrapperINS9_3SumENS9_22TransformInputIteratorIbN2at6native12_GLOBAL__N_19NonZeroOpIlEEPKllEEiEEEE10hipError_tPvRmT1_T2_T3_mT4_P12ihipStream_tbEUlT_E0_NS1_11comp_targetILNS1_3genE5ELNS1_11target_archE942ELNS1_3gpuE9ELNS1_3repE0EEENS1_30default_config_static_selectorELNS0_4arch9wavefront6targetE0EEEvSQ_,"axG",@progbits,_ZN7rocprim17ROCPRIM_400000_NS6detail17trampoline_kernelINS0_14default_configENS1_22reduce_config_selectorIiEEZNS1_11reduce_implILb1ES3_PiS7_iN6hipcub16HIPCUB_304000_NS6detail34convert_binary_result_type_wrapperINS9_3SumENS9_22TransformInputIteratorIbN2at6native12_GLOBAL__N_19NonZeroOpIlEEPKllEEiEEEE10hipError_tPvRmT1_T2_T3_mT4_P12ihipStream_tbEUlT_E0_NS1_11comp_targetILNS1_3genE5ELNS1_11target_archE942ELNS1_3gpuE9ELNS1_3repE0EEENS1_30default_config_static_selectorELNS0_4arch9wavefront6targetE0EEEvSQ_,comdat
.Lfunc_end219:
	.size	_ZN7rocprim17ROCPRIM_400000_NS6detail17trampoline_kernelINS0_14default_configENS1_22reduce_config_selectorIiEEZNS1_11reduce_implILb1ES3_PiS7_iN6hipcub16HIPCUB_304000_NS6detail34convert_binary_result_type_wrapperINS9_3SumENS9_22TransformInputIteratorIbN2at6native12_GLOBAL__N_19NonZeroOpIlEEPKllEEiEEEE10hipError_tPvRmT1_T2_T3_mT4_P12ihipStream_tbEUlT_E0_NS1_11comp_targetILNS1_3genE5ELNS1_11target_archE942ELNS1_3gpuE9ELNS1_3repE0EEENS1_30default_config_static_selectorELNS0_4arch9wavefront6targetE0EEEvSQ_, .Lfunc_end219-_ZN7rocprim17ROCPRIM_400000_NS6detail17trampoline_kernelINS0_14default_configENS1_22reduce_config_selectorIiEEZNS1_11reduce_implILb1ES3_PiS7_iN6hipcub16HIPCUB_304000_NS6detail34convert_binary_result_type_wrapperINS9_3SumENS9_22TransformInputIteratorIbN2at6native12_GLOBAL__N_19NonZeroOpIlEEPKllEEiEEEE10hipError_tPvRmT1_T2_T3_mT4_P12ihipStream_tbEUlT_E0_NS1_11comp_targetILNS1_3genE5ELNS1_11target_archE942ELNS1_3gpuE9ELNS1_3repE0EEENS1_30default_config_static_selectorELNS0_4arch9wavefront6targetE0EEEvSQ_
                                        ; -- End function
	.section	.AMDGPU.csdata,"",@progbits
; Kernel info:
; codeLenInByte = 0
; NumSgprs: 0
; NumVgprs: 0
; ScratchSize: 0
; MemoryBound: 0
; FloatMode: 240
; IeeeMode: 1
; LDSByteSize: 0 bytes/workgroup (compile time only)
; SGPRBlocks: 0
; VGPRBlocks: 0
; NumSGPRsForWavesPerEU: 1
; NumVGPRsForWavesPerEU: 1
; Occupancy: 16
; WaveLimiterHint : 0
; COMPUTE_PGM_RSRC2:SCRATCH_EN: 0
; COMPUTE_PGM_RSRC2:USER_SGPR: 15
; COMPUTE_PGM_RSRC2:TRAP_HANDLER: 0
; COMPUTE_PGM_RSRC2:TGID_X_EN: 1
; COMPUTE_PGM_RSRC2:TGID_Y_EN: 0
; COMPUTE_PGM_RSRC2:TGID_Z_EN: 0
; COMPUTE_PGM_RSRC2:TIDIG_COMP_CNT: 0
	.section	.text._ZN7rocprim17ROCPRIM_400000_NS6detail17trampoline_kernelINS0_14default_configENS1_22reduce_config_selectorIiEEZNS1_11reduce_implILb1ES3_PiS7_iN6hipcub16HIPCUB_304000_NS6detail34convert_binary_result_type_wrapperINS9_3SumENS9_22TransformInputIteratorIbN2at6native12_GLOBAL__N_19NonZeroOpIlEEPKllEEiEEEE10hipError_tPvRmT1_T2_T3_mT4_P12ihipStream_tbEUlT_E0_NS1_11comp_targetILNS1_3genE4ELNS1_11target_archE910ELNS1_3gpuE8ELNS1_3repE0EEENS1_30default_config_static_selectorELNS0_4arch9wavefront6targetE0EEEvSQ_,"axG",@progbits,_ZN7rocprim17ROCPRIM_400000_NS6detail17trampoline_kernelINS0_14default_configENS1_22reduce_config_selectorIiEEZNS1_11reduce_implILb1ES3_PiS7_iN6hipcub16HIPCUB_304000_NS6detail34convert_binary_result_type_wrapperINS9_3SumENS9_22TransformInputIteratorIbN2at6native12_GLOBAL__N_19NonZeroOpIlEEPKllEEiEEEE10hipError_tPvRmT1_T2_T3_mT4_P12ihipStream_tbEUlT_E0_NS1_11comp_targetILNS1_3genE4ELNS1_11target_archE910ELNS1_3gpuE8ELNS1_3repE0EEENS1_30default_config_static_selectorELNS0_4arch9wavefront6targetE0EEEvSQ_,comdat
	.globl	_ZN7rocprim17ROCPRIM_400000_NS6detail17trampoline_kernelINS0_14default_configENS1_22reduce_config_selectorIiEEZNS1_11reduce_implILb1ES3_PiS7_iN6hipcub16HIPCUB_304000_NS6detail34convert_binary_result_type_wrapperINS9_3SumENS9_22TransformInputIteratorIbN2at6native12_GLOBAL__N_19NonZeroOpIlEEPKllEEiEEEE10hipError_tPvRmT1_T2_T3_mT4_P12ihipStream_tbEUlT_E0_NS1_11comp_targetILNS1_3genE4ELNS1_11target_archE910ELNS1_3gpuE8ELNS1_3repE0EEENS1_30default_config_static_selectorELNS0_4arch9wavefront6targetE0EEEvSQ_ ; -- Begin function _ZN7rocprim17ROCPRIM_400000_NS6detail17trampoline_kernelINS0_14default_configENS1_22reduce_config_selectorIiEEZNS1_11reduce_implILb1ES3_PiS7_iN6hipcub16HIPCUB_304000_NS6detail34convert_binary_result_type_wrapperINS9_3SumENS9_22TransformInputIteratorIbN2at6native12_GLOBAL__N_19NonZeroOpIlEEPKllEEiEEEE10hipError_tPvRmT1_T2_T3_mT4_P12ihipStream_tbEUlT_E0_NS1_11comp_targetILNS1_3genE4ELNS1_11target_archE910ELNS1_3gpuE8ELNS1_3repE0EEENS1_30default_config_static_selectorELNS0_4arch9wavefront6targetE0EEEvSQ_
	.p2align	8
	.type	_ZN7rocprim17ROCPRIM_400000_NS6detail17trampoline_kernelINS0_14default_configENS1_22reduce_config_selectorIiEEZNS1_11reduce_implILb1ES3_PiS7_iN6hipcub16HIPCUB_304000_NS6detail34convert_binary_result_type_wrapperINS9_3SumENS9_22TransformInputIteratorIbN2at6native12_GLOBAL__N_19NonZeroOpIlEEPKllEEiEEEE10hipError_tPvRmT1_T2_T3_mT4_P12ihipStream_tbEUlT_E0_NS1_11comp_targetILNS1_3genE4ELNS1_11target_archE910ELNS1_3gpuE8ELNS1_3repE0EEENS1_30default_config_static_selectorELNS0_4arch9wavefront6targetE0EEEvSQ_,@function
_ZN7rocprim17ROCPRIM_400000_NS6detail17trampoline_kernelINS0_14default_configENS1_22reduce_config_selectorIiEEZNS1_11reduce_implILb1ES3_PiS7_iN6hipcub16HIPCUB_304000_NS6detail34convert_binary_result_type_wrapperINS9_3SumENS9_22TransformInputIteratorIbN2at6native12_GLOBAL__N_19NonZeroOpIlEEPKllEEiEEEE10hipError_tPvRmT1_T2_T3_mT4_P12ihipStream_tbEUlT_E0_NS1_11comp_targetILNS1_3genE4ELNS1_11target_archE910ELNS1_3gpuE8ELNS1_3repE0EEENS1_30default_config_static_selectorELNS0_4arch9wavefront6targetE0EEEvSQ_: ; @_ZN7rocprim17ROCPRIM_400000_NS6detail17trampoline_kernelINS0_14default_configENS1_22reduce_config_selectorIiEEZNS1_11reduce_implILb1ES3_PiS7_iN6hipcub16HIPCUB_304000_NS6detail34convert_binary_result_type_wrapperINS9_3SumENS9_22TransformInputIteratorIbN2at6native12_GLOBAL__N_19NonZeroOpIlEEPKllEEiEEEE10hipError_tPvRmT1_T2_T3_mT4_P12ihipStream_tbEUlT_E0_NS1_11comp_targetILNS1_3genE4ELNS1_11target_archE910ELNS1_3gpuE8ELNS1_3repE0EEENS1_30default_config_static_selectorELNS0_4arch9wavefront6targetE0EEEvSQ_
; %bb.0:
	.section	.rodata,"a",@progbits
	.p2align	6, 0x0
	.amdhsa_kernel _ZN7rocprim17ROCPRIM_400000_NS6detail17trampoline_kernelINS0_14default_configENS1_22reduce_config_selectorIiEEZNS1_11reduce_implILb1ES3_PiS7_iN6hipcub16HIPCUB_304000_NS6detail34convert_binary_result_type_wrapperINS9_3SumENS9_22TransformInputIteratorIbN2at6native12_GLOBAL__N_19NonZeroOpIlEEPKllEEiEEEE10hipError_tPvRmT1_T2_T3_mT4_P12ihipStream_tbEUlT_E0_NS1_11comp_targetILNS1_3genE4ELNS1_11target_archE910ELNS1_3gpuE8ELNS1_3repE0EEENS1_30default_config_static_selectorELNS0_4arch9wavefront6targetE0EEEvSQ_
		.amdhsa_group_segment_fixed_size 0
		.amdhsa_private_segment_fixed_size 0
		.amdhsa_kernarg_size 56
		.amdhsa_user_sgpr_count 15
		.amdhsa_user_sgpr_dispatch_ptr 0
		.amdhsa_user_sgpr_queue_ptr 0
		.amdhsa_user_sgpr_kernarg_segment_ptr 1
		.amdhsa_user_sgpr_dispatch_id 0
		.amdhsa_user_sgpr_private_segment_size 0
		.amdhsa_wavefront_size32 1
		.amdhsa_uses_dynamic_stack 0
		.amdhsa_enable_private_segment 0
		.amdhsa_system_sgpr_workgroup_id_x 1
		.amdhsa_system_sgpr_workgroup_id_y 0
		.amdhsa_system_sgpr_workgroup_id_z 0
		.amdhsa_system_sgpr_workgroup_info 0
		.amdhsa_system_vgpr_workitem_id 0
		.amdhsa_next_free_vgpr 1
		.amdhsa_next_free_sgpr 1
		.amdhsa_reserve_vcc 0
		.amdhsa_float_round_mode_32 0
		.amdhsa_float_round_mode_16_64 0
		.amdhsa_float_denorm_mode_32 3
		.amdhsa_float_denorm_mode_16_64 3
		.amdhsa_dx10_clamp 1
		.amdhsa_ieee_mode 1
		.amdhsa_fp16_overflow 0
		.amdhsa_workgroup_processor_mode 1
		.amdhsa_memory_ordered 1
		.amdhsa_forward_progress 0
		.amdhsa_shared_vgpr_count 0
		.amdhsa_exception_fp_ieee_invalid_op 0
		.amdhsa_exception_fp_denorm_src 0
		.amdhsa_exception_fp_ieee_div_zero 0
		.amdhsa_exception_fp_ieee_overflow 0
		.amdhsa_exception_fp_ieee_underflow 0
		.amdhsa_exception_fp_ieee_inexact 0
		.amdhsa_exception_int_div_zero 0
	.end_amdhsa_kernel
	.section	.text._ZN7rocprim17ROCPRIM_400000_NS6detail17trampoline_kernelINS0_14default_configENS1_22reduce_config_selectorIiEEZNS1_11reduce_implILb1ES3_PiS7_iN6hipcub16HIPCUB_304000_NS6detail34convert_binary_result_type_wrapperINS9_3SumENS9_22TransformInputIteratorIbN2at6native12_GLOBAL__N_19NonZeroOpIlEEPKllEEiEEEE10hipError_tPvRmT1_T2_T3_mT4_P12ihipStream_tbEUlT_E0_NS1_11comp_targetILNS1_3genE4ELNS1_11target_archE910ELNS1_3gpuE8ELNS1_3repE0EEENS1_30default_config_static_selectorELNS0_4arch9wavefront6targetE0EEEvSQ_,"axG",@progbits,_ZN7rocprim17ROCPRIM_400000_NS6detail17trampoline_kernelINS0_14default_configENS1_22reduce_config_selectorIiEEZNS1_11reduce_implILb1ES3_PiS7_iN6hipcub16HIPCUB_304000_NS6detail34convert_binary_result_type_wrapperINS9_3SumENS9_22TransformInputIteratorIbN2at6native12_GLOBAL__N_19NonZeroOpIlEEPKllEEiEEEE10hipError_tPvRmT1_T2_T3_mT4_P12ihipStream_tbEUlT_E0_NS1_11comp_targetILNS1_3genE4ELNS1_11target_archE910ELNS1_3gpuE8ELNS1_3repE0EEENS1_30default_config_static_selectorELNS0_4arch9wavefront6targetE0EEEvSQ_,comdat
.Lfunc_end220:
	.size	_ZN7rocprim17ROCPRIM_400000_NS6detail17trampoline_kernelINS0_14default_configENS1_22reduce_config_selectorIiEEZNS1_11reduce_implILb1ES3_PiS7_iN6hipcub16HIPCUB_304000_NS6detail34convert_binary_result_type_wrapperINS9_3SumENS9_22TransformInputIteratorIbN2at6native12_GLOBAL__N_19NonZeroOpIlEEPKllEEiEEEE10hipError_tPvRmT1_T2_T3_mT4_P12ihipStream_tbEUlT_E0_NS1_11comp_targetILNS1_3genE4ELNS1_11target_archE910ELNS1_3gpuE8ELNS1_3repE0EEENS1_30default_config_static_selectorELNS0_4arch9wavefront6targetE0EEEvSQ_, .Lfunc_end220-_ZN7rocprim17ROCPRIM_400000_NS6detail17trampoline_kernelINS0_14default_configENS1_22reduce_config_selectorIiEEZNS1_11reduce_implILb1ES3_PiS7_iN6hipcub16HIPCUB_304000_NS6detail34convert_binary_result_type_wrapperINS9_3SumENS9_22TransformInputIteratorIbN2at6native12_GLOBAL__N_19NonZeroOpIlEEPKllEEiEEEE10hipError_tPvRmT1_T2_T3_mT4_P12ihipStream_tbEUlT_E0_NS1_11comp_targetILNS1_3genE4ELNS1_11target_archE910ELNS1_3gpuE8ELNS1_3repE0EEENS1_30default_config_static_selectorELNS0_4arch9wavefront6targetE0EEEvSQ_
                                        ; -- End function
	.section	.AMDGPU.csdata,"",@progbits
; Kernel info:
; codeLenInByte = 0
; NumSgprs: 0
; NumVgprs: 0
; ScratchSize: 0
; MemoryBound: 0
; FloatMode: 240
; IeeeMode: 1
; LDSByteSize: 0 bytes/workgroup (compile time only)
; SGPRBlocks: 0
; VGPRBlocks: 0
; NumSGPRsForWavesPerEU: 1
; NumVGPRsForWavesPerEU: 1
; Occupancy: 16
; WaveLimiterHint : 0
; COMPUTE_PGM_RSRC2:SCRATCH_EN: 0
; COMPUTE_PGM_RSRC2:USER_SGPR: 15
; COMPUTE_PGM_RSRC2:TRAP_HANDLER: 0
; COMPUTE_PGM_RSRC2:TGID_X_EN: 1
; COMPUTE_PGM_RSRC2:TGID_Y_EN: 0
; COMPUTE_PGM_RSRC2:TGID_Z_EN: 0
; COMPUTE_PGM_RSRC2:TIDIG_COMP_CNT: 0
	.section	.text._ZN7rocprim17ROCPRIM_400000_NS6detail17trampoline_kernelINS0_14default_configENS1_22reduce_config_selectorIiEEZNS1_11reduce_implILb1ES3_PiS7_iN6hipcub16HIPCUB_304000_NS6detail34convert_binary_result_type_wrapperINS9_3SumENS9_22TransformInputIteratorIbN2at6native12_GLOBAL__N_19NonZeroOpIlEEPKllEEiEEEE10hipError_tPvRmT1_T2_T3_mT4_P12ihipStream_tbEUlT_E0_NS1_11comp_targetILNS1_3genE3ELNS1_11target_archE908ELNS1_3gpuE7ELNS1_3repE0EEENS1_30default_config_static_selectorELNS0_4arch9wavefront6targetE0EEEvSQ_,"axG",@progbits,_ZN7rocprim17ROCPRIM_400000_NS6detail17trampoline_kernelINS0_14default_configENS1_22reduce_config_selectorIiEEZNS1_11reduce_implILb1ES3_PiS7_iN6hipcub16HIPCUB_304000_NS6detail34convert_binary_result_type_wrapperINS9_3SumENS9_22TransformInputIteratorIbN2at6native12_GLOBAL__N_19NonZeroOpIlEEPKllEEiEEEE10hipError_tPvRmT1_T2_T3_mT4_P12ihipStream_tbEUlT_E0_NS1_11comp_targetILNS1_3genE3ELNS1_11target_archE908ELNS1_3gpuE7ELNS1_3repE0EEENS1_30default_config_static_selectorELNS0_4arch9wavefront6targetE0EEEvSQ_,comdat
	.globl	_ZN7rocprim17ROCPRIM_400000_NS6detail17trampoline_kernelINS0_14default_configENS1_22reduce_config_selectorIiEEZNS1_11reduce_implILb1ES3_PiS7_iN6hipcub16HIPCUB_304000_NS6detail34convert_binary_result_type_wrapperINS9_3SumENS9_22TransformInputIteratorIbN2at6native12_GLOBAL__N_19NonZeroOpIlEEPKllEEiEEEE10hipError_tPvRmT1_T2_T3_mT4_P12ihipStream_tbEUlT_E0_NS1_11comp_targetILNS1_3genE3ELNS1_11target_archE908ELNS1_3gpuE7ELNS1_3repE0EEENS1_30default_config_static_selectorELNS0_4arch9wavefront6targetE0EEEvSQ_ ; -- Begin function _ZN7rocprim17ROCPRIM_400000_NS6detail17trampoline_kernelINS0_14default_configENS1_22reduce_config_selectorIiEEZNS1_11reduce_implILb1ES3_PiS7_iN6hipcub16HIPCUB_304000_NS6detail34convert_binary_result_type_wrapperINS9_3SumENS9_22TransformInputIteratorIbN2at6native12_GLOBAL__N_19NonZeroOpIlEEPKllEEiEEEE10hipError_tPvRmT1_T2_T3_mT4_P12ihipStream_tbEUlT_E0_NS1_11comp_targetILNS1_3genE3ELNS1_11target_archE908ELNS1_3gpuE7ELNS1_3repE0EEENS1_30default_config_static_selectorELNS0_4arch9wavefront6targetE0EEEvSQ_
	.p2align	8
	.type	_ZN7rocprim17ROCPRIM_400000_NS6detail17trampoline_kernelINS0_14default_configENS1_22reduce_config_selectorIiEEZNS1_11reduce_implILb1ES3_PiS7_iN6hipcub16HIPCUB_304000_NS6detail34convert_binary_result_type_wrapperINS9_3SumENS9_22TransformInputIteratorIbN2at6native12_GLOBAL__N_19NonZeroOpIlEEPKllEEiEEEE10hipError_tPvRmT1_T2_T3_mT4_P12ihipStream_tbEUlT_E0_NS1_11comp_targetILNS1_3genE3ELNS1_11target_archE908ELNS1_3gpuE7ELNS1_3repE0EEENS1_30default_config_static_selectorELNS0_4arch9wavefront6targetE0EEEvSQ_,@function
_ZN7rocprim17ROCPRIM_400000_NS6detail17trampoline_kernelINS0_14default_configENS1_22reduce_config_selectorIiEEZNS1_11reduce_implILb1ES3_PiS7_iN6hipcub16HIPCUB_304000_NS6detail34convert_binary_result_type_wrapperINS9_3SumENS9_22TransformInputIteratorIbN2at6native12_GLOBAL__N_19NonZeroOpIlEEPKllEEiEEEE10hipError_tPvRmT1_T2_T3_mT4_P12ihipStream_tbEUlT_E0_NS1_11comp_targetILNS1_3genE3ELNS1_11target_archE908ELNS1_3gpuE7ELNS1_3repE0EEENS1_30default_config_static_selectorELNS0_4arch9wavefront6targetE0EEEvSQ_: ; @_ZN7rocprim17ROCPRIM_400000_NS6detail17trampoline_kernelINS0_14default_configENS1_22reduce_config_selectorIiEEZNS1_11reduce_implILb1ES3_PiS7_iN6hipcub16HIPCUB_304000_NS6detail34convert_binary_result_type_wrapperINS9_3SumENS9_22TransformInputIteratorIbN2at6native12_GLOBAL__N_19NonZeroOpIlEEPKllEEiEEEE10hipError_tPvRmT1_T2_T3_mT4_P12ihipStream_tbEUlT_E0_NS1_11comp_targetILNS1_3genE3ELNS1_11target_archE908ELNS1_3gpuE7ELNS1_3repE0EEENS1_30default_config_static_selectorELNS0_4arch9wavefront6targetE0EEEvSQ_
; %bb.0:
	.section	.rodata,"a",@progbits
	.p2align	6, 0x0
	.amdhsa_kernel _ZN7rocprim17ROCPRIM_400000_NS6detail17trampoline_kernelINS0_14default_configENS1_22reduce_config_selectorIiEEZNS1_11reduce_implILb1ES3_PiS7_iN6hipcub16HIPCUB_304000_NS6detail34convert_binary_result_type_wrapperINS9_3SumENS9_22TransformInputIteratorIbN2at6native12_GLOBAL__N_19NonZeroOpIlEEPKllEEiEEEE10hipError_tPvRmT1_T2_T3_mT4_P12ihipStream_tbEUlT_E0_NS1_11comp_targetILNS1_3genE3ELNS1_11target_archE908ELNS1_3gpuE7ELNS1_3repE0EEENS1_30default_config_static_selectorELNS0_4arch9wavefront6targetE0EEEvSQ_
		.amdhsa_group_segment_fixed_size 0
		.amdhsa_private_segment_fixed_size 0
		.amdhsa_kernarg_size 56
		.amdhsa_user_sgpr_count 15
		.amdhsa_user_sgpr_dispatch_ptr 0
		.amdhsa_user_sgpr_queue_ptr 0
		.amdhsa_user_sgpr_kernarg_segment_ptr 1
		.amdhsa_user_sgpr_dispatch_id 0
		.amdhsa_user_sgpr_private_segment_size 0
		.amdhsa_wavefront_size32 1
		.amdhsa_uses_dynamic_stack 0
		.amdhsa_enable_private_segment 0
		.amdhsa_system_sgpr_workgroup_id_x 1
		.amdhsa_system_sgpr_workgroup_id_y 0
		.amdhsa_system_sgpr_workgroup_id_z 0
		.amdhsa_system_sgpr_workgroup_info 0
		.amdhsa_system_vgpr_workitem_id 0
		.amdhsa_next_free_vgpr 1
		.amdhsa_next_free_sgpr 1
		.amdhsa_reserve_vcc 0
		.amdhsa_float_round_mode_32 0
		.amdhsa_float_round_mode_16_64 0
		.amdhsa_float_denorm_mode_32 3
		.amdhsa_float_denorm_mode_16_64 3
		.amdhsa_dx10_clamp 1
		.amdhsa_ieee_mode 1
		.amdhsa_fp16_overflow 0
		.amdhsa_workgroup_processor_mode 1
		.amdhsa_memory_ordered 1
		.amdhsa_forward_progress 0
		.amdhsa_shared_vgpr_count 0
		.amdhsa_exception_fp_ieee_invalid_op 0
		.amdhsa_exception_fp_denorm_src 0
		.amdhsa_exception_fp_ieee_div_zero 0
		.amdhsa_exception_fp_ieee_overflow 0
		.amdhsa_exception_fp_ieee_underflow 0
		.amdhsa_exception_fp_ieee_inexact 0
		.amdhsa_exception_int_div_zero 0
	.end_amdhsa_kernel
	.section	.text._ZN7rocprim17ROCPRIM_400000_NS6detail17trampoline_kernelINS0_14default_configENS1_22reduce_config_selectorIiEEZNS1_11reduce_implILb1ES3_PiS7_iN6hipcub16HIPCUB_304000_NS6detail34convert_binary_result_type_wrapperINS9_3SumENS9_22TransformInputIteratorIbN2at6native12_GLOBAL__N_19NonZeroOpIlEEPKllEEiEEEE10hipError_tPvRmT1_T2_T3_mT4_P12ihipStream_tbEUlT_E0_NS1_11comp_targetILNS1_3genE3ELNS1_11target_archE908ELNS1_3gpuE7ELNS1_3repE0EEENS1_30default_config_static_selectorELNS0_4arch9wavefront6targetE0EEEvSQ_,"axG",@progbits,_ZN7rocprim17ROCPRIM_400000_NS6detail17trampoline_kernelINS0_14default_configENS1_22reduce_config_selectorIiEEZNS1_11reduce_implILb1ES3_PiS7_iN6hipcub16HIPCUB_304000_NS6detail34convert_binary_result_type_wrapperINS9_3SumENS9_22TransformInputIteratorIbN2at6native12_GLOBAL__N_19NonZeroOpIlEEPKllEEiEEEE10hipError_tPvRmT1_T2_T3_mT4_P12ihipStream_tbEUlT_E0_NS1_11comp_targetILNS1_3genE3ELNS1_11target_archE908ELNS1_3gpuE7ELNS1_3repE0EEENS1_30default_config_static_selectorELNS0_4arch9wavefront6targetE0EEEvSQ_,comdat
.Lfunc_end221:
	.size	_ZN7rocprim17ROCPRIM_400000_NS6detail17trampoline_kernelINS0_14default_configENS1_22reduce_config_selectorIiEEZNS1_11reduce_implILb1ES3_PiS7_iN6hipcub16HIPCUB_304000_NS6detail34convert_binary_result_type_wrapperINS9_3SumENS9_22TransformInputIteratorIbN2at6native12_GLOBAL__N_19NonZeroOpIlEEPKllEEiEEEE10hipError_tPvRmT1_T2_T3_mT4_P12ihipStream_tbEUlT_E0_NS1_11comp_targetILNS1_3genE3ELNS1_11target_archE908ELNS1_3gpuE7ELNS1_3repE0EEENS1_30default_config_static_selectorELNS0_4arch9wavefront6targetE0EEEvSQ_, .Lfunc_end221-_ZN7rocprim17ROCPRIM_400000_NS6detail17trampoline_kernelINS0_14default_configENS1_22reduce_config_selectorIiEEZNS1_11reduce_implILb1ES3_PiS7_iN6hipcub16HIPCUB_304000_NS6detail34convert_binary_result_type_wrapperINS9_3SumENS9_22TransformInputIteratorIbN2at6native12_GLOBAL__N_19NonZeroOpIlEEPKllEEiEEEE10hipError_tPvRmT1_T2_T3_mT4_P12ihipStream_tbEUlT_E0_NS1_11comp_targetILNS1_3genE3ELNS1_11target_archE908ELNS1_3gpuE7ELNS1_3repE0EEENS1_30default_config_static_selectorELNS0_4arch9wavefront6targetE0EEEvSQ_
                                        ; -- End function
	.section	.AMDGPU.csdata,"",@progbits
; Kernel info:
; codeLenInByte = 0
; NumSgprs: 0
; NumVgprs: 0
; ScratchSize: 0
; MemoryBound: 0
; FloatMode: 240
; IeeeMode: 1
; LDSByteSize: 0 bytes/workgroup (compile time only)
; SGPRBlocks: 0
; VGPRBlocks: 0
; NumSGPRsForWavesPerEU: 1
; NumVGPRsForWavesPerEU: 1
; Occupancy: 16
; WaveLimiterHint : 0
; COMPUTE_PGM_RSRC2:SCRATCH_EN: 0
; COMPUTE_PGM_RSRC2:USER_SGPR: 15
; COMPUTE_PGM_RSRC2:TRAP_HANDLER: 0
; COMPUTE_PGM_RSRC2:TGID_X_EN: 1
; COMPUTE_PGM_RSRC2:TGID_Y_EN: 0
; COMPUTE_PGM_RSRC2:TGID_Z_EN: 0
; COMPUTE_PGM_RSRC2:TIDIG_COMP_CNT: 0
	.section	.text._ZN7rocprim17ROCPRIM_400000_NS6detail17trampoline_kernelINS0_14default_configENS1_22reduce_config_selectorIiEEZNS1_11reduce_implILb1ES3_PiS7_iN6hipcub16HIPCUB_304000_NS6detail34convert_binary_result_type_wrapperINS9_3SumENS9_22TransformInputIteratorIbN2at6native12_GLOBAL__N_19NonZeroOpIlEEPKllEEiEEEE10hipError_tPvRmT1_T2_T3_mT4_P12ihipStream_tbEUlT_E0_NS1_11comp_targetILNS1_3genE2ELNS1_11target_archE906ELNS1_3gpuE6ELNS1_3repE0EEENS1_30default_config_static_selectorELNS0_4arch9wavefront6targetE0EEEvSQ_,"axG",@progbits,_ZN7rocprim17ROCPRIM_400000_NS6detail17trampoline_kernelINS0_14default_configENS1_22reduce_config_selectorIiEEZNS1_11reduce_implILb1ES3_PiS7_iN6hipcub16HIPCUB_304000_NS6detail34convert_binary_result_type_wrapperINS9_3SumENS9_22TransformInputIteratorIbN2at6native12_GLOBAL__N_19NonZeroOpIlEEPKllEEiEEEE10hipError_tPvRmT1_T2_T3_mT4_P12ihipStream_tbEUlT_E0_NS1_11comp_targetILNS1_3genE2ELNS1_11target_archE906ELNS1_3gpuE6ELNS1_3repE0EEENS1_30default_config_static_selectorELNS0_4arch9wavefront6targetE0EEEvSQ_,comdat
	.globl	_ZN7rocprim17ROCPRIM_400000_NS6detail17trampoline_kernelINS0_14default_configENS1_22reduce_config_selectorIiEEZNS1_11reduce_implILb1ES3_PiS7_iN6hipcub16HIPCUB_304000_NS6detail34convert_binary_result_type_wrapperINS9_3SumENS9_22TransformInputIteratorIbN2at6native12_GLOBAL__N_19NonZeroOpIlEEPKllEEiEEEE10hipError_tPvRmT1_T2_T3_mT4_P12ihipStream_tbEUlT_E0_NS1_11comp_targetILNS1_3genE2ELNS1_11target_archE906ELNS1_3gpuE6ELNS1_3repE0EEENS1_30default_config_static_selectorELNS0_4arch9wavefront6targetE0EEEvSQ_ ; -- Begin function _ZN7rocprim17ROCPRIM_400000_NS6detail17trampoline_kernelINS0_14default_configENS1_22reduce_config_selectorIiEEZNS1_11reduce_implILb1ES3_PiS7_iN6hipcub16HIPCUB_304000_NS6detail34convert_binary_result_type_wrapperINS9_3SumENS9_22TransformInputIteratorIbN2at6native12_GLOBAL__N_19NonZeroOpIlEEPKllEEiEEEE10hipError_tPvRmT1_T2_T3_mT4_P12ihipStream_tbEUlT_E0_NS1_11comp_targetILNS1_3genE2ELNS1_11target_archE906ELNS1_3gpuE6ELNS1_3repE0EEENS1_30default_config_static_selectorELNS0_4arch9wavefront6targetE0EEEvSQ_
	.p2align	8
	.type	_ZN7rocprim17ROCPRIM_400000_NS6detail17trampoline_kernelINS0_14default_configENS1_22reduce_config_selectorIiEEZNS1_11reduce_implILb1ES3_PiS7_iN6hipcub16HIPCUB_304000_NS6detail34convert_binary_result_type_wrapperINS9_3SumENS9_22TransformInputIteratorIbN2at6native12_GLOBAL__N_19NonZeroOpIlEEPKllEEiEEEE10hipError_tPvRmT1_T2_T3_mT4_P12ihipStream_tbEUlT_E0_NS1_11comp_targetILNS1_3genE2ELNS1_11target_archE906ELNS1_3gpuE6ELNS1_3repE0EEENS1_30default_config_static_selectorELNS0_4arch9wavefront6targetE0EEEvSQ_,@function
_ZN7rocprim17ROCPRIM_400000_NS6detail17trampoline_kernelINS0_14default_configENS1_22reduce_config_selectorIiEEZNS1_11reduce_implILb1ES3_PiS7_iN6hipcub16HIPCUB_304000_NS6detail34convert_binary_result_type_wrapperINS9_3SumENS9_22TransformInputIteratorIbN2at6native12_GLOBAL__N_19NonZeroOpIlEEPKllEEiEEEE10hipError_tPvRmT1_T2_T3_mT4_P12ihipStream_tbEUlT_E0_NS1_11comp_targetILNS1_3genE2ELNS1_11target_archE906ELNS1_3gpuE6ELNS1_3repE0EEENS1_30default_config_static_selectorELNS0_4arch9wavefront6targetE0EEEvSQ_: ; @_ZN7rocprim17ROCPRIM_400000_NS6detail17trampoline_kernelINS0_14default_configENS1_22reduce_config_selectorIiEEZNS1_11reduce_implILb1ES3_PiS7_iN6hipcub16HIPCUB_304000_NS6detail34convert_binary_result_type_wrapperINS9_3SumENS9_22TransformInputIteratorIbN2at6native12_GLOBAL__N_19NonZeroOpIlEEPKllEEiEEEE10hipError_tPvRmT1_T2_T3_mT4_P12ihipStream_tbEUlT_E0_NS1_11comp_targetILNS1_3genE2ELNS1_11target_archE906ELNS1_3gpuE6ELNS1_3repE0EEENS1_30default_config_static_selectorELNS0_4arch9wavefront6targetE0EEEvSQ_
; %bb.0:
	.section	.rodata,"a",@progbits
	.p2align	6, 0x0
	.amdhsa_kernel _ZN7rocprim17ROCPRIM_400000_NS6detail17trampoline_kernelINS0_14default_configENS1_22reduce_config_selectorIiEEZNS1_11reduce_implILb1ES3_PiS7_iN6hipcub16HIPCUB_304000_NS6detail34convert_binary_result_type_wrapperINS9_3SumENS9_22TransformInputIteratorIbN2at6native12_GLOBAL__N_19NonZeroOpIlEEPKllEEiEEEE10hipError_tPvRmT1_T2_T3_mT4_P12ihipStream_tbEUlT_E0_NS1_11comp_targetILNS1_3genE2ELNS1_11target_archE906ELNS1_3gpuE6ELNS1_3repE0EEENS1_30default_config_static_selectorELNS0_4arch9wavefront6targetE0EEEvSQ_
		.amdhsa_group_segment_fixed_size 0
		.amdhsa_private_segment_fixed_size 0
		.amdhsa_kernarg_size 56
		.amdhsa_user_sgpr_count 15
		.amdhsa_user_sgpr_dispatch_ptr 0
		.amdhsa_user_sgpr_queue_ptr 0
		.amdhsa_user_sgpr_kernarg_segment_ptr 1
		.amdhsa_user_sgpr_dispatch_id 0
		.amdhsa_user_sgpr_private_segment_size 0
		.amdhsa_wavefront_size32 1
		.amdhsa_uses_dynamic_stack 0
		.amdhsa_enable_private_segment 0
		.amdhsa_system_sgpr_workgroup_id_x 1
		.amdhsa_system_sgpr_workgroup_id_y 0
		.amdhsa_system_sgpr_workgroup_id_z 0
		.amdhsa_system_sgpr_workgroup_info 0
		.amdhsa_system_vgpr_workitem_id 0
		.amdhsa_next_free_vgpr 1
		.amdhsa_next_free_sgpr 1
		.amdhsa_reserve_vcc 0
		.amdhsa_float_round_mode_32 0
		.amdhsa_float_round_mode_16_64 0
		.amdhsa_float_denorm_mode_32 3
		.amdhsa_float_denorm_mode_16_64 3
		.amdhsa_dx10_clamp 1
		.amdhsa_ieee_mode 1
		.amdhsa_fp16_overflow 0
		.amdhsa_workgroup_processor_mode 1
		.amdhsa_memory_ordered 1
		.amdhsa_forward_progress 0
		.amdhsa_shared_vgpr_count 0
		.amdhsa_exception_fp_ieee_invalid_op 0
		.amdhsa_exception_fp_denorm_src 0
		.amdhsa_exception_fp_ieee_div_zero 0
		.amdhsa_exception_fp_ieee_overflow 0
		.amdhsa_exception_fp_ieee_underflow 0
		.amdhsa_exception_fp_ieee_inexact 0
		.amdhsa_exception_int_div_zero 0
	.end_amdhsa_kernel
	.section	.text._ZN7rocprim17ROCPRIM_400000_NS6detail17trampoline_kernelINS0_14default_configENS1_22reduce_config_selectorIiEEZNS1_11reduce_implILb1ES3_PiS7_iN6hipcub16HIPCUB_304000_NS6detail34convert_binary_result_type_wrapperINS9_3SumENS9_22TransformInputIteratorIbN2at6native12_GLOBAL__N_19NonZeroOpIlEEPKllEEiEEEE10hipError_tPvRmT1_T2_T3_mT4_P12ihipStream_tbEUlT_E0_NS1_11comp_targetILNS1_3genE2ELNS1_11target_archE906ELNS1_3gpuE6ELNS1_3repE0EEENS1_30default_config_static_selectorELNS0_4arch9wavefront6targetE0EEEvSQ_,"axG",@progbits,_ZN7rocprim17ROCPRIM_400000_NS6detail17trampoline_kernelINS0_14default_configENS1_22reduce_config_selectorIiEEZNS1_11reduce_implILb1ES3_PiS7_iN6hipcub16HIPCUB_304000_NS6detail34convert_binary_result_type_wrapperINS9_3SumENS9_22TransformInputIteratorIbN2at6native12_GLOBAL__N_19NonZeroOpIlEEPKllEEiEEEE10hipError_tPvRmT1_T2_T3_mT4_P12ihipStream_tbEUlT_E0_NS1_11comp_targetILNS1_3genE2ELNS1_11target_archE906ELNS1_3gpuE6ELNS1_3repE0EEENS1_30default_config_static_selectorELNS0_4arch9wavefront6targetE0EEEvSQ_,comdat
.Lfunc_end222:
	.size	_ZN7rocprim17ROCPRIM_400000_NS6detail17trampoline_kernelINS0_14default_configENS1_22reduce_config_selectorIiEEZNS1_11reduce_implILb1ES3_PiS7_iN6hipcub16HIPCUB_304000_NS6detail34convert_binary_result_type_wrapperINS9_3SumENS9_22TransformInputIteratorIbN2at6native12_GLOBAL__N_19NonZeroOpIlEEPKllEEiEEEE10hipError_tPvRmT1_T2_T3_mT4_P12ihipStream_tbEUlT_E0_NS1_11comp_targetILNS1_3genE2ELNS1_11target_archE906ELNS1_3gpuE6ELNS1_3repE0EEENS1_30default_config_static_selectorELNS0_4arch9wavefront6targetE0EEEvSQ_, .Lfunc_end222-_ZN7rocprim17ROCPRIM_400000_NS6detail17trampoline_kernelINS0_14default_configENS1_22reduce_config_selectorIiEEZNS1_11reduce_implILb1ES3_PiS7_iN6hipcub16HIPCUB_304000_NS6detail34convert_binary_result_type_wrapperINS9_3SumENS9_22TransformInputIteratorIbN2at6native12_GLOBAL__N_19NonZeroOpIlEEPKllEEiEEEE10hipError_tPvRmT1_T2_T3_mT4_P12ihipStream_tbEUlT_E0_NS1_11comp_targetILNS1_3genE2ELNS1_11target_archE906ELNS1_3gpuE6ELNS1_3repE0EEENS1_30default_config_static_selectorELNS0_4arch9wavefront6targetE0EEEvSQ_
                                        ; -- End function
	.section	.AMDGPU.csdata,"",@progbits
; Kernel info:
; codeLenInByte = 0
; NumSgprs: 0
; NumVgprs: 0
; ScratchSize: 0
; MemoryBound: 0
; FloatMode: 240
; IeeeMode: 1
; LDSByteSize: 0 bytes/workgroup (compile time only)
; SGPRBlocks: 0
; VGPRBlocks: 0
; NumSGPRsForWavesPerEU: 1
; NumVGPRsForWavesPerEU: 1
; Occupancy: 16
; WaveLimiterHint : 0
; COMPUTE_PGM_RSRC2:SCRATCH_EN: 0
; COMPUTE_PGM_RSRC2:USER_SGPR: 15
; COMPUTE_PGM_RSRC2:TRAP_HANDLER: 0
; COMPUTE_PGM_RSRC2:TGID_X_EN: 1
; COMPUTE_PGM_RSRC2:TGID_Y_EN: 0
; COMPUTE_PGM_RSRC2:TGID_Z_EN: 0
; COMPUTE_PGM_RSRC2:TIDIG_COMP_CNT: 0
	.section	.text._ZN7rocprim17ROCPRIM_400000_NS6detail17trampoline_kernelINS0_14default_configENS1_22reduce_config_selectorIiEEZNS1_11reduce_implILb1ES3_PiS7_iN6hipcub16HIPCUB_304000_NS6detail34convert_binary_result_type_wrapperINS9_3SumENS9_22TransformInputIteratorIbN2at6native12_GLOBAL__N_19NonZeroOpIlEEPKllEEiEEEE10hipError_tPvRmT1_T2_T3_mT4_P12ihipStream_tbEUlT_E0_NS1_11comp_targetILNS1_3genE10ELNS1_11target_archE1201ELNS1_3gpuE5ELNS1_3repE0EEENS1_30default_config_static_selectorELNS0_4arch9wavefront6targetE0EEEvSQ_,"axG",@progbits,_ZN7rocprim17ROCPRIM_400000_NS6detail17trampoline_kernelINS0_14default_configENS1_22reduce_config_selectorIiEEZNS1_11reduce_implILb1ES3_PiS7_iN6hipcub16HIPCUB_304000_NS6detail34convert_binary_result_type_wrapperINS9_3SumENS9_22TransformInputIteratorIbN2at6native12_GLOBAL__N_19NonZeroOpIlEEPKllEEiEEEE10hipError_tPvRmT1_T2_T3_mT4_P12ihipStream_tbEUlT_E0_NS1_11comp_targetILNS1_3genE10ELNS1_11target_archE1201ELNS1_3gpuE5ELNS1_3repE0EEENS1_30default_config_static_selectorELNS0_4arch9wavefront6targetE0EEEvSQ_,comdat
	.globl	_ZN7rocprim17ROCPRIM_400000_NS6detail17trampoline_kernelINS0_14default_configENS1_22reduce_config_selectorIiEEZNS1_11reduce_implILb1ES3_PiS7_iN6hipcub16HIPCUB_304000_NS6detail34convert_binary_result_type_wrapperINS9_3SumENS9_22TransformInputIteratorIbN2at6native12_GLOBAL__N_19NonZeroOpIlEEPKllEEiEEEE10hipError_tPvRmT1_T2_T3_mT4_P12ihipStream_tbEUlT_E0_NS1_11comp_targetILNS1_3genE10ELNS1_11target_archE1201ELNS1_3gpuE5ELNS1_3repE0EEENS1_30default_config_static_selectorELNS0_4arch9wavefront6targetE0EEEvSQ_ ; -- Begin function _ZN7rocprim17ROCPRIM_400000_NS6detail17trampoline_kernelINS0_14default_configENS1_22reduce_config_selectorIiEEZNS1_11reduce_implILb1ES3_PiS7_iN6hipcub16HIPCUB_304000_NS6detail34convert_binary_result_type_wrapperINS9_3SumENS9_22TransformInputIteratorIbN2at6native12_GLOBAL__N_19NonZeroOpIlEEPKllEEiEEEE10hipError_tPvRmT1_T2_T3_mT4_P12ihipStream_tbEUlT_E0_NS1_11comp_targetILNS1_3genE10ELNS1_11target_archE1201ELNS1_3gpuE5ELNS1_3repE0EEENS1_30default_config_static_selectorELNS0_4arch9wavefront6targetE0EEEvSQ_
	.p2align	8
	.type	_ZN7rocprim17ROCPRIM_400000_NS6detail17trampoline_kernelINS0_14default_configENS1_22reduce_config_selectorIiEEZNS1_11reduce_implILb1ES3_PiS7_iN6hipcub16HIPCUB_304000_NS6detail34convert_binary_result_type_wrapperINS9_3SumENS9_22TransformInputIteratorIbN2at6native12_GLOBAL__N_19NonZeroOpIlEEPKllEEiEEEE10hipError_tPvRmT1_T2_T3_mT4_P12ihipStream_tbEUlT_E0_NS1_11comp_targetILNS1_3genE10ELNS1_11target_archE1201ELNS1_3gpuE5ELNS1_3repE0EEENS1_30default_config_static_selectorELNS0_4arch9wavefront6targetE0EEEvSQ_,@function
_ZN7rocprim17ROCPRIM_400000_NS6detail17trampoline_kernelINS0_14default_configENS1_22reduce_config_selectorIiEEZNS1_11reduce_implILb1ES3_PiS7_iN6hipcub16HIPCUB_304000_NS6detail34convert_binary_result_type_wrapperINS9_3SumENS9_22TransformInputIteratorIbN2at6native12_GLOBAL__N_19NonZeroOpIlEEPKllEEiEEEE10hipError_tPvRmT1_T2_T3_mT4_P12ihipStream_tbEUlT_E0_NS1_11comp_targetILNS1_3genE10ELNS1_11target_archE1201ELNS1_3gpuE5ELNS1_3repE0EEENS1_30default_config_static_selectorELNS0_4arch9wavefront6targetE0EEEvSQ_: ; @_ZN7rocprim17ROCPRIM_400000_NS6detail17trampoline_kernelINS0_14default_configENS1_22reduce_config_selectorIiEEZNS1_11reduce_implILb1ES3_PiS7_iN6hipcub16HIPCUB_304000_NS6detail34convert_binary_result_type_wrapperINS9_3SumENS9_22TransformInputIteratorIbN2at6native12_GLOBAL__N_19NonZeroOpIlEEPKllEEiEEEE10hipError_tPvRmT1_T2_T3_mT4_P12ihipStream_tbEUlT_E0_NS1_11comp_targetILNS1_3genE10ELNS1_11target_archE1201ELNS1_3gpuE5ELNS1_3repE0EEENS1_30default_config_static_selectorELNS0_4arch9wavefront6targetE0EEEvSQ_
; %bb.0:
	.section	.rodata,"a",@progbits
	.p2align	6, 0x0
	.amdhsa_kernel _ZN7rocprim17ROCPRIM_400000_NS6detail17trampoline_kernelINS0_14default_configENS1_22reduce_config_selectorIiEEZNS1_11reduce_implILb1ES3_PiS7_iN6hipcub16HIPCUB_304000_NS6detail34convert_binary_result_type_wrapperINS9_3SumENS9_22TransformInputIteratorIbN2at6native12_GLOBAL__N_19NonZeroOpIlEEPKllEEiEEEE10hipError_tPvRmT1_T2_T3_mT4_P12ihipStream_tbEUlT_E0_NS1_11comp_targetILNS1_3genE10ELNS1_11target_archE1201ELNS1_3gpuE5ELNS1_3repE0EEENS1_30default_config_static_selectorELNS0_4arch9wavefront6targetE0EEEvSQ_
		.amdhsa_group_segment_fixed_size 0
		.amdhsa_private_segment_fixed_size 0
		.amdhsa_kernarg_size 56
		.amdhsa_user_sgpr_count 15
		.amdhsa_user_sgpr_dispatch_ptr 0
		.amdhsa_user_sgpr_queue_ptr 0
		.amdhsa_user_sgpr_kernarg_segment_ptr 1
		.amdhsa_user_sgpr_dispatch_id 0
		.amdhsa_user_sgpr_private_segment_size 0
		.amdhsa_wavefront_size32 1
		.amdhsa_uses_dynamic_stack 0
		.amdhsa_enable_private_segment 0
		.amdhsa_system_sgpr_workgroup_id_x 1
		.amdhsa_system_sgpr_workgroup_id_y 0
		.amdhsa_system_sgpr_workgroup_id_z 0
		.amdhsa_system_sgpr_workgroup_info 0
		.amdhsa_system_vgpr_workitem_id 0
		.amdhsa_next_free_vgpr 1
		.amdhsa_next_free_sgpr 1
		.amdhsa_reserve_vcc 0
		.amdhsa_float_round_mode_32 0
		.amdhsa_float_round_mode_16_64 0
		.amdhsa_float_denorm_mode_32 3
		.amdhsa_float_denorm_mode_16_64 3
		.amdhsa_dx10_clamp 1
		.amdhsa_ieee_mode 1
		.amdhsa_fp16_overflow 0
		.amdhsa_workgroup_processor_mode 1
		.amdhsa_memory_ordered 1
		.amdhsa_forward_progress 0
		.amdhsa_shared_vgpr_count 0
		.amdhsa_exception_fp_ieee_invalid_op 0
		.amdhsa_exception_fp_denorm_src 0
		.amdhsa_exception_fp_ieee_div_zero 0
		.amdhsa_exception_fp_ieee_overflow 0
		.amdhsa_exception_fp_ieee_underflow 0
		.amdhsa_exception_fp_ieee_inexact 0
		.amdhsa_exception_int_div_zero 0
	.end_amdhsa_kernel
	.section	.text._ZN7rocprim17ROCPRIM_400000_NS6detail17trampoline_kernelINS0_14default_configENS1_22reduce_config_selectorIiEEZNS1_11reduce_implILb1ES3_PiS7_iN6hipcub16HIPCUB_304000_NS6detail34convert_binary_result_type_wrapperINS9_3SumENS9_22TransformInputIteratorIbN2at6native12_GLOBAL__N_19NonZeroOpIlEEPKllEEiEEEE10hipError_tPvRmT1_T2_T3_mT4_P12ihipStream_tbEUlT_E0_NS1_11comp_targetILNS1_3genE10ELNS1_11target_archE1201ELNS1_3gpuE5ELNS1_3repE0EEENS1_30default_config_static_selectorELNS0_4arch9wavefront6targetE0EEEvSQ_,"axG",@progbits,_ZN7rocprim17ROCPRIM_400000_NS6detail17trampoline_kernelINS0_14default_configENS1_22reduce_config_selectorIiEEZNS1_11reduce_implILb1ES3_PiS7_iN6hipcub16HIPCUB_304000_NS6detail34convert_binary_result_type_wrapperINS9_3SumENS9_22TransformInputIteratorIbN2at6native12_GLOBAL__N_19NonZeroOpIlEEPKllEEiEEEE10hipError_tPvRmT1_T2_T3_mT4_P12ihipStream_tbEUlT_E0_NS1_11comp_targetILNS1_3genE10ELNS1_11target_archE1201ELNS1_3gpuE5ELNS1_3repE0EEENS1_30default_config_static_selectorELNS0_4arch9wavefront6targetE0EEEvSQ_,comdat
.Lfunc_end223:
	.size	_ZN7rocprim17ROCPRIM_400000_NS6detail17trampoline_kernelINS0_14default_configENS1_22reduce_config_selectorIiEEZNS1_11reduce_implILb1ES3_PiS7_iN6hipcub16HIPCUB_304000_NS6detail34convert_binary_result_type_wrapperINS9_3SumENS9_22TransformInputIteratorIbN2at6native12_GLOBAL__N_19NonZeroOpIlEEPKllEEiEEEE10hipError_tPvRmT1_T2_T3_mT4_P12ihipStream_tbEUlT_E0_NS1_11comp_targetILNS1_3genE10ELNS1_11target_archE1201ELNS1_3gpuE5ELNS1_3repE0EEENS1_30default_config_static_selectorELNS0_4arch9wavefront6targetE0EEEvSQ_, .Lfunc_end223-_ZN7rocprim17ROCPRIM_400000_NS6detail17trampoline_kernelINS0_14default_configENS1_22reduce_config_selectorIiEEZNS1_11reduce_implILb1ES3_PiS7_iN6hipcub16HIPCUB_304000_NS6detail34convert_binary_result_type_wrapperINS9_3SumENS9_22TransformInputIteratorIbN2at6native12_GLOBAL__N_19NonZeroOpIlEEPKllEEiEEEE10hipError_tPvRmT1_T2_T3_mT4_P12ihipStream_tbEUlT_E0_NS1_11comp_targetILNS1_3genE10ELNS1_11target_archE1201ELNS1_3gpuE5ELNS1_3repE0EEENS1_30default_config_static_selectorELNS0_4arch9wavefront6targetE0EEEvSQ_
                                        ; -- End function
	.section	.AMDGPU.csdata,"",@progbits
; Kernel info:
; codeLenInByte = 0
; NumSgprs: 0
; NumVgprs: 0
; ScratchSize: 0
; MemoryBound: 0
; FloatMode: 240
; IeeeMode: 1
; LDSByteSize: 0 bytes/workgroup (compile time only)
; SGPRBlocks: 0
; VGPRBlocks: 0
; NumSGPRsForWavesPerEU: 1
; NumVGPRsForWavesPerEU: 1
; Occupancy: 16
; WaveLimiterHint : 0
; COMPUTE_PGM_RSRC2:SCRATCH_EN: 0
; COMPUTE_PGM_RSRC2:USER_SGPR: 15
; COMPUTE_PGM_RSRC2:TRAP_HANDLER: 0
; COMPUTE_PGM_RSRC2:TGID_X_EN: 1
; COMPUTE_PGM_RSRC2:TGID_Y_EN: 0
; COMPUTE_PGM_RSRC2:TGID_Z_EN: 0
; COMPUTE_PGM_RSRC2:TIDIG_COMP_CNT: 0
	.section	.text._ZN7rocprim17ROCPRIM_400000_NS6detail17trampoline_kernelINS0_14default_configENS1_22reduce_config_selectorIiEEZNS1_11reduce_implILb1ES3_PiS7_iN6hipcub16HIPCUB_304000_NS6detail34convert_binary_result_type_wrapperINS9_3SumENS9_22TransformInputIteratorIbN2at6native12_GLOBAL__N_19NonZeroOpIlEEPKllEEiEEEE10hipError_tPvRmT1_T2_T3_mT4_P12ihipStream_tbEUlT_E0_NS1_11comp_targetILNS1_3genE10ELNS1_11target_archE1200ELNS1_3gpuE4ELNS1_3repE0EEENS1_30default_config_static_selectorELNS0_4arch9wavefront6targetE0EEEvSQ_,"axG",@progbits,_ZN7rocprim17ROCPRIM_400000_NS6detail17trampoline_kernelINS0_14default_configENS1_22reduce_config_selectorIiEEZNS1_11reduce_implILb1ES3_PiS7_iN6hipcub16HIPCUB_304000_NS6detail34convert_binary_result_type_wrapperINS9_3SumENS9_22TransformInputIteratorIbN2at6native12_GLOBAL__N_19NonZeroOpIlEEPKllEEiEEEE10hipError_tPvRmT1_T2_T3_mT4_P12ihipStream_tbEUlT_E0_NS1_11comp_targetILNS1_3genE10ELNS1_11target_archE1200ELNS1_3gpuE4ELNS1_3repE0EEENS1_30default_config_static_selectorELNS0_4arch9wavefront6targetE0EEEvSQ_,comdat
	.globl	_ZN7rocprim17ROCPRIM_400000_NS6detail17trampoline_kernelINS0_14default_configENS1_22reduce_config_selectorIiEEZNS1_11reduce_implILb1ES3_PiS7_iN6hipcub16HIPCUB_304000_NS6detail34convert_binary_result_type_wrapperINS9_3SumENS9_22TransformInputIteratorIbN2at6native12_GLOBAL__N_19NonZeroOpIlEEPKllEEiEEEE10hipError_tPvRmT1_T2_T3_mT4_P12ihipStream_tbEUlT_E0_NS1_11comp_targetILNS1_3genE10ELNS1_11target_archE1200ELNS1_3gpuE4ELNS1_3repE0EEENS1_30default_config_static_selectorELNS0_4arch9wavefront6targetE0EEEvSQ_ ; -- Begin function _ZN7rocprim17ROCPRIM_400000_NS6detail17trampoline_kernelINS0_14default_configENS1_22reduce_config_selectorIiEEZNS1_11reduce_implILb1ES3_PiS7_iN6hipcub16HIPCUB_304000_NS6detail34convert_binary_result_type_wrapperINS9_3SumENS9_22TransformInputIteratorIbN2at6native12_GLOBAL__N_19NonZeroOpIlEEPKllEEiEEEE10hipError_tPvRmT1_T2_T3_mT4_P12ihipStream_tbEUlT_E0_NS1_11comp_targetILNS1_3genE10ELNS1_11target_archE1200ELNS1_3gpuE4ELNS1_3repE0EEENS1_30default_config_static_selectorELNS0_4arch9wavefront6targetE0EEEvSQ_
	.p2align	8
	.type	_ZN7rocprim17ROCPRIM_400000_NS6detail17trampoline_kernelINS0_14default_configENS1_22reduce_config_selectorIiEEZNS1_11reduce_implILb1ES3_PiS7_iN6hipcub16HIPCUB_304000_NS6detail34convert_binary_result_type_wrapperINS9_3SumENS9_22TransformInputIteratorIbN2at6native12_GLOBAL__N_19NonZeroOpIlEEPKllEEiEEEE10hipError_tPvRmT1_T2_T3_mT4_P12ihipStream_tbEUlT_E0_NS1_11comp_targetILNS1_3genE10ELNS1_11target_archE1200ELNS1_3gpuE4ELNS1_3repE0EEENS1_30default_config_static_selectorELNS0_4arch9wavefront6targetE0EEEvSQ_,@function
_ZN7rocprim17ROCPRIM_400000_NS6detail17trampoline_kernelINS0_14default_configENS1_22reduce_config_selectorIiEEZNS1_11reduce_implILb1ES3_PiS7_iN6hipcub16HIPCUB_304000_NS6detail34convert_binary_result_type_wrapperINS9_3SumENS9_22TransformInputIteratorIbN2at6native12_GLOBAL__N_19NonZeroOpIlEEPKllEEiEEEE10hipError_tPvRmT1_T2_T3_mT4_P12ihipStream_tbEUlT_E0_NS1_11comp_targetILNS1_3genE10ELNS1_11target_archE1200ELNS1_3gpuE4ELNS1_3repE0EEENS1_30default_config_static_selectorELNS0_4arch9wavefront6targetE0EEEvSQ_: ; @_ZN7rocprim17ROCPRIM_400000_NS6detail17trampoline_kernelINS0_14default_configENS1_22reduce_config_selectorIiEEZNS1_11reduce_implILb1ES3_PiS7_iN6hipcub16HIPCUB_304000_NS6detail34convert_binary_result_type_wrapperINS9_3SumENS9_22TransformInputIteratorIbN2at6native12_GLOBAL__N_19NonZeroOpIlEEPKllEEiEEEE10hipError_tPvRmT1_T2_T3_mT4_P12ihipStream_tbEUlT_E0_NS1_11comp_targetILNS1_3genE10ELNS1_11target_archE1200ELNS1_3gpuE4ELNS1_3repE0EEENS1_30default_config_static_selectorELNS0_4arch9wavefront6targetE0EEEvSQ_
; %bb.0:
	.section	.rodata,"a",@progbits
	.p2align	6, 0x0
	.amdhsa_kernel _ZN7rocprim17ROCPRIM_400000_NS6detail17trampoline_kernelINS0_14default_configENS1_22reduce_config_selectorIiEEZNS1_11reduce_implILb1ES3_PiS7_iN6hipcub16HIPCUB_304000_NS6detail34convert_binary_result_type_wrapperINS9_3SumENS9_22TransformInputIteratorIbN2at6native12_GLOBAL__N_19NonZeroOpIlEEPKllEEiEEEE10hipError_tPvRmT1_T2_T3_mT4_P12ihipStream_tbEUlT_E0_NS1_11comp_targetILNS1_3genE10ELNS1_11target_archE1200ELNS1_3gpuE4ELNS1_3repE0EEENS1_30default_config_static_selectorELNS0_4arch9wavefront6targetE0EEEvSQ_
		.amdhsa_group_segment_fixed_size 0
		.amdhsa_private_segment_fixed_size 0
		.amdhsa_kernarg_size 56
		.amdhsa_user_sgpr_count 15
		.amdhsa_user_sgpr_dispatch_ptr 0
		.amdhsa_user_sgpr_queue_ptr 0
		.amdhsa_user_sgpr_kernarg_segment_ptr 1
		.amdhsa_user_sgpr_dispatch_id 0
		.amdhsa_user_sgpr_private_segment_size 0
		.amdhsa_wavefront_size32 1
		.amdhsa_uses_dynamic_stack 0
		.amdhsa_enable_private_segment 0
		.amdhsa_system_sgpr_workgroup_id_x 1
		.amdhsa_system_sgpr_workgroup_id_y 0
		.amdhsa_system_sgpr_workgroup_id_z 0
		.amdhsa_system_sgpr_workgroup_info 0
		.amdhsa_system_vgpr_workitem_id 0
		.amdhsa_next_free_vgpr 1
		.amdhsa_next_free_sgpr 1
		.amdhsa_reserve_vcc 0
		.amdhsa_float_round_mode_32 0
		.amdhsa_float_round_mode_16_64 0
		.amdhsa_float_denorm_mode_32 3
		.amdhsa_float_denorm_mode_16_64 3
		.amdhsa_dx10_clamp 1
		.amdhsa_ieee_mode 1
		.amdhsa_fp16_overflow 0
		.amdhsa_workgroup_processor_mode 1
		.amdhsa_memory_ordered 1
		.amdhsa_forward_progress 0
		.amdhsa_shared_vgpr_count 0
		.amdhsa_exception_fp_ieee_invalid_op 0
		.amdhsa_exception_fp_denorm_src 0
		.amdhsa_exception_fp_ieee_div_zero 0
		.amdhsa_exception_fp_ieee_overflow 0
		.amdhsa_exception_fp_ieee_underflow 0
		.amdhsa_exception_fp_ieee_inexact 0
		.amdhsa_exception_int_div_zero 0
	.end_amdhsa_kernel
	.section	.text._ZN7rocprim17ROCPRIM_400000_NS6detail17trampoline_kernelINS0_14default_configENS1_22reduce_config_selectorIiEEZNS1_11reduce_implILb1ES3_PiS7_iN6hipcub16HIPCUB_304000_NS6detail34convert_binary_result_type_wrapperINS9_3SumENS9_22TransformInputIteratorIbN2at6native12_GLOBAL__N_19NonZeroOpIlEEPKllEEiEEEE10hipError_tPvRmT1_T2_T3_mT4_P12ihipStream_tbEUlT_E0_NS1_11comp_targetILNS1_3genE10ELNS1_11target_archE1200ELNS1_3gpuE4ELNS1_3repE0EEENS1_30default_config_static_selectorELNS0_4arch9wavefront6targetE0EEEvSQ_,"axG",@progbits,_ZN7rocprim17ROCPRIM_400000_NS6detail17trampoline_kernelINS0_14default_configENS1_22reduce_config_selectorIiEEZNS1_11reduce_implILb1ES3_PiS7_iN6hipcub16HIPCUB_304000_NS6detail34convert_binary_result_type_wrapperINS9_3SumENS9_22TransformInputIteratorIbN2at6native12_GLOBAL__N_19NonZeroOpIlEEPKllEEiEEEE10hipError_tPvRmT1_T2_T3_mT4_P12ihipStream_tbEUlT_E0_NS1_11comp_targetILNS1_3genE10ELNS1_11target_archE1200ELNS1_3gpuE4ELNS1_3repE0EEENS1_30default_config_static_selectorELNS0_4arch9wavefront6targetE0EEEvSQ_,comdat
.Lfunc_end224:
	.size	_ZN7rocprim17ROCPRIM_400000_NS6detail17trampoline_kernelINS0_14default_configENS1_22reduce_config_selectorIiEEZNS1_11reduce_implILb1ES3_PiS7_iN6hipcub16HIPCUB_304000_NS6detail34convert_binary_result_type_wrapperINS9_3SumENS9_22TransformInputIteratorIbN2at6native12_GLOBAL__N_19NonZeroOpIlEEPKllEEiEEEE10hipError_tPvRmT1_T2_T3_mT4_P12ihipStream_tbEUlT_E0_NS1_11comp_targetILNS1_3genE10ELNS1_11target_archE1200ELNS1_3gpuE4ELNS1_3repE0EEENS1_30default_config_static_selectorELNS0_4arch9wavefront6targetE0EEEvSQ_, .Lfunc_end224-_ZN7rocprim17ROCPRIM_400000_NS6detail17trampoline_kernelINS0_14default_configENS1_22reduce_config_selectorIiEEZNS1_11reduce_implILb1ES3_PiS7_iN6hipcub16HIPCUB_304000_NS6detail34convert_binary_result_type_wrapperINS9_3SumENS9_22TransformInputIteratorIbN2at6native12_GLOBAL__N_19NonZeroOpIlEEPKllEEiEEEE10hipError_tPvRmT1_T2_T3_mT4_P12ihipStream_tbEUlT_E0_NS1_11comp_targetILNS1_3genE10ELNS1_11target_archE1200ELNS1_3gpuE4ELNS1_3repE0EEENS1_30default_config_static_selectorELNS0_4arch9wavefront6targetE0EEEvSQ_
                                        ; -- End function
	.section	.AMDGPU.csdata,"",@progbits
; Kernel info:
; codeLenInByte = 0
; NumSgprs: 0
; NumVgprs: 0
; ScratchSize: 0
; MemoryBound: 0
; FloatMode: 240
; IeeeMode: 1
; LDSByteSize: 0 bytes/workgroup (compile time only)
; SGPRBlocks: 0
; VGPRBlocks: 0
; NumSGPRsForWavesPerEU: 1
; NumVGPRsForWavesPerEU: 1
; Occupancy: 16
; WaveLimiterHint : 0
; COMPUTE_PGM_RSRC2:SCRATCH_EN: 0
; COMPUTE_PGM_RSRC2:USER_SGPR: 15
; COMPUTE_PGM_RSRC2:TRAP_HANDLER: 0
; COMPUTE_PGM_RSRC2:TGID_X_EN: 1
; COMPUTE_PGM_RSRC2:TGID_Y_EN: 0
; COMPUTE_PGM_RSRC2:TGID_Z_EN: 0
; COMPUTE_PGM_RSRC2:TIDIG_COMP_CNT: 0
	.section	.text._ZN7rocprim17ROCPRIM_400000_NS6detail17trampoline_kernelINS0_14default_configENS1_22reduce_config_selectorIiEEZNS1_11reduce_implILb1ES3_PiS7_iN6hipcub16HIPCUB_304000_NS6detail34convert_binary_result_type_wrapperINS9_3SumENS9_22TransformInputIteratorIbN2at6native12_GLOBAL__N_19NonZeroOpIlEEPKllEEiEEEE10hipError_tPvRmT1_T2_T3_mT4_P12ihipStream_tbEUlT_E0_NS1_11comp_targetILNS1_3genE9ELNS1_11target_archE1100ELNS1_3gpuE3ELNS1_3repE0EEENS1_30default_config_static_selectorELNS0_4arch9wavefront6targetE0EEEvSQ_,"axG",@progbits,_ZN7rocprim17ROCPRIM_400000_NS6detail17trampoline_kernelINS0_14default_configENS1_22reduce_config_selectorIiEEZNS1_11reduce_implILb1ES3_PiS7_iN6hipcub16HIPCUB_304000_NS6detail34convert_binary_result_type_wrapperINS9_3SumENS9_22TransformInputIteratorIbN2at6native12_GLOBAL__N_19NonZeroOpIlEEPKllEEiEEEE10hipError_tPvRmT1_T2_T3_mT4_P12ihipStream_tbEUlT_E0_NS1_11comp_targetILNS1_3genE9ELNS1_11target_archE1100ELNS1_3gpuE3ELNS1_3repE0EEENS1_30default_config_static_selectorELNS0_4arch9wavefront6targetE0EEEvSQ_,comdat
	.globl	_ZN7rocprim17ROCPRIM_400000_NS6detail17trampoline_kernelINS0_14default_configENS1_22reduce_config_selectorIiEEZNS1_11reduce_implILb1ES3_PiS7_iN6hipcub16HIPCUB_304000_NS6detail34convert_binary_result_type_wrapperINS9_3SumENS9_22TransformInputIteratorIbN2at6native12_GLOBAL__N_19NonZeroOpIlEEPKllEEiEEEE10hipError_tPvRmT1_T2_T3_mT4_P12ihipStream_tbEUlT_E0_NS1_11comp_targetILNS1_3genE9ELNS1_11target_archE1100ELNS1_3gpuE3ELNS1_3repE0EEENS1_30default_config_static_selectorELNS0_4arch9wavefront6targetE0EEEvSQ_ ; -- Begin function _ZN7rocprim17ROCPRIM_400000_NS6detail17trampoline_kernelINS0_14default_configENS1_22reduce_config_selectorIiEEZNS1_11reduce_implILb1ES3_PiS7_iN6hipcub16HIPCUB_304000_NS6detail34convert_binary_result_type_wrapperINS9_3SumENS9_22TransformInputIteratorIbN2at6native12_GLOBAL__N_19NonZeroOpIlEEPKllEEiEEEE10hipError_tPvRmT1_T2_T3_mT4_P12ihipStream_tbEUlT_E0_NS1_11comp_targetILNS1_3genE9ELNS1_11target_archE1100ELNS1_3gpuE3ELNS1_3repE0EEENS1_30default_config_static_selectorELNS0_4arch9wavefront6targetE0EEEvSQ_
	.p2align	8
	.type	_ZN7rocprim17ROCPRIM_400000_NS6detail17trampoline_kernelINS0_14default_configENS1_22reduce_config_selectorIiEEZNS1_11reduce_implILb1ES3_PiS7_iN6hipcub16HIPCUB_304000_NS6detail34convert_binary_result_type_wrapperINS9_3SumENS9_22TransformInputIteratorIbN2at6native12_GLOBAL__N_19NonZeroOpIlEEPKllEEiEEEE10hipError_tPvRmT1_T2_T3_mT4_P12ihipStream_tbEUlT_E0_NS1_11comp_targetILNS1_3genE9ELNS1_11target_archE1100ELNS1_3gpuE3ELNS1_3repE0EEENS1_30default_config_static_selectorELNS0_4arch9wavefront6targetE0EEEvSQ_,@function
_ZN7rocprim17ROCPRIM_400000_NS6detail17trampoline_kernelINS0_14default_configENS1_22reduce_config_selectorIiEEZNS1_11reduce_implILb1ES3_PiS7_iN6hipcub16HIPCUB_304000_NS6detail34convert_binary_result_type_wrapperINS9_3SumENS9_22TransformInputIteratorIbN2at6native12_GLOBAL__N_19NonZeroOpIlEEPKllEEiEEEE10hipError_tPvRmT1_T2_T3_mT4_P12ihipStream_tbEUlT_E0_NS1_11comp_targetILNS1_3genE9ELNS1_11target_archE1100ELNS1_3gpuE3ELNS1_3repE0EEENS1_30default_config_static_selectorELNS0_4arch9wavefront6targetE0EEEvSQ_: ; @_ZN7rocprim17ROCPRIM_400000_NS6detail17trampoline_kernelINS0_14default_configENS1_22reduce_config_selectorIiEEZNS1_11reduce_implILb1ES3_PiS7_iN6hipcub16HIPCUB_304000_NS6detail34convert_binary_result_type_wrapperINS9_3SumENS9_22TransformInputIteratorIbN2at6native12_GLOBAL__N_19NonZeroOpIlEEPKllEEiEEEE10hipError_tPvRmT1_T2_T3_mT4_P12ihipStream_tbEUlT_E0_NS1_11comp_targetILNS1_3genE9ELNS1_11target_archE1100ELNS1_3gpuE3ELNS1_3repE0EEENS1_30default_config_static_selectorELNS0_4arch9wavefront6targetE0EEEvSQ_
; %bb.0:
	s_mov_b32 s16, s15
	s_clause 0x1
	s_load_b256 s[4:11], s[0:1], 0x0
	s_load_b128 s[12:15], s[0:1], 0x20
	s_mov_b32 s3, 0
	v_lshlrev_b32_e32 v10, 2, v0
	v_mbcnt_lo_u32_b32 v9, -1, 0
	s_mov_b32 s17, s3
	s_waitcnt lgkmcnt(0)
	s_lshl_b64 s[6:7], s[6:7], 2
	s_delay_alu instid0(SALU_CYCLE_1) | instskip(SKIP_4) | instid1(SALU_CYCLE_1)
	s_add_u32 s18, s4, s6
	s_addc_u32 s19, s5, s7
	s_lshl_b32 s2, s16, 11
	s_lshr_b64 s[6:7], s[8:9], 11
	s_lshl_b64 s[4:5], s[2:3], 2
	s_add_u32 s18, s18, s4
	s_addc_u32 s19, s19, s5
	s_cmp_lg_u64 s[6:7], s[16:17]
	s_cbranch_scc0 .LBB225_6
; %bb.1:
	v_add_co_u32 v1, s3, s18, v10
	s_clause 0x1
	global_load_b32 v3, v10, s[18:19]
	global_load_b32 v4, v10, s[18:19] offset:1024
	v_add_co_ci_u32_e64 v2, null, s19, 0, s3
	v_add_co_u32 v1, vcc_lo, 0x1000, v1
	s_mov_b32 s3, exec_lo
	s_delay_alu instid0(VALU_DEP_2)
	v_add_co_ci_u32_e32 v2, vcc_lo, 0, v2, vcc_lo
	s_clause 0x5
	global_load_b32 v5, v10, s[18:19] offset:2048
	global_load_b32 v6, v10, s[18:19] offset:3072
	global_load_b32 v7, v[1:2], off
	global_load_b32 v8, v[1:2], off offset:1024
	global_load_b32 v11, v[1:2], off offset:2048
	global_load_b32 v1, v[1:2], off offset:3072
	s_waitcnt vmcnt(6)
	v_dual_mov_b32 v3, 0 :: v_dual_add_nc_u32 v2, v4, v3
	s_waitcnt vmcnt(4)
	s_delay_alu instid0(VALU_DEP_1) | instskip(SKIP_1) | instid1(VALU_DEP_1)
	v_add3_u32 v2, v2, v5, v6
	s_waitcnt vmcnt(2)
	v_add3_u32 v2, v2, v7, v8
	s_waitcnt vmcnt(0)
	s_delay_alu instid0(VALU_DEP_1) | instskip(NEXT) | instid1(VALU_DEP_1)
	v_add3_u32 v1, v2, v11, v1
	v_mov_b32_dpp v2, v1 quad_perm:[1,0,3,2] row_mask:0xf bank_mask:0xf
	s_delay_alu instid0(VALU_DEP_1) | instskip(NEXT) | instid1(VALU_DEP_1)
	v_add_nc_u32_e32 v1, v2, v1
	v_mov_b32_dpp v2, v1 quad_perm:[2,3,0,1] row_mask:0xf bank_mask:0xf
	s_delay_alu instid0(VALU_DEP_1) | instskip(NEXT) | instid1(VALU_DEP_1)
	v_add_nc_u32_e32 v1, v1, v2
	v_mov_b32_dpp v2, v1 row_ror:4 row_mask:0xf bank_mask:0xf
	s_delay_alu instid0(VALU_DEP_1) | instskip(NEXT) | instid1(VALU_DEP_1)
	v_add_nc_u32_e32 v1, v1, v2
	v_mov_b32_dpp v2, v1 row_ror:8 row_mask:0xf bank_mask:0xf
	s_delay_alu instid0(VALU_DEP_1)
	v_add_nc_u32_e32 v1, v1, v2
	ds_swizzle_b32 v2, v1 offset:swizzle(BROADCAST,32,15)
	s_waitcnt lgkmcnt(0)
	v_add_nc_u32_e32 v1, v1, v2
	ds_bpermute_b32 v1, v3, v1 offset:124
	v_cmpx_eq_u32_e32 0, v9
	s_cbranch_execz .LBB225_3
; %bb.2:
	v_lshrrev_b32_e32 v2, 3, v0
	s_delay_alu instid0(VALU_DEP_1)
	v_and_b32_e32 v2, 28, v2
	s_waitcnt lgkmcnt(0)
	ds_store_b32 v2, v1
.LBB225_3:
	s_or_b32 exec_lo, exec_lo, s3
	s_delay_alu instid0(SALU_CYCLE_1)
	s_mov_b32 s3, exec_lo
	s_waitcnt lgkmcnt(0)
	s_barrier
	buffer_gl0_inv
	v_cmpx_gt_u32_e32 32, v0
	s_cbranch_execz .LBB225_5
; %bb.4:
	v_and_b32_e32 v1, 7, v9
	s_delay_alu instid0(VALU_DEP_1) | instskip(SKIP_4) | instid1(VALU_DEP_2)
	v_lshlrev_b32_e32 v2, 2, v1
	v_cmp_ne_u32_e32 vcc_lo, 7, v1
	ds_load_b32 v2, v2
	v_add_co_ci_u32_e32 v3, vcc_lo, 0, v9, vcc_lo
	v_cmp_gt_u32_e32 vcc_lo, 6, v1
	v_lshlrev_b32_e32 v3, 2, v3
	v_cndmask_b32_e64 v4, 0, 1, vcc_lo
	v_cmp_gt_u32_e32 vcc_lo, 4, v1
	s_delay_alu instid0(VALU_DEP_2) | instskip(SKIP_1) | instid1(VALU_DEP_2)
	v_lshlrev_b32_e32 v4, 1, v4
	v_cndmask_b32_e64 v1, 0, 1, vcc_lo
	v_add_lshl_u32 v4, v4, v9, 2
	s_delay_alu instid0(VALU_DEP_2)
	v_lshlrev_b32_e32 v1, 2, v1
	s_waitcnt lgkmcnt(0)
	ds_bpermute_b32 v3, v3, v2
	v_add_lshl_u32 v1, v1, v9, 2
	s_waitcnt lgkmcnt(0)
	v_add_nc_u32_e32 v2, v3, v2
	ds_bpermute_b32 v3, v4, v2
	s_waitcnt lgkmcnt(0)
	v_add_nc_u32_e32 v2, v3, v2
	ds_bpermute_b32 v1, v1, v2
	s_waitcnt lgkmcnt(0)
	v_add_nc_u32_e32 v1, v1, v2
.LBB225_5:
	s_or_b32 exec_lo, exec_lo, s3
	s_branch .LBB225_28
.LBB225_6:
                                        ; implicit-def: $vgpr1
	s_cbranch_execz .LBB225_28
; %bb.7:
	s_sub_i32 s20, s8, s2
	s_mov_b32 s2, exec_lo
                                        ; implicit-def: $vgpr1_vgpr2_vgpr3_vgpr4_vgpr5_vgpr6_vgpr7_vgpr8
	v_cmpx_gt_u32_e64 s20, v0
	s_cbranch_execz .LBB225_9
; %bb.8:
	global_load_b32 v1, v10, s[18:19]
.LBB225_9:
	s_or_b32 exec_lo, exec_lo, s2
	v_or_b32_e32 v11, 0x100, v0
	s_delay_alu instid0(VALU_DEP_1)
	v_cmp_gt_u32_e32 vcc_lo, s20, v11
	s_and_saveexec_b32 s2, vcc_lo
	s_cbranch_execz .LBB225_11
; %bb.10:
	global_load_b32 v2, v10, s[18:19] offset:1024
.LBB225_11:
	s_or_b32 exec_lo, exec_lo, s2
	v_or_b32_e32 v11, 0x200, v0
	s_delay_alu instid0(VALU_DEP_1) | instskip(NEXT) | instid1(VALU_DEP_1)
	v_cmp_gt_u32_e64 s2, s20, v11
	s_and_saveexec_b32 s3, s2
	s_cbranch_execz .LBB225_13
; %bb.12:
	global_load_b32 v3, v10, s[18:19] offset:2048
.LBB225_13:
	s_or_b32 exec_lo, exec_lo, s3
	v_or_b32_e32 v11, 0x300, v0
	s_delay_alu instid0(VALU_DEP_1) | instskip(NEXT) | instid1(VALU_DEP_1)
	v_cmp_gt_u32_e64 s3, s20, v11
	s_and_saveexec_b32 s4, s3
	;; [unrolled: 9-line block ×3, first 2 shown]
	s_cbranch_execz .LBB225_17
; %bb.16:
	v_lshlrev_b32_e32 v5, 2, v10
	global_load_b32 v5, v5, s[18:19]
.LBB225_17:
	s_or_b32 exec_lo, exec_lo, s5
	v_or_b32_e32 v10, 0x500, v0
	s_delay_alu instid0(VALU_DEP_1) | instskip(NEXT) | instid1(VALU_DEP_1)
	v_cmp_gt_u32_e64 s5, s20, v10
	s_and_saveexec_b32 s6, s5
	s_cbranch_execz .LBB225_19
; %bb.18:
	v_lshlrev_b32_e32 v6, 2, v10
	global_load_b32 v6, v6, s[18:19]
.LBB225_19:
	s_or_b32 exec_lo, exec_lo, s6
	v_or_b32_e32 v10, 0x600, v0
	s_delay_alu instid0(VALU_DEP_1) | instskip(NEXT) | instid1(VALU_DEP_1)
	v_cmp_gt_u32_e64 s6, s20, v10
	s_and_saveexec_b32 s7, s6
	;; [unrolled: 10-line block ×3, first 2 shown]
	s_cbranch_execz .LBB225_23
; %bb.22:
	v_lshlrev_b32_e32 v8, 2, v10
	global_load_b32 v8, v8, s[18:19]
.LBB225_23:
	s_or_b32 exec_lo, exec_lo, s21
	s_waitcnt vmcnt(0)
	v_cndmask_b32_e32 v2, 0, v2, vcc_lo
	v_cndmask_b32_e64 v3, 0, v3, s2
	v_cndmask_b32_e64 v4, 0, v4, s3
	v_cmp_ne_u32_e32 vcc_lo, 31, v9
	s_min_u32 s2, s20, 0x100
	v_add_nc_u32_e32 v1, v2, v1
	v_cndmask_b32_e64 v2, 0, v5, s4
	v_cndmask_b32_e64 v5, 0, v6, s5
	;; [unrolled: 1-line block ×3, first 2 shown]
	s_mov_b32 s3, exec_lo
	v_add3_u32 v1, v1, v3, v4
	v_cndmask_b32_e64 v3, 0, v8, s7
	v_add_co_ci_u32_e32 v4, vcc_lo, 0, v9, vcc_lo
	v_cmp_gt_u32_e32 vcc_lo, 30, v9
	s_delay_alu instid0(VALU_DEP_4) | instskip(NEXT) | instid1(VALU_DEP_3)
	v_add3_u32 v1, v1, v2, v5
	v_lshlrev_b32_e32 v2, 2, v4
	v_add_nc_u32_e32 v4, 1, v9
	v_cndmask_b32_e64 v5, 0, 1, vcc_lo
	s_delay_alu instid0(VALU_DEP_4) | instskip(SKIP_1) | instid1(VALU_DEP_3)
	v_add3_u32 v1, v1, v6, v3
	v_and_b32_e32 v3, 0xe0, v0
	v_lshlrev_b32_e32 v5, 1, v5
	ds_bpermute_b32 v2, v2, v1
	v_sub_nc_u32_e64 v3, s2, v3 clamp
	s_delay_alu instid0(VALU_DEP_1) | instskip(SKIP_4) | instid1(VALU_DEP_2)
	v_cmp_lt_u32_e32 vcc_lo, v4, v3
	v_add_lshl_u32 v4, v5, v9, 2
	s_waitcnt lgkmcnt(0)
	v_dual_cndmask_b32 v2, 0, v2 :: v_dual_add_nc_u32 v5, 2, v9
	v_cmp_gt_u32_e32 vcc_lo, 28, v9
	v_add_nc_u32_e32 v1, v1, v2
	ds_bpermute_b32 v2, v4, v1
	v_cndmask_b32_e64 v4, 0, 1, vcc_lo
	v_cmp_lt_u32_e32 vcc_lo, v5, v3
	v_add_nc_u32_e32 v5, 4, v9
	s_delay_alu instid0(VALU_DEP_3) | instskip(NEXT) | instid1(VALU_DEP_1)
	v_lshlrev_b32_e32 v4, 2, v4
	v_add_lshl_u32 v4, v4, v9, 2
	s_waitcnt lgkmcnt(0)
	v_cndmask_b32_e32 v2, 0, v2, vcc_lo
	v_cmp_gt_u32_e32 vcc_lo, 24, v9
	s_delay_alu instid0(VALU_DEP_2) | instskip(SKIP_4) | instid1(VALU_DEP_3)
	v_add_nc_u32_e32 v1, v1, v2
	ds_bpermute_b32 v2, v4, v1
	v_cndmask_b32_e64 v4, 0, 1, vcc_lo
	v_cmp_lt_u32_e32 vcc_lo, v5, v3
	v_add_nc_u32_e32 v5, 8, v9
	v_lshlrev_b32_e32 v4, 3, v4
	s_delay_alu instid0(VALU_DEP_1) | instskip(SKIP_3) | instid1(VALU_DEP_2)
	v_add_lshl_u32 v4, v4, v9, 2
	s_waitcnt lgkmcnt(0)
	v_cndmask_b32_e32 v2, 0, v2, vcc_lo
	v_cmp_gt_u32_e32 vcc_lo, 16, v9
	v_add_nc_u32_e32 v1, v1, v2
	ds_bpermute_b32 v2, v4, v1
	v_cndmask_b32_e64 v4, 0, 1, vcc_lo
	v_cmp_lt_u32_e32 vcc_lo, v5, v3
	s_delay_alu instid0(VALU_DEP_2) | instskip(NEXT) | instid1(VALU_DEP_1)
	v_lshlrev_b32_e32 v4, 4, v4
	v_add_lshl_u32 v4, v4, v9, 2
	s_waitcnt lgkmcnt(0)
	v_cndmask_b32_e32 v2, 0, v2, vcc_lo
	s_delay_alu instid0(VALU_DEP_1) | instskip(SKIP_2) | instid1(VALU_DEP_1)
	v_add_nc_u32_e32 v1, v1, v2
	ds_bpermute_b32 v2, v4, v1
	v_add_nc_u32_e32 v4, 16, v9
	v_cmp_lt_u32_e32 vcc_lo, v4, v3
	s_waitcnt lgkmcnt(0)
	v_cndmask_b32_e32 v2, 0, v2, vcc_lo
	s_delay_alu instid0(VALU_DEP_1)
	v_add_nc_u32_e32 v1, v1, v2
	v_cmpx_eq_u32_e32 0, v9
	s_cbranch_execz .LBB225_25
; %bb.24:
	v_lshrrev_b32_e32 v2, 3, v0
	s_delay_alu instid0(VALU_DEP_1)
	v_and_b32_e32 v2, 28, v2
	ds_store_b32 v2, v1 offset:32
.LBB225_25:
	s_or_b32 exec_lo, exec_lo, s3
	s_delay_alu instid0(SALU_CYCLE_1)
	s_mov_b32 s3, exec_lo
	s_waitcnt lgkmcnt(0)
	s_barrier
	buffer_gl0_inv
	v_cmpx_gt_u32_e32 8, v0
	s_cbranch_execz .LBB225_27
; %bb.26:
	v_lshlrev_b32_e32 v1, 2, v9
	v_and_b32_e32 v2, 7, v9
	s_add_i32 s2, s2, 31
	s_delay_alu instid0(SALU_CYCLE_1)
	s_lshr_b32 s2, s2, 5
	ds_load_b32 v1, v1 offset:32
	v_cmp_ne_u32_e32 vcc_lo, 7, v2
	v_add_nc_u32_e32 v5, 1, v2
	v_add_co_ci_u32_e32 v3, vcc_lo, 0, v9, vcc_lo
	v_cmp_gt_u32_e32 vcc_lo, 6, v2
	s_delay_alu instid0(VALU_DEP_2) | instskip(SKIP_2) | instid1(VALU_DEP_2)
	v_lshlrev_b32_e32 v3, 2, v3
	v_cndmask_b32_e64 v4, 0, 1, vcc_lo
	v_cmp_gt_u32_e32 vcc_lo, s2, v5
	v_lshlrev_b32_e32 v4, 1, v4
	s_waitcnt lgkmcnt(0)
	ds_bpermute_b32 v3, v3, v1
	v_add_lshl_u32 v4, v4, v9, 2
	s_waitcnt lgkmcnt(0)
	v_cndmask_b32_e32 v3, 0, v3, vcc_lo
	v_cmp_gt_u32_e32 vcc_lo, 4, v2
	s_delay_alu instid0(VALU_DEP_2) | instskip(SKIP_4) | instid1(VALU_DEP_2)
	v_add_nc_u32_e32 v1, v3, v1
	v_cndmask_b32_e64 v5, 0, 1, vcc_lo
	ds_bpermute_b32 v3, v4, v1
	v_add_nc_u32_e32 v4, 2, v2
	v_add_nc_u32_e32 v2, 4, v2
	v_cmp_gt_u32_e32 vcc_lo, s2, v4
	s_waitcnt lgkmcnt(0)
	v_dual_cndmask_b32 v3, 0, v3 :: v_dual_lshlrev_b32 v4, 2, v5
	s_delay_alu instid0(VALU_DEP_3) | instskip(NEXT) | instid1(VALU_DEP_2)
	v_cmp_gt_u32_e32 vcc_lo, s2, v2
	v_add_nc_u32_e32 v1, v1, v3
	s_delay_alu instid0(VALU_DEP_3) | instskip(SKIP_3) | instid1(VALU_DEP_1)
	v_add_lshl_u32 v3, v4, v9, 2
	ds_bpermute_b32 v3, v3, v1
	s_waitcnt lgkmcnt(0)
	v_cndmask_b32_e32 v2, 0, v3, vcc_lo
	v_add_nc_u32_e32 v1, v1, v2
.LBB225_27:
	s_or_b32 exec_lo, exec_lo, s3
.LBB225_28:
	s_load_b32 s0, s[0:1], 0x30
	s_mov_b32 s1, exec_lo
	v_cmpx_eq_u32_e32 0, v0
	s_cbranch_execz .LBB225_30
; %bb.29:
	s_mul_i32 s1, s14, s13
	s_mul_hi_u32 s2, s14, s12
	s_mul_i32 s3, s15, s12
	s_add_i32 s1, s2, s1
	s_mul_i32 s2, s14, s12
	s_add_i32 s3, s1, s3
	s_delay_alu instid0(SALU_CYCLE_1) | instskip(NEXT) | instid1(SALU_CYCLE_1)
	s_lshl_b64 s[2:3], s[2:3], 2
	s_add_u32 s2, s10, s2
	s_addc_u32 s3, s11, s3
	s_cmp_eq_u64 s[8:9], 0
	s_cselect_b32 s1, -1, 0
	s_waitcnt lgkmcnt(0)
	v_cndmask_b32_e64 v0, v1, s0, s1
	s_lshl_b64 s[0:1], s[16:17], 2
	v_mov_b32_e32 v1, 0
	s_add_u32 s0, s2, s0
	s_addc_u32 s1, s3, s1
	global_store_b32 v1, v0, s[0:1]
.LBB225_30:
	s_nop 0
	s_sendmsg sendmsg(MSG_DEALLOC_VGPRS)
	s_endpgm
	.section	.rodata,"a",@progbits
	.p2align	6, 0x0
	.amdhsa_kernel _ZN7rocprim17ROCPRIM_400000_NS6detail17trampoline_kernelINS0_14default_configENS1_22reduce_config_selectorIiEEZNS1_11reduce_implILb1ES3_PiS7_iN6hipcub16HIPCUB_304000_NS6detail34convert_binary_result_type_wrapperINS9_3SumENS9_22TransformInputIteratorIbN2at6native12_GLOBAL__N_19NonZeroOpIlEEPKllEEiEEEE10hipError_tPvRmT1_T2_T3_mT4_P12ihipStream_tbEUlT_E0_NS1_11comp_targetILNS1_3genE9ELNS1_11target_archE1100ELNS1_3gpuE3ELNS1_3repE0EEENS1_30default_config_static_selectorELNS0_4arch9wavefront6targetE0EEEvSQ_
		.amdhsa_group_segment_fixed_size 64
		.amdhsa_private_segment_fixed_size 0
		.amdhsa_kernarg_size 56
		.amdhsa_user_sgpr_count 15
		.amdhsa_user_sgpr_dispatch_ptr 0
		.amdhsa_user_sgpr_queue_ptr 0
		.amdhsa_user_sgpr_kernarg_segment_ptr 1
		.amdhsa_user_sgpr_dispatch_id 0
		.amdhsa_user_sgpr_private_segment_size 0
		.amdhsa_wavefront_size32 1
		.amdhsa_uses_dynamic_stack 0
		.amdhsa_enable_private_segment 0
		.amdhsa_system_sgpr_workgroup_id_x 1
		.amdhsa_system_sgpr_workgroup_id_y 0
		.amdhsa_system_sgpr_workgroup_id_z 0
		.amdhsa_system_sgpr_workgroup_info 0
		.amdhsa_system_vgpr_workitem_id 0
		.amdhsa_next_free_vgpr 12
		.amdhsa_next_free_sgpr 22
		.amdhsa_reserve_vcc 1
		.amdhsa_float_round_mode_32 0
		.amdhsa_float_round_mode_16_64 0
		.amdhsa_float_denorm_mode_32 3
		.amdhsa_float_denorm_mode_16_64 3
		.amdhsa_dx10_clamp 1
		.amdhsa_ieee_mode 1
		.amdhsa_fp16_overflow 0
		.amdhsa_workgroup_processor_mode 1
		.amdhsa_memory_ordered 1
		.amdhsa_forward_progress 0
		.amdhsa_shared_vgpr_count 0
		.amdhsa_exception_fp_ieee_invalid_op 0
		.amdhsa_exception_fp_denorm_src 0
		.amdhsa_exception_fp_ieee_div_zero 0
		.amdhsa_exception_fp_ieee_overflow 0
		.amdhsa_exception_fp_ieee_underflow 0
		.amdhsa_exception_fp_ieee_inexact 0
		.amdhsa_exception_int_div_zero 0
	.end_amdhsa_kernel
	.section	.text._ZN7rocprim17ROCPRIM_400000_NS6detail17trampoline_kernelINS0_14default_configENS1_22reduce_config_selectorIiEEZNS1_11reduce_implILb1ES3_PiS7_iN6hipcub16HIPCUB_304000_NS6detail34convert_binary_result_type_wrapperINS9_3SumENS9_22TransformInputIteratorIbN2at6native12_GLOBAL__N_19NonZeroOpIlEEPKllEEiEEEE10hipError_tPvRmT1_T2_T3_mT4_P12ihipStream_tbEUlT_E0_NS1_11comp_targetILNS1_3genE9ELNS1_11target_archE1100ELNS1_3gpuE3ELNS1_3repE0EEENS1_30default_config_static_selectorELNS0_4arch9wavefront6targetE0EEEvSQ_,"axG",@progbits,_ZN7rocprim17ROCPRIM_400000_NS6detail17trampoline_kernelINS0_14default_configENS1_22reduce_config_selectorIiEEZNS1_11reduce_implILb1ES3_PiS7_iN6hipcub16HIPCUB_304000_NS6detail34convert_binary_result_type_wrapperINS9_3SumENS9_22TransformInputIteratorIbN2at6native12_GLOBAL__N_19NonZeroOpIlEEPKllEEiEEEE10hipError_tPvRmT1_T2_T3_mT4_P12ihipStream_tbEUlT_E0_NS1_11comp_targetILNS1_3genE9ELNS1_11target_archE1100ELNS1_3gpuE3ELNS1_3repE0EEENS1_30default_config_static_selectorELNS0_4arch9wavefront6targetE0EEEvSQ_,comdat
.Lfunc_end225:
	.size	_ZN7rocprim17ROCPRIM_400000_NS6detail17trampoline_kernelINS0_14default_configENS1_22reduce_config_selectorIiEEZNS1_11reduce_implILb1ES3_PiS7_iN6hipcub16HIPCUB_304000_NS6detail34convert_binary_result_type_wrapperINS9_3SumENS9_22TransformInputIteratorIbN2at6native12_GLOBAL__N_19NonZeroOpIlEEPKllEEiEEEE10hipError_tPvRmT1_T2_T3_mT4_P12ihipStream_tbEUlT_E0_NS1_11comp_targetILNS1_3genE9ELNS1_11target_archE1100ELNS1_3gpuE3ELNS1_3repE0EEENS1_30default_config_static_selectorELNS0_4arch9wavefront6targetE0EEEvSQ_, .Lfunc_end225-_ZN7rocprim17ROCPRIM_400000_NS6detail17trampoline_kernelINS0_14default_configENS1_22reduce_config_selectorIiEEZNS1_11reduce_implILb1ES3_PiS7_iN6hipcub16HIPCUB_304000_NS6detail34convert_binary_result_type_wrapperINS9_3SumENS9_22TransformInputIteratorIbN2at6native12_GLOBAL__N_19NonZeroOpIlEEPKllEEiEEEE10hipError_tPvRmT1_T2_T3_mT4_P12ihipStream_tbEUlT_E0_NS1_11comp_targetILNS1_3genE9ELNS1_11target_archE1100ELNS1_3gpuE3ELNS1_3repE0EEENS1_30default_config_static_selectorELNS0_4arch9wavefront6targetE0EEEvSQ_
                                        ; -- End function
	.section	.AMDGPU.csdata,"",@progbits
; Kernel info:
; codeLenInByte = 1664
; NumSgprs: 24
; NumVgprs: 12
; ScratchSize: 0
; MemoryBound: 0
; FloatMode: 240
; IeeeMode: 1
; LDSByteSize: 64 bytes/workgroup (compile time only)
; SGPRBlocks: 2
; VGPRBlocks: 1
; NumSGPRsForWavesPerEU: 24
; NumVGPRsForWavesPerEU: 12
; Occupancy: 16
; WaveLimiterHint : 1
; COMPUTE_PGM_RSRC2:SCRATCH_EN: 0
; COMPUTE_PGM_RSRC2:USER_SGPR: 15
; COMPUTE_PGM_RSRC2:TRAP_HANDLER: 0
; COMPUTE_PGM_RSRC2:TGID_X_EN: 1
; COMPUTE_PGM_RSRC2:TGID_Y_EN: 0
; COMPUTE_PGM_RSRC2:TGID_Z_EN: 0
; COMPUTE_PGM_RSRC2:TIDIG_COMP_CNT: 0
	.section	.text._ZN7rocprim17ROCPRIM_400000_NS6detail17trampoline_kernelINS0_14default_configENS1_22reduce_config_selectorIiEEZNS1_11reduce_implILb1ES3_PiS7_iN6hipcub16HIPCUB_304000_NS6detail34convert_binary_result_type_wrapperINS9_3SumENS9_22TransformInputIteratorIbN2at6native12_GLOBAL__N_19NonZeroOpIlEEPKllEEiEEEE10hipError_tPvRmT1_T2_T3_mT4_P12ihipStream_tbEUlT_E0_NS1_11comp_targetILNS1_3genE8ELNS1_11target_archE1030ELNS1_3gpuE2ELNS1_3repE0EEENS1_30default_config_static_selectorELNS0_4arch9wavefront6targetE0EEEvSQ_,"axG",@progbits,_ZN7rocprim17ROCPRIM_400000_NS6detail17trampoline_kernelINS0_14default_configENS1_22reduce_config_selectorIiEEZNS1_11reduce_implILb1ES3_PiS7_iN6hipcub16HIPCUB_304000_NS6detail34convert_binary_result_type_wrapperINS9_3SumENS9_22TransformInputIteratorIbN2at6native12_GLOBAL__N_19NonZeroOpIlEEPKllEEiEEEE10hipError_tPvRmT1_T2_T3_mT4_P12ihipStream_tbEUlT_E0_NS1_11comp_targetILNS1_3genE8ELNS1_11target_archE1030ELNS1_3gpuE2ELNS1_3repE0EEENS1_30default_config_static_selectorELNS0_4arch9wavefront6targetE0EEEvSQ_,comdat
	.globl	_ZN7rocprim17ROCPRIM_400000_NS6detail17trampoline_kernelINS0_14default_configENS1_22reduce_config_selectorIiEEZNS1_11reduce_implILb1ES3_PiS7_iN6hipcub16HIPCUB_304000_NS6detail34convert_binary_result_type_wrapperINS9_3SumENS9_22TransformInputIteratorIbN2at6native12_GLOBAL__N_19NonZeroOpIlEEPKllEEiEEEE10hipError_tPvRmT1_T2_T3_mT4_P12ihipStream_tbEUlT_E0_NS1_11comp_targetILNS1_3genE8ELNS1_11target_archE1030ELNS1_3gpuE2ELNS1_3repE0EEENS1_30default_config_static_selectorELNS0_4arch9wavefront6targetE0EEEvSQ_ ; -- Begin function _ZN7rocprim17ROCPRIM_400000_NS6detail17trampoline_kernelINS0_14default_configENS1_22reduce_config_selectorIiEEZNS1_11reduce_implILb1ES3_PiS7_iN6hipcub16HIPCUB_304000_NS6detail34convert_binary_result_type_wrapperINS9_3SumENS9_22TransformInputIteratorIbN2at6native12_GLOBAL__N_19NonZeroOpIlEEPKllEEiEEEE10hipError_tPvRmT1_T2_T3_mT4_P12ihipStream_tbEUlT_E0_NS1_11comp_targetILNS1_3genE8ELNS1_11target_archE1030ELNS1_3gpuE2ELNS1_3repE0EEENS1_30default_config_static_selectorELNS0_4arch9wavefront6targetE0EEEvSQ_
	.p2align	8
	.type	_ZN7rocprim17ROCPRIM_400000_NS6detail17trampoline_kernelINS0_14default_configENS1_22reduce_config_selectorIiEEZNS1_11reduce_implILb1ES3_PiS7_iN6hipcub16HIPCUB_304000_NS6detail34convert_binary_result_type_wrapperINS9_3SumENS9_22TransformInputIteratorIbN2at6native12_GLOBAL__N_19NonZeroOpIlEEPKllEEiEEEE10hipError_tPvRmT1_T2_T3_mT4_P12ihipStream_tbEUlT_E0_NS1_11comp_targetILNS1_3genE8ELNS1_11target_archE1030ELNS1_3gpuE2ELNS1_3repE0EEENS1_30default_config_static_selectorELNS0_4arch9wavefront6targetE0EEEvSQ_,@function
_ZN7rocprim17ROCPRIM_400000_NS6detail17trampoline_kernelINS0_14default_configENS1_22reduce_config_selectorIiEEZNS1_11reduce_implILb1ES3_PiS7_iN6hipcub16HIPCUB_304000_NS6detail34convert_binary_result_type_wrapperINS9_3SumENS9_22TransformInputIteratorIbN2at6native12_GLOBAL__N_19NonZeroOpIlEEPKllEEiEEEE10hipError_tPvRmT1_T2_T3_mT4_P12ihipStream_tbEUlT_E0_NS1_11comp_targetILNS1_3genE8ELNS1_11target_archE1030ELNS1_3gpuE2ELNS1_3repE0EEENS1_30default_config_static_selectorELNS0_4arch9wavefront6targetE0EEEvSQ_: ; @_ZN7rocprim17ROCPRIM_400000_NS6detail17trampoline_kernelINS0_14default_configENS1_22reduce_config_selectorIiEEZNS1_11reduce_implILb1ES3_PiS7_iN6hipcub16HIPCUB_304000_NS6detail34convert_binary_result_type_wrapperINS9_3SumENS9_22TransformInputIteratorIbN2at6native12_GLOBAL__N_19NonZeroOpIlEEPKllEEiEEEE10hipError_tPvRmT1_T2_T3_mT4_P12ihipStream_tbEUlT_E0_NS1_11comp_targetILNS1_3genE8ELNS1_11target_archE1030ELNS1_3gpuE2ELNS1_3repE0EEENS1_30default_config_static_selectorELNS0_4arch9wavefront6targetE0EEEvSQ_
; %bb.0:
	.section	.rodata,"a",@progbits
	.p2align	6, 0x0
	.amdhsa_kernel _ZN7rocprim17ROCPRIM_400000_NS6detail17trampoline_kernelINS0_14default_configENS1_22reduce_config_selectorIiEEZNS1_11reduce_implILb1ES3_PiS7_iN6hipcub16HIPCUB_304000_NS6detail34convert_binary_result_type_wrapperINS9_3SumENS9_22TransformInputIteratorIbN2at6native12_GLOBAL__N_19NonZeroOpIlEEPKllEEiEEEE10hipError_tPvRmT1_T2_T3_mT4_P12ihipStream_tbEUlT_E0_NS1_11comp_targetILNS1_3genE8ELNS1_11target_archE1030ELNS1_3gpuE2ELNS1_3repE0EEENS1_30default_config_static_selectorELNS0_4arch9wavefront6targetE0EEEvSQ_
		.amdhsa_group_segment_fixed_size 0
		.amdhsa_private_segment_fixed_size 0
		.amdhsa_kernarg_size 56
		.amdhsa_user_sgpr_count 15
		.amdhsa_user_sgpr_dispatch_ptr 0
		.amdhsa_user_sgpr_queue_ptr 0
		.amdhsa_user_sgpr_kernarg_segment_ptr 1
		.amdhsa_user_sgpr_dispatch_id 0
		.amdhsa_user_sgpr_private_segment_size 0
		.amdhsa_wavefront_size32 1
		.amdhsa_uses_dynamic_stack 0
		.amdhsa_enable_private_segment 0
		.amdhsa_system_sgpr_workgroup_id_x 1
		.amdhsa_system_sgpr_workgroup_id_y 0
		.amdhsa_system_sgpr_workgroup_id_z 0
		.amdhsa_system_sgpr_workgroup_info 0
		.amdhsa_system_vgpr_workitem_id 0
		.amdhsa_next_free_vgpr 1
		.amdhsa_next_free_sgpr 1
		.amdhsa_reserve_vcc 0
		.amdhsa_float_round_mode_32 0
		.amdhsa_float_round_mode_16_64 0
		.amdhsa_float_denorm_mode_32 3
		.amdhsa_float_denorm_mode_16_64 3
		.amdhsa_dx10_clamp 1
		.amdhsa_ieee_mode 1
		.amdhsa_fp16_overflow 0
		.amdhsa_workgroup_processor_mode 1
		.amdhsa_memory_ordered 1
		.amdhsa_forward_progress 0
		.amdhsa_shared_vgpr_count 0
		.amdhsa_exception_fp_ieee_invalid_op 0
		.amdhsa_exception_fp_denorm_src 0
		.amdhsa_exception_fp_ieee_div_zero 0
		.amdhsa_exception_fp_ieee_overflow 0
		.amdhsa_exception_fp_ieee_underflow 0
		.amdhsa_exception_fp_ieee_inexact 0
		.amdhsa_exception_int_div_zero 0
	.end_amdhsa_kernel
	.section	.text._ZN7rocprim17ROCPRIM_400000_NS6detail17trampoline_kernelINS0_14default_configENS1_22reduce_config_selectorIiEEZNS1_11reduce_implILb1ES3_PiS7_iN6hipcub16HIPCUB_304000_NS6detail34convert_binary_result_type_wrapperINS9_3SumENS9_22TransformInputIteratorIbN2at6native12_GLOBAL__N_19NonZeroOpIlEEPKllEEiEEEE10hipError_tPvRmT1_T2_T3_mT4_P12ihipStream_tbEUlT_E0_NS1_11comp_targetILNS1_3genE8ELNS1_11target_archE1030ELNS1_3gpuE2ELNS1_3repE0EEENS1_30default_config_static_selectorELNS0_4arch9wavefront6targetE0EEEvSQ_,"axG",@progbits,_ZN7rocprim17ROCPRIM_400000_NS6detail17trampoline_kernelINS0_14default_configENS1_22reduce_config_selectorIiEEZNS1_11reduce_implILb1ES3_PiS7_iN6hipcub16HIPCUB_304000_NS6detail34convert_binary_result_type_wrapperINS9_3SumENS9_22TransformInputIteratorIbN2at6native12_GLOBAL__N_19NonZeroOpIlEEPKllEEiEEEE10hipError_tPvRmT1_T2_T3_mT4_P12ihipStream_tbEUlT_E0_NS1_11comp_targetILNS1_3genE8ELNS1_11target_archE1030ELNS1_3gpuE2ELNS1_3repE0EEENS1_30default_config_static_selectorELNS0_4arch9wavefront6targetE0EEEvSQ_,comdat
.Lfunc_end226:
	.size	_ZN7rocprim17ROCPRIM_400000_NS6detail17trampoline_kernelINS0_14default_configENS1_22reduce_config_selectorIiEEZNS1_11reduce_implILb1ES3_PiS7_iN6hipcub16HIPCUB_304000_NS6detail34convert_binary_result_type_wrapperINS9_3SumENS9_22TransformInputIteratorIbN2at6native12_GLOBAL__N_19NonZeroOpIlEEPKllEEiEEEE10hipError_tPvRmT1_T2_T3_mT4_P12ihipStream_tbEUlT_E0_NS1_11comp_targetILNS1_3genE8ELNS1_11target_archE1030ELNS1_3gpuE2ELNS1_3repE0EEENS1_30default_config_static_selectorELNS0_4arch9wavefront6targetE0EEEvSQ_, .Lfunc_end226-_ZN7rocprim17ROCPRIM_400000_NS6detail17trampoline_kernelINS0_14default_configENS1_22reduce_config_selectorIiEEZNS1_11reduce_implILb1ES3_PiS7_iN6hipcub16HIPCUB_304000_NS6detail34convert_binary_result_type_wrapperINS9_3SumENS9_22TransformInputIteratorIbN2at6native12_GLOBAL__N_19NonZeroOpIlEEPKllEEiEEEE10hipError_tPvRmT1_T2_T3_mT4_P12ihipStream_tbEUlT_E0_NS1_11comp_targetILNS1_3genE8ELNS1_11target_archE1030ELNS1_3gpuE2ELNS1_3repE0EEENS1_30default_config_static_selectorELNS0_4arch9wavefront6targetE0EEEvSQ_
                                        ; -- End function
	.section	.AMDGPU.csdata,"",@progbits
; Kernel info:
; codeLenInByte = 0
; NumSgprs: 0
; NumVgprs: 0
; ScratchSize: 0
; MemoryBound: 0
; FloatMode: 240
; IeeeMode: 1
; LDSByteSize: 0 bytes/workgroup (compile time only)
; SGPRBlocks: 0
; VGPRBlocks: 0
; NumSGPRsForWavesPerEU: 1
; NumVGPRsForWavesPerEU: 1
; Occupancy: 16
; WaveLimiterHint : 0
; COMPUTE_PGM_RSRC2:SCRATCH_EN: 0
; COMPUTE_PGM_RSRC2:USER_SGPR: 15
; COMPUTE_PGM_RSRC2:TRAP_HANDLER: 0
; COMPUTE_PGM_RSRC2:TGID_X_EN: 1
; COMPUTE_PGM_RSRC2:TGID_Y_EN: 0
; COMPUTE_PGM_RSRC2:TGID_Z_EN: 0
; COMPUTE_PGM_RSRC2:TIDIG_COMP_CNT: 0
	.section	.text._ZN7rocprim17ROCPRIM_400000_NS6detail17trampoline_kernelINS0_14default_configENS1_22reduce_config_selectorIiEEZNS1_11reduce_implILb1ES3_PiS7_iN6hipcub16HIPCUB_304000_NS6detail34convert_binary_result_type_wrapperINS9_3SumENS9_22TransformInputIteratorIbN2at6native12_GLOBAL__N_19NonZeroOpIlEEPKllEEiEEEE10hipError_tPvRmT1_T2_T3_mT4_P12ihipStream_tbEUlT_E1_NS1_11comp_targetILNS1_3genE0ELNS1_11target_archE4294967295ELNS1_3gpuE0ELNS1_3repE0EEENS1_30default_config_static_selectorELNS0_4arch9wavefront6targetE0EEEvSQ_,"axG",@progbits,_ZN7rocprim17ROCPRIM_400000_NS6detail17trampoline_kernelINS0_14default_configENS1_22reduce_config_selectorIiEEZNS1_11reduce_implILb1ES3_PiS7_iN6hipcub16HIPCUB_304000_NS6detail34convert_binary_result_type_wrapperINS9_3SumENS9_22TransformInputIteratorIbN2at6native12_GLOBAL__N_19NonZeroOpIlEEPKllEEiEEEE10hipError_tPvRmT1_T2_T3_mT4_P12ihipStream_tbEUlT_E1_NS1_11comp_targetILNS1_3genE0ELNS1_11target_archE4294967295ELNS1_3gpuE0ELNS1_3repE0EEENS1_30default_config_static_selectorELNS0_4arch9wavefront6targetE0EEEvSQ_,comdat
	.globl	_ZN7rocprim17ROCPRIM_400000_NS6detail17trampoline_kernelINS0_14default_configENS1_22reduce_config_selectorIiEEZNS1_11reduce_implILb1ES3_PiS7_iN6hipcub16HIPCUB_304000_NS6detail34convert_binary_result_type_wrapperINS9_3SumENS9_22TransformInputIteratorIbN2at6native12_GLOBAL__N_19NonZeroOpIlEEPKllEEiEEEE10hipError_tPvRmT1_T2_T3_mT4_P12ihipStream_tbEUlT_E1_NS1_11comp_targetILNS1_3genE0ELNS1_11target_archE4294967295ELNS1_3gpuE0ELNS1_3repE0EEENS1_30default_config_static_selectorELNS0_4arch9wavefront6targetE0EEEvSQ_ ; -- Begin function _ZN7rocprim17ROCPRIM_400000_NS6detail17trampoline_kernelINS0_14default_configENS1_22reduce_config_selectorIiEEZNS1_11reduce_implILb1ES3_PiS7_iN6hipcub16HIPCUB_304000_NS6detail34convert_binary_result_type_wrapperINS9_3SumENS9_22TransformInputIteratorIbN2at6native12_GLOBAL__N_19NonZeroOpIlEEPKllEEiEEEE10hipError_tPvRmT1_T2_T3_mT4_P12ihipStream_tbEUlT_E1_NS1_11comp_targetILNS1_3genE0ELNS1_11target_archE4294967295ELNS1_3gpuE0ELNS1_3repE0EEENS1_30default_config_static_selectorELNS0_4arch9wavefront6targetE0EEEvSQ_
	.p2align	8
	.type	_ZN7rocprim17ROCPRIM_400000_NS6detail17trampoline_kernelINS0_14default_configENS1_22reduce_config_selectorIiEEZNS1_11reduce_implILb1ES3_PiS7_iN6hipcub16HIPCUB_304000_NS6detail34convert_binary_result_type_wrapperINS9_3SumENS9_22TransformInputIteratorIbN2at6native12_GLOBAL__N_19NonZeroOpIlEEPKllEEiEEEE10hipError_tPvRmT1_T2_T3_mT4_P12ihipStream_tbEUlT_E1_NS1_11comp_targetILNS1_3genE0ELNS1_11target_archE4294967295ELNS1_3gpuE0ELNS1_3repE0EEENS1_30default_config_static_selectorELNS0_4arch9wavefront6targetE0EEEvSQ_,@function
_ZN7rocprim17ROCPRIM_400000_NS6detail17trampoline_kernelINS0_14default_configENS1_22reduce_config_selectorIiEEZNS1_11reduce_implILb1ES3_PiS7_iN6hipcub16HIPCUB_304000_NS6detail34convert_binary_result_type_wrapperINS9_3SumENS9_22TransformInputIteratorIbN2at6native12_GLOBAL__N_19NonZeroOpIlEEPKllEEiEEEE10hipError_tPvRmT1_T2_T3_mT4_P12ihipStream_tbEUlT_E1_NS1_11comp_targetILNS1_3genE0ELNS1_11target_archE4294967295ELNS1_3gpuE0ELNS1_3repE0EEENS1_30default_config_static_selectorELNS0_4arch9wavefront6targetE0EEEvSQ_: ; @_ZN7rocprim17ROCPRIM_400000_NS6detail17trampoline_kernelINS0_14default_configENS1_22reduce_config_selectorIiEEZNS1_11reduce_implILb1ES3_PiS7_iN6hipcub16HIPCUB_304000_NS6detail34convert_binary_result_type_wrapperINS9_3SumENS9_22TransformInputIteratorIbN2at6native12_GLOBAL__N_19NonZeroOpIlEEPKllEEiEEEE10hipError_tPvRmT1_T2_T3_mT4_P12ihipStream_tbEUlT_E1_NS1_11comp_targetILNS1_3genE0ELNS1_11target_archE4294967295ELNS1_3gpuE0ELNS1_3repE0EEENS1_30default_config_static_selectorELNS0_4arch9wavefront6targetE0EEEvSQ_
; %bb.0:
	.section	.rodata,"a",@progbits
	.p2align	6, 0x0
	.amdhsa_kernel _ZN7rocprim17ROCPRIM_400000_NS6detail17trampoline_kernelINS0_14default_configENS1_22reduce_config_selectorIiEEZNS1_11reduce_implILb1ES3_PiS7_iN6hipcub16HIPCUB_304000_NS6detail34convert_binary_result_type_wrapperINS9_3SumENS9_22TransformInputIteratorIbN2at6native12_GLOBAL__N_19NonZeroOpIlEEPKllEEiEEEE10hipError_tPvRmT1_T2_T3_mT4_P12ihipStream_tbEUlT_E1_NS1_11comp_targetILNS1_3genE0ELNS1_11target_archE4294967295ELNS1_3gpuE0ELNS1_3repE0EEENS1_30default_config_static_selectorELNS0_4arch9wavefront6targetE0EEEvSQ_
		.amdhsa_group_segment_fixed_size 0
		.amdhsa_private_segment_fixed_size 0
		.amdhsa_kernarg_size 40
		.amdhsa_user_sgpr_count 15
		.amdhsa_user_sgpr_dispatch_ptr 0
		.amdhsa_user_sgpr_queue_ptr 0
		.amdhsa_user_sgpr_kernarg_segment_ptr 1
		.amdhsa_user_sgpr_dispatch_id 0
		.amdhsa_user_sgpr_private_segment_size 0
		.amdhsa_wavefront_size32 1
		.amdhsa_uses_dynamic_stack 0
		.amdhsa_enable_private_segment 0
		.amdhsa_system_sgpr_workgroup_id_x 1
		.amdhsa_system_sgpr_workgroup_id_y 0
		.amdhsa_system_sgpr_workgroup_id_z 0
		.amdhsa_system_sgpr_workgroup_info 0
		.amdhsa_system_vgpr_workitem_id 0
		.amdhsa_next_free_vgpr 1
		.amdhsa_next_free_sgpr 1
		.amdhsa_reserve_vcc 0
		.amdhsa_float_round_mode_32 0
		.amdhsa_float_round_mode_16_64 0
		.amdhsa_float_denorm_mode_32 3
		.amdhsa_float_denorm_mode_16_64 3
		.amdhsa_dx10_clamp 1
		.amdhsa_ieee_mode 1
		.amdhsa_fp16_overflow 0
		.amdhsa_workgroup_processor_mode 1
		.amdhsa_memory_ordered 1
		.amdhsa_forward_progress 0
		.amdhsa_shared_vgpr_count 0
		.amdhsa_exception_fp_ieee_invalid_op 0
		.amdhsa_exception_fp_denorm_src 0
		.amdhsa_exception_fp_ieee_div_zero 0
		.amdhsa_exception_fp_ieee_overflow 0
		.amdhsa_exception_fp_ieee_underflow 0
		.amdhsa_exception_fp_ieee_inexact 0
		.amdhsa_exception_int_div_zero 0
	.end_amdhsa_kernel
	.section	.text._ZN7rocprim17ROCPRIM_400000_NS6detail17trampoline_kernelINS0_14default_configENS1_22reduce_config_selectorIiEEZNS1_11reduce_implILb1ES3_PiS7_iN6hipcub16HIPCUB_304000_NS6detail34convert_binary_result_type_wrapperINS9_3SumENS9_22TransformInputIteratorIbN2at6native12_GLOBAL__N_19NonZeroOpIlEEPKllEEiEEEE10hipError_tPvRmT1_T2_T3_mT4_P12ihipStream_tbEUlT_E1_NS1_11comp_targetILNS1_3genE0ELNS1_11target_archE4294967295ELNS1_3gpuE0ELNS1_3repE0EEENS1_30default_config_static_selectorELNS0_4arch9wavefront6targetE0EEEvSQ_,"axG",@progbits,_ZN7rocprim17ROCPRIM_400000_NS6detail17trampoline_kernelINS0_14default_configENS1_22reduce_config_selectorIiEEZNS1_11reduce_implILb1ES3_PiS7_iN6hipcub16HIPCUB_304000_NS6detail34convert_binary_result_type_wrapperINS9_3SumENS9_22TransformInputIteratorIbN2at6native12_GLOBAL__N_19NonZeroOpIlEEPKllEEiEEEE10hipError_tPvRmT1_T2_T3_mT4_P12ihipStream_tbEUlT_E1_NS1_11comp_targetILNS1_3genE0ELNS1_11target_archE4294967295ELNS1_3gpuE0ELNS1_3repE0EEENS1_30default_config_static_selectorELNS0_4arch9wavefront6targetE0EEEvSQ_,comdat
.Lfunc_end227:
	.size	_ZN7rocprim17ROCPRIM_400000_NS6detail17trampoline_kernelINS0_14default_configENS1_22reduce_config_selectorIiEEZNS1_11reduce_implILb1ES3_PiS7_iN6hipcub16HIPCUB_304000_NS6detail34convert_binary_result_type_wrapperINS9_3SumENS9_22TransformInputIteratorIbN2at6native12_GLOBAL__N_19NonZeroOpIlEEPKllEEiEEEE10hipError_tPvRmT1_T2_T3_mT4_P12ihipStream_tbEUlT_E1_NS1_11comp_targetILNS1_3genE0ELNS1_11target_archE4294967295ELNS1_3gpuE0ELNS1_3repE0EEENS1_30default_config_static_selectorELNS0_4arch9wavefront6targetE0EEEvSQ_, .Lfunc_end227-_ZN7rocprim17ROCPRIM_400000_NS6detail17trampoline_kernelINS0_14default_configENS1_22reduce_config_selectorIiEEZNS1_11reduce_implILb1ES3_PiS7_iN6hipcub16HIPCUB_304000_NS6detail34convert_binary_result_type_wrapperINS9_3SumENS9_22TransformInputIteratorIbN2at6native12_GLOBAL__N_19NonZeroOpIlEEPKllEEiEEEE10hipError_tPvRmT1_T2_T3_mT4_P12ihipStream_tbEUlT_E1_NS1_11comp_targetILNS1_3genE0ELNS1_11target_archE4294967295ELNS1_3gpuE0ELNS1_3repE0EEENS1_30default_config_static_selectorELNS0_4arch9wavefront6targetE0EEEvSQ_
                                        ; -- End function
	.section	.AMDGPU.csdata,"",@progbits
; Kernel info:
; codeLenInByte = 0
; NumSgprs: 0
; NumVgprs: 0
; ScratchSize: 0
; MemoryBound: 0
; FloatMode: 240
; IeeeMode: 1
; LDSByteSize: 0 bytes/workgroup (compile time only)
; SGPRBlocks: 0
; VGPRBlocks: 0
; NumSGPRsForWavesPerEU: 1
; NumVGPRsForWavesPerEU: 1
; Occupancy: 16
; WaveLimiterHint : 0
; COMPUTE_PGM_RSRC2:SCRATCH_EN: 0
; COMPUTE_PGM_RSRC2:USER_SGPR: 15
; COMPUTE_PGM_RSRC2:TRAP_HANDLER: 0
; COMPUTE_PGM_RSRC2:TGID_X_EN: 1
; COMPUTE_PGM_RSRC2:TGID_Y_EN: 0
; COMPUTE_PGM_RSRC2:TGID_Z_EN: 0
; COMPUTE_PGM_RSRC2:TIDIG_COMP_CNT: 0
	.section	.text._ZN7rocprim17ROCPRIM_400000_NS6detail17trampoline_kernelINS0_14default_configENS1_22reduce_config_selectorIiEEZNS1_11reduce_implILb1ES3_PiS7_iN6hipcub16HIPCUB_304000_NS6detail34convert_binary_result_type_wrapperINS9_3SumENS9_22TransformInputIteratorIbN2at6native12_GLOBAL__N_19NonZeroOpIlEEPKllEEiEEEE10hipError_tPvRmT1_T2_T3_mT4_P12ihipStream_tbEUlT_E1_NS1_11comp_targetILNS1_3genE5ELNS1_11target_archE942ELNS1_3gpuE9ELNS1_3repE0EEENS1_30default_config_static_selectorELNS0_4arch9wavefront6targetE0EEEvSQ_,"axG",@progbits,_ZN7rocprim17ROCPRIM_400000_NS6detail17trampoline_kernelINS0_14default_configENS1_22reduce_config_selectorIiEEZNS1_11reduce_implILb1ES3_PiS7_iN6hipcub16HIPCUB_304000_NS6detail34convert_binary_result_type_wrapperINS9_3SumENS9_22TransformInputIteratorIbN2at6native12_GLOBAL__N_19NonZeroOpIlEEPKllEEiEEEE10hipError_tPvRmT1_T2_T3_mT4_P12ihipStream_tbEUlT_E1_NS1_11comp_targetILNS1_3genE5ELNS1_11target_archE942ELNS1_3gpuE9ELNS1_3repE0EEENS1_30default_config_static_selectorELNS0_4arch9wavefront6targetE0EEEvSQ_,comdat
	.globl	_ZN7rocprim17ROCPRIM_400000_NS6detail17trampoline_kernelINS0_14default_configENS1_22reduce_config_selectorIiEEZNS1_11reduce_implILb1ES3_PiS7_iN6hipcub16HIPCUB_304000_NS6detail34convert_binary_result_type_wrapperINS9_3SumENS9_22TransformInputIteratorIbN2at6native12_GLOBAL__N_19NonZeroOpIlEEPKllEEiEEEE10hipError_tPvRmT1_T2_T3_mT4_P12ihipStream_tbEUlT_E1_NS1_11comp_targetILNS1_3genE5ELNS1_11target_archE942ELNS1_3gpuE9ELNS1_3repE0EEENS1_30default_config_static_selectorELNS0_4arch9wavefront6targetE0EEEvSQ_ ; -- Begin function _ZN7rocprim17ROCPRIM_400000_NS6detail17trampoline_kernelINS0_14default_configENS1_22reduce_config_selectorIiEEZNS1_11reduce_implILb1ES3_PiS7_iN6hipcub16HIPCUB_304000_NS6detail34convert_binary_result_type_wrapperINS9_3SumENS9_22TransformInputIteratorIbN2at6native12_GLOBAL__N_19NonZeroOpIlEEPKllEEiEEEE10hipError_tPvRmT1_T2_T3_mT4_P12ihipStream_tbEUlT_E1_NS1_11comp_targetILNS1_3genE5ELNS1_11target_archE942ELNS1_3gpuE9ELNS1_3repE0EEENS1_30default_config_static_selectorELNS0_4arch9wavefront6targetE0EEEvSQ_
	.p2align	8
	.type	_ZN7rocprim17ROCPRIM_400000_NS6detail17trampoline_kernelINS0_14default_configENS1_22reduce_config_selectorIiEEZNS1_11reduce_implILb1ES3_PiS7_iN6hipcub16HIPCUB_304000_NS6detail34convert_binary_result_type_wrapperINS9_3SumENS9_22TransformInputIteratorIbN2at6native12_GLOBAL__N_19NonZeroOpIlEEPKllEEiEEEE10hipError_tPvRmT1_T2_T3_mT4_P12ihipStream_tbEUlT_E1_NS1_11comp_targetILNS1_3genE5ELNS1_11target_archE942ELNS1_3gpuE9ELNS1_3repE0EEENS1_30default_config_static_selectorELNS0_4arch9wavefront6targetE0EEEvSQ_,@function
_ZN7rocprim17ROCPRIM_400000_NS6detail17trampoline_kernelINS0_14default_configENS1_22reduce_config_selectorIiEEZNS1_11reduce_implILb1ES3_PiS7_iN6hipcub16HIPCUB_304000_NS6detail34convert_binary_result_type_wrapperINS9_3SumENS9_22TransformInputIteratorIbN2at6native12_GLOBAL__N_19NonZeroOpIlEEPKllEEiEEEE10hipError_tPvRmT1_T2_T3_mT4_P12ihipStream_tbEUlT_E1_NS1_11comp_targetILNS1_3genE5ELNS1_11target_archE942ELNS1_3gpuE9ELNS1_3repE0EEENS1_30default_config_static_selectorELNS0_4arch9wavefront6targetE0EEEvSQ_: ; @_ZN7rocprim17ROCPRIM_400000_NS6detail17trampoline_kernelINS0_14default_configENS1_22reduce_config_selectorIiEEZNS1_11reduce_implILb1ES3_PiS7_iN6hipcub16HIPCUB_304000_NS6detail34convert_binary_result_type_wrapperINS9_3SumENS9_22TransformInputIteratorIbN2at6native12_GLOBAL__N_19NonZeroOpIlEEPKllEEiEEEE10hipError_tPvRmT1_T2_T3_mT4_P12ihipStream_tbEUlT_E1_NS1_11comp_targetILNS1_3genE5ELNS1_11target_archE942ELNS1_3gpuE9ELNS1_3repE0EEENS1_30default_config_static_selectorELNS0_4arch9wavefront6targetE0EEEvSQ_
; %bb.0:
	.section	.rodata,"a",@progbits
	.p2align	6, 0x0
	.amdhsa_kernel _ZN7rocprim17ROCPRIM_400000_NS6detail17trampoline_kernelINS0_14default_configENS1_22reduce_config_selectorIiEEZNS1_11reduce_implILb1ES3_PiS7_iN6hipcub16HIPCUB_304000_NS6detail34convert_binary_result_type_wrapperINS9_3SumENS9_22TransformInputIteratorIbN2at6native12_GLOBAL__N_19NonZeroOpIlEEPKllEEiEEEE10hipError_tPvRmT1_T2_T3_mT4_P12ihipStream_tbEUlT_E1_NS1_11comp_targetILNS1_3genE5ELNS1_11target_archE942ELNS1_3gpuE9ELNS1_3repE0EEENS1_30default_config_static_selectorELNS0_4arch9wavefront6targetE0EEEvSQ_
		.amdhsa_group_segment_fixed_size 0
		.amdhsa_private_segment_fixed_size 0
		.amdhsa_kernarg_size 40
		.amdhsa_user_sgpr_count 15
		.amdhsa_user_sgpr_dispatch_ptr 0
		.amdhsa_user_sgpr_queue_ptr 0
		.amdhsa_user_sgpr_kernarg_segment_ptr 1
		.amdhsa_user_sgpr_dispatch_id 0
		.amdhsa_user_sgpr_private_segment_size 0
		.amdhsa_wavefront_size32 1
		.amdhsa_uses_dynamic_stack 0
		.amdhsa_enable_private_segment 0
		.amdhsa_system_sgpr_workgroup_id_x 1
		.amdhsa_system_sgpr_workgroup_id_y 0
		.amdhsa_system_sgpr_workgroup_id_z 0
		.amdhsa_system_sgpr_workgroup_info 0
		.amdhsa_system_vgpr_workitem_id 0
		.amdhsa_next_free_vgpr 1
		.amdhsa_next_free_sgpr 1
		.amdhsa_reserve_vcc 0
		.amdhsa_float_round_mode_32 0
		.amdhsa_float_round_mode_16_64 0
		.amdhsa_float_denorm_mode_32 3
		.amdhsa_float_denorm_mode_16_64 3
		.amdhsa_dx10_clamp 1
		.amdhsa_ieee_mode 1
		.amdhsa_fp16_overflow 0
		.amdhsa_workgroup_processor_mode 1
		.amdhsa_memory_ordered 1
		.amdhsa_forward_progress 0
		.amdhsa_shared_vgpr_count 0
		.amdhsa_exception_fp_ieee_invalid_op 0
		.amdhsa_exception_fp_denorm_src 0
		.amdhsa_exception_fp_ieee_div_zero 0
		.amdhsa_exception_fp_ieee_overflow 0
		.amdhsa_exception_fp_ieee_underflow 0
		.amdhsa_exception_fp_ieee_inexact 0
		.amdhsa_exception_int_div_zero 0
	.end_amdhsa_kernel
	.section	.text._ZN7rocprim17ROCPRIM_400000_NS6detail17trampoline_kernelINS0_14default_configENS1_22reduce_config_selectorIiEEZNS1_11reduce_implILb1ES3_PiS7_iN6hipcub16HIPCUB_304000_NS6detail34convert_binary_result_type_wrapperINS9_3SumENS9_22TransformInputIteratorIbN2at6native12_GLOBAL__N_19NonZeroOpIlEEPKllEEiEEEE10hipError_tPvRmT1_T2_T3_mT4_P12ihipStream_tbEUlT_E1_NS1_11comp_targetILNS1_3genE5ELNS1_11target_archE942ELNS1_3gpuE9ELNS1_3repE0EEENS1_30default_config_static_selectorELNS0_4arch9wavefront6targetE0EEEvSQ_,"axG",@progbits,_ZN7rocprim17ROCPRIM_400000_NS6detail17trampoline_kernelINS0_14default_configENS1_22reduce_config_selectorIiEEZNS1_11reduce_implILb1ES3_PiS7_iN6hipcub16HIPCUB_304000_NS6detail34convert_binary_result_type_wrapperINS9_3SumENS9_22TransformInputIteratorIbN2at6native12_GLOBAL__N_19NonZeroOpIlEEPKllEEiEEEE10hipError_tPvRmT1_T2_T3_mT4_P12ihipStream_tbEUlT_E1_NS1_11comp_targetILNS1_3genE5ELNS1_11target_archE942ELNS1_3gpuE9ELNS1_3repE0EEENS1_30default_config_static_selectorELNS0_4arch9wavefront6targetE0EEEvSQ_,comdat
.Lfunc_end228:
	.size	_ZN7rocprim17ROCPRIM_400000_NS6detail17trampoline_kernelINS0_14default_configENS1_22reduce_config_selectorIiEEZNS1_11reduce_implILb1ES3_PiS7_iN6hipcub16HIPCUB_304000_NS6detail34convert_binary_result_type_wrapperINS9_3SumENS9_22TransformInputIteratorIbN2at6native12_GLOBAL__N_19NonZeroOpIlEEPKllEEiEEEE10hipError_tPvRmT1_T2_T3_mT4_P12ihipStream_tbEUlT_E1_NS1_11comp_targetILNS1_3genE5ELNS1_11target_archE942ELNS1_3gpuE9ELNS1_3repE0EEENS1_30default_config_static_selectorELNS0_4arch9wavefront6targetE0EEEvSQ_, .Lfunc_end228-_ZN7rocprim17ROCPRIM_400000_NS6detail17trampoline_kernelINS0_14default_configENS1_22reduce_config_selectorIiEEZNS1_11reduce_implILb1ES3_PiS7_iN6hipcub16HIPCUB_304000_NS6detail34convert_binary_result_type_wrapperINS9_3SumENS9_22TransformInputIteratorIbN2at6native12_GLOBAL__N_19NonZeroOpIlEEPKllEEiEEEE10hipError_tPvRmT1_T2_T3_mT4_P12ihipStream_tbEUlT_E1_NS1_11comp_targetILNS1_3genE5ELNS1_11target_archE942ELNS1_3gpuE9ELNS1_3repE0EEENS1_30default_config_static_selectorELNS0_4arch9wavefront6targetE0EEEvSQ_
                                        ; -- End function
	.section	.AMDGPU.csdata,"",@progbits
; Kernel info:
; codeLenInByte = 0
; NumSgprs: 0
; NumVgprs: 0
; ScratchSize: 0
; MemoryBound: 0
; FloatMode: 240
; IeeeMode: 1
; LDSByteSize: 0 bytes/workgroup (compile time only)
; SGPRBlocks: 0
; VGPRBlocks: 0
; NumSGPRsForWavesPerEU: 1
; NumVGPRsForWavesPerEU: 1
; Occupancy: 16
; WaveLimiterHint : 0
; COMPUTE_PGM_RSRC2:SCRATCH_EN: 0
; COMPUTE_PGM_RSRC2:USER_SGPR: 15
; COMPUTE_PGM_RSRC2:TRAP_HANDLER: 0
; COMPUTE_PGM_RSRC2:TGID_X_EN: 1
; COMPUTE_PGM_RSRC2:TGID_Y_EN: 0
; COMPUTE_PGM_RSRC2:TGID_Z_EN: 0
; COMPUTE_PGM_RSRC2:TIDIG_COMP_CNT: 0
	.section	.text._ZN7rocprim17ROCPRIM_400000_NS6detail17trampoline_kernelINS0_14default_configENS1_22reduce_config_selectorIiEEZNS1_11reduce_implILb1ES3_PiS7_iN6hipcub16HIPCUB_304000_NS6detail34convert_binary_result_type_wrapperINS9_3SumENS9_22TransformInputIteratorIbN2at6native12_GLOBAL__N_19NonZeroOpIlEEPKllEEiEEEE10hipError_tPvRmT1_T2_T3_mT4_P12ihipStream_tbEUlT_E1_NS1_11comp_targetILNS1_3genE4ELNS1_11target_archE910ELNS1_3gpuE8ELNS1_3repE0EEENS1_30default_config_static_selectorELNS0_4arch9wavefront6targetE0EEEvSQ_,"axG",@progbits,_ZN7rocprim17ROCPRIM_400000_NS6detail17trampoline_kernelINS0_14default_configENS1_22reduce_config_selectorIiEEZNS1_11reduce_implILb1ES3_PiS7_iN6hipcub16HIPCUB_304000_NS6detail34convert_binary_result_type_wrapperINS9_3SumENS9_22TransformInputIteratorIbN2at6native12_GLOBAL__N_19NonZeroOpIlEEPKllEEiEEEE10hipError_tPvRmT1_T2_T3_mT4_P12ihipStream_tbEUlT_E1_NS1_11comp_targetILNS1_3genE4ELNS1_11target_archE910ELNS1_3gpuE8ELNS1_3repE0EEENS1_30default_config_static_selectorELNS0_4arch9wavefront6targetE0EEEvSQ_,comdat
	.globl	_ZN7rocprim17ROCPRIM_400000_NS6detail17trampoline_kernelINS0_14default_configENS1_22reduce_config_selectorIiEEZNS1_11reduce_implILb1ES3_PiS7_iN6hipcub16HIPCUB_304000_NS6detail34convert_binary_result_type_wrapperINS9_3SumENS9_22TransformInputIteratorIbN2at6native12_GLOBAL__N_19NonZeroOpIlEEPKllEEiEEEE10hipError_tPvRmT1_T2_T3_mT4_P12ihipStream_tbEUlT_E1_NS1_11comp_targetILNS1_3genE4ELNS1_11target_archE910ELNS1_3gpuE8ELNS1_3repE0EEENS1_30default_config_static_selectorELNS0_4arch9wavefront6targetE0EEEvSQ_ ; -- Begin function _ZN7rocprim17ROCPRIM_400000_NS6detail17trampoline_kernelINS0_14default_configENS1_22reduce_config_selectorIiEEZNS1_11reduce_implILb1ES3_PiS7_iN6hipcub16HIPCUB_304000_NS6detail34convert_binary_result_type_wrapperINS9_3SumENS9_22TransformInputIteratorIbN2at6native12_GLOBAL__N_19NonZeroOpIlEEPKllEEiEEEE10hipError_tPvRmT1_T2_T3_mT4_P12ihipStream_tbEUlT_E1_NS1_11comp_targetILNS1_3genE4ELNS1_11target_archE910ELNS1_3gpuE8ELNS1_3repE0EEENS1_30default_config_static_selectorELNS0_4arch9wavefront6targetE0EEEvSQ_
	.p2align	8
	.type	_ZN7rocprim17ROCPRIM_400000_NS6detail17trampoline_kernelINS0_14default_configENS1_22reduce_config_selectorIiEEZNS1_11reduce_implILb1ES3_PiS7_iN6hipcub16HIPCUB_304000_NS6detail34convert_binary_result_type_wrapperINS9_3SumENS9_22TransformInputIteratorIbN2at6native12_GLOBAL__N_19NonZeroOpIlEEPKllEEiEEEE10hipError_tPvRmT1_T2_T3_mT4_P12ihipStream_tbEUlT_E1_NS1_11comp_targetILNS1_3genE4ELNS1_11target_archE910ELNS1_3gpuE8ELNS1_3repE0EEENS1_30default_config_static_selectorELNS0_4arch9wavefront6targetE0EEEvSQ_,@function
_ZN7rocprim17ROCPRIM_400000_NS6detail17trampoline_kernelINS0_14default_configENS1_22reduce_config_selectorIiEEZNS1_11reduce_implILb1ES3_PiS7_iN6hipcub16HIPCUB_304000_NS6detail34convert_binary_result_type_wrapperINS9_3SumENS9_22TransformInputIteratorIbN2at6native12_GLOBAL__N_19NonZeroOpIlEEPKllEEiEEEE10hipError_tPvRmT1_T2_T3_mT4_P12ihipStream_tbEUlT_E1_NS1_11comp_targetILNS1_3genE4ELNS1_11target_archE910ELNS1_3gpuE8ELNS1_3repE0EEENS1_30default_config_static_selectorELNS0_4arch9wavefront6targetE0EEEvSQ_: ; @_ZN7rocprim17ROCPRIM_400000_NS6detail17trampoline_kernelINS0_14default_configENS1_22reduce_config_selectorIiEEZNS1_11reduce_implILb1ES3_PiS7_iN6hipcub16HIPCUB_304000_NS6detail34convert_binary_result_type_wrapperINS9_3SumENS9_22TransformInputIteratorIbN2at6native12_GLOBAL__N_19NonZeroOpIlEEPKllEEiEEEE10hipError_tPvRmT1_T2_T3_mT4_P12ihipStream_tbEUlT_E1_NS1_11comp_targetILNS1_3genE4ELNS1_11target_archE910ELNS1_3gpuE8ELNS1_3repE0EEENS1_30default_config_static_selectorELNS0_4arch9wavefront6targetE0EEEvSQ_
; %bb.0:
	.section	.rodata,"a",@progbits
	.p2align	6, 0x0
	.amdhsa_kernel _ZN7rocprim17ROCPRIM_400000_NS6detail17trampoline_kernelINS0_14default_configENS1_22reduce_config_selectorIiEEZNS1_11reduce_implILb1ES3_PiS7_iN6hipcub16HIPCUB_304000_NS6detail34convert_binary_result_type_wrapperINS9_3SumENS9_22TransformInputIteratorIbN2at6native12_GLOBAL__N_19NonZeroOpIlEEPKllEEiEEEE10hipError_tPvRmT1_T2_T3_mT4_P12ihipStream_tbEUlT_E1_NS1_11comp_targetILNS1_3genE4ELNS1_11target_archE910ELNS1_3gpuE8ELNS1_3repE0EEENS1_30default_config_static_selectorELNS0_4arch9wavefront6targetE0EEEvSQ_
		.amdhsa_group_segment_fixed_size 0
		.amdhsa_private_segment_fixed_size 0
		.amdhsa_kernarg_size 40
		.amdhsa_user_sgpr_count 15
		.amdhsa_user_sgpr_dispatch_ptr 0
		.amdhsa_user_sgpr_queue_ptr 0
		.amdhsa_user_sgpr_kernarg_segment_ptr 1
		.amdhsa_user_sgpr_dispatch_id 0
		.amdhsa_user_sgpr_private_segment_size 0
		.amdhsa_wavefront_size32 1
		.amdhsa_uses_dynamic_stack 0
		.amdhsa_enable_private_segment 0
		.amdhsa_system_sgpr_workgroup_id_x 1
		.amdhsa_system_sgpr_workgroup_id_y 0
		.amdhsa_system_sgpr_workgroup_id_z 0
		.amdhsa_system_sgpr_workgroup_info 0
		.amdhsa_system_vgpr_workitem_id 0
		.amdhsa_next_free_vgpr 1
		.amdhsa_next_free_sgpr 1
		.amdhsa_reserve_vcc 0
		.amdhsa_float_round_mode_32 0
		.amdhsa_float_round_mode_16_64 0
		.amdhsa_float_denorm_mode_32 3
		.amdhsa_float_denorm_mode_16_64 3
		.amdhsa_dx10_clamp 1
		.amdhsa_ieee_mode 1
		.amdhsa_fp16_overflow 0
		.amdhsa_workgroup_processor_mode 1
		.amdhsa_memory_ordered 1
		.amdhsa_forward_progress 0
		.amdhsa_shared_vgpr_count 0
		.amdhsa_exception_fp_ieee_invalid_op 0
		.amdhsa_exception_fp_denorm_src 0
		.amdhsa_exception_fp_ieee_div_zero 0
		.amdhsa_exception_fp_ieee_overflow 0
		.amdhsa_exception_fp_ieee_underflow 0
		.amdhsa_exception_fp_ieee_inexact 0
		.amdhsa_exception_int_div_zero 0
	.end_amdhsa_kernel
	.section	.text._ZN7rocprim17ROCPRIM_400000_NS6detail17trampoline_kernelINS0_14default_configENS1_22reduce_config_selectorIiEEZNS1_11reduce_implILb1ES3_PiS7_iN6hipcub16HIPCUB_304000_NS6detail34convert_binary_result_type_wrapperINS9_3SumENS9_22TransformInputIteratorIbN2at6native12_GLOBAL__N_19NonZeroOpIlEEPKllEEiEEEE10hipError_tPvRmT1_T2_T3_mT4_P12ihipStream_tbEUlT_E1_NS1_11comp_targetILNS1_3genE4ELNS1_11target_archE910ELNS1_3gpuE8ELNS1_3repE0EEENS1_30default_config_static_selectorELNS0_4arch9wavefront6targetE0EEEvSQ_,"axG",@progbits,_ZN7rocprim17ROCPRIM_400000_NS6detail17trampoline_kernelINS0_14default_configENS1_22reduce_config_selectorIiEEZNS1_11reduce_implILb1ES3_PiS7_iN6hipcub16HIPCUB_304000_NS6detail34convert_binary_result_type_wrapperINS9_3SumENS9_22TransformInputIteratorIbN2at6native12_GLOBAL__N_19NonZeroOpIlEEPKllEEiEEEE10hipError_tPvRmT1_T2_T3_mT4_P12ihipStream_tbEUlT_E1_NS1_11comp_targetILNS1_3genE4ELNS1_11target_archE910ELNS1_3gpuE8ELNS1_3repE0EEENS1_30default_config_static_selectorELNS0_4arch9wavefront6targetE0EEEvSQ_,comdat
.Lfunc_end229:
	.size	_ZN7rocprim17ROCPRIM_400000_NS6detail17trampoline_kernelINS0_14default_configENS1_22reduce_config_selectorIiEEZNS1_11reduce_implILb1ES3_PiS7_iN6hipcub16HIPCUB_304000_NS6detail34convert_binary_result_type_wrapperINS9_3SumENS9_22TransformInputIteratorIbN2at6native12_GLOBAL__N_19NonZeroOpIlEEPKllEEiEEEE10hipError_tPvRmT1_T2_T3_mT4_P12ihipStream_tbEUlT_E1_NS1_11comp_targetILNS1_3genE4ELNS1_11target_archE910ELNS1_3gpuE8ELNS1_3repE0EEENS1_30default_config_static_selectorELNS0_4arch9wavefront6targetE0EEEvSQ_, .Lfunc_end229-_ZN7rocprim17ROCPRIM_400000_NS6detail17trampoline_kernelINS0_14default_configENS1_22reduce_config_selectorIiEEZNS1_11reduce_implILb1ES3_PiS7_iN6hipcub16HIPCUB_304000_NS6detail34convert_binary_result_type_wrapperINS9_3SumENS9_22TransformInputIteratorIbN2at6native12_GLOBAL__N_19NonZeroOpIlEEPKllEEiEEEE10hipError_tPvRmT1_T2_T3_mT4_P12ihipStream_tbEUlT_E1_NS1_11comp_targetILNS1_3genE4ELNS1_11target_archE910ELNS1_3gpuE8ELNS1_3repE0EEENS1_30default_config_static_selectorELNS0_4arch9wavefront6targetE0EEEvSQ_
                                        ; -- End function
	.section	.AMDGPU.csdata,"",@progbits
; Kernel info:
; codeLenInByte = 0
; NumSgprs: 0
; NumVgprs: 0
; ScratchSize: 0
; MemoryBound: 0
; FloatMode: 240
; IeeeMode: 1
; LDSByteSize: 0 bytes/workgroup (compile time only)
; SGPRBlocks: 0
; VGPRBlocks: 0
; NumSGPRsForWavesPerEU: 1
; NumVGPRsForWavesPerEU: 1
; Occupancy: 16
; WaveLimiterHint : 0
; COMPUTE_PGM_RSRC2:SCRATCH_EN: 0
; COMPUTE_PGM_RSRC2:USER_SGPR: 15
; COMPUTE_PGM_RSRC2:TRAP_HANDLER: 0
; COMPUTE_PGM_RSRC2:TGID_X_EN: 1
; COMPUTE_PGM_RSRC2:TGID_Y_EN: 0
; COMPUTE_PGM_RSRC2:TGID_Z_EN: 0
; COMPUTE_PGM_RSRC2:TIDIG_COMP_CNT: 0
	.section	.text._ZN7rocprim17ROCPRIM_400000_NS6detail17trampoline_kernelINS0_14default_configENS1_22reduce_config_selectorIiEEZNS1_11reduce_implILb1ES3_PiS7_iN6hipcub16HIPCUB_304000_NS6detail34convert_binary_result_type_wrapperINS9_3SumENS9_22TransformInputIteratorIbN2at6native12_GLOBAL__N_19NonZeroOpIlEEPKllEEiEEEE10hipError_tPvRmT1_T2_T3_mT4_P12ihipStream_tbEUlT_E1_NS1_11comp_targetILNS1_3genE3ELNS1_11target_archE908ELNS1_3gpuE7ELNS1_3repE0EEENS1_30default_config_static_selectorELNS0_4arch9wavefront6targetE0EEEvSQ_,"axG",@progbits,_ZN7rocprim17ROCPRIM_400000_NS6detail17trampoline_kernelINS0_14default_configENS1_22reduce_config_selectorIiEEZNS1_11reduce_implILb1ES3_PiS7_iN6hipcub16HIPCUB_304000_NS6detail34convert_binary_result_type_wrapperINS9_3SumENS9_22TransformInputIteratorIbN2at6native12_GLOBAL__N_19NonZeroOpIlEEPKllEEiEEEE10hipError_tPvRmT1_T2_T3_mT4_P12ihipStream_tbEUlT_E1_NS1_11comp_targetILNS1_3genE3ELNS1_11target_archE908ELNS1_3gpuE7ELNS1_3repE0EEENS1_30default_config_static_selectorELNS0_4arch9wavefront6targetE0EEEvSQ_,comdat
	.globl	_ZN7rocprim17ROCPRIM_400000_NS6detail17trampoline_kernelINS0_14default_configENS1_22reduce_config_selectorIiEEZNS1_11reduce_implILb1ES3_PiS7_iN6hipcub16HIPCUB_304000_NS6detail34convert_binary_result_type_wrapperINS9_3SumENS9_22TransformInputIteratorIbN2at6native12_GLOBAL__N_19NonZeroOpIlEEPKllEEiEEEE10hipError_tPvRmT1_T2_T3_mT4_P12ihipStream_tbEUlT_E1_NS1_11comp_targetILNS1_3genE3ELNS1_11target_archE908ELNS1_3gpuE7ELNS1_3repE0EEENS1_30default_config_static_selectorELNS0_4arch9wavefront6targetE0EEEvSQ_ ; -- Begin function _ZN7rocprim17ROCPRIM_400000_NS6detail17trampoline_kernelINS0_14default_configENS1_22reduce_config_selectorIiEEZNS1_11reduce_implILb1ES3_PiS7_iN6hipcub16HIPCUB_304000_NS6detail34convert_binary_result_type_wrapperINS9_3SumENS9_22TransformInputIteratorIbN2at6native12_GLOBAL__N_19NonZeroOpIlEEPKllEEiEEEE10hipError_tPvRmT1_T2_T3_mT4_P12ihipStream_tbEUlT_E1_NS1_11comp_targetILNS1_3genE3ELNS1_11target_archE908ELNS1_3gpuE7ELNS1_3repE0EEENS1_30default_config_static_selectorELNS0_4arch9wavefront6targetE0EEEvSQ_
	.p2align	8
	.type	_ZN7rocprim17ROCPRIM_400000_NS6detail17trampoline_kernelINS0_14default_configENS1_22reduce_config_selectorIiEEZNS1_11reduce_implILb1ES3_PiS7_iN6hipcub16HIPCUB_304000_NS6detail34convert_binary_result_type_wrapperINS9_3SumENS9_22TransformInputIteratorIbN2at6native12_GLOBAL__N_19NonZeroOpIlEEPKllEEiEEEE10hipError_tPvRmT1_T2_T3_mT4_P12ihipStream_tbEUlT_E1_NS1_11comp_targetILNS1_3genE3ELNS1_11target_archE908ELNS1_3gpuE7ELNS1_3repE0EEENS1_30default_config_static_selectorELNS0_4arch9wavefront6targetE0EEEvSQ_,@function
_ZN7rocprim17ROCPRIM_400000_NS6detail17trampoline_kernelINS0_14default_configENS1_22reduce_config_selectorIiEEZNS1_11reduce_implILb1ES3_PiS7_iN6hipcub16HIPCUB_304000_NS6detail34convert_binary_result_type_wrapperINS9_3SumENS9_22TransformInputIteratorIbN2at6native12_GLOBAL__N_19NonZeroOpIlEEPKllEEiEEEE10hipError_tPvRmT1_T2_T3_mT4_P12ihipStream_tbEUlT_E1_NS1_11comp_targetILNS1_3genE3ELNS1_11target_archE908ELNS1_3gpuE7ELNS1_3repE0EEENS1_30default_config_static_selectorELNS0_4arch9wavefront6targetE0EEEvSQ_: ; @_ZN7rocprim17ROCPRIM_400000_NS6detail17trampoline_kernelINS0_14default_configENS1_22reduce_config_selectorIiEEZNS1_11reduce_implILb1ES3_PiS7_iN6hipcub16HIPCUB_304000_NS6detail34convert_binary_result_type_wrapperINS9_3SumENS9_22TransformInputIteratorIbN2at6native12_GLOBAL__N_19NonZeroOpIlEEPKllEEiEEEE10hipError_tPvRmT1_T2_T3_mT4_P12ihipStream_tbEUlT_E1_NS1_11comp_targetILNS1_3genE3ELNS1_11target_archE908ELNS1_3gpuE7ELNS1_3repE0EEENS1_30default_config_static_selectorELNS0_4arch9wavefront6targetE0EEEvSQ_
; %bb.0:
	.section	.rodata,"a",@progbits
	.p2align	6, 0x0
	.amdhsa_kernel _ZN7rocprim17ROCPRIM_400000_NS6detail17trampoline_kernelINS0_14default_configENS1_22reduce_config_selectorIiEEZNS1_11reduce_implILb1ES3_PiS7_iN6hipcub16HIPCUB_304000_NS6detail34convert_binary_result_type_wrapperINS9_3SumENS9_22TransformInputIteratorIbN2at6native12_GLOBAL__N_19NonZeroOpIlEEPKllEEiEEEE10hipError_tPvRmT1_T2_T3_mT4_P12ihipStream_tbEUlT_E1_NS1_11comp_targetILNS1_3genE3ELNS1_11target_archE908ELNS1_3gpuE7ELNS1_3repE0EEENS1_30default_config_static_selectorELNS0_4arch9wavefront6targetE0EEEvSQ_
		.amdhsa_group_segment_fixed_size 0
		.amdhsa_private_segment_fixed_size 0
		.amdhsa_kernarg_size 40
		.amdhsa_user_sgpr_count 15
		.amdhsa_user_sgpr_dispatch_ptr 0
		.amdhsa_user_sgpr_queue_ptr 0
		.amdhsa_user_sgpr_kernarg_segment_ptr 1
		.amdhsa_user_sgpr_dispatch_id 0
		.amdhsa_user_sgpr_private_segment_size 0
		.amdhsa_wavefront_size32 1
		.amdhsa_uses_dynamic_stack 0
		.amdhsa_enable_private_segment 0
		.amdhsa_system_sgpr_workgroup_id_x 1
		.amdhsa_system_sgpr_workgroup_id_y 0
		.amdhsa_system_sgpr_workgroup_id_z 0
		.amdhsa_system_sgpr_workgroup_info 0
		.amdhsa_system_vgpr_workitem_id 0
		.amdhsa_next_free_vgpr 1
		.amdhsa_next_free_sgpr 1
		.amdhsa_reserve_vcc 0
		.amdhsa_float_round_mode_32 0
		.amdhsa_float_round_mode_16_64 0
		.amdhsa_float_denorm_mode_32 3
		.amdhsa_float_denorm_mode_16_64 3
		.amdhsa_dx10_clamp 1
		.amdhsa_ieee_mode 1
		.amdhsa_fp16_overflow 0
		.amdhsa_workgroup_processor_mode 1
		.amdhsa_memory_ordered 1
		.amdhsa_forward_progress 0
		.amdhsa_shared_vgpr_count 0
		.amdhsa_exception_fp_ieee_invalid_op 0
		.amdhsa_exception_fp_denorm_src 0
		.amdhsa_exception_fp_ieee_div_zero 0
		.amdhsa_exception_fp_ieee_overflow 0
		.amdhsa_exception_fp_ieee_underflow 0
		.amdhsa_exception_fp_ieee_inexact 0
		.amdhsa_exception_int_div_zero 0
	.end_amdhsa_kernel
	.section	.text._ZN7rocprim17ROCPRIM_400000_NS6detail17trampoline_kernelINS0_14default_configENS1_22reduce_config_selectorIiEEZNS1_11reduce_implILb1ES3_PiS7_iN6hipcub16HIPCUB_304000_NS6detail34convert_binary_result_type_wrapperINS9_3SumENS9_22TransformInputIteratorIbN2at6native12_GLOBAL__N_19NonZeroOpIlEEPKllEEiEEEE10hipError_tPvRmT1_T2_T3_mT4_P12ihipStream_tbEUlT_E1_NS1_11comp_targetILNS1_3genE3ELNS1_11target_archE908ELNS1_3gpuE7ELNS1_3repE0EEENS1_30default_config_static_selectorELNS0_4arch9wavefront6targetE0EEEvSQ_,"axG",@progbits,_ZN7rocprim17ROCPRIM_400000_NS6detail17trampoline_kernelINS0_14default_configENS1_22reduce_config_selectorIiEEZNS1_11reduce_implILb1ES3_PiS7_iN6hipcub16HIPCUB_304000_NS6detail34convert_binary_result_type_wrapperINS9_3SumENS9_22TransformInputIteratorIbN2at6native12_GLOBAL__N_19NonZeroOpIlEEPKllEEiEEEE10hipError_tPvRmT1_T2_T3_mT4_P12ihipStream_tbEUlT_E1_NS1_11comp_targetILNS1_3genE3ELNS1_11target_archE908ELNS1_3gpuE7ELNS1_3repE0EEENS1_30default_config_static_selectorELNS0_4arch9wavefront6targetE0EEEvSQ_,comdat
.Lfunc_end230:
	.size	_ZN7rocprim17ROCPRIM_400000_NS6detail17trampoline_kernelINS0_14default_configENS1_22reduce_config_selectorIiEEZNS1_11reduce_implILb1ES3_PiS7_iN6hipcub16HIPCUB_304000_NS6detail34convert_binary_result_type_wrapperINS9_3SumENS9_22TransformInputIteratorIbN2at6native12_GLOBAL__N_19NonZeroOpIlEEPKllEEiEEEE10hipError_tPvRmT1_T2_T3_mT4_P12ihipStream_tbEUlT_E1_NS1_11comp_targetILNS1_3genE3ELNS1_11target_archE908ELNS1_3gpuE7ELNS1_3repE0EEENS1_30default_config_static_selectorELNS0_4arch9wavefront6targetE0EEEvSQ_, .Lfunc_end230-_ZN7rocprim17ROCPRIM_400000_NS6detail17trampoline_kernelINS0_14default_configENS1_22reduce_config_selectorIiEEZNS1_11reduce_implILb1ES3_PiS7_iN6hipcub16HIPCUB_304000_NS6detail34convert_binary_result_type_wrapperINS9_3SumENS9_22TransformInputIteratorIbN2at6native12_GLOBAL__N_19NonZeroOpIlEEPKllEEiEEEE10hipError_tPvRmT1_T2_T3_mT4_P12ihipStream_tbEUlT_E1_NS1_11comp_targetILNS1_3genE3ELNS1_11target_archE908ELNS1_3gpuE7ELNS1_3repE0EEENS1_30default_config_static_selectorELNS0_4arch9wavefront6targetE0EEEvSQ_
                                        ; -- End function
	.section	.AMDGPU.csdata,"",@progbits
; Kernel info:
; codeLenInByte = 0
; NumSgprs: 0
; NumVgprs: 0
; ScratchSize: 0
; MemoryBound: 0
; FloatMode: 240
; IeeeMode: 1
; LDSByteSize: 0 bytes/workgroup (compile time only)
; SGPRBlocks: 0
; VGPRBlocks: 0
; NumSGPRsForWavesPerEU: 1
; NumVGPRsForWavesPerEU: 1
; Occupancy: 16
; WaveLimiterHint : 0
; COMPUTE_PGM_RSRC2:SCRATCH_EN: 0
; COMPUTE_PGM_RSRC2:USER_SGPR: 15
; COMPUTE_PGM_RSRC2:TRAP_HANDLER: 0
; COMPUTE_PGM_RSRC2:TGID_X_EN: 1
; COMPUTE_PGM_RSRC2:TGID_Y_EN: 0
; COMPUTE_PGM_RSRC2:TGID_Z_EN: 0
; COMPUTE_PGM_RSRC2:TIDIG_COMP_CNT: 0
	.section	.text._ZN7rocprim17ROCPRIM_400000_NS6detail17trampoline_kernelINS0_14default_configENS1_22reduce_config_selectorIiEEZNS1_11reduce_implILb1ES3_PiS7_iN6hipcub16HIPCUB_304000_NS6detail34convert_binary_result_type_wrapperINS9_3SumENS9_22TransformInputIteratorIbN2at6native12_GLOBAL__N_19NonZeroOpIlEEPKllEEiEEEE10hipError_tPvRmT1_T2_T3_mT4_P12ihipStream_tbEUlT_E1_NS1_11comp_targetILNS1_3genE2ELNS1_11target_archE906ELNS1_3gpuE6ELNS1_3repE0EEENS1_30default_config_static_selectorELNS0_4arch9wavefront6targetE0EEEvSQ_,"axG",@progbits,_ZN7rocprim17ROCPRIM_400000_NS6detail17trampoline_kernelINS0_14default_configENS1_22reduce_config_selectorIiEEZNS1_11reduce_implILb1ES3_PiS7_iN6hipcub16HIPCUB_304000_NS6detail34convert_binary_result_type_wrapperINS9_3SumENS9_22TransformInputIteratorIbN2at6native12_GLOBAL__N_19NonZeroOpIlEEPKllEEiEEEE10hipError_tPvRmT1_T2_T3_mT4_P12ihipStream_tbEUlT_E1_NS1_11comp_targetILNS1_3genE2ELNS1_11target_archE906ELNS1_3gpuE6ELNS1_3repE0EEENS1_30default_config_static_selectorELNS0_4arch9wavefront6targetE0EEEvSQ_,comdat
	.globl	_ZN7rocprim17ROCPRIM_400000_NS6detail17trampoline_kernelINS0_14default_configENS1_22reduce_config_selectorIiEEZNS1_11reduce_implILb1ES3_PiS7_iN6hipcub16HIPCUB_304000_NS6detail34convert_binary_result_type_wrapperINS9_3SumENS9_22TransformInputIteratorIbN2at6native12_GLOBAL__N_19NonZeroOpIlEEPKllEEiEEEE10hipError_tPvRmT1_T2_T3_mT4_P12ihipStream_tbEUlT_E1_NS1_11comp_targetILNS1_3genE2ELNS1_11target_archE906ELNS1_3gpuE6ELNS1_3repE0EEENS1_30default_config_static_selectorELNS0_4arch9wavefront6targetE0EEEvSQ_ ; -- Begin function _ZN7rocprim17ROCPRIM_400000_NS6detail17trampoline_kernelINS0_14default_configENS1_22reduce_config_selectorIiEEZNS1_11reduce_implILb1ES3_PiS7_iN6hipcub16HIPCUB_304000_NS6detail34convert_binary_result_type_wrapperINS9_3SumENS9_22TransformInputIteratorIbN2at6native12_GLOBAL__N_19NonZeroOpIlEEPKllEEiEEEE10hipError_tPvRmT1_T2_T3_mT4_P12ihipStream_tbEUlT_E1_NS1_11comp_targetILNS1_3genE2ELNS1_11target_archE906ELNS1_3gpuE6ELNS1_3repE0EEENS1_30default_config_static_selectorELNS0_4arch9wavefront6targetE0EEEvSQ_
	.p2align	8
	.type	_ZN7rocprim17ROCPRIM_400000_NS6detail17trampoline_kernelINS0_14default_configENS1_22reduce_config_selectorIiEEZNS1_11reduce_implILb1ES3_PiS7_iN6hipcub16HIPCUB_304000_NS6detail34convert_binary_result_type_wrapperINS9_3SumENS9_22TransformInputIteratorIbN2at6native12_GLOBAL__N_19NonZeroOpIlEEPKllEEiEEEE10hipError_tPvRmT1_T2_T3_mT4_P12ihipStream_tbEUlT_E1_NS1_11comp_targetILNS1_3genE2ELNS1_11target_archE906ELNS1_3gpuE6ELNS1_3repE0EEENS1_30default_config_static_selectorELNS0_4arch9wavefront6targetE0EEEvSQ_,@function
_ZN7rocprim17ROCPRIM_400000_NS6detail17trampoline_kernelINS0_14default_configENS1_22reduce_config_selectorIiEEZNS1_11reduce_implILb1ES3_PiS7_iN6hipcub16HIPCUB_304000_NS6detail34convert_binary_result_type_wrapperINS9_3SumENS9_22TransformInputIteratorIbN2at6native12_GLOBAL__N_19NonZeroOpIlEEPKllEEiEEEE10hipError_tPvRmT1_T2_T3_mT4_P12ihipStream_tbEUlT_E1_NS1_11comp_targetILNS1_3genE2ELNS1_11target_archE906ELNS1_3gpuE6ELNS1_3repE0EEENS1_30default_config_static_selectorELNS0_4arch9wavefront6targetE0EEEvSQ_: ; @_ZN7rocprim17ROCPRIM_400000_NS6detail17trampoline_kernelINS0_14default_configENS1_22reduce_config_selectorIiEEZNS1_11reduce_implILb1ES3_PiS7_iN6hipcub16HIPCUB_304000_NS6detail34convert_binary_result_type_wrapperINS9_3SumENS9_22TransformInputIteratorIbN2at6native12_GLOBAL__N_19NonZeroOpIlEEPKllEEiEEEE10hipError_tPvRmT1_T2_T3_mT4_P12ihipStream_tbEUlT_E1_NS1_11comp_targetILNS1_3genE2ELNS1_11target_archE906ELNS1_3gpuE6ELNS1_3repE0EEENS1_30default_config_static_selectorELNS0_4arch9wavefront6targetE0EEEvSQ_
; %bb.0:
	.section	.rodata,"a",@progbits
	.p2align	6, 0x0
	.amdhsa_kernel _ZN7rocprim17ROCPRIM_400000_NS6detail17trampoline_kernelINS0_14default_configENS1_22reduce_config_selectorIiEEZNS1_11reduce_implILb1ES3_PiS7_iN6hipcub16HIPCUB_304000_NS6detail34convert_binary_result_type_wrapperINS9_3SumENS9_22TransformInputIteratorIbN2at6native12_GLOBAL__N_19NonZeroOpIlEEPKllEEiEEEE10hipError_tPvRmT1_T2_T3_mT4_P12ihipStream_tbEUlT_E1_NS1_11comp_targetILNS1_3genE2ELNS1_11target_archE906ELNS1_3gpuE6ELNS1_3repE0EEENS1_30default_config_static_selectorELNS0_4arch9wavefront6targetE0EEEvSQ_
		.amdhsa_group_segment_fixed_size 0
		.amdhsa_private_segment_fixed_size 0
		.amdhsa_kernarg_size 40
		.amdhsa_user_sgpr_count 15
		.amdhsa_user_sgpr_dispatch_ptr 0
		.amdhsa_user_sgpr_queue_ptr 0
		.amdhsa_user_sgpr_kernarg_segment_ptr 1
		.amdhsa_user_sgpr_dispatch_id 0
		.amdhsa_user_sgpr_private_segment_size 0
		.amdhsa_wavefront_size32 1
		.amdhsa_uses_dynamic_stack 0
		.amdhsa_enable_private_segment 0
		.amdhsa_system_sgpr_workgroup_id_x 1
		.amdhsa_system_sgpr_workgroup_id_y 0
		.amdhsa_system_sgpr_workgroup_id_z 0
		.amdhsa_system_sgpr_workgroup_info 0
		.amdhsa_system_vgpr_workitem_id 0
		.amdhsa_next_free_vgpr 1
		.amdhsa_next_free_sgpr 1
		.amdhsa_reserve_vcc 0
		.amdhsa_float_round_mode_32 0
		.amdhsa_float_round_mode_16_64 0
		.amdhsa_float_denorm_mode_32 3
		.amdhsa_float_denorm_mode_16_64 3
		.amdhsa_dx10_clamp 1
		.amdhsa_ieee_mode 1
		.amdhsa_fp16_overflow 0
		.amdhsa_workgroup_processor_mode 1
		.amdhsa_memory_ordered 1
		.amdhsa_forward_progress 0
		.amdhsa_shared_vgpr_count 0
		.amdhsa_exception_fp_ieee_invalid_op 0
		.amdhsa_exception_fp_denorm_src 0
		.amdhsa_exception_fp_ieee_div_zero 0
		.amdhsa_exception_fp_ieee_overflow 0
		.amdhsa_exception_fp_ieee_underflow 0
		.amdhsa_exception_fp_ieee_inexact 0
		.amdhsa_exception_int_div_zero 0
	.end_amdhsa_kernel
	.section	.text._ZN7rocprim17ROCPRIM_400000_NS6detail17trampoline_kernelINS0_14default_configENS1_22reduce_config_selectorIiEEZNS1_11reduce_implILb1ES3_PiS7_iN6hipcub16HIPCUB_304000_NS6detail34convert_binary_result_type_wrapperINS9_3SumENS9_22TransformInputIteratorIbN2at6native12_GLOBAL__N_19NonZeroOpIlEEPKllEEiEEEE10hipError_tPvRmT1_T2_T3_mT4_P12ihipStream_tbEUlT_E1_NS1_11comp_targetILNS1_3genE2ELNS1_11target_archE906ELNS1_3gpuE6ELNS1_3repE0EEENS1_30default_config_static_selectorELNS0_4arch9wavefront6targetE0EEEvSQ_,"axG",@progbits,_ZN7rocprim17ROCPRIM_400000_NS6detail17trampoline_kernelINS0_14default_configENS1_22reduce_config_selectorIiEEZNS1_11reduce_implILb1ES3_PiS7_iN6hipcub16HIPCUB_304000_NS6detail34convert_binary_result_type_wrapperINS9_3SumENS9_22TransformInputIteratorIbN2at6native12_GLOBAL__N_19NonZeroOpIlEEPKllEEiEEEE10hipError_tPvRmT1_T2_T3_mT4_P12ihipStream_tbEUlT_E1_NS1_11comp_targetILNS1_3genE2ELNS1_11target_archE906ELNS1_3gpuE6ELNS1_3repE0EEENS1_30default_config_static_selectorELNS0_4arch9wavefront6targetE0EEEvSQ_,comdat
.Lfunc_end231:
	.size	_ZN7rocprim17ROCPRIM_400000_NS6detail17trampoline_kernelINS0_14default_configENS1_22reduce_config_selectorIiEEZNS1_11reduce_implILb1ES3_PiS7_iN6hipcub16HIPCUB_304000_NS6detail34convert_binary_result_type_wrapperINS9_3SumENS9_22TransformInputIteratorIbN2at6native12_GLOBAL__N_19NonZeroOpIlEEPKllEEiEEEE10hipError_tPvRmT1_T2_T3_mT4_P12ihipStream_tbEUlT_E1_NS1_11comp_targetILNS1_3genE2ELNS1_11target_archE906ELNS1_3gpuE6ELNS1_3repE0EEENS1_30default_config_static_selectorELNS0_4arch9wavefront6targetE0EEEvSQ_, .Lfunc_end231-_ZN7rocprim17ROCPRIM_400000_NS6detail17trampoline_kernelINS0_14default_configENS1_22reduce_config_selectorIiEEZNS1_11reduce_implILb1ES3_PiS7_iN6hipcub16HIPCUB_304000_NS6detail34convert_binary_result_type_wrapperINS9_3SumENS9_22TransformInputIteratorIbN2at6native12_GLOBAL__N_19NonZeroOpIlEEPKllEEiEEEE10hipError_tPvRmT1_T2_T3_mT4_P12ihipStream_tbEUlT_E1_NS1_11comp_targetILNS1_3genE2ELNS1_11target_archE906ELNS1_3gpuE6ELNS1_3repE0EEENS1_30default_config_static_selectorELNS0_4arch9wavefront6targetE0EEEvSQ_
                                        ; -- End function
	.section	.AMDGPU.csdata,"",@progbits
; Kernel info:
; codeLenInByte = 0
; NumSgprs: 0
; NumVgprs: 0
; ScratchSize: 0
; MemoryBound: 0
; FloatMode: 240
; IeeeMode: 1
; LDSByteSize: 0 bytes/workgroup (compile time only)
; SGPRBlocks: 0
; VGPRBlocks: 0
; NumSGPRsForWavesPerEU: 1
; NumVGPRsForWavesPerEU: 1
; Occupancy: 16
; WaveLimiterHint : 0
; COMPUTE_PGM_RSRC2:SCRATCH_EN: 0
; COMPUTE_PGM_RSRC2:USER_SGPR: 15
; COMPUTE_PGM_RSRC2:TRAP_HANDLER: 0
; COMPUTE_PGM_RSRC2:TGID_X_EN: 1
; COMPUTE_PGM_RSRC2:TGID_Y_EN: 0
; COMPUTE_PGM_RSRC2:TGID_Z_EN: 0
; COMPUTE_PGM_RSRC2:TIDIG_COMP_CNT: 0
	.section	.text._ZN7rocprim17ROCPRIM_400000_NS6detail17trampoline_kernelINS0_14default_configENS1_22reduce_config_selectorIiEEZNS1_11reduce_implILb1ES3_PiS7_iN6hipcub16HIPCUB_304000_NS6detail34convert_binary_result_type_wrapperINS9_3SumENS9_22TransformInputIteratorIbN2at6native12_GLOBAL__N_19NonZeroOpIlEEPKllEEiEEEE10hipError_tPvRmT1_T2_T3_mT4_P12ihipStream_tbEUlT_E1_NS1_11comp_targetILNS1_3genE10ELNS1_11target_archE1201ELNS1_3gpuE5ELNS1_3repE0EEENS1_30default_config_static_selectorELNS0_4arch9wavefront6targetE0EEEvSQ_,"axG",@progbits,_ZN7rocprim17ROCPRIM_400000_NS6detail17trampoline_kernelINS0_14default_configENS1_22reduce_config_selectorIiEEZNS1_11reduce_implILb1ES3_PiS7_iN6hipcub16HIPCUB_304000_NS6detail34convert_binary_result_type_wrapperINS9_3SumENS9_22TransformInputIteratorIbN2at6native12_GLOBAL__N_19NonZeroOpIlEEPKllEEiEEEE10hipError_tPvRmT1_T2_T3_mT4_P12ihipStream_tbEUlT_E1_NS1_11comp_targetILNS1_3genE10ELNS1_11target_archE1201ELNS1_3gpuE5ELNS1_3repE0EEENS1_30default_config_static_selectorELNS0_4arch9wavefront6targetE0EEEvSQ_,comdat
	.globl	_ZN7rocprim17ROCPRIM_400000_NS6detail17trampoline_kernelINS0_14default_configENS1_22reduce_config_selectorIiEEZNS1_11reduce_implILb1ES3_PiS7_iN6hipcub16HIPCUB_304000_NS6detail34convert_binary_result_type_wrapperINS9_3SumENS9_22TransformInputIteratorIbN2at6native12_GLOBAL__N_19NonZeroOpIlEEPKllEEiEEEE10hipError_tPvRmT1_T2_T3_mT4_P12ihipStream_tbEUlT_E1_NS1_11comp_targetILNS1_3genE10ELNS1_11target_archE1201ELNS1_3gpuE5ELNS1_3repE0EEENS1_30default_config_static_selectorELNS0_4arch9wavefront6targetE0EEEvSQ_ ; -- Begin function _ZN7rocprim17ROCPRIM_400000_NS6detail17trampoline_kernelINS0_14default_configENS1_22reduce_config_selectorIiEEZNS1_11reduce_implILb1ES3_PiS7_iN6hipcub16HIPCUB_304000_NS6detail34convert_binary_result_type_wrapperINS9_3SumENS9_22TransformInputIteratorIbN2at6native12_GLOBAL__N_19NonZeroOpIlEEPKllEEiEEEE10hipError_tPvRmT1_T2_T3_mT4_P12ihipStream_tbEUlT_E1_NS1_11comp_targetILNS1_3genE10ELNS1_11target_archE1201ELNS1_3gpuE5ELNS1_3repE0EEENS1_30default_config_static_selectorELNS0_4arch9wavefront6targetE0EEEvSQ_
	.p2align	8
	.type	_ZN7rocprim17ROCPRIM_400000_NS6detail17trampoline_kernelINS0_14default_configENS1_22reduce_config_selectorIiEEZNS1_11reduce_implILb1ES3_PiS7_iN6hipcub16HIPCUB_304000_NS6detail34convert_binary_result_type_wrapperINS9_3SumENS9_22TransformInputIteratorIbN2at6native12_GLOBAL__N_19NonZeroOpIlEEPKllEEiEEEE10hipError_tPvRmT1_T2_T3_mT4_P12ihipStream_tbEUlT_E1_NS1_11comp_targetILNS1_3genE10ELNS1_11target_archE1201ELNS1_3gpuE5ELNS1_3repE0EEENS1_30default_config_static_selectorELNS0_4arch9wavefront6targetE0EEEvSQ_,@function
_ZN7rocprim17ROCPRIM_400000_NS6detail17trampoline_kernelINS0_14default_configENS1_22reduce_config_selectorIiEEZNS1_11reduce_implILb1ES3_PiS7_iN6hipcub16HIPCUB_304000_NS6detail34convert_binary_result_type_wrapperINS9_3SumENS9_22TransformInputIteratorIbN2at6native12_GLOBAL__N_19NonZeroOpIlEEPKllEEiEEEE10hipError_tPvRmT1_T2_T3_mT4_P12ihipStream_tbEUlT_E1_NS1_11comp_targetILNS1_3genE10ELNS1_11target_archE1201ELNS1_3gpuE5ELNS1_3repE0EEENS1_30default_config_static_selectorELNS0_4arch9wavefront6targetE0EEEvSQ_: ; @_ZN7rocprim17ROCPRIM_400000_NS6detail17trampoline_kernelINS0_14default_configENS1_22reduce_config_selectorIiEEZNS1_11reduce_implILb1ES3_PiS7_iN6hipcub16HIPCUB_304000_NS6detail34convert_binary_result_type_wrapperINS9_3SumENS9_22TransformInputIteratorIbN2at6native12_GLOBAL__N_19NonZeroOpIlEEPKllEEiEEEE10hipError_tPvRmT1_T2_T3_mT4_P12ihipStream_tbEUlT_E1_NS1_11comp_targetILNS1_3genE10ELNS1_11target_archE1201ELNS1_3gpuE5ELNS1_3repE0EEENS1_30default_config_static_selectorELNS0_4arch9wavefront6targetE0EEEvSQ_
; %bb.0:
	.section	.rodata,"a",@progbits
	.p2align	6, 0x0
	.amdhsa_kernel _ZN7rocprim17ROCPRIM_400000_NS6detail17trampoline_kernelINS0_14default_configENS1_22reduce_config_selectorIiEEZNS1_11reduce_implILb1ES3_PiS7_iN6hipcub16HIPCUB_304000_NS6detail34convert_binary_result_type_wrapperINS9_3SumENS9_22TransformInputIteratorIbN2at6native12_GLOBAL__N_19NonZeroOpIlEEPKllEEiEEEE10hipError_tPvRmT1_T2_T3_mT4_P12ihipStream_tbEUlT_E1_NS1_11comp_targetILNS1_3genE10ELNS1_11target_archE1201ELNS1_3gpuE5ELNS1_3repE0EEENS1_30default_config_static_selectorELNS0_4arch9wavefront6targetE0EEEvSQ_
		.amdhsa_group_segment_fixed_size 0
		.amdhsa_private_segment_fixed_size 0
		.amdhsa_kernarg_size 40
		.amdhsa_user_sgpr_count 15
		.amdhsa_user_sgpr_dispatch_ptr 0
		.amdhsa_user_sgpr_queue_ptr 0
		.amdhsa_user_sgpr_kernarg_segment_ptr 1
		.amdhsa_user_sgpr_dispatch_id 0
		.amdhsa_user_sgpr_private_segment_size 0
		.amdhsa_wavefront_size32 1
		.amdhsa_uses_dynamic_stack 0
		.amdhsa_enable_private_segment 0
		.amdhsa_system_sgpr_workgroup_id_x 1
		.amdhsa_system_sgpr_workgroup_id_y 0
		.amdhsa_system_sgpr_workgroup_id_z 0
		.amdhsa_system_sgpr_workgroup_info 0
		.amdhsa_system_vgpr_workitem_id 0
		.amdhsa_next_free_vgpr 1
		.amdhsa_next_free_sgpr 1
		.amdhsa_reserve_vcc 0
		.amdhsa_float_round_mode_32 0
		.amdhsa_float_round_mode_16_64 0
		.amdhsa_float_denorm_mode_32 3
		.amdhsa_float_denorm_mode_16_64 3
		.amdhsa_dx10_clamp 1
		.amdhsa_ieee_mode 1
		.amdhsa_fp16_overflow 0
		.amdhsa_workgroup_processor_mode 1
		.amdhsa_memory_ordered 1
		.amdhsa_forward_progress 0
		.amdhsa_shared_vgpr_count 0
		.amdhsa_exception_fp_ieee_invalid_op 0
		.amdhsa_exception_fp_denorm_src 0
		.amdhsa_exception_fp_ieee_div_zero 0
		.amdhsa_exception_fp_ieee_overflow 0
		.amdhsa_exception_fp_ieee_underflow 0
		.amdhsa_exception_fp_ieee_inexact 0
		.amdhsa_exception_int_div_zero 0
	.end_amdhsa_kernel
	.section	.text._ZN7rocprim17ROCPRIM_400000_NS6detail17trampoline_kernelINS0_14default_configENS1_22reduce_config_selectorIiEEZNS1_11reduce_implILb1ES3_PiS7_iN6hipcub16HIPCUB_304000_NS6detail34convert_binary_result_type_wrapperINS9_3SumENS9_22TransformInputIteratorIbN2at6native12_GLOBAL__N_19NonZeroOpIlEEPKllEEiEEEE10hipError_tPvRmT1_T2_T3_mT4_P12ihipStream_tbEUlT_E1_NS1_11comp_targetILNS1_3genE10ELNS1_11target_archE1201ELNS1_3gpuE5ELNS1_3repE0EEENS1_30default_config_static_selectorELNS0_4arch9wavefront6targetE0EEEvSQ_,"axG",@progbits,_ZN7rocprim17ROCPRIM_400000_NS6detail17trampoline_kernelINS0_14default_configENS1_22reduce_config_selectorIiEEZNS1_11reduce_implILb1ES3_PiS7_iN6hipcub16HIPCUB_304000_NS6detail34convert_binary_result_type_wrapperINS9_3SumENS9_22TransformInputIteratorIbN2at6native12_GLOBAL__N_19NonZeroOpIlEEPKllEEiEEEE10hipError_tPvRmT1_T2_T3_mT4_P12ihipStream_tbEUlT_E1_NS1_11comp_targetILNS1_3genE10ELNS1_11target_archE1201ELNS1_3gpuE5ELNS1_3repE0EEENS1_30default_config_static_selectorELNS0_4arch9wavefront6targetE0EEEvSQ_,comdat
.Lfunc_end232:
	.size	_ZN7rocprim17ROCPRIM_400000_NS6detail17trampoline_kernelINS0_14default_configENS1_22reduce_config_selectorIiEEZNS1_11reduce_implILb1ES3_PiS7_iN6hipcub16HIPCUB_304000_NS6detail34convert_binary_result_type_wrapperINS9_3SumENS9_22TransformInputIteratorIbN2at6native12_GLOBAL__N_19NonZeroOpIlEEPKllEEiEEEE10hipError_tPvRmT1_T2_T3_mT4_P12ihipStream_tbEUlT_E1_NS1_11comp_targetILNS1_3genE10ELNS1_11target_archE1201ELNS1_3gpuE5ELNS1_3repE0EEENS1_30default_config_static_selectorELNS0_4arch9wavefront6targetE0EEEvSQ_, .Lfunc_end232-_ZN7rocprim17ROCPRIM_400000_NS6detail17trampoline_kernelINS0_14default_configENS1_22reduce_config_selectorIiEEZNS1_11reduce_implILb1ES3_PiS7_iN6hipcub16HIPCUB_304000_NS6detail34convert_binary_result_type_wrapperINS9_3SumENS9_22TransformInputIteratorIbN2at6native12_GLOBAL__N_19NonZeroOpIlEEPKllEEiEEEE10hipError_tPvRmT1_T2_T3_mT4_P12ihipStream_tbEUlT_E1_NS1_11comp_targetILNS1_3genE10ELNS1_11target_archE1201ELNS1_3gpuE5ELNS1_3repE0EEENS1_30default_config_static_selectorELNS0_4arch9wavefront6targetE0EEEvSQ_
                                        ; -- End function
	.section	.AMDGPU.csdata,"",@progbits
; Kernel info:
; codeLenInByte = 0
; NumSgprs: 0
; NumVgprs: 0
; ScratchSize: 0
; MemoryBound: 0
; FloatMode: 240
; IeeeMode: 1
; LDSByteSize: 0 bytes/workgroup (compile time only)
; SGPRBlocks: 0
; VGPRBlocks: 0
; NumSGPRsForWavesPerEU: 1
; NumVGPRsForWavesPerEU: 1
; Occupancy: 16
; WaveLimiterHint : 0
; COMPUTE_PGM_RSRC2:SCRATCH_EN: 0
; COMPUTE_PGM_RSRC2:USER_SGPR: 15
; COMPUTE_PGM_RSRC2:TRAP_HANDLER: 0
; COMPUTE_PGM_RSRC2:TGID_X_EN: 1
; COMPUTE_PGM_RSRC2:TGID_Y_EN: 0
; COMPUTE_PGM_RSRC2:TGID_Z_EN: 0
; COMPUTE_PGM_RSRC2:TIDIG_COMP_CNT: 0
	.section	.text._ZN7rocprim17ROCPRIM_400000_NS6detail17trampoline_kernelINS0_14default_configENS1_22reduce_config_selectorIiEEZNS1_11reduce_implILb1ES3_PiS7_iN6hipcub16HIPCUB_304000_NS6detail34convert_binary_result_type_wrapperINS9_3SumENS9_22TransformInputIteratorIbN2at6native12_GLOBAL__N_19NonZeroOpIlEEPKllEEiEEEE10hipError_tPvRmT1_T2_T3_mT4_P12ihipStream_tbEUlT_E1_NS1_11comp_targetILNS1_3genE10ELNS1_11target_archE1200ELNS1_3gpuE4ELNS1_3repE0EEENS1_30default_config_static_selectorELNS0_4arch9wavefront6targetE0EEEvSQ_,"axG",@progbits,_ZN7rocprim17ROCPRIM_400000_NS6detail17trampoline_kernelINS0_14default_configENS1_22reduce_config_selectorIiEEZNS1_11reduce_implILb1ES3_PiS7_iN6hipcub16HIPCUB_304000_NS6detail34convert_binary_result_type_wrapperINS9_3SumENS9_22TransformInputIteratorIbN2at6native12_GLOBAL__N_19NonZeroOpIlEEPKllEEiEEEE10hipError_tPvRmT1_T2_T3_mT4_P12ihipStream_tbEUlT_E1_NS1_11comp_targetILNS1_3genE10ELNS1_11target_archE1200ELNS1_3gpuE4ELNS1_3repE0EEENS1_30default_config_static_selectorELNS0_4arch9wavefront6targetE0EEEvSQ_,comdat
	.globl	_ZN7rocprim17ROCPRIM_400000_NS6detail17trampoline_kernelINS0_14default_configENS1_22reduce_config_selectorIiEEZNS1_11reduce_implILb1ES3_PiS7_iN6hipcub16HIPCUB_304000_NS6detail34convert_binary_result_type_wrapperINS9_3SumENS9_22TransformInputIteratorIbN2at6native12_GLOBAL__N_19NonZeroOpIlEEPKllEEiEEEE10hipError_tPvRmT1_T2_T3_mT4_P12ihipStream_tbEUlT_E1_NS1_11comp_targetILNS1_3genE10ELNS1_11target_archE1200ELNS1_3gpuE4ELNS1_3repE0EEENS1_30default_config_static_selectorELNS0_4arch9wavefront6targetE0EEEvSQ_ ; -- Begin function _ZN7rocprim17ROCPRIM_400000_NS6detail17trampoline_kernelINS0_14default_configENS1_22reduce_config_selectorIiEEZNS1_11reduce_implILb1ES3_PiS7_iN6hipcub16HIPCUB_304000_NS6detail34convert_binary_result_type_wrapperINS9_3SumENS9_22TransformInputIteratorIbN2at6native12_GLOBAL__N_19NonZeroOpIlEEPKllEEiEEEE10hipError_tPvRmT1_T2_T3_mT4_P12ihipStream_tbEUlT_E1_NS1_11comp_targetILNS1_3genE10ELNS1_11target_archE1200ELNS1_3gpuE4ELNS1_3repE0EEENS1_30default_config_static_selectorELNS0_4arch9wavefront6targetE0EEEvSQ_
	.p2align	8
	.type	_ZN7rocprim17ROCPRIM_400000_NS6detail17trampoline_kernelINS0_14default_configENS1_22reduce_config_selectorIiEEZNS1_11reduce_implILb1ES3_PiS7_iN6hipcub16HIPCUB_304000_NS6detail34convert_binary_result_type_wrapperINS9_3SumENS9_22TransformInputIteratorIbN2at6native12_GLOBAL__N_19NonZeroOpIlEEPKllEEiEEEE10hipError_tPvRmT1_T2_T3_mT4_P12ihipStream_tbEUlT_E1_NS1_11comp_targetILNS1_3genE10ELNS1_11target_archE1200ELNS1_3gpuE4ELNS1_3repE0EEENS1_30default_config_static_selectorELNS0_4arch9wavefront6targetE0EEEvSQ_,@function
_ZN7rocprim17ROCPRIM_400000_NS6detail17trampoline_kernelINS0_14default_configENS1_22reduce_config_selectorIiEEZNS1_11reduce_implILb1ES3_PiS7_iN6hipcub16HIPCUB_304000_NS6detail34convert_binary_result_type_wrapperINS9_3SumENS9_22TransformInputIteratorIbN2at6native12_GLOBAL__N_19NonZeroOpIlEEPKllEEiEEEE10hipError_tPvRmT1_T2_T3_mT4_P12ihipStream_tbEUlT_E1_NS1_11comp_targetILNS1_3genE10ELNS1_11target_archE1200ELNS1_3gpuE4ELNS1_3repE0EEENS1_30default_config_static_selectorELNS0_4arch9wavefront6targetE0EEEvSQ_: ; @_ZN7rocprim17ROCPRIM_400000_NS6detail17trampoline_kernelINS0_14default_configENS1_22reduce_config_selectorIiEEZNS1_11reduce_implILb1ES3_PiS7_iN6hipcub16HIPCUB_304000_NS6detail34convert_binary_result_type_wrapperINS9_3SumENS9_22TransformInputIteratorIbN2at6native12_GLOBAL__N_19NonZeroOpIlEEPKllEEiEEEE10hipError_tPvRmT1_T2_T3_mT4_P12ihipStream_tbEUlT_E1_NS1_11comp_targetILNS1_3genE10ELNS1_11target_archE1200ELNS1_3gpuE4ELNS1_3repE0EEENS1_30default_config_static_selectorELNS0_4arch9wavefront6targetE0EEEvSQ_
; %bb.0:
	.section	.rodata,"a",@progbits
	.p2align	6, 0x0
	.amdhsa_kernel _ZN7rocprim17ROCPRIM_400000_NS6detail17trampoline_kernelINS0_14default_configENS1_22reduce_config_selectorIiEEZNS1_11reduce_implILb1ES3_PiS7_iN6hipcub16HIPCUB_304000_NS6detail34convert_binary_result_type_wrapperINS9_3SumENS9_22TransformInputIteratorIbN2at6native12_GLOBAL__N_19NonZeroOpIlEEPKllEEiEEEE10hipError_tPvRmT1_T2_T3_mT4_P12ihipStream_tbEUlT_E1_NS1_11comp_targetILNS1_3genE10ELNS1_11target_archE1200ELNS1_3gpuE4ELNS1_3repE0EEENS1_30default_config_static_selectorELNS0_4arch9wavefront6targetE0EEEvSQ_
		.amdhsa_group_segment_fixed_size 0
		.amdhsa_private_segment_fixed_size 0
		.amdhsa_kernarg_size 40
		.amdhsa_user_sgpr_count 15
		.amdhsa_user_sgpr_dispatch_ptr 0
		.amdhsa_user_sgpr_queue_ptr 0
		.amdhsa_user_sgpr_kernarg_segment_ptr 1
		.amdhsa_user_sgpr_dispatch_id 0
		.amdhsa_user_sgpr_private_segment_size 0
		.amdhsa_wavefront_size32 1
		.amdhsa_uses_dynamic_stack 0
		.amdhsa_enable_private_segment 0
		.amdhsa_system_sgpr_workgroup_id_x 1
		.amdhsa_system_sgpr_workgroup_id_y 0
		.amdhsa_system_sgpr_workgroup_id_z 0
		.amdhsa_system_sgpr_workgroup_info 0
		.amdhsa_system_vgpr_workitem_id 0
		.amdhsa_next_free_vgpr 1
		.amdhsa_next_free_sgpr 1
		.amdhsa_reserve_vcc 0
		.amdhsa_float_round_mode_32 0
		.amdhsa_float_round_mode_16_64 0
		.amdhsa_float_denorm_mode_32 3
		.amdhsa_float_denorm_mode_16_64 3
		.amdhsa_dx10_clamp 1
		.amdhsa_ieee_mode 1
		.amdhsa_fp16_overflow 0
		.amdhsa_workgroup_processor_mode 1
		.amdhsa_memory_ordered 1
		.amdhsa_forward_progress 0
		.amdhsa_shared_vgpr_count 0
		.amdhsa_exception_fp_ieee_invalid_op 0
		.amdhsa_exception_fp_denorm_src 0
		.amdhsa_exception_fp_ieee_div_zero 0
		.amdhsa_exception_fp_ieee_overflow 0
		.amdhsa_exception_fp_ieee_underflow 0
		.amdhsa_exception_fp_ieee_inexact 0
		.amdhsa_exception_int_div_zero 0
	.end_amdhsa_kernel
	.section	.text._ZN7rocprim17ROCPRIM_400000_NS6detail17trampoline_kernelINS0_14default_configENS1_22reduce_config_selectorIiEEZNS1_11reduce_implILb1ES3_PiS7_iN6hipcub16HIPCUB_304000_NS6detail34convert_binary_result_type_wrapperINS9_3SumENS9_22TransformInputIteratorIbN2at6native12_GLOBAL__N_19NonZeroOpIlEEPKllEEiEEEE10hipError_tPvRmT1_T2_T3_mT4_P12ihipStream_tbEUlT_E1_NS1_11comp_targetILNS1_3genE10ELNS1_11target_archE1200ELNS1_3gpuE4ELNS1_3repE0EEENS1_30default_config_static_selectorELNS0_4arch9wavefront6targetE0EEEvSQ_,"axG",@progbits,_ZN7rocprim17ROCPRIM_400000_NS6detail17trampoline_kernelINS0_14default_configENS1_22reduce_config_selectorIiEEZNS1_11reduce_implILb1ES3_PiS7_iN6hipcub16HIPCUB_304000_NS6detail34convert_binary_result_type_wrapperINS9_3SumENS9_22TransformInputIteratorIbN2at6native12_GLOBAL__N_19NonZeroOpIlEEPKllEEiEEEE10hipError_tPvRmT1_T2_T3_mT4_P12ihipStream_tbEUlT_E1_NS1_11comp_targetILNS1_3genE10ELNS1_11target_archE1200ELNS1_3gpuE4ELNS1_3repE0EEENS1_30default_config_static_selectorELNS0_4arch9wavefront6targetE0EEEvSQ_,comdat
.Lfunc_end233:
	.size	_ZN7rocprim17ROCPRIM_400000_NS6detail17trampoline_kernelINS0_14default_configENS1_22reduce_config_selectorIiEEZNS1_11reduce_implILb1ES3_PiS7_iN6hipcub16HIPCUB_304000_NS6detail34convert_binary_result_type_wrapperINS9_3SumENS9_22TransformInputIteratorIbN2at6native12_GLOBAL__N_19NonZeroOpIlEEPKllEEiEEEE10hipError_tPvRmT1_T2_T3_mT4_P12ihipStream_tbEUlT_E1_NS1_11comp_targetILNS1_3genE10ELNS1_11target_archE1200ELNS1_3gpuE4ELNS1_3repE0EEENS1_30default_config_static_selectorELNS0_4arch9wavefront6targetE0EEEvSQ_, .Lfunc_end233-_ZN7rocprim17ROCPRIM_400000_NS6detail17trampoline_kernelINS0_14default_configENS1_22reduce_config_selectorIiEEZNS1_11reduce_implILb1ES3_PiS7_iN6hipcub16HIPCUB_304000_NS6detail34convert_binary_result_type_wrapperINS9_3SumENS9_22TransformInputIteratorIbN2at6native12_GLOBAL__N_19NonZeroOpIlEEPKllEEiEEEE10hipError_tPvRmT1_T2_T3_mT4_P12ihipStream_tbEUlT_E1_NS1_11comp_targetILNS1_3genE10ELNS1_11target_archE1200ELNS1_3gpuE4ELNS1_3repE0EEENS1_30default_config_static_selectorELNS0_4arch9wavefront6targetE0EEEvSQ_
                                        ; -- End function
	.section	.AMDGPU.csdata,"",@progbits
; Kernel info:
; codeLenInByte = 0
; NumSgprs: 0
; NumVgprs: 0
; ScratchSize: 0
; MemoryBound: 0
; FloatMode: 240
; IeeeMode: 1
; LDSByteSize: 0 bytes/workgroup (compile time only)
; SGPRBlocks: 0
; VGPRBlocks: 0
; NumSGPRsForWavesPerEU: 1
; NumVGPRsForWavesPerEU: 1
; Occupancy: 16
; WaveLimiterHint : 0
; COMPUTE_PGM_RSRC2:SCRATCH_EN: 0
; COMPUTE_PGM_RSRC2:USER_SGPR: 15
; COMPUTE_PGM_RSRC2:TRAP_HANDLER: 0
; COMPUTE_PGM_RSRC2:TGID_X_EN: 1
; COMPUTE_PGM_RSRC2:TGID_Y_EN: 0
; COMPUTE_PGM_RSRC2:TGID_Z_EN: 0
; COMPUTE_PGM_RSRC2:TIDIG_COMP_CNT: 0
	.section	.text._ZN7rocprim17ROCPRIM_400000_NS6detail17trampoline_kernelINS0_14default_configENS1_22reduce_config_selectorIiEEZNS1_11reduce_implILb1ES3_PiS7_iN6hipcub16HIPCUB_304000_NS6detail34convert_binary_result_type_wrapperINS9_3SumENS9_22TransformInputIteratorIbN2at6native12_GLOBAL__N_19NonZeroOpIlEEPKllEEiEEEE10hipError_tPvRmT1_T2_T3_mT4_P12ihipStream_tbEUlT_E1_NS1_11comp_targetILNS1_3genE9ELNS1_11target_archE1100ELNS1_3gpuE3ELNS1_3repE0EEENS1_30default_config_static_selectorELNS0_4arch9wavefront6targetE0EEEvSQ_,"axG",@progbits,_ZN7rocprim17ROCPRIM_400000_NS6detail17trampoline_kernelINS0_14default_configENS1_22reduce_config_selectorIiEEZNS1_11reduce_implILb1ES3_PiS7_iN6hipcub16HIPCUB_304000_NS6detail34convert_binary_result_type_wrapperINS9_3SumENS9_22TransformInputIteratorIbN2at6native12_GLOBAL__N_19NonZeroOpIlEEPKllEEiEEEE10hipError_tPvRmT1_T2_T3_mT4_P12ihipStream_tbEUlT_E1_NS1_11comp_targetILNS1_3genE9ELNS1_11target_archE1100ELNS1_3gpuE3ELNS1_3repE0EEENS1_30default_config_static_selectorELNS0_4arch9wavefront6targetE0EEEvSQ_,comdat
	.globl	_ZN7rocprim17ROCPRIM_400000_NS6detail17trampoline_kernelINS0_14default_configENS1_22reduce_config_selectorIiEEZNS1_11reduce_implILb1ES3_PiS7_iN6hipcub16HIPCUB_304000_NS6detail34convert_binary_result_type_wrapperINS9_3SumENS9_22TransformInputIteratorIbN2at6native12_GLOBAL__N_19NonZeroOpIlEEPKllEEiEEEE10hipError_tPvRmT1_T2_T3_mT4_P12ihipStream_tbEUlT_E1_NS1_11comp_targetILNS1_3genE9ELNS1_11target_archE1100ELNS1_3gpuE3ELNS1_3repE0EEENS1_30default_config_static_selectorELNS0_4arch9wavefront6targetE0EEEvSQ_ ; -- Begin function _ZN7rocprim17ROCPRIM_400000_NS6detail17trampoline_kernelINS0_14default_configENS1_22reduce_config_selectorIiEEZNS1_11reduce_implILb1ES3_PiS7_iN6hipcub16HIPCUB_304000_NS6detail34convert_binary_result_type_wrapperINS9_3SumENS9_22TransformInputIteratorIbN2at6native12_GLOBAL__N_19NonZeroOpIlEEPKllEEiEEEE10hipError_tPvRmT1_T2_T3_mT4_P12ihipStream_tbEUlT_E1_NS1_11comp_targetILNS1_3genE9ELNS1_11target_archE1100ELNS1_3gpuE3ELNS1_3repE0EEENS1_30default_config_static_selectorELNS0_4arch9wavefront6targetE0EEEvSQ_
	.p2align	8
	.type	_ZN7rocprim17ROCPRIM_400000_NS6detail17trampoline_kernelINS0_14default_configENS1_22reduce_config_selectorIiEEZNS1_11reduce_implILb1ES3_PiS7_iN6hipcub16HIPCUB_304000_NS6detail34convert_binary_result_type_wrapperINS9_3SumENS9_22TransformInputIteratorIbN2at6native12_GLOBAL__N_19NonZeroOpIlEEPKllEEiEEEE10hipError_tPvRmT1_T2_T3_mT4_P12ihipStream_tbEUlT_E1_NS1_11comp_targetILNS1_3genE9ELNS1_11target_archE1100ELNS1_3gpuE3ELNS1_3repE0EEENS1_30default_config_static_selectorELNS0_4arch9wavefront6targetE0EEEvSQ_,@function
_ZN7rocprim17ROCPRIM_400000_NS6detail17trampoline_kernelINS0_14default_configENS1_22reduce_config_selectorIiEEZNS1_11reduce_implILb1ES3_PiS7_iN6hipcub16HIPCUB_304000_NS6detail34convert_binary_result_type_wrapperINS9_3SumENS9_22TransformInputIteratorIbN2at6native12_GLOBAL__N_19NonZeroOpIlEEPKllEEiEEEE10hipError_tPvRmT1_T2_T3_mT4_P12ihipStream_tbEUlT_E1_NS1_11comp_targetILNS1_3genE9ELNS1_11target_archE1100ELNS1_3gpuE3ELNS1_3repE0EEENS1_30default_config_static_selectorELNS0_4arch9wavefront6targetE0EEEvSQ_: ; @_ZN7rocprim17ROCPRIM_400000_NS6detail17trampoline_kernelINS0_14default_configENS1_22reduce_config_selectorIiEEZNS1_11reduce_implILb1ES3_PiS7_iN6hipcub16HIPCUB_304000_NS6detail34convert_binary_result_type_wrapperINS9_3SumENS9_22TransformInputIteratorIbN2at6native12_GLOBAL__N_19NonZeroOpIlEEPKllEEiEEEE10hipError_tPvRmT1_T2_T3_mT4_P12ihipStream_tbEUlT_E1_NS1_11comp_targetILNS1_3genE9ELNS1_11target_archE1100ELNS1_3gpuE3ELNS1_3repE0EEENS1_30default_config_static_selectorELNS0_4arch9wavefront6targetE0EEEvSQ_
; %bb.0:
	s_clause 0x1
	s_load_b32 s24, s[0:1], 0x4
	s_load_b128 s[16:19], s[0:1], 0x8
	s_mov_b32 s20, s15
	s_waitcnt lgkmcnt(0)
	s_cmp_lt_i32 s24, 8
	s_cbranch_scc1 .LBB234_11
; %bb.1:
	s_cmp_gt_i32 s24, 15
	s_cbranch_scc0 .LBB234_12
; %bb.2:
	s_cmp_gt_i32 s24, 31
	s_cbranch_scc0 .LBB234_13
; %bb.3:
	s_cmp_eq_u32 s24, 32
	s_mov_b32 s6, 0
	s_cbranch_scc0 .LBB234_14
; %bb.4:
	s_mov_b32 s21, 0
	s_lshl_b32 s4, s20, 13
	s_mov_b32 s5, s21
	s_lshr_b64 s[8:9], s[18:19], 13
	s_lshl_b64 s[2:3], s[4:5], 2
	s_delay_alu instid0(SALU_CYCLE_1)
	s_add_u32 s2, s16, s2
	s_addc_u32 s3, s17, s3
	s_cmp_lg_u64 s[8:9], s[20:21]
	s_cbranch_scc0 .LBB234_23
; %bb.5:
	v_lshlrev_b32_e32 v5, 2, v0
	s_clause 0x1
	global_load_b32 v9, v5, s[2:3]
	global_load_b32 v10, v5, s[2:3] offset:1024
	v_add_co_u32 v7, s5, s2, v5
	s_delay_alu instid0(VALU_DEP_1) | instskip(SKIP_1) | instid1(VALU_DEP_2)
	v_add_co_ci_u32_e64 v8, null, s3, 0, s5
	s_mov_b32 s5, exec_lo
	v_add_co_u32 v1, vcc_lo, 0x1000, v7
	s_delay_alu instid0(VALU_DEP_2)
	v_add_co_ci_u32_e32 v2, vcc_lo, 0, v8, vcc_lo
	s_clause 0x2
	global_load_b32 v11, v5, s[2:3] offset:2048
	global_load_b32 v12, v5, s[2:3] offset:3072
	global_load_b32 v13, v[1:2], off offset:1024
	v_add_co_u32 v3, vcc_lo, v7, 0x2000
	v_add_co_ci_u32_e32 v4, vcc_lo, 0, v8, vcc_lo
	v_add_co_u32 v5, vcc_lo, 0x2000, v7
	v_add_co_ci_u32_e32 v6, vcc_lo, 0, v8, vcc_lo
	s_clause 0x4
	global_load_b32 v14, v[3:4], off offset:-4096
	global_load_b32 v15, v[3:4], off
	global_load_b32 v16, v[1:2], off offset:2048
	global_load_b32 v17, v[1:2], off offset:3072
	;; [unrolled: 1-line block ×3, first 2 shown]
	v_add_co_u32 v1, vcc_lo, 0x3000, v7
	v_add_co_ci_u32_e32 v2, vcc_lo, 0, v8, vcc_lo
	s_clause 0x2
	global_load_b32 v19, v[5:6], off offset:2048
	global_load_b32 v20, v[5:6], off offset:3072
	;; [unrolled: 1-line block ×3, first 2 shown]
	v_add_co_u32 v3, vcc_lo, v7, 0x4000
	v_add_co_ci_u32_e32 v4, vcc_lo, 0, v8, vcc_lo
	v_add_co_u32 v5, vcc_lo, 0x4000, v7
	v_add_co_ci_u32_e32 v6, vcc_lo, 0, v8, vcc_lo
	s_clause 0x4
	global_load_b32 v22, v[3:4], off offset:-4096
	global_load_b32 v23, v[3:4], off
	global_load_b32 v24, v[1:2], off offset:2048
	global_load_b32 v25, v[1:2], off offset:3072
	;; [unrolled: 1-line block ×3, first 2 shown]
	v_add_co_u32 v1, vcc_lo, 0x5000, v7
	v_add_co_ci_u32_e32 v2, vcc_lo, 0, v8, vcc_lo
	v_add_co_u32 v3, vcc_lo, v7, 0x6000
	v_add_co_ci_u32_e32 v4, vcc_lo, 0, v8, vcc_lo
	s_clause 0x3
	global_load_b32 v27, v[5:6], off offset:2048
	global_load_b32 v28, v[5:6], off offset:3072
	global_load_b32 v29, v[3:4], off offset:-4096
	global_load_b32 v30, v[1:2], off offset:1024
	v_add_co_u32 v5, vcc_lo, 0x6000, v7
	v_add_co_ci_u32_e32 v6, vcc_lo, 0, v8, vcc_lo
	s_clause 0x3
	global_load_b32 v31, v[1:2], off offset:2048
	global_load_b32 v32, v[1:2], off offset:3072
	global_load_b32 v3, v[3:4], off
	global_load_b32 v4, v[5:6], off offset:1024
	v_add_co_u32 v1, vcc_lo, 0x7000, v7
	v_add_co_ci_u32_e32 v2, vcc_lo, 0, v8, vcc_lo
	s_clause 0x5
	global_load_b32 v7, v[5:6], off offset:2048
	global_load_b32 v5, v[5:6], off offset:3072
	global_load_b32 v6, v[1:2], off
	global_load_b32 v8, v[1:2], off offset:1024
	global_load_b32 v33, v[1:2], off offset:2048
	;; [unrolled: 1-line block ×3, first 2 shown]
	s_waitcnt vmcnt(30)
	v_add_nc_u32_e32 v2, v10, v9
	s_waitcnt vmcnt(28)
	s_delay_alu instid0(VALU_DEP_1) | instskip(SKIP_1) | instid1(VALU_DEP_1)
	v_add3_u32 v2, v2, v11, v12
	s_waitcnt vmcnt(26)
	v_add3_u32 v2, v2, v14, v13
	s_waitcnt vmcnt(23)
	s_delay_alu instid0(VALU_DEP_1) | instskip(SKIP_1) | instid1(VALU_DEP_1)
	v_add3_u32 v2, v2, v16, v17
	s_waitcnt vmcnt(22)
	v_add3_u32 v2, v2, v15, v18
	;; [unrolled: 5-line block ×6, first 2 shown]
	v_mov_b32_e32 v3, 0
	s_waitcnt vmcnt(4)
	s_delay_alu instid0(VALU_DEP_2) | instskip(SKIP_1) | instid1(VALU_DEP_1)
	v_add3_u32 v2, v2, v7, v5
	s_waitcnt vmcnt(2)
	v_add3_u32 v2, v2, v6, v8
	s_waitcnt vmcnt(0)
	s_delay_alu instid0(VALU_DEP_1) | instskip(NEXT) | instid1(VALU_DEP_1)
	v_add3_u32 v1, v2, v33, v1
	v_mov_b32_dpp v2, v1 quad_perm:[1,0,3,2] row_mask:0xf bank_mask:0xf
	s_delay_alu instid0(VALU_DEP_1) | instskip(NEXT) | instid1(VALU_DEP_1)
	v_add_nc_u32_e32 v1, v2, v1
	v_mov_b32_dpp v2, v1 quad_perm:[2,3,0,1] row_mask:0xf bank_mask:0xf
	s_delay_alu instid0(VALU_DEP_1) | instskip(NEXT) | instid1(VALU_DEP_1)
	v_add_nc_u32_e32 v1, v1, v2
	v_mov_b32_dpp v2, v1 row_ror:4 row_mask:0xf bank_mask:0xf
	s_delay_alu instid0(VALU_DEP_1) | instskip(NEXT) | instid1(VALU_DEP_1)
	v_add_nc_u32_e32 v1, v1, v2
	v_mov_b32_dpp v2, v1 row_ror:8 row_mask:0xf bank_mask:0xf
	s_delay_alu instid0(VALU_DEP_1)
	v_add_nc_u32_e32 v1, v1, v2
	ds_swizzle_b32 v2, v1 offset:swizzle(BROADCAST,32,15)
	s_waitcnt lgkmcnt(0)
	v_add_nc_u32_e32 v1, v1, v2
	v_mbcnt_lo_u32_b32 v2, -1, 0
	ds_bpermute_b32 v1, v3, v1 offset:124
	v_cmpx_eq_u32_e32 0, v2
	s_cbranch_execz .LBB234_7
; %bb.6:
	v_lshrrev_b32_e32 v3, 3, v0
	s_delay_alu instid0(VALU_DEP_1)
	v_and_b32_e32 v3, 28, v3
	s_waitcnt lgkmcnt(0)
	ds_store_b32 v3, v1 offset:96
.LBB234_7:
	s_or_b32 exec_lo, exec_lo, s5
	s_delay_alu instid0(SALU_CYCLE_1)
	s_mov_b32 s5, exec_lo
	s_waitcnt lgkmcnt(0)
	s_barrier
	buffer_gl0_inv
	v_cmpx_gt_u32_e32 32, v0
	s_cbranch_execz .LBB234_9
; %bb.8:
	v_lshl_or_b32 v1, v2, 2, 0x60
	v_and_b32_e32 v3, 7, v2
	ds_load_b32 v1, v1
	v_cmp_ne_u32_e32 vcc_lo, 7, v3
	v_add_co_ci_u32_e32 v4, vcc_lo, 0, v2, vcc_lo
	v_cmp_gt_u32_e32 vcc_lo, 6, v3
	s_delay_alu instid0(VALU_DEP_2) | instskip(SKIP_2) | instid1(VALU_DEP_2)
	v_lshlrev_b32_e32 v4, 2, v4
	v_cndmask_b32_e64 v5, 0, 1, vcc_lo
	v_cmp_gt_u32_e32 vcc_lo, 4, v3
	v_lshlrev_b32_e32 v5, 1, v5
	v_cndmask_b32_e64 v3, 0, 1, vcc_lo
	s_waitcnt lgkmcnt(0)
	ds_bpermute_b32 v4, v4, v1
	v_add_lshl_u32 v5, v5, v2, 2
	v_lshlrev_b32_e32 v3, 2, v3
	s_delay_alu instid0(VALU_DEP_1)
	v_add_lshl_u32 v2, v3, v2, 2
	s_waitcnt lgkmcnt(0)
	v_add_nc_u32_e32 v1, v4, v1
	ds_bpermute_b32 v4, v5, v1
	s_waitcnt lgkmcnt(0)
	v_add_nc_u32_e32 v1, v4, v1
	ds_bpermute_b32 v2, v2, v1
	s_waitcnt lgkmcnt(0)
	v_add_nc_u32_e32 v1, v2, v1
.LBB234_9:
	s_or_b32 exec_lo, exec_lo, s5
.LBB234_10:
	v_cmp_eq_u32_e64 s2, 0, v0
	s_and_b32 vcc_lo, exec_lo, s6
	s_cbranch_vccnz .LBB234_15
	s_branch .LBB234_93
.LBB234_11:
	s_mov_b32 s2, 0
                                        ; implicit-def: $vgpr1
	s_cbranch_execnz .LBB234_166
	s_branch .LBB234_224
.LBB234_12:
	s_mov_b32 s2, 0
                                        ; implicit-def: $vgpr1
	s_cbranch_execnz .LBB234_134
	s_branch .LBB234_142
.LBB234_13:
	s_mov_b32 s6, -1
.LBB234_14:
	s_mov_b32 s2, 0
                                        ; implicit-def: $vgpr1
	s_and_b32 vcc_lo, exec_lo, s6
	s_cbranch_vccz .LBB234_93
.LBB234_15:
	s_cmp_eq_u32 s24, 16
	s_cbranch_scc0 .LBB234_22
; %bb.16:
	s_mov_b32 s21, 0
	s_lshl_b32 s2, s20, 12
	s_mov_b32 s3, s21
	s_lshr_b64 s[6:7], s[18:19], 12
	s_lshl_b64 s[4:5], s[2:3], 2
	s_delay_alu instid0(SALU_CYCLE_1)
	s_add_u32 s22, s16, s4
	s_addc_u32 s23, s17, s5
	s_cmp_lg_u64 s[6:7], s[20:21]
	s_cbranch_scc0 .LBB234_94
; %bb.17:
	v_lshlrev_b32_e32 v5, 2, v0
	s_clause 0x1
	global_load_b32 v9, v5, s[22:23]
	global_load_b32 v10, v5, s[22:23] offset:1024
	v_add_co_u32 v7, s3, s22, v5
	s_delay_alu instid0(VALU_DEP_1) | instskip(SKIP_1) | instid1(VALU_DEP_2)
	v_add_co_ci_u32_e64 v8, null, s23, 0, s3
	s_mov_b32 s3, exec_lo
	v_add_co_u32 v1, vcc_lo, 0x1000, v7
	s_delay_alu instid0(VALU_DEP_2)
	v_add_co_ci_u32_e32 v2, vcc_lo, 0, v8, vcc_lo
	v_add_co_u32 v3, vcc_lo, v7, 0x2000
	v_add_co_ci_u32_e32 v4, vcc_lo, 0, v8, vcc_lo
	s_clause 0x3
	global_load_b32 v11, v5, s[22:23] offset:2048
	global_load_b32 v12, v5, s[22:23] offset:3072
	global_load_b32 v13, v[3:4], off offset:-4096
	global_load_b32 v14, v[1:2], off offset:1024
	v_add_co_u32 v5, vcc_lo, 0x2000, v7
	v_add_co_ci_u32_e32 v6, vcc_lo, 0, v8, vcc_lo
	s_clause 0x3
	global_load_b32 v15, v[1:2], off offset:2048
	global_load_b32 v16, v[1:2], off offset:3072
	global_load_b32 v3, v[3:4], off
	global_load_b32 v4, v[5:6], off offset:1024
	v_add_co_u32 v1, vcc_lo, 0x3000, v7
	v_add_co_ci_u32_e32 v2, vcc_lo, 0, v8, vcc_lo
	s_clause 0x5
	global_load_b32 v7, v[5:6], off offset:2048
	global_load_b32 v5, v[5:6], off offset:3072
	global_load_b32 v6, v[1:2], off
	global_load_b32 v8, v[1:2], off offset:1024
	global_load_b32 v17, v[1:2], off offset:2048
	;; [unrolled: 1-line block ×3, first 2 shown]
	s_waitcnt vmcnt(14)
	v_add_nc_u32_e32 v2, v10, v9
	s_waitcnt vmcnt(12)
	s_delay_alu instid0(VALU_DEP_1) | instskip(SKIP_1) | instid1(VALU_DEP_1)
	v_add3_u32 v2, v2, v11, v12
	s_waitcnt vmcnt(10)
	v_add3_u32 v2, v2, v13, v14
	s_waitcnt vmcnt(8)
	s_delay_alu instid0(VALU_DEP_1) | instskip(SKIP_1) | instid1(VALU_DEP_1)
	v_add3_u32 v2, v2, v15, v16
	s_waitcnt vmcnt(6)
	v_add3_u32 v2, v2, v3, v4
	v_mov_b32_e32 v3, 0
	s_waitcnt vmcnt(4)
	s_delay_alu instid0(VALU_DEP_2) | instskip(SKIP_1) | instid1(VALU_DEP_1)
	v_add3_u32 v2, v2, v7, v5
	s_waitcnt vmcnt(2)
	v_add3_u32 v2, v2, v6, v8
	s_waitcnt vmcnt(0)
	s_delay_alu instid0(VALU_DEP_1) | instskip(NEXT) | instid1(VALU_DEP_1)
	v_add3_u32 v1, v2, v17, v1
	v_mov_b32_dpp v2, v1 quad_perm:[1,0,3,2] row_mask:0xf bank_mask:0xf
	s_delay_alu instid0(VALU_DEP_1) | instskip(NEXT) | instid1(VALU_DEP_1)
	v_add_nc_u32_e32 v1, v2, v1
	v_mov_b32_dpp v2, v1 quad_perm:[2,3,0,1] row_mask:0xf bank_mask:0xf
	s_delay_alu instid0(VALU_DEP_1) | instskip(NEXT) | instid1(VALU_DEP_1)
	v_add_nc_u32_e32 v1, v1, v2
	v_mov_b32_dpp v2, v1 row_ror:4 row_mask:0xf bank_mask:0xf
	s_delay_alu instid0(VALU_DEP_1) | instskip(NEXT) | instid1(VALU_DEP_1)
	v_add_nc_u32_e32 v1, v1, v2
	v_mov_b32_dpp v2, v1 row_ror:8 row_mask:0xf bank_mask:0xf
	s_delay_alu instid0(VALU_DEP_1)
	v_add_nc_u32_e32 v1, v1, v2
	ds_swizzle_b32 v2, v1 offset:swizzle(BROADCAST,32,15)
	s_waitcnt lgkmcnt(0)
	v_add_nc_u32_e32 v1, v1, v2
	v_mbcnt_lo_u32_b32 v2, -1, 0
	ds_bpermute_b32 v1, v3, v1 offset:124
	v_cmpx_eq_u32_e32 0, v2
	s_cbranch_execz .LBB234_19
; %bb.18:
	v_lshrrev_b32_e32 v3, 3, v0
	s_delay_alu instid0(VALU_DEP_1)
	v_and_b32_e32 v3, 28, v3
	s_waitcnt lgkmcnt(0)
	ds_store_b32 v3, v1
.LBB234_19:
	s_or_b32 exec_lo, exec_lo, s3
	s_delay_alu instid0(SALU_CYCLE_1)
	s_mov_b32 s3, exec_lo
	s_waitcnt lgkmcnt(0)
	s_barrier
	buffer_gl0_inv
	v_cmpx_gt_u32_e32 32, v0
	s_cbranch_execz .LBB234_21
; %bb.20:
	v_and_b32_e32 v1, 7, v2
	s_delay_alu instid0(VALU_DEP_1) | instskip(SKIP_4) | instid1(VALU_DEP_2)
	v_lshlrev_b32_e32 v3, 2, v1
	v_cmp_ne_u32_e32 vcc_lo, 7, v1
	ds_load_b32 v3, v3
	v_add_co_ci_u32_e32 v4, vcc_lo, 0, v2, vcc_lo
	v_cmp_gt_u32_e32 vcc_lo, 6, v1
	v_lshlrev_b32_e32 v4, 2, v4
	v_cndmask_b32_e64 v5, 0, 1, vcc_lo
	v_cmp_gt_u32_e32 vcc_lo, 4, v1
	s_delay_alu instid0(VALU_DEP_2) | instskip(SKIP_1) | instid1(VALU_DEP_2)
	v_lshlrev_b32_e32 v5, 1, v5
	v_cndmask_b32_e64 v1, 0, 1, vcc_lo
	v_add_lshl_u32 v5, v5, v2, 2
	s_delay_alu instid0(VALU_DEP_2)
	v_lshlrev_b32_e32 v1, 2, v1
	s_waitcnt lgkmcnt(0)
	ds_bpermute_b32 v4, v4, v3
	v_add_lshl_u32 v1, v1, v2, 2
	s_waitcnt lgkmcnt(0)
	v_add_nc_u32_e32 v3, v4, v3
	ds_bpermute_b32 v4, v5, v3
	s_waitcnt lgkmcnt(0)
	v_add_nc_u32_e32 v3, v4, v3
	ds_bpermute_b32 v1, v1, v3
	s_waitcnt lgkmcnt(0)
	v_add_nc_u32_e32 v1, v1, v3
.LBB234_21:
	s_or_b32 exec_lo, exec_lo, s3
	s_mov_b32 s3, 0
	s_branch .LBB234_95
.LBB234_22:
                                        ; implicit-def: $vgpr1
	s_branch .LBB234_142
.LBB234_23:
                                        ; implicit-def: $vgpr1
	s_cbranch_execz .LBB234_10
; %bb.24:
	s_sub_i32 s4, s18, s4
	s_mov_b32 s5, exec_lo
                                        ; implicit-def: $vgpr1
	v_cmpx_gt_u32_e64 s4, v0
	s_cbranch_execz .LBB234_26
; %bb.25:
	v_lshlrev_b32_e32 v1, 2, v0
	global_load_b32 v1, v1, s[2:3]
.LBB234_26:
	s_or_b32 exec_lo, exec_lo, s5
	v_or_b32_e32 v3, 0x100, v0
	v_mov_b32_e32 v2, 0
	s_delay_alu instid0(VALU_DEP_2)
	v_cmp_gt_u32_e32 vcc_lo, s4, v3
	v_mov_b32_e32 v3, 0
	s_and_saveexec_b32 s5, vcc_lo
	s_cbranch_execz .LBB234_28
; %bb.27:
	v_lshlrev_b32_e32 v3, 2, v0
	global_load_b32 v3, v3, s[2:3] offset:1024
.LBB234_28:
	s_or_b32 exec_lo, exec_lo, s5
	v_or_b32_e32 v4, 0x200, v0
	s_mov_b32 s5, exec_lo
	s_delay_alu instid0(VALU_DEP_1)
	v_cmpx_gt_u32_e64 s4, v4
	s_cbranch_execz .LBB234_30
; %bb.29:
	v_lshlrev_b32_e32 v2, 2, v0
	global_load_b32 v2, v2, s[2:3] offset:2048
.LBB234_30:
	s_or_b32 exec_lo, exec_lo, s5
	v_or_b32_e32 v5, 0x300, v0
	v_mov_b32_e32 v4, 0
	s_delay_alu instid0(VALU_DEP_2)
	v_cmp_gt_u32_e32 vcc_lo, s4, v5
	v_mov_b32_e32 v5, 0
	s_and_saveexec_b32 s5, vcc_lo
	s_cbranch_execz .LBB234_32
; %bb.31:
	v_lshlrev_b32_e32 v5, 2, v0
	global_load_b32 v5, v5, s[2:3] offset:3072
.LBB234_32:
	s_or_b32 exec_lo, exec_lo, s5
	v_or_b32_e32 v6, 0x400, v0
	s_mov_b32 s5, exec_lo
	s_delay_alu instid0(VALU_DEP_1)
	v_cmpx_gt_u32_e64 s4, v6
	s_cbranch_execz .LBB234_34
; %bb.33:
	v_lshlrev_b32_e32 v4, 2, v6
	global_load_b32 v4, v4, s[2:3]
.LBB234_34:
	s_or_b32 exec_lo, exec_lo, s5
	v_or_b32_e32 v8, 0x500, v0
	v_dual_mov_b32 v6, 0 :: v_dual_mov_b32 v7, 0
	s_mov_b32 s5, exec_lo
	s_delay_alu instid0(VALU_DEP_2)
	v_cmpx_gt_u32_e64 s4, v8
	s_cbranch_execz .LBB234_36
; %bb.35:
	v_lshlrev_b32_e32 v7, 2, v8
	global_load_b32 v7, v7, s[2:3]
.LBB234_36:
	s_or_b32 exec_lo, exec_lo, s5
	v_or_b32_e32 v8, 0x600, v0
	s_mov_b32 s5, exec_lo
	s_delay_alu instid0(VALU_DEP_1)
	v_cmpx_gt_u32_e64 s4, v8
	s_cbranch_execz .LBB234_38
; %bb.37:
	v_lshlrev_b32_e32 v6, 2, v8
	global_load_b32 v6, v6, s[2:3]
.LBB234_38:
	s_or_b32 exec_lo, exec_lo, s5
	v_or_b32_e32 v10, 0x700, v0
	v_dual_mov_b32 v8, 0 :: v_dual_mov_b32 v9, 0
	s_mov_b32 s5, exec_lo
	s_delay_alu instid0(VALU_DEP_2)
	v_cmpx_gt_u32_e64 s4, v10
	s_cbranch_execz .LBB234_40
; %bb.39:
	v_lshlrev_b32_e32 v9, 2, v10
	global_load_b32 v9, v9, s[2:3]
.LBB234_40:
	s_or_b32 exec_lo, exec_lo, s5
	v_or_b32_e32 v10, 0x800, v0
	s_mov_b32 s5, exec_lo
	s_delay_alu instid0(VALU_DEP_1)
	v_cmpx_gt_u32_e64 s4, v10
	s_cbranch_execz .LBB234_42
; %bb.41:
	v_lshlrev_b32_e32 v8, 2, v10
	global_load_b32 v8, v8, s[2:3]
.LBB234_42:
	s_or_b32 exec_lo, exec_lo, s5
	v_or_b32_e32 v12, 0x900, v0
	v_dual_mov_b32 v10, 0 :: v_dual_mov_b32 v11, 0
	s_mov_b32 s5, exec_lo
	s_delay_alu instid0(VALU_DEP_2)
	v_cmpx_gt_u32_e64 s4, v12
	s_cbranch_execz .LBB234_44
; %bb.43:
	v_lshlrev_b32_e32 v11, 2, v12
	global_load_b32 v11, v11, s[2:3]
.LBB234_44:
	s_or_b32 exec_lo, exec_lo, s5
	v_or_b32_e32 v12, 0xa00, v0
	s_mov_b32 s5, exec_lo
	s_delay_alu instid0(VALU_DEP_1)
	v_cmpx_gt_u32_e64 s4, v12
	s_cbranch_execz .LBB234_46
; %bb.45:
	v_lshlrev_b32_e32 v10, 2, v12
	global_load_b32 v10, v10, s[2:3]
.LBB234_46:
	s_or_b32 exec_lo, exec_lo, s5
	v_or_b32_e32 v14, 0xb00, v0
	v_dual_mov_b32 v12, 0 :: v_dual_mov_b32 v13, 0
	s_mov_b32 s5, exec_lo
	s_delay_alu instid0(VALU_DEP_2)
	v_cmpx_gt_u32_e64 s4, v14
	s_cbranch_execz .LBB234_48
; %bb.47:
	v_lshlrev_b32_e32 v13, 2, v14
	global_load_b32 v13, v13, s[2:3]
.LBB234_48:
	s_or_b32 exec_lo, exec_lo, s5
	v_or_b32_e32 v14, 0xc00, v0
	s_mov_b32 s5, exec_lo
	s_delay_alu instid0(VALU_DEP_1)
	v_cmpx_gt_u32_e64 s4, v14
	s_cbranch_execz .LBB234_50
; %bb.49:
	v_lshlrev_b32_e32 v12, 2, v14
	global_load_b32 v12, v12, s[2:3]
.LBB234_50:
	s_or_b32 exec_lo, exec_lo, s5
	v_or_b32_e32 v16, 0xd00, v0
	v_dual_mov_b32 v14, 0 :: v_dual_mov_b32 v15, 0
	s_mov_b32 s5, exec_lo
	s_delay_alu instid0(VALU_DEP_2)
	v_cmpx_gt_u32_e64 s4, v16
	s_cbranch_execz .LBB234_52
; %bb.51:
	v_lshlrev_b32_e32 v15, 2, v16
	global_load_b32 v15, v15, s[2:3]
.LBB234_52:
	s_or_b32 exec_lo, exec_lo, s5
	v_or_b32_e32 v16, 0xe00, v0
	s_mov_b32 s5, exec_lo
	s_delay_alu instid0(VALU_DEP_1)
	v_cmpx_gt_u32_e64 s4, v16
	s_cbranch_execz .LBB234_54
; %bb.53:
	v_lshlrev_b32_e32 v14, 2, v16
	global_load_b32 v14, v14, s[2:3]
.LBB234_54:
	s_or_b32 exec_lo, exec_lo, s5
	v_or_b32_e32 v18, 0xf00, v0
	v_dual_mov_b32 v16, 0 :: v_dual_mov_b32 v17, 0
	s_mov_b32 s5, exec_lo
	s_delay_alu instid0(VALU_DEP_2)
	v_cmpx_gt_u32_e64 s4, v18
	s_cbranch_execz .LBB234_56
; %bb.55:
	v_lshlrev_b32_e32 v17, 2, v18
	global_load_b32 v17, v17, s[2:3]
.LBB234_56:
	s_or_b32 exec_lo, exec_lo, s5
	v_or_b32_e32 v18, 0x1000, v0
	s_mov_b32 s5, exec_lo
	s_delay_alu instid0(VALU_DEP_1)
	v_cmpx_gt_u32_e64 s4, v18
	s_cbranch_execz .LBB234_58
; %bb.57:
	v_lshlrev_b32_e32 v16, 2, v18
	global_load_b32 v16, v16, s[2:3]
.LBB234_58:
	s_or_b32 exec_lo, exec_lo, s5
	v_or_b32_e32 v20, 0x1100, v0
	v_dual_mov_b32 v18, 0 :: v_dual_mov_b32 v19, 0
	s_mov_b32 s5, exec_lo
	s_delay_alu instid0(VALU_DEP_2)
	v_cmpx_gt_u32_e64 s4, v20
	s_cbranch_execz .LBB234_60
; %bb.59:
	v_lshlrev_b32_e32 v19, 2, v20
	global_load_b32 v19, v19, s[2:3]
.LBB234_60:
	s_or_b32 exec_lo, exec_lo, s5
	v_or_b32_e32 v20, 0x1200, v0
	s_mov_b32 s5, exec_lo
	s_delay_alu instid0(VALU_DEP_1)
	v_cmpx_gt_u32_e64 s4, v20
	s_cbranch_execz .LBB234_62
; %bb.61:
	v_lshlrev_b32_e32 v18, 2, v20
	global_load_b32 v18, v18, s[2:3]
.LBB234_62:
	s_or_b32 exec_lo, exec_lo, s5
	v_or_b32_e32 v22, 0x1300, v0
	v_dual_mov_b32 v20, 0 :: v_dual_mov_b32 v21, 0
	s_mov_b32 s5, exec_lo
	s_delay_alu instid0(VALU_DEP_2)
	v_cmpx_gt_u32_e64 s4, v22
	s_cbranch_execz .LBB234_64
; %bb.63:
	v_lshlrev_b32_e32 v21, 2, v22
	global_load_b32 v21, v21, s[2:3]
.LBB234_64:
	s_or_b32 exec_lo, exec_lo, s5
	v_or_b32_e32 v22, 0x1400, v0
	s_mov_b32 s5, exec_lo
	s_delay_alu instid0(VALU_DEP_1)
	v_cmpx_gt_u32_e64 s4, v22
	s_cbranch_execz .LBB234_66
; %bb.65:
	v_lshlrev_b32_e32 v20, 2, v22
	global_load_b32 v20, v20, s[2:3]
.LBB234_66:
	s_or_b32 exec_lo, exec_lo, s5
	v_or_b32_e32 v24, 0x1500, v0
	v_dual_mov_b32 v22, 0 :: v_dual_mov_b32 v23, 0
	s_mov_b32 s5, exec_lo
	s_delay_alu instid0(VALU_DEP_2)
	v_cmpx_gt_u32_e64 s4, v24
	s_cbranch_execz .LBB234_68
; %bb.67:
	v_lshlrev_b32_e32 v23, 2, v24
	global_load_b32 v23, v23, s[2:3]
.LBB234_68:
	s_or_b32 exec_lo, exec_lo, s5
	v_or_b32_e32 v24, 0x1600, v0
	s_mov_b32 s5, exec_lo
	s_delay_alu instid0(VALU_DEP_1)
	v_cmpx_gt_u32_e64 s4, v24
	s_cbranch_execz .LBB234_70
; %bb.69:
	v_lshlrev_b32_e32 v22, 2, v24
	global_load_b32 v22, v22, s[2:3]
.LBB234_70:
	s_or_b32 exec_lo, exec_lo, s5
	v_or_b32_e32 v26, 0x1700, v0
	v_dual_mov_b32 v24, 0 :: v_dual_mov_b32 v25, 0
	s_mov_b32 s5, exec_lo
	s_delay_alu instid0(VALU_DEP_2)
	v_cmpx_gt_u32_e64 s4, v26
	s_cbranch_execz .LBB234_72
; %bb.71:
	v_lshlrev_b32_e32 v25, 2, v26
	global_load_b32 v25, v25, s[2:3]
.LBB234_72:
	s_or_b32 exec_lo, exec_lo, s5
	v_or_b32_e32 v26, 0x1800, v0
	s_mov_b32 s5, exec_lo
	s_delay_alu instid0(VALU_DEP_1)
	v_cmpx_gt_u32_e64 s4, v26
	s_cbranch_execz .LBB234_74
; %bb.73:
	v_lshlrev_b32_e32 v24, 2, v26
	global_load_b32 v24, v24, s[2:3]
.LBB234_74:
	s_or_b32 exec_lo, exec_lo, s5
	v_or_b32_e32 v28, 0x1900, v0
	v_dual_mov_b32 v26, 0 :: v_dual_mov_b32 v27, 0
	s_mov_b32 s5, exec_lo
	s_delay_alu instid0(VALU_DEP_2)
	v_cmpx_gt_u32_e64 s4, v28
	s_cbranch_execz .LBB234_76
; %bb.75:
	v_lshlrev_b32_e32 v27, 2, v28
	global_load_b32 v27, v27, s[2:3]
.LBB234_76:
	s_or_b32 exec_lo, exec_lo, s5
	v_or_b32_e32 v28, 0x1a00, v0
	s_mov_b32 s5, exec_lo
	s_delay_alu instid0(VALU_DEP_1)
	v_cmpx_gt_u32_e64 s4, v28
	s_cbranch_execz .LBB234_78
; %bb.77:
	v_lshlrev_b32_e32 v26, 2, v28
	global_load_b32 v26, v26, s[2:3]
.LBB234_78:
	s_or_b32 exec_lo, exec_lo, s5
	v_or_b32_e32 v30, 0x1b00, v0
	v_dual_mov_b32 v28, 0 :: v_dual_mov_b32 v29, 0
	s_mov_b32 s5, exec_lo
	s_delay_alu instid0(VALU_DEP_2)
	v_cmpx_gt_u32_e64 s4, v30
	s_cbranch_execz .LBB234_80
; %bb.79:
	v_lshlrev_b32_e32 v29, 2, v30
	global_load_b32 v29, v29, s[2:3]
.LBB234_80:
	s_or_b32 exec_lo, exec_lo, s5
	v_or_b32_e32 v30, 0x1c00, v0
	s_mov_b32 s5, exec_lo
	s_delay_alu instid0(VALU_DEP_1)
	v_cmpx_gt_u32_e64 s4, v30
	s_cbranch_execz .LBB234_82
; %bb.81:
	v_lshlrev_b32_e32 v28, 2, v30
	global_load_b32 v28, v28, s[2:3]
.LBB234_82:
	s_or_b32 exec_lo, exec_lo, s5
	v_or_b32_e32 v32, 0x1d00, v0
	v_dual_mov_b32 v30, 0 :: v_dual_mov_b32 v31, 0
	s_mov_b32 s5, exec_lo
	s_delay_alu instid0(VALU_DEP_2)
	v_cmpx_gt_u32_e64 s4, v32
	s_cbranch_execz .LBB234_84
; %bb.83:
	v_lshlrev_b32_e32 v31, 2, v32
	global_load_b32 v31, v31, s[2:3]
.LBB234_84:
	s_or_b32 exec_lo, exec_lo, s5
	v_or_b32_e32 v32, 0x1e00, v0
	s_mov_b32 s5, exec_lo
	s_delay_alu instid0(VALU_DEP_1)
	v_cmpx_gt_u32_e64 s4, v32
	s_cbranch_execz .LBB234_86
; %bb.85:
	v_lshlrev_b32_e32 v30, 2, v32
	global_load_b32 v30, v30, s[2:3]
.LBB234_86:
	s_or_b32 exec_lo, exec_lo, s5
	v_or_b32_e32 v33, 0x1f00, v0
	v_mov_b32_e32 v32, 0
	s_mov_b32 s5, exec_lo
	s_delay_alu instid0(VALU_DEP_2)
	v_cmpx_gt_u32_e64 s4, v33
	s_cbranch_execz .LBB234_88
; %bb.87:
	v_lshlrev_b32_e32 v32, 2, v33
	global_load_b32 v32, v32, s[2:3]
.LBB234_88:
	s_or_b32 exec_lo, exec_lo, s5
	s_waitcnt vmcnt(0)
	v_add_nc_u32_e32 v1, v3, v1
	s_min_u32 s2, s4, 0x100
	s_mov_b32 s3, exec_lo
	s_delay_alu instid0(VALU_DEP_1) | instskip(SKIP_1) | instid1(VALU_DEP_2)
	v_add3_u32 v1, v1, v2, v5
	v_mbcnt_lo_u32_b32 v2, -1, 0
	v_add3_u32 v1, v1, v4, v7
	s_delay_alu instid0(VALU_DEP_2) | instskip(NEXT) | instid1(VALU_DEP_2)
	v_cmp_ne_u32_e32 vcc_lo, 31, v2
	v_add3_u32 v1, v1, v6, v9
	v_add_co_ci_u32_e32 v3, vcc_lo, 0, v2, vcc_lo
	v_cmp_gt_u32_e32 vcc_lo, 30, v2
	v_add_nc_u32_e32 v6, 1, v2
	s_delay_alu instid0(VALU_DEP_4) | instskip(NEXT) | instid1(VALU_DEP_4)
	v_add3_u32 v1, v1, v8, v11
	v_lshlrev_b32_e32 v3, 2, v3
	v_cndmask_b32_e64 v5, 0, 1, vcc_lo
	s_delay_alu instid0(VALU_DEP_3) | instskip(NEXT) | instid1(VALU_DEP_2)
	v_add3_u32 v1, v1, v10, v13
	v_lshlrev_b32_e32 v5, 1, v5
	s_delay_alu instid0(VALU_DEP_2) | instskip(NEXT) | instid1(VALU_DEP_2)
	v_add3_u32 v1, v1, v12, v15
	v_add_lshl_u32 v5, v5, v2, 2
	s_delay_alu instid0(VALU_DEP_2) | instskip(NEXT) | instid1(VALU_DEP_1)
	v_add3_u32 v1, v1, v14, v17
	v_add3_u32 v1, v1, v16, v19
	s_delay_alu instid0(VALU_DEP_1) | instskip(NEXT) | instid1(VALU_DEP_1)
	v_add3_u32 v1, v1, v18, v21
	v_add3_u32 v1, v1, v20, v23
	s_delay_alu instid0(VALU_DEP_1) | instskip(NEXT) | instid1(VALU_DEP_1)
	;; [unrolled: 3-line block ×3, first 2 shown]
	v_add3_u32 v1, v1, v26, v29
	v_add3_u32 v1, v1, v28, v31
	s_delay_alu instid0(VALU_DEP_1) | instskip(SKIP_2) | instid1(VALU_DEP_1)
	v_add3_u32 v1, v1, v30, v32
	ds_bpermute_b32 v3, v3, v1
	v_and_b32_e32 v4, 0xe0, v0
	v_sub_nc_u32_e64 v4, s2, v4 clamp
	s_delay_alu instid0(VALU_DEP_1) | instskip(SKIP_3) | instid1(VALU_DEP_2)
	v_cmp_lt_u32_e32 vcc_lo, v6, v4
	s_waitcnt lgkmcnt(0)
	v_dual_cndmask_b32 v3, 0, v3 :: v_dual_add_nc_u32 v6, 2, v2
	v_cmp_gt_u32_e32 vcc_lo, 28, v2
	v_add_nc_u32_e32 v1, v3, v1
	ds_bpermute_b32 v3, v5, v1
	v_cndmask_b32_e64 v5, 0, 1, vcc_lo
	v_cmp_lt_u32_e32 vcc_lo, v6, v4
	v_add_nc_u32_e32 v6, 4, v2
	s_delay_alu instid0(VALU_DEP_3) | instskip(NEXT) | instid1(VALU_DEP_1)
	v_lshlrev_b32_e32 v5, 2, v5
	v_add_lshl_u32 v5, v5, v2, 2
	s_waitcnt lgkmcnt(0)
	v_cndmask_b32_e32 v3, 0, v3, vcc_lo
	v_cmp_gt_u32_e32 vcc_lo, 24, v2
	s_delay_alu instid0(VALU_DEP_2) | instskip(SKIP_4) | instid1(VALU_DEP_3)
	v_add_nc_u32_e32 v1, v1, v3
	ds_bpermute_b32 v3, v5, v1
	v_cndmask_b32_e64 v5, 0, 1, vcc_lo
	v_cmp_lt_u32_e32 vcc_lo, v6, v4
	v_add_nc_u32_e32 v6, 8, v2
	v_lshlrev_b32_e32 v5, 3, v5
	s_delay_alu instid0(VALU_DEP_1) | instskip(SKIP_3) | instid1(VALU_DEP_2)
	v_add_lshl_u32 v5, v5, v2, 2
	s_waitcnt lgkmcnt(0)
	v_cndmask_b32_e32 v3, 0, v3, vcc_lo
	v_cmp_gt_u32_e32 vcc_lo, 16, v2
	v_add_nc_u32_e32 v1, v1, v3
	ds_bpermute_b32 v3, v5, v1
	v_cndmask_b32_e64 v5, 0, 1, vcc_lo
	v_cmp_lt_u32_e32 vcc_lo, v6, v4
	s_delay_alu instid0(VALU_DEP_2) | instskip(NEXT) | instid1(VALU_DEP_1)
	v_lshlrev_b32_e32 v5, 4, v5
	v_add_lshl_u32 v5, v5, v2, 2
	s_waitcnt lgkmcnt(0)
	v_cndmask_b32_e32 v3, 0, v3, vcc_lo
	s_delay_alu instid0(VALU_DEP_1) | instskip(SKIP_2) | instid1(VALU_DEP_1)
	v_add_nc_u32_e32 v1, v1, v3
	ds_bpermute_b32 v3, v5, v1
	v_add_nc_u32_e32 v5, 16, v2
	v_cmp_lt_u32_e32 vcc_lo, v5, v4
	s_waitcnt lgkmcnt(0)
	v_cndmask_b32_e32 v3, 0, v3, vcc_lo
	s_delay_alu instid0(VALU_DEP_1)
	v_add_nc_u32_e32 v1, v1, v3
	v_cmpx_eq_u32_e32 0, v2
	s_cbranch_execz .LBB234_90
; %bb.89:
	v_lshrrev_b32_e32 v3, 3, v0
	s_delay_alu instid0(VALU_DEP_1)
	v_and_b32_e32 v3, 28, v3
	ds_store_b32 v3, v1 offset:192
.LBB234_90:
	s_or_b32 exec_lo, exec_lo, s3
	s_delay_alu instid0(SALU_CYCLE_1)
	s_mov_b32 s3, exec_lo
	s_waitcnt lgkmcnt(0)
	s_barrier
	buffer_gl0_inv
	v_cmpx_gt_u32_e32 8, v0
	s_cbranch_execz .LBB234_92
; %bb.91:
	v_and_b32_e32 v3, 7, v2
	s_add_i32 s2, s2, 31
	s_delay_alu instid0(SALU_CYCLE_1) | instskip(NEXT) | instid1(VALU_DEP_1)
	s_lshr_b32 s2, s2, 5
	v_cmp_ne_u32_e32 vcc_lo, 7, v3
	v_add_nc_u32_e32 v6, 1, v3
	v_add_co_ci_u32_e32 v4, vcc_lo, 0, v2, vcc_lo
	v_cmp_gt_u32_e32 vcc_lo, 6, v3
	s_delay_alu instid0(VALU_DEP_2) | instskip(SKIP_3) | instid1(VALU_DEP_3)
	v_lshlrev_b32_e32 v4, 2, v4
	v_cndmask_b32_e64 v5, 0, 1, vcc_lo
	v_cmp_gt_u32_e32 vcc_lo, s2, v6
	v_lshlrev_b32_e32 v1, 2, v2
	v_lshlrev_b32_e32 v5, 1, v5
	ds_load_b32 v1, v1 offset:192
	v_add_lshl_u32 v5, v5, v2, 2
	s_waitcnt lgkmcnt(0)
	ds_bpermute_b32 v4, v4, v1
	s_waitcnt lgkmcnt(0)
	v_cndmask_b32_e32 v4, 0, v4, vcc_lo
	v_cmp_gt_u32_e32 vcc_lo, 4, v3
	s_delay_alu instid0(VALU_DEP_2) | instskip(SKIP_3) | instid1(VALU_DEP_1)
	v_add_nc_u32_e32 v1, v4, v1
	v_cndmask_b32_e64 v6, 0, 1, vcc_lo
	ds_bpermute_b32 v4, v5, v1
	v_add_nc_u32_e32 v5, 2, v3
	v_cmp_gt_u32_e32 vcc_lo, s2, v5
	v_lshlrev_b32_e32 v5, 2, v6
	s_delay_alu instid0(VALU_DEP_1) | instskip(SKIP_2) | instid1(VALU_DEP_1)
	v_add_lshl_u32 v2, v5, v2, 2
	s_waitcnt lgkmcnt(0)
	v_dual_cndmask_b32 v4, 0, v4 :: v_dual_add_nc_u32 v3, 4, v3
	v_add_nc_u32_e32 v1, v1, v4
	s_delay_alu instid0(VALU_DEP_2) | instskip(SKIP_3) | instid1(VALU_DEP_1)
	v_cmp_gt_u32_e32 vcc_lo, s2, v3
	ds_bpermute_b32 v2, v2, v1
	s_waitcnt lgkmcnt(0)
	v_cndmask_b32_e32 v2, 0, v2, vcc_lo
	v_add_nc_u32_e32 v1, v1, v2
.LBB234_92:
	s_or_b32 exec_lo, exec_lo, s3
	v_cmp_eq_u32_e64 s2, 0, v0
	s_and_b32 vcc_lo, exec_lo, s6
	s_cbranch_vccnz .LBB234_15
.LBB234_93:
	s_branch .LBB234_142
.LBB234_94:
	s_mov_b32 s3, -1
                                        ; implicit-def: $vgpr1
.LBB234_95:
	s_delay_alu instid0(SALU_CYCLE_1)
	s_and_b32 vcc_lo, exec_lo, s3
	s_cbranch_vccz .LBB234_133
; %bb.96:
	s_sub_i32 s25, s18, s2
	s_mov_b32 s2, exec_lo
                                        ; implicit-def: $vgpr1_vgpr2_vgpr3_vgpr4_vgpr5_vgpr6_vgpr7_vgpr8_vgpr9_vgpr10_vgpr11_vgpr12_vgpr13_vgpr14_vgpr15_vgpr16
	v_cmpx_gt_u32_e64 s25, v0
	s_cbranch_execz .LBB234_98
; %bb.97:
	v_lshlrev_b32_e32 v1, 2, v0
	global_load_b32 v1, v1, s[22:23]
.LBB234_98:
	s_or_b32 exec_lo, exec_lo, s2
	v_or_b32_e32 v17, 0x100, v0
	s_delay_alu instid0(VALU_DEP_1)
	v_cmp_gt_u32_e32 vcc_lo, s25, v17
	s_and_saveexec_b32 s2, vcc_lo
	s_cbranch_execz .LBB234_100
; %bb.99:
	v_lshlrev_b32_e32 v2, 2, v0
	global_load_b32 v2, v2, s[22:23] offset:1024
.LBB234_100:
	s_or_b32 exec_lo, exec_lo, s2
	v_or_b32_e32 v17, 0x200, v0
	s_delay_alu instid0(VALU_DEP_1) | instskip(NEXT) | instid1(VALU_DEP_1)
	v_cmp_gt_u32_e64 s2, s25, v17
	s_and_saveexec_b32 s3, s2
	s_cbranch_execz .LBB234_102
; %bb.101:
	v_lshlrev_b32_e32 v3, 2, v0
	global_load_b32 v3, v3, s[22:23] offset:2048
.LBB234_102:
	s_or_b32 exec_lo, exec_lo, s3
	v_or_b32_e32 v17, 0x300, v0
	s_delay_alu instid0(VALU_DEP_1) | instskip(NEXT) | instid1(VALU_DEP_1)
	v_cmp_gt_u32_e64 s3, s25, v17
	s_and_saveexec_b32 s4, s3
	;; [unrolled: 10-line block ×3, first 2 shown]
	s_cbranch_execz .LBB234_106
; %bb.105:
	v_lshlrev_b32_e32 v5, 2, v17
	global_load_b32 v5, v5, s[22:23]
.LBB234_106:
	s_or_b32 exec_lo, exec_lo, s5
	v_or_b32_e32 v17, 0x500, v0
	s_delay_alu instid0(VALU_DEP_1) | instskip(NEXT) | instid1(VALU_DEP_1)
	v_cmp_gt_u32_e64 s5, s25, v17
	s_and_saveexec_b32 s6, s5
	s_cbranch_execz .LBB234_108
; %bb.107:
	v_lshlrev_b32_e32 v6, 2, v17
	global_load_b32 v6, v6, s[22:23]
.LBB234_108:
	s_or_b32 exec_lo, exec_lo, s6
	v_or_b32_e32 v17, 0x600, v0
	s_delay_alu instid0(VALU_DEP_1) | instskip(NEXT) | instid1(VALU_DEP_1)
	v_cmp_gt_u32_e64 s6, s25, v17
	s_and_saveexec_b32 s7, s6
	;; [unrolled: 10-line block ×11, first 2 shown]
	s_cbranch_execz .LBB234_128
; %bb.127:
	v_lshlrev_b32_e32 v16, 2, v17
	global_load_b32 v16, v16, s[22:23]
.LBB234_128:
	s_or_b32 exec_lo, exec_lo, s26
	s_waitcnt vmcnt(0)
	v_cndmask_b32_e32 v2, 0, v2, vcc_lo
	v_cndmask_b32_e64 v3, 0, v3, s2
	v_cndmask_b32_e64 v4, 0, v4, s3
	s_min_u32 s2, s25, 0x100
	s_mov_b32 s3, exec_lo
	v_add_nc_u32_e32 v1, v2, v1
	v_cndmask_b32_e64 v2, 0, v5, s4
	v_cndmask_b32_e64 v5, 0, v6, s5
	;; [unrolled: 1-line block ×3, first 2 shown]
	s_delay_alu instid0(VALU_DEP_4) | instskip(SKIP_3) | instid1(VALU_DEP_4)
	v_add3_u32 v1, v1, v3, v4
	v_cndmask_b32_e64 v3, 0, v7, s6
	v_cndmask_b32_e64 v4, 0, v8, s7
	;; [unrolled: 1-line block ×3, first 2 shown]
	v_add3_u32 v1, v1, v2, v5
	v_cndmask_b32_e64 v2, 0, v9, s8
	v_cndmask_b32_e64 v5, 0, v10, s9
	s_delay_alu instid0(VALU_DEP_3) | instskip(SKIP_2) | instid1(VALU_DEP_3)
	v_add3_u32 v1, v1, v3, v4
	v_cndmask_b32_e64 v3, 0, v11, s10
	v_cndmask_b32_e64 v4, 0, v12, s11
	v_add3_u32 v1, v1, v2, v5
	v_mbcnt_lo_u32_b32 v2, -1, 0
	v_cndmask_b32_e64 v5, 0, v13, s12
	s_delay_alu instid0(VALU_DEP_3) | instskip(NEXT) | instid1(VALU_DEP_3)
	v_add3_u32 v1, v1, v3, v4
	v_cmp_ne_u32_e32 vcc_lo, 31, v2
	v_cndmask_b32_e64 v3, 0, v16, s15
	s_delay_alu instid0(VALU_DEP_3) | instskip(SKIP_3) | instid1(VALU_DEP_4)
	v_add3_u32 v1, v1, v5, v6
	v_add_co_ci_u32_e32 v4, vcc_lo, 0, v2, vcc_lo
	v_cmp_gt_u32_e32 vcc_lo, 30, v2
	v_add_nc_u32_e32 v6, 1, v2
	v_add3_u32 v1, v1, v7, v3
	s_delay_alu instid0(VALU_DEP_4) | instskip(SKIP_4) | instid1(VALU_DEP_2)
	v_lshlrev_b32_e32 v4, 2, v4
	v_cndmask_b32_e64 v5, 0, 1, vcc_lo
	ds_bpermute_b32 v3, v4, v1
	v_and_b32_e32 v4, 0xe0, v0
	v_lshlrev_b32_e32 v5, 1, v5
	v_sub_nc_u32_e64 v4, s2, v4 clamp
	s_delay_alu instid0(VALU_DEP_2) | instskip(NEXT) | instid1(VALU_DEP_2)
	v_add_lshl_u32 v5, v5, v2, 2
	v_cmp_lt_u32_e32 vcc_lo, v6, v4
	s_waitcnt lgkmcnt(0)
	v_dual_cndmask_b32 v3, 0, v3 :: v_dual_add_nc_u32 v6, 2, v2
	v_cmp_gt_u32_e32 vcc_lo, 28, v2
	s_delay_alu instid0(VALU_DEP_2) | instskip(SKIP_4) | instid1(VALU_DEP_3)
	v_add_nc_u32_e32 v1, v1, v3
	ds_bpermute_b32 v3, v5, v1
	v_cndmask_b32_e64 v5, 0, 1, vcc_lo
	v_cmp_lt_u32_e32 vcc_lo, v6, v4
	v_add_nc_u32_e32 v6, 4, v2
	v_lshlrev_b32_e32 v5, 2, v5
	s_delay_alu instid0(VALU_DEP_1) | instskip(SKIP_3) | instid1(VALU_DEP_2)
	v_add_lshl_u32 v5, v5, v2, 2
	s_waitcnt lgkmcnt(0)
	v_cndmask_b32_e32 v3, 0, v3, vcc_lo
	v_cmp_gt_u32_e32 vcc_lo, 24, v2
	v_add_nc_u32_e32 v1, v1, v3
	ds_bpermute_b32 v3, v5, v1
	v_cndmask_b32_e64 v5, 0, 1, vcc_lo
	v_cmp_lt_u32_e32 vcc_lo, v6, v4
	v_add_nc_u32_e32 v6, 8, v2
	s_delay_alu instid0(VALU_DEP_3) | instskip(NEXT) | instid1(VALU_DEP_1)
	v_lshlrev_b32_e32 v5, 3, v5
	v_add_lshl_u32 v5, v5, v2, 2
	s_waitcnt lgkmcnt(0)
	v_cndmask_b32_e32 v3, 0, v3, vcc_lo
	v_cmp_gt_u32_e32 vcc_lo, 16, v2
	s_delay_alu instid0(VALU_DEP_2) | instskip(SKIP_3) | instid1(VALU_DEP_2)
	v_add_nc_u32_e32 v1, v1, v3
	ds_bpermute_b32 v3, v5, v1
	v_cndmask_b32_e64 v5, 0, 1, vcc_lo
	v_cmp_lt_u32_e32 vcc_lo, v6, v4
	v_lshlrev_b32_e32 v5, 4, v5
	s_delay_alu instid0(VALU_DEP_1) | instskip(SKIP_2) | instid1(VALU_DEP_1)
	v_add_lshl_u32 v5, v5, v2, 2
	s_waitcnt lgkmcnt(0)
	v_cndmask_b32_e32 v3, 0, v3, vcc_lo
	v_add_nc_u32_e32 v1, v1, v3
	ds_bpermute_b32 v3, v5, v1
	v_add_nc_u32_e32 v5, 16, v2
	s_delay_alu instid0(VALU_DEP_1) | instskip(SKIP_2) | instid1(VALU_DEP_1)
	v_cmp_lt_u32_e32 vcc_lo, v5, v4
	s_waitcnt lgkmcnt(0)
	v_cndmask_b32_e32 v3, 0, v3, vcc_lo
	v_add_nc_u32_e32 v1, v1, v3
	v_cmpx_eq_u32_e32 0, v2
	s_cbranch_execz .LBB234_130
; %bb.129:
	v_lshrrev_b32_e32 v3, 3, v0
	s_delay_alu instid0(VALU_DEP_1)
	v_and_b32_e32 v3, 28, v3
	ds_store_b32 v3, v1 offset:192
.LBB234_130:
	s_or_b32 exec_lo, exec_lo, s3
	s_delay_alu instid0(SALU_CYCLE_1)
	s_mov_b32 s3, exec_lo
	s_waitcnt lgkmcnt(0)
	s_barrier
	buffer_gl0_inv
	v_cmpx_gt_u32_e32 8, v0
	s_cbranch_execz .LBB234_132
; %bb.131:
	v_and_b32_e32 v3, 7, v2
	s_add_i32 s2, s2, 31
	s_delay_alu instid0(SALU_CYCLE_1) | instskip(NEXT) | instid1(VALU_DEP_1)
	s_lshr_b32 s2, s2, 5
	v_cmp_ne_u32_e32 vcc_lo, 7, v3
	v_add_nc_u32_e32 v6, 1, v3
	v_add_co_ci_u32_e32 v4, vcc_lo, 0, v2, vcc_lo
	v_cmp_gt_u32_e32 vcc_lo, 6, v3
	s_delay_alu instid0(VALU_DEP_2) | instskip(SKIP_3) | instid1(VALU_DEP_3)
	v_lshlrev_b32_e32 v4, 2, v4
	v_cndmask_b32_e64 v5, 0, 1, vcc_lo
	v_cmp_gt_u32_e32 vcc_lo, s2, v6
	v_lshlrev_b32_e32 v1, 2, v2
	v_lshlrev_b32_e32 v5, 1, v5
	ds_load_b32 v1, v1 offset:192
	v_add_lshl_u32 v5, v5, v2, 2
	s_waitcnt lgkmcnt(0)
	ds_bpermute_b32 v4, v4, v1
	s_waitcnt lgkmcnt(0)
	v_cndmask_b32_e32 v4, 0, v4, vcc_lo
	v_cmp_gt_u32_e32 vcc_lo, 4, v3
	s_delay_alu instid0(VALU_DEP_2) | instskip(SKIP_3) | instid1(VALU_DEP_1)
	v_add_nc_u32_e32 v1, v4, v1
	v_cndmask_b32_e64 v6, 0, 1, vcc_lo
	ds_bpermute_b32 v4, v5, v1
	v_add_nc_u32_e32 v5, 2, v3
	v_cmp_gt_u32_e32 vcc_lo, s2, v5
	v_lshlrev_b32_e32 v5, 2, v6
	s_delay_alu instid0(VALU_DEP_1) | instskip(SKIP_2) | instid1(VALU_DEP_1)
	v_add_lshl_u32 v2, v5, v2, 2
	s_waitcnt lgkmcnt(0)
	v_dual_cndmask_b32 v4, 0, v4 :: v_dual_add_nc_u32 v3, 4, v3
	v_add_nc_u32_e32 v1, v1, v4
	s_delay_alu instid0(VALU_DEP_2) | instskip(SKIP_3) | instid1(VALU_DEP_1)
	v_cmp_gt_u32_e32 vcc_lo, s2, v3
	ds_bpermute_b32 v2, v2, v1
	s_waitcnt lgkmcnt(0)
	v_cndmask_b32_e32 v2, 0, v2, vcc_lo
	v_add_nc_u32_e32 v1, v1, v2
.LBB234_132:
	s_or_b32 exec_lo, exec_lo, s3
.LBB234_133:
	v_cmp_eq_u32_e64 s2, 0, v0
	s_branch .LBB234_142
.LBB234_134:
	s_cmp_eq_u32 s24, 8
	s_cbranch_scc0 .LBB234_141
; %bb.135:
	s_mov_b32 s21, 0
	s_lshl_b32 s2, s20, 11
	s_mov_b32 s3, s21
	s_lshr_b64 s[6:7], s[18:19], 11
	s_lshl_b64 s[4:5], s[2:3], 2
	s_delay_alu instid0(SALU_CYCLE_1)
	s_add_u32 s8, s16, s4
	s_addc_u32 s9, s17, s5
	s_cmp_lg_u64 s[6:7], s[20:21]
	s_cbranch_scc0 .LBB234_143
; %bb.136:
	v_lshlrev_b32_e32 v3, 2, v0
	s_clause 0x1
	global_load_b32 v4, v3, s[8:9]
	global_load_b32 v5, v3, s[8:9] offset:1024
	v_add_co_u32 v1, s3, s8, v3
	s_delay_alu instid0(VALU_DEP_1) | instskip(SKIP_1) | instid1(VALU_DEP_2)
	v_add_co_ci_u32_e64 v2, null, s9, 0, s3
	s_mov_b32 s3, exec_lo
	v_add_co_u32 v1, vcc_lo, 0x1000, v1
	s_delay_alu instid0(VALU_DEP_2)
	v_add_co_ci_u32_e32 v2, vcc_lo, 0, v2, vcc_lo
	s_clause 0x5
	global_load_b32 v6, v3, s[8:9] offset:2048
	global_load_b32 v3, v3, s[8:9] offset:3072
	global_load_b32 v7, v[1:2], off
	global_load_b32 v8, v[1:2], off offset:1024
	global_load_b32 v9, v[1:2], off offset:2048
	;; [unrolled: 1-line block ×3, first 2 shown]
	s_waitcnt vmcnt(6)
	v_add_nc_u32_e32 v2, v5, v4
	s_waitcnt vmcnt(4)
	s_delay_alu instid0(VALU_DEP_1) | instskip(SKIP_2) | instid1(VALU_DEP_2)
	v_add3_u32 v2, v2, v6, v3
	v_mov_b32_e32 v3, 0
	s_waitcnt vmcnt(2)
	v_add3_u32 v2, v2, v7, v8
	s_waitcnt vmcnt(0)
	s_delay_alu instid0(VALU_DEP_1) | instskip(NEXT) | instid1(VALU_DEP_1)
	v_add3_u32 v1, v2, v9, v1
	v_mov_b32_dpp v2, v1 quad_perm:[1,0,3,2] row_mask:0xf bank_mask:0xf
	s_delay_alu instid0(VALU_DEP_1) | instskip(NEXT) | instid1(VALU_DEP_1)
	v_add_nc_u32_e32 v1, v2, v1
	v_mov_b32_dpp v2, v1 quad_perm:[2,3,0,1] row_mask:0xf bank_mask:0xf
	s_delay_alu instid0(VALU_DEP_1) | instskip(NEXT) | instid1(VALU_DEP_1)
	v_add_nc_u32_e32 v1, v1, v2
	v_mov_b32_dpp v2, v1 row_ror:4 row_mask:0xf bank_mask:0xf
	s_delay_alu instid0(VALU_DEP_1) | instskip(NEXT) | instid1(VALU_DEP_1)
	v_add_nc_u32_e32 v1, v1, v2
	v_mov_b32_dpp v2, v1 row_ror:8 row_mask:0xf bank_mask:0xf
	s_delay_alu instid0(VALU_DEP_1)
	v_add_nc_u32_e32 v1, v1, v2
	ds_swizzle_b32 v2, v1 offset:swizzle(BROADCAST,32,15)
	s_waitcnt lgkmcnt(0)
	v_add_nc_u32_e32 v1, v1, v2
	v_mbcnt_lo_u32_b32 v2, -1, 0
	ds_bpermute_b32 v1, v3, v1 offset:124
	v_cmpx_eq_u32_e32 0, v2
	s_cbranch_execz .LBB234_138
; %bb.137:
	v_lshrrev_b32_e32 v3, 3, v0
	s_delay_alu instid0(VALU_DEP_1)
	v_and_b32_e32 v3, 28, v3
	s_waitcnt lgkmcnt(0)
	ds_store_b32 v3, v1 offset:160
.LBB234_138:
	s_or_b32 exec_lo, exec_lo, s3
	s_delay_alu instid0(SALU_CYCLE_1)
	s_mov_b32 s3, exec_lo
	s_waitcnt lgkmcnt(0)
	s_barrier
	buffer_gl0_inv
	v_cmpx_gt_u32_e32 32, v0
	s_cbranch_execz .LBB234_140
; %bb.139:
	v_and_b32_e32 v1, 7, v2
	s_delay_alu instid0(VALU_DEP_1) | instskip(SKIP_4) | instid1(VALU_DEP_2)
	v_lshlrev_b32_e32 v3, 2, v1
	v_cmp_ne_u32_e32 vcc_lo, 7, v1
	ds_load_b32 v3, v3 offset:160
	v_add_co_ci_u32_e32 v4, vcc_lo, 0, v2, vcc_lo
	v_cmp_gt_u32_e32 vcc_lo, 6, v1
	v_lshlrev_b32_e32 v4, 2, v4
	v_cndmask_b32_e64 v5, 0, 1, vcc_lo
	v_cmp_gt_u32_e32 vcc_lo, 4, v1
	s_delay_alu instid0(VALU_DEP_2) | instskip(SKIP_1) | instid1(VALU_DEP_2)
	v_lshlrev_b32_e32 v5, 1, v5
	v_cndmask_b32_e64 v1, 0, 1, vcc_lo
	v_add_lshl_u32 v5, v5, v2, 2
	s_delay_alu instid0(VALU_DEP_2)
	v_lshlrev_b32_e32 v1, 2, v1
	s_waitcnt lgkmcnt(0)
	ds_bpermute_b32 v4, v4, v3
	v_add_lshl_u32 v1, v1, v2, 2
	s_waitcnt lgkmcnt(0)
	v_add_nc_u32_e32 v3, v4, v3
	ds_bpermute_b32 v4, v5, v3
	s_waitcnt lgkmcnt(0)
	v_add_nc_u32_e32 v3, v4, v3
	ds_bpermute_b32 v1, v1, v3
	s_waitcnt lgkmcnt(0)
	v_add_nc_u32_e32 v1, v1, v3
.LBB234_140:
	s_or_b32 exec_lo, exec_lo, s3
	s_branch .LBB234_165
.LBB234_141:
                                        ; implicit-def: $vgpr1
.LBB234_142:
	s_branch .LBB234_224
.LBB234_143:
                                        ; implicit-def: $vgpr1
	s_cbranch_execz .LBB234_165
; %bb.144:
	s_sub_i32 s10, s18, s2
	s_mov_b32 s2, exec_lo
                                        ; implicit-def: $vgpr1_vgpr2_vgpr3_vgpr4_vgpr5_vgpr6_vgpr7_vgpr8
	v_cmpx_gt_u32_e64 s10, v0
	s_cbranch_execz .LBB234_146
; %bb.145:
	v_lshlrev_b32_e32 v1, 2, v0
	global_load_b32 v1, v1, s[8:9]
.LBB234_146:
	s_or_b32 exec_lo, exec_lo, s2
	v_or_b32_e32 v9, 0x100, v0
	s_delay_alu instid0(VALU_DEP_1)
	v_cmp_gt_u32_e32 vcc_lo, s10, v9
	s_and_saveexec_b32 s2, vcc_lo
	s_cbranch_execz .LBB234_148
; %bb.147:
	v_lshlrev_b32_e32 v2, 2, v0
	global_load_b32 v2, v2, s[8:9] offset:1024
.LBB234_148:
	s_or_b32 exec_lo, exec_lo, s2
	v_or_b32_e32 v9, 0x200, v0
	s_delay_alu instid0(VALU_DEP_1) | instskip(NEXT) | instid1(VALU_DEP_1)
	v_cmp_gt_u32_e64 s2, s10, v9
	s_and_saveexec_b32 s3, s2
	s_cbranch_execz .LBB234_150
; %bb.149:
	v_lshlrev_b32_e32 v3, 2, v0
	global_load_b32 v3, v3, s[8:9] offset:2048
.LBB234_150:
	s_or_b32 exec_lo, exec_lo, s3
	v_or_b32_e32 v9, 0x300, v0
	s_delay_alu instid0(VALU_DEP_1) | instskip(NEXT) | instid1(VALU_DEP_1)
	v_cmp_gt_u32_e64 s3, s10, v9
	s_and_saveexec_b32 s4, s3
	;; [unrolled: 10-line block ×3, first 2 shown]
	s_cbranch_execz .LBB234_154
; %bb.153:
	v_lshlrev_b32_e32 v5, 2, v9
	global_load_b32 v5, v5, s[8:9]
.LBB234_154:
	s_or_b32 exec_lo, exec_lo, s5
	v_or_b32_e32 v9, 0x500, v0
	s_delay_alu instid0(VALU_DEP_1) | instskip(NEXT) | instid1(VALU_DEP_1)
	v_cmp_gt_u32_e64 s5, s10, v9
	s_and_saveexec_b32 s6, s5
	s_cbranch_execz .LBB234_156
; %bb.155:
	v_lshlrev_b32_e32 v6, 2, v9
	global_load_b32 v6, v6, s[8:9]
.LBB234_156:
	s_or_b32 exec_lo, exec_lo, s6
	v_or_b32_e32 v9, 0x600, v0
	s_delay_alu instid0(VALU_DEP_1) | instskip(NEXT) | instid1(VALU_DEP_1)
	v_cmp_gt_u32_e64 s6, s10, v9
	s_and_saveexec_b32 s7, s6
	;; [unrolled: 10-line block ×3, first 2 shown]
	s_cbranch_execz .LBB234_160
; %bb.159:
	v_lshlrev_b32_e32 v8, 2, v9
	global_load_b32 v8, v8, s[8:9]
.LBB234_160:
	s_or_b32 exec_lo, exec_lo, s11
	s_waitcnt vmcnt(0)
	v_cndmask_b32_e32 v2, 0, v2, vcc_lo
	v_cndmask_b32_e64 v3, 0, v3, s2
	v_cndmask_b32_e64 v4, 0, v4, s3
	;; [unrolled: 1-line block ×4, first 2 shown]
	v_add_nc_u32_e32 v1, v2, v1
	v_mbcnt_lo_u32_b32 v2, -1, 0
	v_cndmask_b32_e64 v7, 0, v7, s6
	s_min_u32 s2, s10, 0x100
	s_mov_b32 s3, exec_lo
	v_add3_u32 v1, v1, v3, v4
	v_cmp_ne_u32_e32 vcc_lo, 31, v2
	v_cndmask_b32_e64 v3, 0, v8, s7
	s_delay_alu instid0(VALU_DEP_3) | instskip(SKIP_3) | instid1(VALU_DEP_4)
	v_add3_u32 v1, v1, v5, v6
	v_add_co_ci_u32_e32 v4, vcc_lo, 0, v2, vcc_lo
	v_cmp_gt_u32_e32 vcc_lo, 30, v2
	v_add_nc_u32_e32 v6, 1, v2
	v_add3_u32 v1, v1, v7, v3
	s_delay_alu instid0(VALU_DEP_4) | instskip(SKIP_4) | instid1(VALU_DEP_2)
	v_lshlrev_b32_e32 v4, 2, v4
	v_cndmask_b32_e64 v5, 0, 1, vcc_lo
	ds_bpermute_b32 v3, v4, v1
	v_and_b32_e32 v4, 0xe0, v0
	v_lshlrev_b32_e32 v5, 1, v5
	v_sub_nc_u32_e64 v4, s2, v4 clamp
	s_delay_alu instid0(VALU_DEP_2) | instskip(NEXT) | instid1(VALU_DEP_2)
	v_add_lshl_u32 v5, v5, v2, 2
	v_cmp_lt_u32_e32 vcc_lo, v6, v4
	s_waitcnt lgkmcnt(0)
	v_dual_cndmask_b32 v3, 0, v3 :: v_dual_add_nc_u32 v6, 2, v2
	v_cmp_gt_u32_e32 vcc_lo, 28, v2
	s_delay_alu instid0(VALU_DEP_2) | instskip(SKIP_4) | instid1(VALU_DEP_3)
	v_add_nc_u32_e32 v1, v1, v3
	ds_bpermute_b32 v3, v5, v1
	v_cndmask_b32_e64 v5, 0, 1, vcc_lo
	v_cmp_lt_u32_e32 vcc_lo, v6, v4
	v_add_nc_u32_e32 v6, 4, v2
	v_lshlrev_b32_e32 v5, 2, v5
	s_delay_alu instid0(VALU_DEP_1) | instskip(SKIP_3) | instid1(VALU_DEP_2)
	v_add_lshl_u32 v5, v5, v2, 2
	s_waitcnt lgkmcnt(0)
	v_cndmask_b32_e32 v3, 0, v3, vcc_lo
	v_cmp_gt_u32_e32 vcc_lo, 24, v2
	v_add_nc_u32_e32 v1, v1, v3
	ds_bpermute_b32 v3, v5, v1
	v_cndmask_b32_e64 v5, 0, 1, vcc_lo
	v_cmp_lt_u32_e32 vcc_lo, v6, v4
	v_add_nc_u32_e32 v6, 8, v2
	s_delay_alu instid0(VALU_DEP_3) | instskip(NEXT) | instid1(VALU_DEP_1)
	v_lshlrev_b32_e32 v5, 3, v5
	v_add_lshl_u32 v5, v5, v2, 2
	s_waitcnt lgkmcnt(0)
	v_cndmask_b32_e32 v3, 0, v3, vcc_lo
	v_cmp_gt_u32_e32 vcc_lo, 16, v2
	s_delay_alu instid0(VALU_DEP_2) | instskip(SKIP_3) | instid1(VALU_DEP_2)
	v_add_nc_u32_e32 v1, v1, v3
	ds_bpermute_b32 v3, v5, v1
	v_cndmask_b32_e64 v5, 0, 1, vcc_lo
	v_cmp_lt_u32_e32 vcc_lo, v6, v4
	v_lshlrev_b32_e32 v5, 4, v5
	s_delay_alu instid0(VALU_DEP_1) | instskip(SKIP_2) | instid1(VALU_DEP_1)
	v_add_lshl_u32 v5, v5, v2, 2
	s_waitcnt lgkmcnt(0)
	v_cndmask_b32_e32 v3, 0, v3, vcc_lo
	v_add_nc_u32_e32 v1, v1, v3
	ds_bpermute_b32 v3, v5, v1
	v_add_nc_u32_e32 v5, 16, v2
	s_delay_alu instid0(VALU_DEP_1) | instskip(SKIP_2) | instid1(VALU_DEP_1)
	v_cmp_lt_u32_e32 vcc_lo, v5, v4
	s_waitcnt lgkmcnt(0)
	v_cndmask_b32_e32 v3, 0, v3, vcc_lo
	v_add_nc_u32_e32 v1, v1, v3
	v_cmpx_eq_u32_e32 0, v2
	s_cbranch_execz .LBB234_162
; %bb.161:
	v_lshrrev_b32_e32 v3, 3, v0
	s_delay_alu instid0(VALU_DEP_1)
	v_and_b32_e32 v3, 28, v3
	ds_store_b32 v3, v1 offset:192
.LBB234_162:
	s_or_b32 exec_lo, exec_lo, s3
	s_delay_alu instid0(SALU_CYCLE_1)
	s_mov_b32 s3, exec_lo
	s_waitcnt lgkmcnt(0)
	s_barrier
	buffer_gl0_inv
	v_cmpx_gt_u32_e32 8, v0
	s_cbranch_execz .LBB234_164
; %bb.163:
	v_and_b32_e32 v3, 7, v2
	s_add_i32 s2, s2, 31
	s_delay_alu instid0(SALU_CYCLE_1) | instskip(NEXT) | instid1(VALU_DEP_1)
	s_lshr_b32 s2, s2, 5
	v_cmp_ne_u32_e32 vcc_lo, 7, v3
	v_add_nc_u32_e32 v6, 1, v3
	v_add_co_ci_u32_e32 v4, vcc_lo, 0, v2, vcc_lo
	v_cmp_gt_u32_e32 vcc_lo, 6, v3
	s_delay_alu instid0(VALU_DEP_2) | instskip(SKIP_3) | instid1(VALU_DEP_3)
	v_lshlrev_b32_e32 v4, 2, v4
	v_cndmask_b32_e64 v5, 0, 1, vcc_lo
	v_cmp_gt_u32_e32 vcc_lo, s2, v6
	v_lshlrev_b32_e32 v1, 2, v2
	v_lshlrev_b32_e32 v5, 1, v5
	ds_load_b32 v1, v1 offset:192
	v_add_lshl_u32 v5, v5, v2, 2
	s_waitcnt lgkmcnt(0)
	ds_bpermute_b32 v4, v4, v1
	s_waitcnt lgkmcnt(0)
	v_cndmask_b32_e32 v4, 0, v4, vcc_lo
	v_cmp_gt_u32_e32 vcc_lo, 4, v3
	s_delay_alu instid0(VALU_DEP_2) | instskip(SKIP_3) | instid1(VALU_DEP_1)
	v_add_nc_u32_e32 v1, v4, v1
	v_cndmask_b32_e64 v6, 0, 1, vcc_lo
	ds_bpermute_b32 v4, v5, v1
	v_add_nc_u32_e32 v5, 2, v3
	v_cmp_gt_u32_e32 vcc_lo, s2, v5
	v_lshlrev_b32_e32 v5, 2, v6
	s_delay_alu instid0(VALU_DEP_1) | instskip(SKIP_2) | instid1(VALU_DEP_1)
	v_add_lshl_u32 v2, v5, v2, 2
	s_waitcnt lgkmcnt(0)
	v_dual_cndmask_b32 v4, 0, v4 :: v_dual_add_nc_u32 v3, 4, v3
	v_add_nc_u32_e32 v1, v1, v4
	s_delay_alu instid0(VALU_DEP_2) | instskip(SKIP_3) | instid1(VALU_DEP_1)
	v_cmp_gt_u32_e32 vcc_lo, s2, v3
	ds_bpermute_b32 v2, v2, v1
	s_waitcnt lgkmcnt(0)
	v_cndmask_b32_e32 v2, 0, v2, vcc_lo
	v_add_nc_u32_e32 v1, v1, v2
.LBB234_164:
	s_or_b32 exec_lo, exec_lo, s3
.LBB234_165:
	v_cmp_eq_u32_e64 s2, 0, v0
	s_branch .LBB234_224
.LBB234_166:
	s_cmp_gt_i32 s24, 1
	s_cbranch_scc0 .LBB234_175
; %bb.167:
	s_cmp_gt_i32 s24, 3
	s_cbranch_scc0 .LBB234_176
; %bb.168:
	s_cmp_eq_u32 s24, 4
	s_cbranch_scc0 .LBB234_177
; %bb.169:
	s_mov_b32 s21, 0
	s_lshl_b32 s2, s20, 10
	s_mov_b32 s3, s21
	s_lshr_b64 s[6:7], s[18:19], 10
	s_lshl_b64 s[4:5], s[2:3], 2
	s_delay_alu instid0(SALU_CYCLE_1)
	s_add_u32 s4, s16, s4
	s_addc_u32 s5, s17, s5
	s_cmp_lg_u64 s[6:7], s[20:21]
	s_cbranch_scc0 .LBB234_179
; %bb.170:
	v_lshlrev_b32_e32 v1, 2, v0
	s_mov_b32 s3, exec_lo
	s_clause 0x3
	global_load_b32 v2, v1, s[4:5]
	global_load_b32 v3, v1, s[4:5] offset:1024
	global_load_b32 v4, v1, s[4:5] offset:2048
	;; [unrolled: 1-line block ×3, first 2 shown]
	s_waitcnt vmcnt(2)
	v_add_nc_u32_e32 v2, v3, v2
	s_waitcnt vmcnt(0)
	s_delay_alu instid0(VALU_DEP_1) | instskip(NEXT) | instid1(VALU_DEP_1)
	v_add3_u32 v1, v2, v4, v1
	v_mov_b32_dpp v2, v1 quad_perm:[1,0,3,2] row_mask:0xf bank_mask:0xf
	s_delay_alu instid0(VALU_DEP_1) | instskip(NEXT) | instid1(VALU_DEP_1)
	v_add_nc_u32_e32 v1, v2, v1
	v_mov_b32_dpp v2, v1 quad_perm:[2,3,0,1] row_mask:0xf bank_mask:0xf
	s_delay_alu instid0(VALU_DEP_1) | instskip(NEXT) | instid1(VALU_DEP_1)
	v_add_nc_u32_e32 v1, v1, v2
	v_mov_b32_dpp v2, v1 row_ror:4 row_mask:0xf bank_mask:0xf
	s_delay_alu instid0(VALU_DEP_1) | instskip(NEXT) | instid1(VALU_DEP_1)
	v_add_nc_u32_e32 v1, v1, v2
	v_mov_b32_dpp v2, v1 row_ror:8 row_mask:0xf bank_mask:0xf
	s_delay_alu instid0(VALU_DEP_1)
	v_add_nc_u32_e32 v1, v1, v2
	ds_swizzle_b32 v2, v1 offset:swizzle(BROADCAST,32,15)
	s_waitcnt lgkmcnt(0)
	v_dual_mov_b32 v2, 0 :: v_dual_add_nc_u32 v1, v1, v2
	ds_bpermute_b32 v1, v2, v1 offset:124
	v_mbcnt_lo_u32_b32 v2, -1, 0
	s_delay_alu instid0(VALU_DEP_1)
	v_cmpx_eq_u32_e32 0, v2
	s_cbranch_execz .LBB234_172
; %bb.171:
	v_lshrrev_b32_e32 v3, 3, v0
	s_delay_alu instid0(VALU_DEP_1)
	v_and_b32_e32 v3, 28, v3
	s_waitcnt lgkmcnt(0)
	ds_store_b32 v3, v1 offset:128
.LBB234_172:
	s_or_b32 exec_lo, exec_lo, s3
	s_delay_alu instid0(SALU_CYCLE_1)
	s_mov_b32 s3, exec_lo
	s_waitcnt lgkmcnt(0)
	s_barrier
	buffer_gl0_inv
	v_cmpx_gt_u32_e32 32, v0
	s_cbranch_execz .LBB234_174
; %bb.173:
	v_and_b32_e32 v1, 7, v2
	s_delay_alu instid0(VALU_DEP_1) | instskip(SKIP_4) | instid1(VALU_DEP_2)
	v_lshlrev_b32_e32 v3, 2, v1
	v_cmp_ne_u32_e32 vcc_lo, 7, v1
	ds_load_b32 v3, v3 offset:128
	v_add_co_ci_u32_e32 v4, vcc_lo, 0, v2, vcc_lo
	v_cmp_gt_u32_e32 vcc_lo, 6, v1
	v_lshlrev_b32_e32 v4, 2, v4
	v_cndmask_b32_e64 v5, 0, 1, vcc_lo
	v_cmp_gt_u32_e32 vcc_lo, 4, v1
	s_delay_alu instid0(VALU_DEP_2) | instskip(SKIP_1) | instid1(VALU_DEP_2)
	v_lshlrev_b32_e32 v5, 1, v5
	v_cndmask_b32_e64 v1, 0, 1, vcc_lo
	v_add_lshl_u32 v5, v5, v2, 2
	s_delay_alu instid0(VALU_DEP_2)
	v_lshlrev_b32_e32 v1, 2, v1
	s_waitcnt lgkmcnt(0)
	ds_bpermute_b32 v4, v4, v3
	v_add_lshl_u32 v1, v1, v2, 2
	s_waitcnt lgkmcnt(0)
	v_add_nc_u32_e32 v3, v4, v3
	ds_bpermute_b32 v4, v5, v3
	s_waitcnt lgkmcnt(0)
	v_add_nc_u32_e32 v3, v4, v3
	ds_bpermute_b32 v1, v1, v3
	s_waitcnt lgkmcnt(0)
	v_add_nc_u32_e32 v1, v1, v3
.LBB234_174:
	s_or_b32 exec_lo, exec_lo, s3
	s_mov_b32 s3, 0
	s_branch .LBB234_180
.LBB234_175:
                                        ; implicit-def: $vgpr1
	s_cbranch_execnz .LBB234_215
	s_branch .LBB234_224
.LBB234_176:
                                        ; implicit-def: $vgpr1
	s_cbranch_execz .LBB234_178
	s_branch .LBB234_195
.LBB234_177:
                                        ; implicit-def: $vgpr1
.LBB234_178:
	s_branch .LBB234_224
.LBB234_179:
	s_mov_b32 s3, -1
                                        ; implicit-def: $vgpr1
.LBB234_180:
	s_delay_alu instid0(SALU_CYCLE_1)
	s_and_b32 vcc_lo, exec_lo, s3
	s_cbranch_vccz .LBB234_194
; %bb.181:
	s_sub_i32 s6, s18, s2
	s_mov_b32 s2, exec_lo
                                        ; implicit-def: $vgpr1_vgpr2_vgpr3_vgpr4
	v_cmpx_gt_u32_e64 s6, v0
	s_cbranch_execz .LBB234_183
; %bb.182:
	v_lshlrev_b32_e32 v1, 2, v0
	global_load_b32 v1, v1, s[4:5]
.LBB234_183:
	s_or_b32 exec_lo, exec_lo, s2
	v_or_b32_e32 v5, 0x100, v0
	s_delay_alu instid0(VALU_DEP_1)
	v_cmp_gt_u32_e32 vcc_lo, s6, v5
	s_and_saveexec_b32 s2, vcc_lo
	s_cbranch_execz .LBB234_185
; %bb.184:
	v_lshlrev_b32_e32 v2, 2, v0
	global_load_b32 v2, v2, s[4:5] offset:1024
.LBB234_185:
	s_or_b32 exec_lo, exec_lo, s2
	v_or_b32_e32 v5, 0x200, v0
	s_delay_alu instid0(VALU_DEP_1) | instskip(NEXT) | instid1(VALU_DEP_1)
	v_cmp_gt_u32_e64 s2, s6, v5
	s_and_saveexec_b32 s3, s2
	s_cbranch_execz .LBB234_187
; %bb.186:
	v_lshlrev_b32_e32 v3, 2, v0
	global_load_b32 v3, v3, s[4:5] offset:2048
.LBB234_187:
	s_or_b32 exec_lo, exec_lo, s3
	v_or_b32_e32 v5, 0x300, v0
	s_delay_alu instid0(VALU_DEP_1) | instskip(NEXT) | instid1(VALU_DEP_1)
	v_cmp_gt_u32_e64 s3, s6, v5
	s_and_saveexec_b32 s7, s3
	s_cbranch_execz .LBB234_189
; %bb.188:
	v_lshlrev_b32_e32 v4, 2, v0
	global_load_b32 v4, v4, s[4:5] offset:3072
.LBB234_189:
	s_or_b32 exec_lo, exec_lo, s7
	s_waitcnt vmcnt(0)
	v_cndmask_b32_e32 v5, 0, v2, vcc_lo
	v_mbcnt_lo_u32_b32 v2, -1, 0
	v_cndmask_b32_e64 v3, 0, v3, s2
	v_cndmask_b32_e64 v4, 0, v4, s3
	s_min_u32 s2, s6, 0x100
	v_add_nc_u32_e32 v1, v5, v1
	v_cmp_ne_u32_e32 vcc_lo, 31, v2
	s_mov_b32 s3, exec_lo
	s_delay_alu instid0(VALU_DEP_2) | instskip(SKIP_3) | instid1(VALU_DEP_3)
	v_add3_u32 v1, v1, v3, v4
	v_and_b32_e32 v4, 0xe0, v0
	v_add_co_ci_u32_e32 v5, vcc_lo, 0, v2, vcc_lo
	v_cmp_gt_u32_e32 vcc_lo, 30, v2
	v_sub_nc_u32_e64 v4, s2, v4 clamp
	s_delay_alu instid0(VALU_DEP_3) | instskip(SKIP_4) | instid1(VALU_DEP_2)
	v_lshlrev_b32_e32 v3, 2, v5
	v_cndmask_b32_e64 v5, 0, 1, vcc_lo
	ds_bpermute_b32 v3, v3, v1
	v_add_nc_u32_e32 v6, 1, v2
	v_lshlrev_b32_e32 v5, 1, v5
	v_cmp_lt_u32_e32 vcc_lo, v6, v4
	s_delay_alu instid0(VALU_DEP_2) | instskip(SKIP_3) | instid1(VALU_DEP_2)
	v_add_lshl_u32 v5, v5, v2, 2
	s_waitcnt lgkmcnt(0)
	v_cndmask_b32_e32 v3, 0, v3, vcc_lo
	v_cmp_gt_u32_e32 vcc_lo, 28, v2
	v_add_nc_u32_e32 v1, v3, v1
	ds_bpermute_b32 v3, v5, v1
	v_add_nc_u32_e32 v6, 2, v2
	v_cndmask_b32_e64 v5, 0, 1, vcc_lo
	s_delay_alu instid0(VALU_DEP_2) | instskip(NEXT) | instid1(VALU_DEP_2)
	v_cmp_lt_u32_e32 vcc_lo, v6, v4
	v_lshlrev_b32_e32 v5, 2, v5
	s_delay_alu instid0(VALU_DEP_1) | instskip(SKIP_3) | instid1(VALU_DEP_2)
	v_add_lshl_u32 v5, v5, v2, 2
	s_waitcnt lgkmcnt(0)
	v_cndmask_b32_e32 v3, 0, v3, vcc_lo
	v_cmp_gt_u32_e32 vcc_lo, 24, v2
	v_add_nc_u32_e32 v1, v1, v3
	ds_bpermute_b32 v3, v5, v1
	v_add_nc_u32_e32 v6, 4, v2
	v_cndmask_b32_e64 v5, 0, 1, vcc_lo
	s_delay_alu instid0(VALU_DEP_2) | instskip(NEXT) | instid1(VALU_DEP_2)
	v_cmp_lt_u32_e32 vcc_lo, v6, v4
	v_lshlrev_b32_e32 v5, 3, v5
	s_delay_alu instid0(VALU_DEP_1) | instskip(SKIP_3) | instid1(VALU_DEP_2)
	v_add_lshl_u32 v5, v5, v2, 2
	s_waitcnt lgkmcnt(0)
	v_cndmask_b32_e32 v3, 0, v3, vcc_lo
	v_cmp_gt_u32_e32 vcc_lo, 16, v2
	v_add_nc_u32_e32 v1, v1, v3
	ds_bpermute_b32 v3, v5, v1
	v_add_nc_u32_e32 v6, 8, v2
	v_cndmask_b32_e64 v5, 0, 1, vcc_lo
	s_delay_alu instid0(VALU_DEP_2) | instskip(NEXT) | instid1(VALU_DEP_2)
	v_cmp_lt_u32_e32 vcc_lo, v6, v4
	v_lshlrev_b32_e32 v5, 4, v5
	s_delay_alu instid0(VALU_DEP_1) | instskip(SKIP_2) | instid1(VALU_DEP_1)
	v_add_lshl_u32 v5, v5, v2, 2
	s_waitcnt lgkmcnt(0)
	v_cndmask_b32_e32 v3, 0, v3, vcc_lo
	v_add_nc_u32_e32 v1, v1, v3
	ds_bpermute_b32 v3, v5, v1
	v_add_nc_u32_e32 v5, 16, v2
	s_delay_alu instid0(VALU_DEP_1) | instskip(SKIP_2) | instid1(VALU_DEP_1)
	v_cmp_lt_u32_e32 vcc_lo, v5, v4
	s_waitcnt lgkmcnt(0)
	v_cndmask_b32_e32 v3, 0, v3, vcc_lo
	v_add_nc_u32_e32 v1, v1, v3
	v_cmpx_eq_u32_e32 0, v2
	s_cbranch_execz .LBB234_191
; %bb.190:
	v_lshrrev_b32_e32 v3, 3, v0
	s_delay_alu instid0(VALU_DEP_1)
	v_and_b32_e32 v3, 28, v3
	ds_store_b32 v3, v1 offset:192
.LBB234_191:
	s_or_b32 exec_lo, exec_lo, s3
	s_delay_alu instid0(SALU_CYCLE_1)
	s_mov_b32 s3, exec_lo
	s_waitcnt lgkmcnt(0)
	s_barrier
	buffer_gl0_inv
	v_cmpx_gt_u32_e32 8, v0
	s_cbranch_execz .LBB234_193
; %bb.192:
	v_and_b32_e32 v3, 7, v2
	s_add_i32 s2, s2, 31
	s_delay_alu instid0(SALU_CYCLE_1) | instskip(NEXT) | instid1(VALU_DEP_1)
	s_lshr_b32 s2, s2, 5
	v_cmp_ne_u32_e32 vcc_lo, 7, v3
	v_add_nc_u32_e32 v6, 1, v3
	v_add_co_ci_u32_e32 v4, vcc_lo, 0, v2, vcc_lo
	v_cmp_gt_u32_e32 vcc_lo, 6, v3
	s_delay_alu instid0(VALU_DEP_2) | instskip(SKIP_3) | instid1(VALU_DEP_3)
	v_lshlrev_b32_e32 v4, 2, v4
	v_cndmask_b32_e64 v5, 0, 1, vcc_lo
	v_cmp_gt_u32_e32 vcc_lo, s2, v6
	v_lshlrev_b32_e32 v1, 2, v2
	v_lshlrev_b32_e32 v5, 1, v5
	ds_load_b32 v1, v1 offset:192
	v_add_lshl_u32 v5, v5, v2, 2
	s_waitcnt lgkmcnt(0)
	ds_bpermute_b32 v4, v4, v1
	s_waitcnt lgkmcnt(0)
	v_cndmask_b32_e32 v4, 0, v4, vcc_lo
	v_cmp_gt_u32_e32 vcc_lo, 4, v3
	s_delay_alu instid0(VALU_DEP_2) | instskip(SKIP_3) | instid1(VALU_DEP_1)
	v_add_nc_u32_e32 v1, v4, v1
	v_cndmask_b32_e64 v6, 0, 1, vcc_lo
	ds_bpermute_b32 v4, v5, v1
	v_add_nc_u32_e32 v5, 2, v3
	v_cmp_gt_u32_e32 vcc_lo, s2, v5
	v_lshlrev_b32_e32 v5, 2, v6
	s_delay_alu instid0(VALU_DEP_1) | instskip(SKIP_2) | instid1(VALU_DEP_1)
	v_add_lshl_u32 v2, v5, v2, 2
	s_waitcnt lgkmcnt(0)
	v_dual_cndmask_b32 v4, 0, v4 :: v_dual_add_nc_u32 v3, 4, v3
	v_add_nc_u32_e32 v1, v1, v4
	s_delay_alu instid0(VALU_DEP_2) | instskip(SKIP_3) | instid1(VALU_DEP_1)
	v_cmp_gt_u32_e32 vcc_lo, s2, v3
	ds_bpermute_b32 v2, v2, v1
	s_waitcnt lgkmcnt(0)
	v_cndmask_b32_e32 v2, 0, v2, vcc_lo
	v_add_nc_u32_e32 v1, v1, v2
.LBB234_193:
	s_or_b32 exec_lo, exec_lo, s3
.LBB234_194:
	v_cmp_eq_u32_e64 s2, 0, v0
	s_branch .LBB234_178
.LBB234_195:
	s_cmp_eq_u32 s24, 2
	s_cbranch_scc0 .LBB234_202
; %bb.196:
	s_mov_b32 s21, 0
	s_lshl_b32 s4, s20, 9
	s_mov_b32 s5, s21
	s_lshr_b64 s[6:7], s[18:19], 9
	s_lshl_b64 s[2:3], s[4:5], 2
	s_delay_alu instid0(SALU_CYCLE_1)
	s_add_u32 s2, s16, s2
	s_addc_u32 s3, s17, s3
	s_cmp_lg_u64 s[6:7], s[20:21]
	s_cbranch_scc0 .LBB234_203
; %bb.197:
	v_lshlrev_b32_e32 v1, 2, v0
	s_mov_b32 s5, exec_lo
	s_clause 0x1
	global_load_b32 v2, v1, s[2:3]
	global_load_b32 v1, v1, s[2:3] offset:1024
	s_waitcnt vmcnt(0)
	v_add_nc_u32_e32 v1, v1, v2
	s_delay_alu instid0(VALU_DEP_1) | instskip(NEXT) | instid1(VALU_DEP_1)
	v_mov_b32_dpp v2, v1 quad_perm:[1,0,3,2] row_mask:0xf bank_mask:0xf
	v_add_nc_u32_e32 v1, v2, v1
	s_delay_alu instid0(VALU_DEP_1) | instskip(NEXT) | instid1(VALU_DEP_1)
	v_mov_b32_dpp v2, v1 quad_perm:[2,3,0,1] row_mask:0xf bank_mask:0xf
	v_add_nc_u32_e32 v1, v1, v2
	s_delay_alu instid0(VALU_DEP_1) | instskip(NEXT) | instid1(VALU_DEP_1)
	v_mov_b32_dpp v2, v1 row_ror:4 row_mask:0xf bank_mask:0xf
	v_add_nc_u32_e32 v1, v1, v2
	s_delay_alu instid0(VALU_DEP_1) | instskip(NEXT) | instid1(VALU_DEP_1)
	v_mov_b32_dpp v2, v1 row_ror:8 row_mask:0xf bank_mask:0xf
	v_add_nc_u32_e32 v1, v1, v2
	ds_swizzle_b32 v2, v1 offset:swizzle(BROADCAST,32,15)
	s_waitcnt lgkmcnt(0)
	v_dual_mov_b32 v2, 0 :: v_dual_add_nc_u32 v1, v1, v2
	ds_bpermute_b32 v1, v2, v1 offset:124
	v_mbcnt_lo_u32_b32 v2, -1, 0
	s_delay_alu instid0(VALU_DEP_1)
	v_cmpx_eq_u32_e32 0, v2
	s_cbranch_execz .LBB234_199
; %bb.198:
	v_lshrrev_b32_e32 v3, 3, v0
	s_delay_alu instid0(VALU_DEP_1)
	v_and_b32_e32 v3, 28, v3
	s_waitcnt lgkmcnt(0)
	ds_store_b32 v3, v1 offset:64
.LBB234_199:
	s_or_b32 exec_lo, exec_lo, s5
	s_delay_alu instid0(SALU_CYCLE_1)
	s_mov_b32 s5, exec_lo
	s_waitcnt lgkmcnt(0)
	s_barrier
	buffer_gl0_inv
	v_cmpx_gt_u32_e32 32, v0
	s_cbranch_execz .LBB234_201
; %bb.200:
	v_and_b32_e32 v1, 7, v2
	s_delay_alu instid0(VALU_DEP_1) | instskip(SKIP_4) | instid1(VALU_DEP_2)
	v_lshlrev_b32_e32 v3, 2, v1
	v_cmp_ne_u32_e32 vcc_lo, 7, v1
	ds_load_b32 v3, v3 offset:64
	v_add_co_ci_u32_e32 v4, vcc_lo, 0, v2, vcc_lo
	v_cmp_gt_u32_e32 vcc_lo, 6, v1
	v_lshlrev_b32_e32 v4, 2, v4
	v_cndmask_b32_e64 v5, 0, 1, vcc_lo
	v_cmp_gt_u32_e32 vcc_lo, 4, v1
	s_delay_alu instid0(VALU_DEP_2) | instskip(SKIP_1) | instid1(VALU_DEP_2)
	v_lshlrev_b32_e32 v5, 1, v5
	v_cndmask_b32_e64 v1, 0, 1, vcc_lo
	v_add_lshl_u32 v5, v5, v2, 2
	s_delay_alu instid0(VALU_DEP_2)
	v_lshlrev_b32_e32 v1, 2, v1
	s_waitcnt lgkmcnt(0)
	ds_bpermute_b32 v4, v4, v3
	v_add_lshl_u32 v1, v1, v2, 2
	s_waitcnt lgkmcnt(0)
	v_add_nc_u32_e32 v3, v4, v3
	ds_bpermute_b32 v4, v5, v3
	s_waitcnt lgkmcnt(0)
	v_add_nc_u32_e32 v3, v4, v3
	ds_bpermute_b32 v1, v1, v3
	s_waitcnt lgkmcnt(0)
	v_add_nc_u32_e32 v1, v1, v3
.LBB234_201:
	s_or_b32 exec_lo, exec_lo, s5
	s_mov_b32 s5, 0
	s_branch .LBB234_204
.LBB234_202:
                                        ; implicit-def: $vgpr1
	s_branch .LBB234_224
.LBB234_203:
	s_mov_b32 s5, -1
                                        ; implicit-def: $vgpr1
.LBB234_204:
	s_delay_alu instid0(SALU_CYCLE_1)
	s_and_b32 vcc_lo, exec_lo, s5
	s_cbranch_vccz .LBB234_214
; %bb.205:
	s_sub_i32 s4, s18, s4
	s_mov_b32 s5, exec_lo
                                        ; implicit-def: $vgpr1_vgpr2
	v_cmpx_gt_u32_e64 s4, v0
	s_cbranch_execz .LBB234_207
; %bb.206:
	v_lshlrev_b32_e32 v1, 2, v0
	global_load_b32 v1, v1, s[2:3]
.LBB234_207:
	s_or_b32 exec_lo, exec_lo, s5
	v_or_b32_e32 v3, 0x100, v0
	s_delay_alu instid0(VALU_DEP_1)
	v_cmp_gt_u32_e32 vcc_lo, s4, v3
	s_and_saveexec_b32 s5, vcc_lo
	s_cbranch_execz .LBB234_209
; %bb.208:
	v_lshlrev_b32_e32 v2, 2, v0
	global_load_b32 v2, v2, s[2:3] offset:1024
.LBB234_209:
	s_or_b32 exec_lo, exec_lo, s5
	v_mbcnt_lo_u32_b32 v3, -1, 0
	s_waitcnt vmcnt(0)
	v_cndmask_b32_e32 v2, 0, v2, vcc_lo
	s_min_u32 s2, s4, 0x100
	s_mov_b32 s3, exec_lo
	v_cmp_ne_u32_e32 vcc_lo, 31, v3
	v_add_nc_u32_e32 v6, 1, v3
	v_add_co_ci_u32_e32 v4, vcc_lo, 0, v3, vcc_lo
	v_cmp_gt_u32_e32 vcc_lo, 30, v3
	v_cndmask_b32_e64 v5, 0, 1, vcc_lo
	s_delay_alu instid0(VALU_DEP_1) | instskip(SKIP_3) | instid1(VALU_DEP_4)
	v_lshlrev_b32_e32 v5, 1, v5
	v_add_nc_u32_e32 v1, v2, v1
	v_lshlrev_b32_e32 v2, 2, v4
	v_and_b32_e32 v4, 0xe0, v0
	v_add_lshl_u32 v5, v5, v3, 2
	ds_bpermute_b32 v2, v2, v1
	v_sub_nc_u32_e64 v4, s2, v4 clamp
	s_delay_alu instid0(VALU_DEP_1) | instskip(SKIP_4) | instid1(VALU_DEP_2)
	v_cmp_lt_u32_e32 vcc_lo, v6, v4
	v_add_nc_u32_e32 v6, 2, v3
	s_waitcnt lgkmcnt(0)
	v_cndmask_b32_e32 v2, 0, v2, vcc_lo
	v_cmp_gt_u32_e32 vcc_lo, 28, v3
	v_add_nc_u32_e32 v1, v2, v1
	ds_bpermute_b32 v2, v5, v1
	v_cndmask_b32_e64 v5, 0, 1, vcc_lo
	v_cmp_lt_u32_e32 vcc_lo, v6, v4
	v_add_nc_u32_e32 v6, 4, v3
	s_delay_alu instid0(VALU_DEP_3) | instskip(NEXT) | instid1(VALU_DEP_1)
	v_lshlrev_b32_e32 v5, 2, v5
	v_add_lshl_u32 v5, v5, v3, 2
	s_waitcnt lgkmcnt(0)
	v_cndmask_b32_e32 v2, 0, v2, vcc_lo
	v_cmp_gt_u32_e32 vcc_lo, 24, v3
	s_delay_alu instid0(VALU_DEP_2) | instskip(SKIP_4) | instid1(VALU_DEP_3)
	v_add_nc_u32_e32 v1, v1, v2
	ds_bpermute_b32 v2, v5, v1
	v_cndmask_b32_e64 v5, 0, 1, vcc_lo
	v_cmp_lt_u32_e32 vcc_lo, v6, v4
	v_add_nc_u32_e32 v6, 8, v3
	v_lshlrev_b32_e32 v5, 3, v5
	s_delay_alu instid0(VALU_DEP_1) | instskip(SKIP_3) | instid1(VALU_DEP_2)
	v_add_lshl_u32 v5, v5, v3, 2
	s_waitcnt lgkmcnt(0)
	v_cndmask_b32_e32 v2, 0, v2, vcc_lo
	v_cmp_gt_u32_e32 vcc_lo, 16, v3
	v_add_nc_u32_e32 v1, v1, v2
	ds_bpermute_b32 v2, v5, v1
	v_cndmask_b32_e64 v5, 0, 1, vcc_lo
	v_cmp_lt_u32_e32 vcc_lo, v6, v4
	s_delay_alu instid0(VALU_DEP_2) | instskip(NEXT) | instid1(VALU_DEP_1)
	v_lshlrev_b32_e32 v5, 4, v5
	v_add_lshl_u32 v5, v5, v3, 2
	s_waitcnt lgkmcnt(0)
	v_cndmask_b32_e32 v2, 0, v2, vcc_lo
	s_delay_alu instid0(VALU_DEP_1) | instskip(SKIP_2) | instid1(VALU_DEP_1)
	v_add_nc_u32_e32 v1, v1, v2
	ds_bpermute_b32 v2, v5, v1
	v_add_nc_u32_e32 v5, 16, v3
	v_cmp_lt_u32_e32 vcc_lo, v5, v4
	s_waitcnt lgkmcnt(0)
	v_cndmask_b32_e32 v2, 0, v2, vcc_lo
	s_delay_alu instid0(VALU_DEP_1)
	v_add_nc_u32_e32 v1, v1, v2
	v_cmpx_eq_u32_e32 0, v3
	s_cbranch_execz .LBB234_211
; %bb.210:
	v_lshrrev_b32_e32 v2, 3, v0
	s_delay_alu instid0(VALU_DEP_1)
	v_and_b32_e32 v2, 28, v2
	ds_store_b32 v2, v1 offset:192
.LBB234_211:
	s_or_b32 exec_lo, exec_lo, s3
	s_delay_alu instid0(SALU_CYCLE_1)
	s_mov_b32 s3, exec_lo
	s_waitcnt lgkmcnt(0)
	s_barrier
	buffer_gl0_inv
	v_cmpx_gt_u32_e32 8, v0
	s_cbranch_execz .LBB234_213
; %bb.212:
	v_and_b32_e32 v2, 7, v3
	s_add_i32 s2, s2, 31
	s_delay_alu instid0(SALU_CYCLE_1) | instskip(NEXT) | instid1(VALU_DEP_1)
	s_lshr_b32 s2, s2, 5
	v_cmp_ne_u32_e32 vcc_lo, 7, v2
	v_add_nc_u32_e32 v6, 1, v2
	v_add_co_ci_u32_e32 v4, vcc_lo, 0, v3, vcc_lo
	v_cmp_gt_u32_e32 vcc_lo, 6, v2
	s_delay_alu instid0(VALU_DEP_2) | instskip(SKIP_3) | instid1(VALU_DEP_3)
	v_lshlrev_b32_e32 v4, 2, v4
	v_cndmask_b32_e64 v5, 0, 1, vcc_lo
	v_cmp_gt_u32_e32 vcc_lo, s2, v6
	v_lshlrev_b32_e32 v1, 2, v3
	v_lshlrev_b32_e32 v5, 1, v5
	ds_load_b32 v1, v1 offset:192
	v_add_lshl_u32 v5, v5, v3, 2
	s_waitcnt lgkmcnt(0)
	ds_bpermute_b32 v4, v4, v1
	s_waitcnt lgkmcnt(0)
	v_cndmask_b32_e32 v4, 0, v4, vcc_lo
	v_cmp_gt_u32_e32 vcc_lo, 4, v2
	s_delay_alu instid0(VALU_DEP_2) | instskip(SKIP_4) | instid1(VALU_DEP_2)
	v_add_nc_u32_e32 v1, v4, v1
	v_cndmask_b32_e64 v6, 0, 1, vcc_lo
	ds_bpermute_b32 v4, v5, v1
	v_add_nc_u32_e32 v5, 2, v2
	v_add_nc_u32_e32 v2, 4, v2
	v_cmp_gt_u32_e32 vcc_lo, s2, v5
	v_lshlrev_b32_e32 v5, 2, v6
	s_delay_alu instid0(VALU_DEP_1) | instskip(SKIP_3) | instid1(VALU_DEP_2)
	v_add_lshl_u32 v3, v5, v3, 2
	s_waitcnt lgkmcnt(0)
	v_cndmask_b32_e32 v4, 0, v4, vcc_lo
	v_cmp_gt_u32_e32 vcc_lo, s2, v2
	v_add_nc_u32_e32 v1, v1, v4
	ds_bpermute_b32 v3, v3, v1
	s_waitcnt lgkmcnt(0)
	v_cndmask_b32_e32 v2, 0, v3, vcc_lo
	s_delay_alu instid0(VALU_DEP_1)
	v_add_nc_u32_e32 v1, v1, v2
.LBB234_213:
	s_or_b32 exec_lo, exec_lo, s3
.LBB234_214:
	v_cmp_eq_u32_e64 s2, 0, v0
	s_branch .LBB234_224
.LBB234_215:
	s_cmp_eq_u32 s24, 1
	s_cbranch_scc0 .LBB234_223
; %bb.216:
	s_mov_b32 s3, 0
	v_mbcnt_lo_u32_b32 v2, -1, 0
	s_lshr_b64 s[4:5], s[18:19], 8
	s_mov_b32 s21, s3
	s_lshl_b32 s2, s20, 8
	s_cmp_lg_u64 s[4:5], s[20:21]
	s_cbranch_scc0 .LBB234_227
; %bb.217:
	s_lshl_b64 s[4:5], s[2:3], 2
	v_lshlrev_b32_e32 v1, 2, v0
	s_add_u32 s4, s16, s4
	s_addc_u32 s5, s17, s5
	global_load_b32 v1, v1, s[4:5]
	s_mov_b32 s4, exec_lo
	s_waitcnt vmcnt(0)
	v_mov_b32_dpp v3, v1 quad_perm:[1,0,3,2] row_mask:0xf bank_mask:0xf
	s_delay_alu instid0(VALU_DEP_1) | instskip(NEXT) | instid1(VALU_DEP_1)
	v_add_nc_u32_e32 v1, v3, v1
	v_mov_b32_dpp v3, v1 quad_perm:[2,3,0,1] row_mask:0xf bank_mask:0xf
	s_delay_alu instid0(VALU_DEP_1) | instskip(NEXT) | instid1(VALU_DEP_1)
	v_add_nc_u32_e32 v1, v1, v3
	v_mov_b32_dpp v3, v1 row_ror:4 row_mask:0xf bank_mask:0xf
	s_delay_alu instid0(VALU_DEP_1) | instskip(NEXT) | instid1(VALU_DEP_1)
	v_add_nc_u32_e32 v1, v1, v3
	v_mov_b32_dpp v3, v1 row_ror:8 row_mask:0xf bank_mask:0xf
	s_delay_alu instid0(VALU_DEP_1)
	v_add_nc_u32_e32 v1, v1, v3
	ds_swizzle_b32 v3, v1 offset:swizzle(BROADCAST,32,15)
	s_waitcnt lgkmcnt(0)
	v_add_nc_u32_e32 v1, v1, v3
	v_mov_b32_e32 v3, 0
	ds_bpermute_b32 v1, v3, v1 offset:124
	v_cmpx_eq_u32_e32 0, v2
	s_cbranch_execz .LBB234_219
; %bb.218:
	v_lshrrev_b32_e32 v3, 3, v0
	s_delay_alu instid0(VALU_DEP_1)
	v_and_b32_e32 v3, 28, v3
	s_waitcnt lgkmcnt(0)
	ds_store_b32 v3, v1 offset:32
.LBB234_219:
	s_or_b32 exec_lo, exec_lo, s4
	s_delay_alu instid0(SALU_CYCLE_1)
	s_mov_b32 s4, exec_lo
	s_waitcnt lgkmcnt(0)
	s_barrier
	buffer_gl0_inv
	v_cmpx_gt_u32_e32 32, v0
	s_cbranch_execz .LBB234_221
; %bb.220:
	v_and_b32_e32 v1, 7, v2
	s_delay_alu instid0(VALU_DEP_1) | instskip(SKIP_4) | instid1(VALU_DEP_2)
	v_lshlrev_b32_e32 v3, 2, v1
	v_cmp_ne_u32_e32 vcc_lo, 7, v1
	ds_load_b32 v3, v3 offset:32
	v_add_co_ci_u32_e32 v4, vcc_lo, 0, v2, vcc_lo
	v_cmp_gt_u32_e32 vcc_lo, 6, v1
	v_lshlrev_b32_e32 v4, 2, v4
	v_cndmask_b32_e64 v5, 0, 1, vcc_lo
	v_cmp_gt_u32_e32 vcc_lo, 4, v1
	s_delay_alu instid0(VALU_DEP_2) | instskip(SKIP_1) | instid1(VALU_DEP_2)
	v_lshlrev_b32_e32 v5, 1, v5
	v_cndmask_b32_e64 v1, 0, 1, vcc_lo
	v_add_lshl_u32 v5, v5, v2, 2
	s_delay_alu instid0(VALU_DEP_2)
	v_lshlrev_b32_e32 v1, 2, v1
	s_waitcnt lgkmcnt(0)
	ds_bpermute_b32 v4, v4, v3
	v_add_lshl_u32 v1, v1, v2, 2
	s_waitcnt lgkmcnt(0)
	v_add_nc_u32_e32 v3, v4, v3
	ds_bpermute_b32 v4, v5, v3
	s_waitcnt lgkmcnt(0)
	v_add_nc_u32_e32 v3, v4, v3
	ds_bpermute_b32 v1, v1, v3
	s_waitcnt lgkmcnt(0)
	v_add_nc_u32_e32 v1, v1, v3
.LBB234_221:
	s_or_b32 exec_lo, exec_lo, s4
.LBB234_222:
	v_cmp_eq_u32_e64 s2, 0, v0
	s_delay_alu instid0(VALU_DEP_1)
	s_and_saveexec_b32 s3, s2
	s_cbranch_execnz .LBB234_225
	s_branch .LBB234_226
.LBB234_223:
                                        ; implicit-def: $vgpr1
                                        ; implicit-def: $sgpr20_sgpr21
.LBB234_224:
	s_delay_alu instid0(VALU_DEP_1)
	s_and_saveexec_b32 s3, s2
	s_cbranch_execz .LBB234_226
.LBB234_225:
	s_clause 0x1
	s_load_b64 s[2:3], s[0:1], 0x18
	s_load_b32 s4, s[0:1], 0x20
	s_lshl_b64 s[0:1], s[20:21], 2
	s_waitcnt lgkmcnt(0)
	s_add_u32 s0, s2, s0
	s_addc_u32 s1, s3, s1
	s_cmp_lg_u64 s[18:19], 0
	s_cselect_b32 vcc_lo, -1, 0
	v_dual_cndmask_b32 v0, 0, v1 :: v_dual_mov_b32 v1, 0
	s_delay_alu instid0(VALU_DEP_1)
	v_add_nc_u32_e32 v0, s4, v0
	global_store_b32 v1, v0, s[0:1]
.LBB234_226:
	s_nop 0
	s_sendmsg sendmsg(MSG_DEALLOC_VGPRS)
	s_endpgm
.LBB234_227:
                                        ; implicit-def: $vgpr1
	s_cbranch_execz .LBB234_222
; %bb.228:
	s_sub_i32 s4, s18, s2
	s_mov_b32 s5, exec_lo
                                        ; implicit-def: $vgpr1
	v_cmpx_gt_u32_e64 s4, v0
	s_cbranch_execz .LBB234_230
; %bb.229:
	s_lshl_b64 s[2:3], s[2:3], 2
	v_lshlrev_b32_e32 v1, 2, v0
	s_add_u32 s2, s16, s2
	s_addc_u32 s3, s17, s3
	global_load_b32 v1, v1, s[2:3]
.LBB234_230:
	s_or_b32 exec_lo, exec_lo, s5
	v_cmp_ne_u32_e32 vcc_lo, 31, v2
	s_min_u32 s2, s4, 0x100
	v_add_nc_u32_e32 v5, 1, v2
	s_mov_b32 s3, exec_lo
	v_add_co_ci_u32_e32 v3, vcc_lo, 0, v2, vcc_lo
	v_cmp_gt_u32_e32 vcc_lo, 30, v2
	s_delay_alu instid0(VALU_DEP_2)
	v_lshlrev_b32_e32 v3, 2, v3
	v_cndmask_b32_e64 v6, 0, 1, vcc_lo
	s_waitcnt vmcnt(0)
	ds_bpermute_b32 v3, v3, v1
	v_and_b32_e32 v4, 0xe0, v0
	v_lshlrev_b32_e32 v6, 1, v6
	s_delay_alu instid0(VALU_DEP_2) | instskip(NEXT) | instid1(VALU_DEP_1)
	v_sub_nc_u32_e64 v4, s2, v4 clamp
	v_cmp_lt_u32_e32 vcc_lo, v5, v4
	s_delay_alu instid0(VALU_DEP_3) | instskip(SKIP_3) | instid1(VALU_DEP_2)
	v_add_lshl_u32 v5, v6, v2, 2
	s_waitcnt lgkmcnt(0)
	v_dual_cndmask_b32 v3, 0, v3 :: v_dual_add_nc_u32 v6, 2, v2
	v_cmp_gt_u32_e32 vcc_lo, 28, v2
	v_add_nc_u32_e32 v1, v3, v1
	ds_bpermute_b32 v3, v5, v1
	v_cndmask_b32_e64 v5, 0, 1, vcc_lo
	v_cmp_lt_u32_e32 vcc_lo, v6, v4
	v_add_nc_u32_e32 v6, 4, v2
	s_delay_alu instid0(VALU_DEP_3) | instskip(NEXT) | instid1(VALU_DEP_1)
	v_lshlrev_b32_e32 v5, 2, v5
	v_add_lshl_u32 v5, v5, v2, 2
	s_waitcnt lgkmcnt(0)
	v_cndmask_b32_e32 v3, 0, v3, vcc_lo
	v_cmp_gt_u32_e32 vcc_lo, 24, v2
	s_delay_alu instid0(VALU_DEP_2) | instskip(SKIP_4) | instid1(VALU_DEP_3)
	v_add_nc_u32_e32 v1, v1, v3
	ds_bpermute_b32 v3, v5, v1
	v_cndmask_b32_e64 v5, 0, 1, vcc_lo
	v_cmp_lt_u32_e32 vcc_lo, v6, v4
	v_add_nc_u32_e32 v6, 8, v2
	v_lshlrev_b32_e32 v5, 3, v5
	s_delay_alu instid0(VALU_DEP_1) | instskip(SKIP_3) | instid1(VALU_DEP_2)
	v_add_lshl_u32 v5, v5, v2, 2
	s_waitcnt lgkmcnt(0)
	v_cndmask_b32_e32 v3, 0, v3, vcc_lo
	v_cmp_gt_u32_e32 vcc_lo, 16, v2
	v_add_nc_u32_e32 v1, v1, v3
	ds_bpermute_b32 v3, v5, v1
	v_cndmask_b32_e64 v5, 0, 1, vcc_lo
	v_cmp_lt_u32_e32 vcc_lo, v6, v4
	s_delay_alu instid0(VALU_DEP_2) | instskip(NEXT) | instid1(VALU_DEP_1)
	v_lshlrev_b32_e32 v5, 4, v5
	v_add_lshl_u32 v5, v5, v2, 2
	s_waitcnt lgkmcnt(0)
	v_cndmask_b32_e32 v3, 0, v3, vcc_lo
	s_delay_alu instid0(VALU_DEP_1) | instskip(SKIP_2) | instid1(VALU_DEP_1)
	v_add_nc_u32_e32 v1, v1, v3
	ds_bpermute_b32 v3, v5, v1
	v_add_nc_u32_e32 v5, 16, v2
	v_cmp_lt_u32_e32 vcc_lo, v5, v4
	s_waitcnt lgkmcnt(0)
	v_cndmask_b32_e32 v3, 0, v3, vcc_lo
	s_delay_alu instid0(VALU_DEP_1)
	v_add_nc_u32_e32 v1, v1, v3
	v_cmpx_eq_u32_e32 0, v2
	s_cbranch_execz .LBB234_232
; %bb.231:
	v_lshrrev_b32_e32 v3, 3, v0
	s_delay_alu instid0(VALU_DEP_1)
	v_and_b32_e32 v3, 28, v3
	ds_store_b32 v3, v1 offset:192
.LBB234_232:
	s_or_b32 exec_lo, exec_lo, s3
	s_delay_alu instid0(SALU_CYCLE_1)
	s_mov_b32 s3, exec_lo
	s_waitcnt lgkmcnt(0)
	s_barrier
	buffer_gl0_inv
	v_cmpx_gt_u32_e32 8, v0
	s_cbranch_execz .LBB234_234
; %bb.233:
	v_and_b32_e32 v3, 7, v2
	s_add_i32 s2, s2, 31
	s_delay_alu instid0(SALU_CYCLE_1) | instskip(NEXT) | instid1(VALU_DEP_1)
	s_lshr_b32 s2, s2, 5
	v_cmp_ne_u32_e32 vcc_lo, 7, v3
	v_add_nc_u32_e32 v6, 1, v3
	v_add_co_ci_u32_e32 v4, vcc_lo, 0, v2, vcc_lo
	v_cmp_gt_u32_e32 vcc_lo, 6, v3
	s_delay_alu instid0(VALU_DEP_2) | instskip(SKIP_3) | instid1(VALU_DEP_3)
	v_lshlrev_b32_e32 v4, 2, v4
	v_cndmask_b32_e64 v5, 0, 1, vcc_lo
	v_cmp_gt_u32_e32 vcc_lo, s2, v6
	v_lshlrev_b32_e32 v1, 2, v2
	v_lshlrev_b32_e32 v5, 1, v5
	ds_load_b32 v1, v1 offset:192
	v_add_lshl_u32 v5, v5, v2, 2
	s_waitcnt lgkmcnt(0)
	ds_bpermute_b32 v4, v4, v1
	s_waitcnt lgkmcnt(0)
	v_cndmask_b32_e32 v4, 0, v4, vcc_lo
	v_cmp_gt_u32_e32 vcc_lo, 4, v3
	s_delay_alu instid0(VALU_DEP_2) | instskip(SKIP_3) | instid1(VALU_DEP_1)
	v_add_nc_u32_e32 v1, v4, v1
	v_cndmask_b32_e64 v6, 0, 1, vcc_lo
	ds_bpermute_b32 v4, v5, v1
	v_add_nc_u32_e32 v5, 2, v3
	v_cmp_gt_u32_e32 vcc_lo, s2, v5
	v_lshlrev_b32_e32 v5, 2, v6
	s_delay_alu instid0(VALU_DEP_1) | instskip(SKIP_2) | instid1(VALU_DEP_1)
	v_add_lshl_u32 v2, v5, v2, 2
	s_waitcnt lgkmcnt(0)
	v_dual_cndmask_b32 v4, 0, v4 :: v_dual_add_nc_u32 v3, 4, v3
	v_add_nc_u32_e32 v1, v1, v4
	s_delay_alu instid0(VALU_DEP_2) | instskip(SKIP_3) | instid1(VALU_DEP_1)
	v_cmp_gt_u32_e32 vcc_lo, s2, v3
	ds_bpermute_b32 v2, v2, v1
	s_waitcnt lgkmcnt(0)
	v_cndmask_b32_e32 v2, 0, v2, vcc_lo
	v_add_nc_u32_e32 v1, v1, v2
.LBB234_234:
	s_or_b32 exec_lo, exec_lo, s3
	v_cmp_eq_u32_e64 s2, 0, v0
	s_delay_alu instid0(VALU_DEP_1)
	s_and_saveexec_b32 s3, s2
	s_cbranch_execnz .LBB234_225
	s_branch .LBB234_226
	.section	.rodata,"a",@progbits
	.p2align	6, 0x0
	.amdhsa_kernel _ZN7rocprim17ROCPRIM_400000_NS6detail17trampoline_kernelINS0_14default_configENS1_22reduce_config_selectorIiEEZNS1_11reduce_implILb1ES3_PiS7_iN6hipcub16HIPCUB_304000_NS6detail34convert_binary_result_type_wrapperINS9_3SumENS9_22TransformInputIteratorIbN2at6native12_GLOBAL__N_19NonZeroOpIlEEPKllEEiEEEE10hipError_tPvRmT1_T2_T3_mT4_P12ihipStream_tbEUlT_E1_NS1_11comp_targetILNS1_3genE9ELNS1_11target_archE1100ELNS1_3gpuE3ELNS1_3repE0EEENS1_30default_config_static_selectorELNS0_4arch9wavefront6targetE0EEEvSQ_
		.amdhsa_group_segment_fixed_size 224
		.amdhsa_private_segment_fixed_size 0
		.amdhsa_kernarg_size 40
		.amdhsa_user_sgpr_count 15
		.amdhsa_user_sgpr_dispatch_ptr 0
		.amdhsa_user_sgpr_queue_ptr 0
		.amdhsa_user_sgpr_kernarg_segment_ptr 1
		.amdhsa_user_sgpr_dispatch_id 0
		.amdhsa_user_sgpr_private_segment_size 0
		.amdhsa_wavefront_size32 1
		.amdhsa_uses_dynamic_stack 0
		.amdhsa_enable_private_segment 0
		.amdhsa_system_sgpr_workgroup_id_x 1
		.amdhsa_system_sgpr_workgroup_id_y 0
		.amdhsa_system_sgpr_workgroup_id_z 0
		.amdhsa_system_sgpr_workgroup_info 0
		.amdhsa_system_vgpr_workitem_id 0
		.amdhsa_next_free_vgpr 34
		.amdhsa_next_free_sgpr 27
		.amdhsa_reserve_vcc 1
		.amdhsa_float_round_mode_32 0
		.amdhsa_float_round_mode_16_64 0
		.amdhsa_float_denorm_mode_32 3
		.amdhsa_float_denorm_mode_16_64 3
		.amdhsa_dx10_clamp 1
		.amdhsa_ieee_mode 1
		.amdhsa_fp16_overflow 0
		.amdhsa_workgroup_processor_mode 1
		.amdhsa_memory_ordered 1
		.amdhsa_forward_progress 0
		.amdhsa_shared_vgpr_count 0
		.amdhsa_exception_fp_ieee_invalid_op 0
		.amdhsa_exception_fp_denorm_src 0
		.amdhsa_exception_fp_ieee_div_zero 0
		.amdhsa_exception_fp_ieee_overflow 0
		.amdhsa_exception_fp_ieee_underflow 0
		.amdhsa_exception_fp_ieee_inexact 0
		.amdhsa_exception_int_div_zero 0
	.end_amdhsa_kernel
	.section	.text._ZN7rocprim17ROCPRIM_400000_NS6detail17trampoline_kernelINS0_14default_configENS1_22reduce_config_selectorIiEEZNS1_11reduce_implILb1ES3_PiS7_iN6hipcub16HIPCUB_304000_NS6detail34convert_binary_result_type_wrapperINS9_3SumENS9_22TransformInputIteratorIbN2at6native12_GLOBAL__N_19NonZeroOpIlEEPKllEEiEEEE10hipError_tPvRmT1_T2_T3_mT4_P12ihipStream_tbEUlT_E1_NS1_11comp_targetILNS1_3genE9ELNS1_11target_archE1100ELNS1_3gpuE3ELNS1_3repE0EEENS1_30default_config_static_selectorELNS0_4arch9wavefront6targetE0EEEvSQ_,"axG",@progbits,_ZN7rocprim17ROCPRIM_400000_NS6detail17trampoline_kernelINS0_14default_configENS1_22reduce_config_selectorIiEEZNS1_11reduce_implILb1ES3_PiS7_iN6hipcub16HIPCUB_304000_NS6detail34convert_binary_result_type_wrapperINS9_3SumENS9_22TransformInputIteratorIbN2at6native12_GLOBAL__N_19NonZeroOpIlEEPKllEEiEEEE10hipError_tPvRmT1_T2_T3_mT4_P12ihipStream_tbEUlT_E1_NS1_11comp_targetILNS1_3genE9ELNS1_11target_archE1100ELNS1_3gpuE3ELNS1_3repE0EEENS1_30default_config_static_selectorELNS0_4arch9wavefront6targetE0EEEvSQ_,comdat
.Lfunc_end234:
	.size	_ZN7rocprim17ROCPRIM_400000_NS6detail17trampoline_kernelINS0_14default_configENS1_22reduce_config_selectorIiEEZNS1_11reduce_implILb1ES3_PiS7_iN6hipcub16HIPCUB_304000_NS6detail34convert_binary_result_type_wrapperINS9_3SumENS9_22TransformInputIteratorIbN2at6native12_GLOBAL__N_19NonZeroOpIlEEPKllEEiEEEE10hipError_tPvRmT1_T2_T3_mT4_P12ihipStream_tbEUlT_E1_NS1_11comp_targetILNS1_3genE9ELNS1_11target_archE1100ELNS1_3gpuE3ELNS1_3repE0EEENS1_30default_config_static_selectorELNS0_4arch9wavefront6targetE0EEEvSQ_, .Lfunc_end234-_ZN7rocprim17ROCPRIM_400000_NS6detail17trampoline_kernelINS0_14default_configENS1_22reduce_config_selectorIiEEZNS1_11reduce_implILb1ES3_PiS7_iN6hipcub16HIPCUB_304000_NS6detail34convert_binary_result_type_wrapperINS9_3SumENS9_22TransformInputIteratorIbN2at6native12_GLOBAL__N_19NonZeroOpIlEEPKllEEiEEEE10hipError_tPvRmT1_T2_T3_mT4_P12ihipStream_tbEUlT_E1_NS1_11comp_targetILNS1_3genE9ELNS1_11target_archE1100ELNS1_3gpuE3ELNS1_3repE0EEENS1_30default_config_static_selectorELNS0_4arch9wavefront6targetE0EEEvSQ_
                                        ; -- End function
	.section	.AMDGPU.csdata,"",@progbits
; Kernel info:
; codeLenInByte = 10768
; NumSgprs: 29
; NumVgprs: 34
; ScratchSize: 0
; MemoryBound: 0
; FloatMode: 240
; IeeeMode: 1
; LDSByteSize: 224 bytes/workgroup (compile time only)
; SGPRBlocks: 3
; VGPRBlocks: 4
; NumSGPRsForWavesPerEU: 29
; NumVGPRsForWavesPerEU: 34
; Occupancy: 16
; WaveLimiterHint : 1
; COMPUTE_PGM_RSRC2:SCRATCH_EN: 0
; COMPUTE_PGM_RSRC2:USER_SGPR: 15
; COMPUTE_PGM_RSRC2:TRAP_HANDLER: 0
; COMPUTE_PGM_RSRC2:TGID_X_EN: 1
; COMPUTE_PGM_RSRC2:TGID_Y_EN: 0
; COMPUTE_PGM_RSRC2:TGID_Z_EN: 0
; COMPUTE_PGM_RSRC2:TIDIG_COMP_CNT: 0
	.section	.text._ZN7rocprim17ROCPRIM_400000_NS6detail17trampoline_kernelINS0_14default_configENS1_22reduce_config_selectorIiEEZNS1_11reduce_implILb1ES3_PiS7_iN6hipcub16HIPCUB_304000_NS6detail34convert_binary_result_type_wrapperINS9_3SumENS9_22TransformInputIteratorIbN2at6native12_GLOBAL__N_19NonZeroOpIlEEPKllEEiEEEE10hipError_tPvRmT1_T2_T3_mT4_P12ihipStream_tbEUlT_E1_NS1_11comp_targetILNS1_3genE8ELNS1_11target_archE1030ELNS1_3gpuE2ELNS1_3repE0EEENS1_30default_config_static_selectorELNS0_4arch9wavefront6targetE0EEEvSQ_,"axG",@progbits,_ZN7rocprim17ROCPRIM_400000_NS6detail17trampoline_kernelINS0_14default_configENS1_22reduce_config_selectorIiEEZNS1_11reduce_implILb1ES3_PiS7_iN6hipcub16HIPCUB_304000_NS6detail34convert_binary_result_type_wrapperINS9_3SumENS9_22TransformInputIteratorIbN2at6native12_GLOBAL__N_19NonZeroOpIlEEPKllEEiEEEE10hipError_tPvRmT1_T2_T3_mT4_P12ihipStream_tbEUlT_E1_NS1_11comp_targetILNS1_3genE8ELNS1_11target_archE1030ELNS1_3gpuE2ELNS1_3repE0EEENS1_30default_config_static_selectorELNS0_4arch9wavefront6targetE0EEEvSQ_,comdat
	.globl	_ZN7rocprim17ROCPRIM_400000_NS6detail17trampoline_kernelINS0_14default_configENS1_22reduce_config_selectorIiEEZNS1_11reduce_implILb1ES3_PiS7_iN6hipcub16HIPCUB_304000_NS6detail34convert_binary_result_type_wrapperINS9_3SumENS9_22TransformInputIteratorIbN2at6native12_GLOBAL__N_19NonZeroOpIlEEPKllEEiEEEE10hipError_tPvRmT1_T2_T3_mT4_P12ihipStream_tbEUlT_E1_NS1_11comp_targetILNS1_3genE8ELNS1_11target_archE1030ELNS1_3gpuE2ELNS1_3repE0EEENS1_30default_config_static_selectorELNS0_4arch9wavefront6targetE0EEEvSQ_ ; -- Begin function _ZN7rocprim17ROCPRIM_400000_NS6detail17trampoline_kernelINS0_14default_configENS1_22reduce_config_selectorIiEEZNS1_11reduce_implILb1ES3_PiS7_iN6hipcub16HIPCUB_304000_NS6detail34convert_binary_result_type_wrapperINS9_3SumENS9_22TransformInputIteratorIbN2at6native12_GLOBAL__N_19NonZeroOpIlEEPKllEEiEEEE10hipError_tPvRmT1_T2_T3_mT4_P12ihipStream_tbEUlT_E1_NS1_11comp_targetILNS1_3genE8ELNS1_11target_archE1030ELNS1_3gpuE2ELNS1_3repE0EEENS1_30default_config_static_selectorELNS0_4arch9wavefront6targetE0EEEvSQ_
	.p2align	8
	.type	_ZN7rocprim17ROCPRIM_400000_NS6detail17trampoline_kernelINS0_14default_configENS1_22reduce_config_selectorIiEEZNS1_11reduce_implILb1ES3_PiS7_iN6hipcub16HIPCUB_304000_NS6detail34convert_binary_result_type_wrapperINS9_3SumENS9_22TransformInputIteratorIbN2at6native12_GLOBAL__N_19NonZeroOpIlEEPKllEEiEEEE10hipError_tPvRmT1_T2_T3_mT4_P12ihipStream_tbEUlT_E1_NS1_11comp_targetILNS1_3genE8ELNS1_11target_archE1030ELNS1_3gpuE2ELNS1_3repE0EEENS1_30default_config_static_selectorELNS0_4arch9wavefront6targetE0EEEvSQ_,@function
_ZN7rocprim17ROCPRIM_400000_NS6detail17trampoline_kernelINS0_14default_configENS1_22reduce_config_selectorIiEEZNS1_11reduce_implILb1ES3_PiS7_iN6hipcub16HIPCUB_304000_NS6detail34convert_binary_result_type_wrapperINS9_3SumENS9_22TransformInputIteratorIbN2at6native12_GLOBAL__N_19NonZeroOpIlEEPKllEEiEEEE10hipError_tPvRmT1_T2_T3_mT4_P12ihipStream_tbEUlT_E1_NS1_11comp_targetILNS1_3genE8ELNS1_11target_archE1030ELNS1_3gpuE2ELNS1_3repE0EEENS1_30default_config_static_selectorELNS0_4arch9wavefront6targetE0EEEvSQ_: ; @_ZN7rocprim17ROCPRIM_400000_NS6detail17trampoline_kernelINS0_14default_configENS1_22reduce_config_selectorIiEEZNS1_11reduce_implILb1ES3_PiS7_iN6hipcub16HIPCUB_304000_NS6detail34convert_binary_result_type_wrapperINS9_3SumENS9_22TransformInputIteratorIbN2at6native12_GLOBAL__N_19NonZeroOpIlEEPKllEEiEEEE10hipError_tPvRmT1_T2_T3_mT4_P12ihipStream_tbEUlT_E1_NS1_11comp_targetILNS1_3genE8ELNS1_11target_archE1030ELNS1_3gpuE2ELNS1_3repE0EEENS1_30default_config_static_selectorELNS0_4arch9wavefront6targetE0EEEvSQ_
; %bb.0:
	.section	.rodata,"a",@progbits
	.p2align	6, 0x0
	.amdhsa_kernel _ZN7rocprim17ROCPRIM_400000_NS6detail17trampoline_kernelINS0_14default_configENS1_22reduce_config_selectorIiEEZNS1_11reduce_implILb1ES3_PiS7_iN6hipcub16HIPCUB_304000_NS6detail34convert_binary_result_type_wrapperINS9_3SumENS9_22TransformInputIteratorIbN2at6native12_GLOBAL__N_19NonZeroOpIlEEPKllEEiEEEE10hipError_tPvRmT1_T2_T3_mT4_P12ihipStream_tbEUlT_E1_NS1_11comp_targetILNS1_3genE8ELNS1_11target_archE1030ELNS1_3gpuE2ELNS1_3repE0EEENS1_30default_config_static_selectorELNS0_4arch9wavefront6targetE0EEEvSQ_
		.amdhsa_group_segment_fixed_size 0
		.amdhsa_private_segment_fixed_size 0
		.amdhsa_kernarg_size 40
		.amdhsa_user_sgpr_count 15
		.amdhsa_user_sgpr_dispatch_ptr 0
		.amdhsa_user_sgpr_queue_ptr 0
		.amdhsa_user_sgpr_kernarg_segment_ptr 1
		.amdhsa_user_sgpr_dispatch_id 0
		.amdhsa_user_sgpr_private_segment_size 0
		.amdhsa_wavefront_size32 1
		.amdhsa_uses_dynamic_stack 0
		.amdhsa_enable_private_segment 0
		.amdhsa_system_sgpr_workgroup_id_x 1
		.amdhsa_system_sgpr_workgroup_id_y 0
		.amdhsa_system_sgpr_workgroup_id_z 0
		.amdhsa_system_sgpr_workgroup_info 0
		.amdhsa_system_vgpr_workitem_id 0
		.amdhsa_next_free_vgpr 1
		.amdhsa_next_free_sgpr 1
		.amdhsa_reserve_vcc 0
		.amdhsa_float_round_mode_32 0
		.amdhsa_float_round_mode_16_64 0
		.amdhsa_float_denorm_mode_32 3
		.amdhsa_float_denorm_mode_16_64 3
		.amdhsa_dx10_clamp 1
		.amdhsa_ieee_mode 1
		.amdhsa_fp16_overflow 0
		.amdhsa_workgroup_processor_mode 1
		.amdhsa_memory_ordered 1
		.amdhsa_forward_progress 0
		.amdhsa_shared_vgpr_count 0
		.amdhsa_exception_fp_ieee_invalid_op 0
		.amdhsa_exception_fp_denorm_src 0
		.amdhsa_exception_fp_ieee_div_zero 0
		.amdhsa_exception_fp_ieee_overflow 0
		.amdhsa_exception_fp_ieee_underflow 0
		.amdhsa_exception_fp_ieee_inexact 0
		.amdhsa_exception_int_div_zero 0
	.end_amdhsa_kernel
	.section	.text._ZN7rocprim17ROCPRIM_400000_NS6detail17trampoline_kernelINS0_14default_configENS1_22reduce_config_selectorIiEEZNS1_11reduce_implILb1ES3_PiS7_iN6hipcub16HIPCUB_304000_NS6detail34convert_binary_result_type_wrapperINS9_3SumENS9_22TransformInputIteratorIbN2at6native12_GLOBAL__N_19NonZeroOpIlEEPKllEEiEEEE10hipError_tPvRmT1_T2_T3_mT4_P12ihipStream_tbEUlT_E1_NS1_11comp_targetILNS1_3genE8ELNS1_11target_archE1030ELNS1_3gpuE2ELNS1_3repE0EEENS1_30default_config_static_selectorELNS0_4arch9wavefront6targetE0EEEvSQ_,"axG",@progbits,_ZN7rocprim17ROCPRIM_400000_NS6detail17trampoline_kernelINS0_14default_configENS1_22reduce_config_selectorIiEEZNS1_11reduce_implILb1ES3_PiS7_iN6hipcub16HIPCUB_304000_NS6detail34convert_binary_result_type_wrapperINS9_3SumENS9_22TransformInputIteratorIbN2at6native12_GLOBAL__N_19NonZeroOpIlEEPKllEEiEEEE10hipError_tPvRmT1_T2_T3_mT4_P12ihipStream_tbEUlT_E1_NS1_11comp_targetILNS1_3genE8ELNS1_11target_archE1030ELNS1_3gpuE2ELNS1_3repE0EEENS1_30default_config_static_selectorELNS0_4arch9wavefront6targetE0EEEvSQ_,comdat
.Lfunc_end235:
	.size	_ZN7rocprim17ROCPRIM_400000_NS6detail17trampoline_kernelINS0_14default_configENS1_22reduce_config_selectorIiEEZNS1_11reduce_implILb1ES3_PiS7_iN6hipcub16HIPCUB_304000_NS6detail34convert_binary_result_type_wrapperINS9_3SumENS9_22TransformInputIteratorIbN2at6native12_GLOBAL__N_19NonZeroOpIlEEPKllEEiEEEE10hipError_tPvRmT1_T2_T3_mT4_P12ihipStream_tbEUlT_E1_NS1_11comp_targetILNS1_3genE8ELNS1_11target_archE1030ELNS1_3gpuE2ELNS1_3repE0EEENS1_30default_config_static_selectorELNS0_4arch9wavefront6targetE0EEEvSQ_, .Lfunc_end235-_ZN7rocprim17ROCPRIM_400000_NS6detail17trampoline_kernelINS0_14default_configENS1_22reduce_config_selectorIiEEZNS1_11reduce_implILb1ES3_PiS7_iN6hipcub16HIPCUB_304000_NS6detail34convert_binary_result_type_wrapperINS9_3SumENS9_22TransformInputIteratorIbN2at6native12_GLOBAL__N_19NonZeroOpIlEEPKllEEiEEEE10hipError_tPvRmT1_T2_T3_mT4_P12ihipStream_tbEUlT_E1_NS1_11comp_targetILNS1_3genE8ELNS1_11target_archE1030ELNS1_3gpuE2ELNS1_3repE0EEENS1_30default_config_static_selectorELNS0_4arch9wavefront6targetE0EEEvSQ_
                                        ; -- End function
	.section	.AMDGPU.csdata,"",@progbits
; Kernel info:
; codeLenInByte = 0
; NumSgprs: 0
; NumVgprs: 0
; ScratchSize: 0
; MemoryBound: 0
; FloatMode: 240
; IeeeMode: 1
; LDSByteSize: 0 bytes/workgroup (compile time only)
; SGPRBlocks: 0
; VGPRBlocks: 0
; NumSGPRsForWavesPerEU: 1
; NumVGPRsForWavesPerEU: 1
; Occupancy: 16
; WaveLimiterHint : 0
; COMPUTE_PGM_RSRC2:SCRATCH_EN: 0
; COMPUTE_PGM_RSRC2:USER_SGPR: 15
; COMPUTE_PGM_RSRC2:TRAP_HANDLER: 0
; COMPUTE_PGM_RSRC2:TGID_X_EN: 1
; COMPUTE_PGM_RSRC2:TGID_Y_EN: 0
; COMPUTE_PGM_RSRC2:TGID_Z_EN: 0
; COMPUTE_PGM_RSRC2:TIDIG_COMP_CNT: 0
	.section	.text._ZN7rocprim17ROCPRIM_400000_NS6detail17trampoline_kernelINS0_14default_configENS1_22reduce_config_selectorIbEEZNS1_11reduce_implILb1ES3_N6hipcub16HIPCUB_304000_NS22TransformInputIteratorIbN2at6native12_GLOBAL__N_19NonZeroOpIlEEPKllEEPiiNS8_6detail34convert_binary_result_type_wrapperINS8_3SumESH_iEEEE10hipError_tPvRmT1_T2_T3_mT4_P12ihipStream_tbEUlT_E0_NS1_11comp_targetILNS1_3genE0ELNS1_11target_archE4294967295ELNS1_3gpuE0ELNS1_3repE0EEENS1_30default_config_static_selectorELNS0_4arch9wavefront6targetE0EEEvSQ_,"axG",@progbits,_ZN7rocprim17ROCPRIM_400000_NS6detail17trampoline_kernelINS0_14default_configENS1_22reduce_config_selectorIbEEZNS1_11reduce_implILb1ES3_N6hipcub16HIPCUB_304000_NS22TransformInputIteratorIbN2at6native12_GLOBAL__N_19NonZeroOpIlEEPKllEEPiiNS8_6detail34convert_binary_result_type_wrapperINS8_3SumESH_iEEEE10hipError_tPvRmT1_T2_T3_mT4_P12ihipStream_tbEUlT_E0_NS1_11comp_targetILNS1_3genE0ELNS1_11target_archE4294967295ELNS1_3gpuE0ELNS1_3repE0EEENS1_30default_config_static_selectorELNS0_4arch9wavefront6targetE0EEEvSQ_,comdat
	.globl	_ZN7rocprim17ROCPRIM_400000_NS6detail17trampoline_kernelINS0_14default_configENS1_22reduce_config_selectorIbEEZNS1_11reduce_implILb1ES3_N6hipcub16HIPCUB_304000_NS22TransformInputIteratorIbN2at6native12_GLOBAL__N_19NonZeroOpIlEEPKllEEPiiNS8_6detail34convert_binary_result_type_wrapperINS8_3SumESH_iEEEE10hipError_tPvRmT1_T2_T3_mT4_P12ihipStream_tbEUlT_E0_NS1_11comp_targetILNS1_3genE0ELNS1_11target_archE4294967295ELNS1_3gpuE0ELNS1_3repE0EEENS1_30default_config_static_selectorELNS0_4arch9wavefront6targetE0EEEvSQ_ ; -- Begin function _ZN7rocprim17ROCPRIM_400000_NS6detail17trampoline_kernelINS0_14default_configENS1_22reduce_config_selectorIbEEZNS1_11reduce_implILb1ES3_N6hipcub16HIPCUB_304000_NS22TransformInputIteratorIbN2at6native12_GLOBAL__N_19NonZeroOpIlEEPKllEEPiiNS8_6detail34convert_binary_result_type_wrapperINS8_3SumESH_iEEEE10hipError_tPvRmT1_T2_T3_mT4_P12ihipStream_tbEUlT_E0_NS1_11comp_targetILNS1_3genE0ELNS1_11target_archE4294967295ELNS1_3gpuE0ELNS1_3repE0EEENS1_30default_config_static_selectorELNS0_4arch9wavefront6targetE0EEEvSQ_
	.p2align	8
	.type	_ZN7rocprim17ROCPRIM_400000_NS6detail17trampoline_kernelINS0_14default_configENS1_22reduce_config_selectorIbEEZNS1_11reduce_implILb1ES3_N6hipcub16HIPCUB_304000_NS22TransformInputIteratorIbN2at6native12_GLOBAL__N_19NonZeroOpIlEEPKllEEPiiNS8_6detail34convert_binary_result_type_wrapperINS8_3SumESH_iEEEE10hipError_tPvRmT1_T2_T3_mT4_P12ihipStream_tbEUlT_E0_NS1_11comp_targetILNS1_3genE0ELNS1_11target_archE4294967295ELNS1_3gpuE0ELNS1_3repE0EEENS1_30default_config_static_selectorELNS0_4arch9wavefront6targetE0EEEvSQ_,@function
_ZN7rocprim17ROCPRIM_400000_NS6detail17trampoline_kernelINS0_14default_configENS1_22reduce_config_selectorIbEEZNS1_11reduce_implILb1ES3_N6hipcub16HIPCUB_304000_NS22TransformInputIteratorIbN2at6native12_GLOBAL__N_19NonZeroOpIlEEPKllEEPiiNS8_6detail34convert_binary_result_type_wrapperINS8_3SumESH_iEEEE10hipError_tPvRmT1_T2_T3_mT4_P12ihipStream_tbEUlT_E0_NS1_11comp_targetILNS1_3genE0ELNS1_11target_archE4294967295ELNS1_3gpuE0ELNS1_3repE0EEENS1_30default_config_static_selectorELNS0_4arch9wavefront6targetE0EEEvSQ_: ; @_ZN7rocprim17ROCPRIM_400000_NS6detail17trampoline_kernelINS0_14default_configENS1_22reduce_config_selectorIbEEZNS1_11reduce_implILb1ES3_N6hipcub16HIPCUB_304000_NS22TransformInputIteratorIbN2at6native12_GLOBAL__N_19NonZeroOpIlEEPKllEEPiiNS8_6detail34convert_binary_result_type_wrapperINS8_3SumESH_iEEEE10hipError_tPvRmT1_T2_T3_mT4_P12ihipStream_tbEUlT_E0_NS1_11comp_targetILNS1_3genE0ELNS1_11target_archE4294967295ELNS1_3gpuE0ELNS1_3repE0EEENS1_30default_config_static_selectorELNS0_4arch9wavefront6targetE0EEEvSQ_
; %bb.0:
	.section	.rodata,"a",@progbits
	.p2align	6, 0x0
	.amdhsa_kernel _ZN7rocprim17ROCPRIM_400000_NS6detail17trampoline_kernelINS0_14default_configENS1_22reduce_config_selectorIbEEZNS1_11reduce_implILb1ES3_N6hipcub16HIPCUB_304000_NS22TransformInputIteratorIbN2at6native12_GLOBAL__N_19NonZeroOpIlEEPKllEEPiiNS8_6detail34convert_binary_result_type_wrapperINS8_3SumESH_iEEEE10hipError_tPvRmT1_T2_T3_mT4_P12ihipStream_tbEUlT_E0_NS1_11comp_targetILNS1_3genE0ELNS1_11target_archE4294967295ELNS1_3gpuE0ELNS1_3repE0EEENS1_30default_config_static_selectorELNS0_4arch9wavefront6targetE0EEEvSQ_
		.amdhsa_group_segment_fixed_size 0
		.amdhsa_private_segment_fixed_size 0
		.amdhsa_kernarg_size 64
		.amdhsa_user_sgpr_count 15
		.amdhsa_user_sgpr_dispatch_ptr 0
		.amdhsa_user_sgpr_queue_ptr 0
		.amdhsa_user_sgpr_kernarg_segment_ptr 1
		.amdhsa_user_sgpr_dispatch_id 0
		.amdhsa_user_sgpr_private_segment_size 0
		.amdhsa_wavefront_size32 1
		.amdhsa_uses_dynamic_stack 0
		.amdhsa_enable_private_segment 0
		.amdhsa_system_sgpr_workgroup_id_x 1
		.amdhsa_system_sgpr_workgroup_id_y 0
		.amdhsa_system_sgpr_workgroup_id_z 0
		.amdhsa_system_sgpr_workgroup_info 0
		.amdhsa_system_vgpr_workitem_id 0
		.amdhsa_next_free_vgpr 1
		.amdhsa_next_free_sgpr 1
		.amdhsa_reserve_vcc 0
		.amdhsa_float_round_mode_32 0
		.amdhsa_float_round_mode_16_64 0
		.amdhsa_float_denorm_mode_32 3
		.amdhsa_float_denorm_mode_16_64 3
		.amdhsa_dx10_clamp 1
		.amdhsa_ieee_mode 1
		.amdhsa_fp16_overflow 0
		.amdhsa_workgroup_processor_mode 1
		.amdhsa_memory_ordered 1
		.amdhsa_forward_progress 0
		.amdhsa_shared_vgpr_count 0
		.amdhsa_exception_fp_ieee_invalid_op 0
		.amdhsa_exception_fp_denorm_src 0
		.amdhsa_exception_fp_ieee_div_zero 0
		.amdhsa_exception_fp_ieee_overflow 0
		.amdhsa_exception_fp_ieee_underflow 0
		.amdhsa_exception_fp_ieee_inexact 0
		.amdhsa_exception_int_div_zero 0
	.end_amdhsa_kernel
	.section	.text._ZN7rocprim17ROCPRIM_400000_NS6detail17trampoline_kernelINS0_14default_configENS1_22reduce_config_selectorIbEEZNS1_11reduce_implILb1ES3_N6hipcub16HIPCUB_304000_NS22TransformInputIteratorIbN2at6native12_GLOBAL__N_19NonZeroOpIlEEPKllEEPiiNS8_6detail34convert_binary_result_type_wrapperINS8_3SumESH_iEEEE10hipError_tPvRmT1_T2_T3_mT4_P12ihipStream_tbEUlT_E0_NS1_11comp_targetILNS1_3genE0ELNS1_11target_archE4294967295ELNS1_3gpuE0ELNS1_3repE0EEENS1_30default_config_static_selectorELNS0_4arch9wavefront6targetE0EEEvSQ_,"axG",@progbits,_ZN7rocprim17ROCPRIM_400000_NS6detail17trampoline_kernelINS0_14default_configENS1_22reduce_config_selectorIbEEZNS1_11reduce_implILb1ES3_N6hipcub16HIPCUB_304000_NS22TransformInputIteratorIbN2at6native12_GLOBAL__N_19NonZeroOpIlEEPKllEEPiiNS8_6detail34convert_binary_result_type_wrapperINS8_3SumESH_iEEEE10hipError_tPvRmT1_T2_T3_mT4_P12ihipStream_tbEUlT_E0_NS1_11comp_targetILNS1_3genE0ELNS1_11target_archE4294967295ELNS1_3gpuE0ELNS1_3repE0EEENS1_30default_config_static_selectorELNS0_4arch9wavefront6targetE0EEEvSQ_,comdat
.Lfunc_end236:
	.size	_ZN7rocprim17ROCPRIM_400000_NS6detail17trampoline_kernelINS0_14default_configENS1_22reduce_config_selectorIbEEZNS1_11reduce_implILb1ES3_N6hipcub16HIPCUB_304000_NS22TransformInputIteratorIbN2at6native12_GLOBAL__N_19NonZeroOpIlEEPKllEEPiiNS8_6detail34convert_binary_result_type_wrapperINS8_3SumESH_iEEEE10hipError_tPvRmT1_T2_T3_mT4_P12ihipStream_tbEUlT_E0_NS1_11comp_targetILNS1_3genE0ELNS1_11target_archE4294967295ELNS1_3gpuE0ELNS1_3repE0EEENS1_30default_config_static_selectorELNS0_4arch9wavefront6targetE0EEEvSQ_, .Lfunc_end236-_ZN7rocprim17ROCPRIM_400000_NS6detail17trampoline_kernelINS0_14default_configENS1_22reduce_config_selectorIbEEZNS1_11reduce_implILb1ES3_N6hipcub16HIPCUB_304000_NS22TransformInputIteratorIbN2at6native12_GLOBAL__N_19NonZeroOpIlEEPKllEEPiiNS8_6detail34convert_binary_result_type_wrapperINS8_3SumESH_iEEEE10hipError_tPvRmT1_T2_T3_mT4_P12ihipStream_tbEUlT_E0_NS1_11comp_targetILNS1_3genE0ELNS1_11target_archE4294967295ELNS1_3gpuE0ELNS1_3repE0EEENS1_30default_config_static_selectorELNS0_4arch9wavefront6targetE0EEEvSQ_
                                        ; -- End function
	.section	.AMDGPU.csdata,"",@progbits
; Kernel info:
; codeLenInByte = 0
; NumSgprs: 0
; NumVgprs: 0
; ScratchSize: 0
; MemoryBound: 0
; FloatMode: 240
; IeeeMode: 1
; LDSByteSize: 0 bytes/workgroup (compile time only)
; SGPRBlocks: 0
; VGPRBlocks: 0
; NumSGPRsForWavesPerEU: 1
; NumVGPRsForWavesPerEU: 1
; Occupancy: 16
; WaveLimiterHint : 0
; COMPUTE_PGM_RSRC2:SCRATCH_EN: 0
; COMPUTE_PGM_RSRC2:USER_SGPR: 15
; COMPUTE_PGM_RSRC2:TRAP_HANDLER: 0
; COMPUTE_PGM_RSRC2:TGID_X_EN: 1
; COMPUTE_PGM_RSRC2:TGID_Y_EN: 0
; COMPUTE_PGM_RSRC2:TGID_Z_EN: 0
; COMPUTE_PGM_RSRC2:TIDIG_COMP_CNT: 0
	.section	.text._ZN7rocprim17ROCPRIM_400000_NS6detail17trampoline_kernelINS0_14default_configENS1_22reduce_config_selectorIbEEZNS1_11reduce_implILb1ES3_N6hipcub16HIPCUB_304000_NS22TransformInputIteratorIbN2at6native12_GLOBAL__N_19NonZeroOpIlEEPKllEEPiiNS8_6detail34convert_binary_result_type_wrapperINS8_3SumESH_iEEEE10hipError_tPvRmT1_T2_T3_mT4_P12ihipStream_tbEUlT_E0_NS1_11comp_targetILNS1_3genE5ELNS1_11target_archE942ELNS1_3gpuE9ELNS1_3repE0EEENS1_30default_config_static_selectorELNS0_4arch9wavefront6targetE0EEEvSQ_,"axG",@progbits,_ZN7rocprim17ROCPRIM_400000_NS6detail17trampoline_kernelINS0_14default_configENS1_22reduce_config_selectorIbEEZNS1_11reduce_implILb1ES3_N6hipcub16HIPCUB_304000_NS22TransformInputIteratorIbN2at6native12_GLOBAL__N_19NonZeroOpIlEEPKllEEPiiNS8_6detail34convert_binary_result_type_wrapperINS8_3SumESH_iEEEE10hipError_tPvRmT1_T2_T3_mT4_P12ihipStream_tbEUlT_E0_NS1_11comp_targetILNS1_3genE5ELNS1_11target_archE942ELNS1_3gpuE9ELNS1_3repE0EEENS1_30default_config_static_selectorELNS0_4arch9wavefront6targetE0EEEvSQ_,comdat
	.globl	_ZN7rocprim17ROCPRIM_400000_NS6detail17trampoline_kernelINS0_14default_configENS1_22reduce_config_selectorIbEEZNS1_11reduce_implILb1ES3_N6hipcub16HIPCUB_304000_NS22TransformInputIteratorIbN2at6native12_GLOBAL__N_19NonZeroOpIlEEPKllEEPiiNS8_6detail34convert_binary_result_type_wrapperINS8_3SumESH_iEEEE10hipError_tPvRmT1_T2_T3_mT4_P12ihipStream_tbEUlT_E0_NS1_11comp_targetILNS1_3genE5ELNS1_11target_archE942ELNS1_3gpuE9ELNS1_3repE0EEENS1_30default_config_static_selectorELNS0_4arch9wavefront6targetE0EEEvSQ_ ; -- Begin function _ZN7rocprim17ROCPRIM_400000_NS6detail17trampoline_kernelINS0_14default_configENS1_22reduce_config_selectorIbEEZNS1_11reduce_implILb1ES3_N6hipcub16HIPCUB_304000_NS22TransformInputIteratorIbN2at6native12_GLOBAL__N_19NonZeroOpIlEEPKllEEPiiNS8_6detail34convert_binary_result_type_wrapperINS8_3SumESH_iEEEE10hipError_tPvRmT1_T2_T3_mT4_P12ihipStream_tbEUlT_E0_NS1_11comp_targetILNS1_3genE5ELNS1_11target_archE942ELNS1_3gpuE9ELNS1_3repE0EEENS1_30default_config_static_selectorELNS0_4arch9wavefront6targetE0EEEvSQ_
	.p2align	8
	.type	_ZN7rocprim17ROCPRIM_400000_NS6detail17trampoline_kernelINS0_14default_configENS1_22reduce_config_selectorIbEEZNS1_11reduce_implILb1ES3_N6hipcub16HIPCUB_304000_NS22TransformInputIteratorIbN2at6native12_GLOBAL__N_19NonZeroOpIlEEPKllEEPiiNS8_6detail34convert_binary_result_type_wrapperINS8_3SumESH_iEEEE10hipError_tPvRmT1_T2_T3_mT4_P12ihipStream_tbEUlT_E0_NS1_11comp_targetILNS1_3genE5ELNS1_11target_archE942ELNS1_3gpuE9ELNS1_3repE0EEENS1_30default_config_static_selectorELNS0_4arch9wavefront6targetE0EEEvSQ_,@function
_ZN7rocprim17ROCPRIM_400000_NS6detail17trampoline_kernelINS0_14default_configENS1_22reduce_config_selectorIbEEZNS1_11reduce_implILb1ES3_N6hipcub16HIPCUB_304000_NS22TransformInputIteratorIbN2at6native12_GLOBAL__N_19NonZeroOpIlEEPKllEEPiiNS8_6detail34convert_binary_result_type_wrapperINS8_3SumESH_iEEEE10hipError_tPvRmT1_T2_T3_mT4_P12ihipStream_tbEUlT_E0_NS1_11comp_targetILNS1_3genE5ELNS1_11target_archE942ELNS1_3gpuE9ELNS1_3repE0EEENS1_30default_config_static_selectorELNS0_4arch9wavefront6targetE0EEEvSQ_: ; @_ZN7rocprim17ROCPRIM_400000_NS6detail17trampoline_kernelINS0_14default_configENS1_22reduce_config_selectorIbEEZNS1_11reduce_implILb1ES3_N6hipcub16HIPCUB_304000_NS22TransformInputIteratorIbN2at6native12_GLOBAL__N_19NonZeroOpIlEEPKllEEPiiNS8_6detail34convert_binary_result_type_wrapperINS8_3SumESH_iEEEE10hipError_tPvRmT1_T2_T3_mT4_P12ihipStream_tbEUlT_E0_NS1_11comp_targetILNS1_3genE5ELNS1_11target_archE942ELNS1_3gpuE9ELNS1_3repE0EEENS1_30default_config_static_selectorELNS0_4arch9wavefront6targetE0EEEvSQ_
; %bb.0:
	.section	.rodata,"a",@progbits
	.p2align	6, 0x0
	.amdhsa_kernel _ZN7rocprim17ROCPRIM_400000_NS6detail17trampoline_kernelINS0_14default_configENS1_22reduce_config_selectorIbEEZNS1_11reduce_implILb1ES3_N6hipcub16HIPCUB_304000_NS22TransformInputIteratorIbN2at6native12_GLOBAL__N_19NonZeroOpIlEEPKllEEPiiNS8_6detail34convert_binary_result_type_wrapperINS8_3SumESH_iEEEE10hipError_tPvRmT1_T2_T3_mT4_P12ihipStream_tbEUlT_E0_NS1_11comp_targetILNS1_3genE5ELNS1_11target_archE942ELNS1_3gpuE9ELNS1_3repE0EEENS1_30default_config_static_selectorELNS0_4arch9wavefront6targetE0EEEvSQ_
		.amdhsa_group_segment_fixed_size 0
		.amdhsa_private_segment_fixed_size 0
		.amdhsa_kernarg_size 64
		.amdhsa_user_sgpr_count 15
		.amdhsa_user_sgpr_dispatch_ptr 0
		.amdhsa_user_sgpr_queue_ptr 0
		.amdhsa_user_sgpr_kernarg_segment_ptr 1
		.amdhsa_user_sgpr_dispatch_id 0
		.amdhsa_user_sgpr_private_segment_size 0
		.amdhsa_wavefront_size32 1
		.amdhsa_uses_dynamic_stack 0
		.amdhsa_enable_private_segment 0
		.amdhsa_system_sgpr_workgroup_id_x 1
		.amdhsa_system_sgpr_workgroup_id_y 0
		.amdhsa_system_sgpr_workgroup_id_z 0
		.amdhsa_system_sgpr_workgroup_info 0
		.amdhsa_system_vgpr_workitem_id 0
		.amdhsa_next_free_vgpr 1
		.amdhsa_next_free_sgpr 1
		.amdhsa_reserve_vcc 0
		.amdhsa_float_round_mode_32 0
		.amdhsa_float_round_mode_16_64 0
		.amdhsa_float_denorm_mode_32 3
		.amdhsa_float_denorm_mode_16_64 3
		.amdhsa_dx10_clamp 1
		.amdhsa_ieee_mode 1
		.amdhsa_fp16_overflow 0
		.amdhsa_workgroup_processor_mode 1
		.amdhsa_memory_ordered 1
		.amdhsa_forward_progress 0
		.amdhsa_shared_vgpr_count 0
		.amdhsa_exception_fp_ieee_invalid_op 0
		.amdhsa_exception_fp_denorm_src 0
		.amdhsa_exception_fp_ieee_div_zero 0
		.amdhsa_exception_fp_ieee_overflow 0
		.amdhsa_exception_fp_ieee_underflow 0
		.amdhsa_exception_fp_ieee_inexact 0
		.amdhsa_exception_int_div_zero 0
	.end_amdhsa_kernel
	.section	.text._ZN7rocprim17ROCPRIM_400000_NS6detail17trampoline_kernelINS0_14default_configENS1_22reduce_config_selectorIbEEZNS1_11reduce_implILb1ES3_N6hipcub16HIPCUB_304000_NS22TransformInputIteratorIbN2at6native12_GLOBAL__N_19NonZeroOpIlEEPKllEEPiiNS8_6detail34convert_binary_result_type_wrapperINS8_3SumESH_iEEEE10hipError_tPvRmT1_T2_T3_mT4_P12ihipStream_tbEUlT_E0_NS1_11comp_targetILNS1_3genE5ELNS1_11target_archE942ELNS1_3gpuE9ELNS1_3repE0EEENS1_30default_config_static_selectorELNS0_4arch9wavefront6targetE0EEEvSQ_,"axG",@progbits,_ZN7rocprim17ROCPRIM_400000_NS6detail17trampoline_kernelINS0_14default_configENS1_22reduce_config_selectorIbEEZNS1_11reduce_implILb1ES3_N6hipcub16HIPCUB_304000_NS22TransformInputIteratorIbN2at6native12_GLOBAL__N_19NonZeroOpIlEEPKllEEPiiNS8_6detail34convert_binary_result_type_wrapperINS8_3SumESH_iEEEE10hipError_tPvRmT1_T2_T3_mT4_P12ihipStream_tbEUlT_E0_NS1_11comp_targetILNS1_3genE5ELNS1_11target_archE942ELNS1_3gpuE9ELNS1_3repE0EEENS1_30default_config_static_selectorELNS0_4arch9wavefront6targetE0EEEvSQ_,comdat
.Lfunc_end237:
	.size	_ZN7rocprim17ROCPRIM_400000_NS6detail17trampoline_kernelINS0_14default_configENS1_22reduce_config_selectorIbEEZNS1_11reduce_implILb1ES3_N6hipcub16HIPCUB_304000_NS22TransformInputIteratorIbN2at6native12_GLOBAL__N_19NonZeroOpIlEEPKllEEPiiNS8_6detail34convert_binary_result_type_wrapperINS8_3SumESH_iEEEE10hipError_tPvRmT1_T2_T3_mT4_P12ihipStream_tbEUlT_E0_NS1_11comp_targetILNS1_3genE5ELNS1_11target_archE942ELNS1_3gpuE9ELNS1_3repE0EEENS1_30default_config_static_selectorELNS0_4arch9wavefront6targetE0EEEvSQ_, .Lfunc_end237-_ZN7rocprim17ROCPRIM_400000_NS6detail17trampoline_kernelINS0_14default_configENS1_22reduce_config_selectorIbEEZNS1_11reduce_implILb1ES3_N6hipcub16HIPCUB_304000_NS22TransformInputIteratorIbN2at6native12_GLOBAL__N_19NonZeroOpIlEEPKllEEPiiNS8_6detail34convert_binary_result_type_wrapperINS8_3SumESH_iEEEE10hipError_tPvRmT1_T2_T3_mT4_P12ihipStream_tbEUlT_E0_NS1_11comp_targetILNS1_3genE5ELNS1_11target_archE942ELNS1_3gpuE9ELNS1_3repE0EEENS1_30default_config_static_selectorELNS0_4arch9wavefront6targetE0EEEvSQ_
                                        ; -- End function
	.section	.AMDGPU.csdata,"",@progbits
; Kernel info:
; codeLenInByte = 0
; NumSgprs: 0
; NumVgprs: 0
; ScratchSize: 0
; MemoryBound: 0
; FloatMode: 240
; IeeeMode: 1
; LDSByteSize: 0 bytes/workgroup (compile time only)
; SGPRBlocks: 0
; VGPRBlocks: 0
; NumSGPRsForWavesPerEU: 1
; NumVGPRsForWavesPerEU: 1
; Occupancy: 16
; WaveLimiterHint : 0
; COMPUTE_PGM_RSRC2:SCRATCH_EN: 0
; COMPUTE_PGM_RSRC2:USER_SGPR: 15
; COMPUTE_PGM_RSRC2:TRAP_HANDLER: 0
; COMPUTE_PGM_RSRC2:TGID_X_EN: 1
; COMPUTE_PGM_RSRC2:TGID_Y_EN: 0
; COMPUTE_PGM_RSRC2:TGID_Z_EN: 0
; COMPUTE_PGM_RSRC2:TIDIG_COMP_CNT: 0
	.section	.text._ZN7rocprim17ROCPRIM_400000_NS6detail17trampoline_kernelINS0_14default_configENS1_22reduce_config_selectorIbEEZNS1_11reduce_implILb1ES3_N6hipcub16HIPCUB_304000_NS22TransformInputIteratorIbN2at6native12_GLOBAL__N_19NonZeroOpIlEEPKllEEPiiNS8_6detail34convert_binary_result_type_wrapperINS8_3SumESH_iEEEE10hipError_tPvRmT1_T2_T3_mT4_P12ihipStream_tbEUlT_E0_NS1_11comp_targetILNS1_3genE4ELNS1_11target_archE910ELNS1_3gpuE8ELNS1_3repE0EEENS1_30default_config_static_selectorELNS0_4arch9wavefront6targetE0EEEvSQ_,"axG",@progbits,_ZN7rocprim17ROCPRIM_400000_NS6detail17trampoline_kernelINS0_14default_configENS1_22reduce_config_selectorIbEEZNS1_11reduce_implILb1ES3_N6hipcub16HIPCUB_304000_NS22TransformInputIteratorIbN2at6native12_GLOBAL__N_19NonZeroOpIlEEPKllEEPiiNS8_6detail34convert_binary_result_type_wrapperINS8_3SumESH_iEEEE10hipError_tPvRmT1_T2_T3_mT4_P12ihipStream_tbEUlT_E0_NS1_11comp_targetILNS1_3genE4ELNS1_11target_archE910ELNS1_3gpuE8ELNS1_3repE0EEENS1_30default_config_static_selectorELNS0_4arch9wavefront6targetE0EEEvSQ_,comdat
	.globl	_ZN7rocprim17ROCPRIM_400000_NS6detail17trampoline_kernelINS0_14default_configENS1_22reduce_config_selectorIbEEZNS1_11reduce_implILb1ES3_N6hipcub16HIPCUB_304000_NS22TransformInputIteratorIbN2at6native12_GLOBAL__N_19NonZeroOpIlEEPKllEEPiiNS8_6detail34convert_binary_result_type_wrapperINS8_3SumESH_iEEEE10hipError_tPvRmT1_T2_T3_mT4_P12ihipStream_tbEUlT_E0_NS1_11comp_targetILNS1_3genE4ELNS1_11target_archE910ELNS1_3gpuE8ELNS1_3repE0EEENS1_30default_config_static_selectorELNS0_4arch9wavefront6targetE0EEEvSQ_ ; -- Begin function _ZN7rocprim17ROCPRIM_400000_NS6detail17trampoline_kernelINS0_14default_configENS1_22reduce_config_selectorIbEEZNS1_11reduce_implILb1ES3_N6hipcub16HIPCUB_304000_NS22TransformInputIteratorIbN2at6native12_GLOBAL__N_19NonZeroOpIlEEPKllEEPiiNS8_6detail34convert_binary_result_type_wrapperINS8_3SumESH_iEEEE10hipError_tPvRmT1_T2_T3_mT4_P12ihipStream_tbEUlT_E0_NS1_11comp_targetILNS1_3genE4ELNS1_11target_archE910ELNS1_3gpuE8ELNS1_3repE0EEENS1_30default_config_static_selectorELNS0_4arch9wavefront6targetE0EEEvSQ_
	.p2align	8
	.type	_ZN7rocprim17ROCPRIM_400000_NS6detail17trampoline_kernelINS0_14default_configENS1_22reduce_config_selectorIbEEZNS1_11reduce_implILb1ES3_N6hipcub16HIPCUB_304000_NS22TransformInputIteratorIbN2at6native12_GLOBAL__N_19NonZeroOpIlEEPKllEEPiiNS8_6detail34convert_binary_result_type_wrapperINS8_3SumESH_iEEEE10hipError_tPvRmT1_T2_T3_mT4_P12ihipStream_tbEUlT_E0_NS1_11comp_targetILNS1_3genE4ELNS1_11target_archE910ELNS1_3gpuE8ELNS1_3repE0EEENS1_30default_config_static_selectorELNS0_4arch9wavefront6targetE0EEEvSQ_,@function
_ZN7rocprim17ROCPRIM_400000_NS6detail17trampoline_kernelINS0_14default_configENS1_22reduce_config_selectorIbEEZNS1_11reduce_implILb1ES3_N6hipcub16HIPCUB_304000_NS22TransformInputIteratorIbN2at6native12_GLOBAL__N_19NonZeroOpIlEEPKllEEPiiNS8_6detail34convert_binary_result_type_wrapperINS8_3SumESH_iEEEE10hipError_tPvRmT1_T2_T3_mT4_P12ihipStream_tbEUlT_E0_NS1_11comp_targetILNS1_3genE4ELNS1_11target_archE910ELNS1_3gpuE8ELNS1_3repE0EEENS1_30default_config_static_selectorELNS0_4arch9wavefront6targetE0EEEvSQ_: ; @_ZN7rocprim17ROCPRIM_400000_NS6detail17trampoline_kernelINS0_14default_configENS1_22reduce_config_selectorIbEEZNS1_11reduce_implILb1ES3_N6hipcub16HIPCUB_304000_NS22TransformInputIteratorIbN2at6native12_GLOBAL__N_19NonZeroOpIlEEPKllEEPiiNS8_6detail34convert_binary_result_type_wrapperINS8_3SumESH_iEEEE10hipError_tPvRmT1_T2_T3_mT4_P12ihipStream_tbEUlT_E0_NS1_11comp_targetILNS1_3genE4ELNS1_11target_archE910ELNS1_3gpuE8ELNS1_3repE0EEENS1_30default_config_static_selectorELNS0_4arch9wavefront6targetE0EEEvSQ_
; %bb.0:
	.section	.rodata,"a",@progbits
	.p2align	6, 0x0
	.amdhsa_kernel _ZN7rocprim17ROCPRIM_400000_NS6detail17trampoline_kernelINS0_14default_configENS1_22reduce_config_selectorIbEEZNS1_11reduce_implILb1ES3_N6hipcub16HIPCUB_304000_NS22TransformInputIteratorIbN2at6native12_GLOBAL__N_19NonZeroOpIlEEPKllEEPiiNS8_6detail34convert_binary_result_type_wrapperINS8_3SumESH_iEEEE10hipError_tPvRmT1_T2_T3_mT4_P12ihipStream_tbEUlT_E0_NS1_11comp_targetILNS1_3genE4ELNS1_11target_archE910ELNS1_3gpuE8ELNS1_3repE0EEENS1_30default_config_static_selectorELNS0_4arch9wavefront6targetE0EEEvSQ_
		.amdhsa_group_segment_fixed_size 0
		.amdhsa_private_segment_fixed_size 0
		.amdhsa_kernarg_size 64
		.amdhsa_user_sgpr_count 15
		.amdhsa_user_sgpr_dispatch_ptr 0
		.amdhsa_user_sgpr_queue_ptr 0
		.amdhsa_user_sgpr_kernarg_segment_ptr 1
		.amdhsa_user_sgpr_dispatch_id 0
		.amdhsa_user_sgpr_private_segment_size 0
		.amdhsa_wavefront_size32 1
		.amdhsa_uses_dynamic_stack 0
		.amdhsa_enable_private_segment 0
		.amdhsa_system_sgpr_workgroup_id_x 1
		.amdhsa_system_sgpr_workgroup_id_y 0
		.amdhsa_system_sgpr_workgroup_id_z 0
		.amdhsa_system_sgpr_workgroup_info 0
		.amdhsa_system_vgpr_workitem_id 0
		.amdhsa_next_free_vgpr 1
		.amdhsa_next_free_sgpr 1
		.amdhsa_reserve_vcc 0
		.amdhsa_float_round_mode_32 0
		.amdhsa_float_round_mode_16_64 0
		.amdhsa_float_denorm_mode_32 3
		.amdhsa_float_denorm_mode_16_64 3
		.amdhsa_dx10_clamp 1
		.amdhsa_ieee_mode 1
		.amdhsa_fp16_overflow 0
		.amdhsa_workgroup_processor_mode 1
		.amdhsa_memory_ordered 1
		.amdhsa_forward_progress 0
		.amdhsa_shared_vgpr_count 0
		.amdhsa_exception_fp_ieee_invalid_op 0
		.amdhsa_exception_fp_denorm_src 0
		.amdhsa_exception_fp_ieee_div_zero 0
		.amdhsa_exception_fp_ieee_overflow 0
		.amdhsa_exception_fp_ieee_underflow 0
		.amdhsa_exception_fp_ieee_inexact 0
		.amdhsa_exception_int_div_zero 0
	.end_amdhsa_kernel
	.section	.text._ZN7rocprim17ROCPRIM_400000_NS6detail17trampoline_kernelINS0_14default_configENS1_22reduce_config_selectorIbEEZNS1_11reduce_implILb1ES3_N6hipcub16HIPCUB_304000_NS22TransformInputIteratorIbN2at6native12_GLOBAL__N_19NonZeroOpIlEEPKllEEPiiNS8_6detail34convert_binary_result_type_wrapperINS8_3SumESH_iEEEE10hipError_tPvRmT1_T2_T3_mT4_P12ihipStream_tbEUlT_E0_NS1_11comp_targetILNS1_3genE4ELNS1_11target_archE910ELNS1_3gpuE8ELNS1_3repE0EEENS1_30default_config_static_selectorELNS0_4arch9wavefront6targetE0EEEvSQ_,"axG",@progbits,_ZN7rocprim17ROCPRIM_400000_NS6detail17trampoline_kernelINS0_14default_configENS1_22reduce_config_selectorIbEEZNS1_11reduce_implILb1ES3_N6hipcub16HIPCUB_304000_NS22TransformInputIteratorIbN2at6native12_GLOBAL__N_19NonZeroOpIlEEPKllEEPiiNS8_6detail34convert_binary_result_type_wrapperINS8_3SumESH_iEEEE10hipError_tPvRmT1_T2_T3_mT4_P12ihipStream_tbEUlT_E0_NS1_11comp_targetILNS1_3genE4ELNS1_11target_archE910ELNS1_3gpuE8ELNS1_3repE0EEENS1_30default_config_static_selectorELNS0_4arch9wavefront6targetE0EEEvSQ_,comdat
.Lfunc_end238:
	.size	_ZN7rocprim17ROCPRIM_400000_NS6detail17trampoline_kernelINS0_14default_configENS1_22reduce_config_selectorIbEEZNS1_11reduce_implILb1ES3_N6hipcub16HIPCUB_304000_NS22TransformInputIteratorIbN2at6native12_GLOBAL__N_19NonZeroOpIlEEPKllEEPiiNS8_6detail34convert_binary_result_type_wrapperINS8_3SumESH_iEEEE10hipError_tPvRmT1_T2_T3_mT4_P12ihipStream_tbEUlT_E0_NS1_11comp_targetILNS1_3genE4ELNS1_11target_archE910ELNS1_3gpuE8ELNS1_3repE0EEENS1_30default_config_static_selectorELNS0_4arch9wavefront6targetE0EEEvSQ_, .Lfunc_end238-_ZN7rocprim17ROCPRIM_400000_NS6detail17trampoline_kernelINS0_14default_configENS1_22reduce_config_selectorIbEEZNS1_11reduce_implILb1ES3_N6hipcub16HIPCUB_304000_NS22TransformInputIteratorIbN2at6native12_GLOBAL__N_19NonZeroOpIlEEPKllEEPiiNS8_6detail34convert_binary_result_type_wrapperINS8_3SumESH_iEEEE10hipError_tPvRmT1_T2_T3_mT4_P12ihipStream_tbEUlT_E0_NS1_11comp_targetILNS1_3genE4ELNS1_11target_archE910ELNS1_3gpuE8ELNS1_3repE0EEENS1_30default_config_static_selectorELNS0_4arch9wavefront6targetE0EEEvSQ_
                                        ; -- End function
	.section	.AMDGPU.csdata,"",@progbits
; Kernel info:
; codeLenInByte = 0
; NumSgprs: 0
; NumVgprs: 0
; ScratchSize: 0
; MemoryBound: 0
; FloatMode: 240
; IeeeMode: 1
; LDSByteSize: 0 bytes/workgroup (compile time only)
; SGPRBlocks: 0
; VGPRBlocks: 0
; NumSGPRsForWavesPerEU: 1
; NumVGPRsForWavesPerEU: 1
; Occupancy: 16
; WaveLimiterHint : 0
; COMPUTE_PGM_RSRC2:SCRATCH_EN: 0
; COMPUTE_PGM_RSRC2:USER_SGPR: 15
; COMPUTE_PGM_RSRC2:TRAP_HANDLER: 0
; COMPUTE_PGM_RSRC2:TGID_X_EN: 1
; COMPUTE_PGM_RSRC2:TGID_Y_EN: 0
; COMPUTE_PGM_RSRC2:TGID_Z_EN: 0
; COMPUTE_PGM_RSRC2:TIDIG_COMP_CNT: 0
	.section	.text._ZN7rocprim17ROCPRIM_400000_NS6detail17trampoline_kernelINS0_14default_configENS1_22reduce_config_selectorIbEEZNS1_11reduce_implILb1ES3_N6hipcub16HIPCUB_304000_NS22TransformInputIteratorIbN2at6native12_GLOBAL__N_19NonZeroOpIlEEPKllEEPiiNS8_6detail34convert_binary_result_type_wrapperINS8_3SumESH_iEEEE10hipError_tPvRmT1_T2_T3_mT4_P12ihipStream_tbEUlT_E0_NS1_11comp_targetILNS1_3genE3ELNS1_11target_archE908ELNS1_3gpuE7ELNS1_3repE0EEENS1_30default_config_static_selectorELNS0_4arch9wavefront6targetE0EEEvSQ_,"axG",@progbits,_ZN7rocprim17ROCPRIM_400000_NS6detail17trampoline_kernelINS0_14default_configENS1_22reduce_config_selectorIbEEZNS1_11reduce_implILb1ES3_N6hipcub16HIPCUB_304000_NS22TransformInputIteratorIbN2at6native12_GLOBAL__N_19NonZeroOpIlEEPKllEEPiiNS8_6detail34convert_binary_result_type_wrapperINS8_3SumESH_iEEEE10hipError_tPvRmT1_T2_T3_mT4_P12ihipStream_tbEUlT_E0_NS1_11comp_targetILNS1_3genE3ELNS1_11target_archE908ELNS1_3gpuE7ELNS1_3repE0EEENS1_30default_config_static_selectorELNS0_4arch9wavefront6targetE0EEEvSQ_,comdat
	.globl	_ZN7rocprim17ROCPRIM_400000_NS6detail17trampoline_kernelINS0_14default_configENS1_22reduce_config_selectorIbEEZNS1_11reduce_implILb1ES3_N6hipcub16HIPCUB_304000_NS22TransformInputIteratorIbN2at6native12_GLOBAL__N_19NonZeroOpIlEEPKllEEPiiNS8_6detail34convert_binary_result_type_wrapperINS8_3SumESH_iEEEE10hipError_tPvRmT1_T2_T3_mT4_P12ihipStream_tbEUlT_E0_NS1_11comp_targetILNS1_3genE3ELNS1_11target_archE908ELNS1_3gpuE7ELNS1_3repE0EEENS1_30default_config_static_selectorELNS0_4arch9wavefront6targetE0EEEvSQ_ ; -- Begin function _ZN7rocprim17ROCPRIM_400000_NS6detail17trampoline_kernelINS0_14default_configENS1_22reduce_config_selectorIbEEZNS1_11reduce_implILb1ES3_N6hipcub16HIPCUB_304000_NS22TransformInputIteratorIbN2at6native12_GLOBAL__N_19NonZeroOpIlEEPKllEEPiiNS8_6detail34convert_binary_result_type_wrapperINS8_3SumESH_iEEEE10hipError_tPvRmT1_T2_T3_mT4_P12ihipStream_tbEUlT_E0_NS1_11comp_targetILNS1_3genE3ELNS1_11target_archE908ELNS1_3gpuE7ELNS1_3repE0EEENS1_30default_config_static_selectorELNS0_4arch9wavefront6targetE0EEEvSQ_
	.p2align	8
	.type	_ZN7rocprim17ROCPRIM_400000_NS6detail17trampoline_kernelINS0_14default_configENS1_22reduce_config_selectorIbEEZNS1_11reduce_implILb1ES3_N6hipcub16HIPCUB_304000_NS22TransformInputIteratorIbN2at6native12_GLOBAL__N_19NonZeroOpIlEEPKllEEPiiNS8_6detail34convert_binary_result_type_wrapperINS8_3SumESH_iEEEE10hipError_tPvRmT1_T2_T3_mT4_P12ihipStream_tbEUlT_E0_NS1_11comp_targetILNS1_3genE3ELNS1_11target_archE908ELNS1_3gpuE7ELNS1_3repE0EEENS1_30default_config_static_selectorELNS0_4arch9wavefront6targetE0EEEvSQ_,@function
_ZN7rocprim17ROCPRIM_400000_NS6detail17trampoline_kernelINS0_14default_configENS1_22reduce_config_selectorIbEEZNS1_11reduce_implILb1ES3_N6hipcub16HIPCUB_304000_NS22TransformInputIteratorIbN2at6native12_GLOBAL__N_19NonZeroOpIlEEPKllEEPiiNS8_6detail34convert_binary_result_type_wrapperINS8_3SumESH_iEEEE10hipError_tPvRmT1_T2_T3_mT4_P12ihipStream_tbEUlT_E0_NS1_11comp_targetILNS1_3genE3ELNS1_11target_archE908ELNS1_3gpuE7ELNS1_3repE0EEENS1_30default_config_static_selectorELNS0_4arch9wavefront6targetE0EEEvSQ_: ; @_ZN7rocprim17ROCPRIM_400000_NS6detail17trampoline_kernelINS0_14default_configENS1_22reduce_config_selectorIbEEZNS1_11reduce_implILb1ES3_N6hipcub16HIPCUB_304000_NS22TransformInputIteratorIbN2at6native12_GLOBAL__N_19NonZeroOpIlEEPKllEEPiiNS8_6detail34convert_binary_result_type_wrapperINS8_3SumESH_iEEEE10hipError_tPvRmT1_T2_T3_mT4_P12ihipStream_tbEUlT_E0_NS1_11comp_targetILNS1_3genE3ELNS1_11target_archE908ELNS1_3gpuE7ELNS1_3repE0EEENS1_30default_config_static_selectorELNS0_4arch9wavefront6targetE0EEEvSQ_
; %bb.0:
	.section	.rodata,"a",@progbits
	.p2align	6, 0x0
	.amdhsa_kernel _ZN7rocprim17ROCPRIM_400000_NS6detail17trampoline_kernelINS0_14default_configENS1_22reduce_config_selectorIbEEZNS1_11reduce_implILb1ES3_N6hipcub16HIPCUB_304000_NS22TransformInputIteratorIbN2at6native12_GLOBAL__N_19NonZeroOpIlEEPKllEEPiiNS8_6detail34convert_binary_result_type_wrapperINS8_3SumESH_iEEEE10hipError_tPvRmT1_T2_T3_mT4_P12ihipStream_tbEUlT_E0_NS1_11comp_targetILNS1_3genE3ELNS1_11target_archE908ELNS1_3gpuE7ELNS1_3repE0EEENS1_30default_config_static_selectorELNS0_4arch9wavefront6targetE0EEEvSQ_
		.amdhsa_group_segment_fixed_size 0
		.amdhsa_private_segment_fixed_size 0
		.amdhsa_kernarg_size 64
		.amdhsa_user_sgpr_count 15
		.amdhsa_user_sgpr_dispatch_ptr 0
		.amdhsa_user_sgpr_queue_ptr 0
		.amdhsa_user_sgpr_kernarg_segment_ptr 1
		.amdhsa_user_sgpr_dispatch_id 0
		.amdhsa_user_sgpr_private_segment_size 0
		.amdhsa_wavefront_size32 1
		.amdhsa_uses_dynamic_stack 0
		.amdhsa_enable_private_segment 0
		.amdhsa_system_sgpr_workgroup_id_x 1
		.amdhsa_system_sgpr_workgroup_id_y 0
		.amdhsa_system_sgpr_workgroup_id_z 0
		.amdhsa_system_sgpr_workgroup_info 0
		.amdhsa_system_vgpr_workitem_id 0
		.amdhsa_next_free_vgpr 1
		.amdhsa_next_free_sgpr 1
		.amdhsa_reserve_vcc 0
		.amdhsa_float_round_mode_32 0
		.amdhsa_float_round_mode_16_64 0
		.amdhsa_float_denorm_mode_32 3
		.amdhsa_float_denorm_mode_16_64 3
		.amdhsa_dx10_clamp 1
		.amdhsa_ieee_mode 1
		.amdhsa_fp16_overflow 0
		.amdhsa_workgroup_processor_mode 1
		.amdhsa_memory_ordered 1
		.amdhsa_forward_progress 0
		.amdhsa_shared_vgpr_count 0
		.amdhsa_exception_fp_ieee_invalid_op 0
		.amdhsa_exception_fp_denorm_src 0
		.amdhsa_exception_fp_ieee_div_zero 0
		.amdhsa_exception_fp_ieee_overflow 0
		.amdhsa_exception_fp_ieee_underflow 0
		.amdhsa_exception_fp_ieee_inexact 0
		.amdhsa_exception_int_div_zero 0
	.end_amdhsa_kernel
	.section	.text._ZN7rocprim17ROCPRIM_400000_NS6detail17trampoline_kernelINS0_14default_configENS1_22reduce_config_selectorIbEEZNS1_11reduce_implILb1ES3_N6hipcub16HIPCUB_304000_NS22TransformInputIteratorIbN2at6native12_GLOBAL__N_19NonZeroOpIlEEPKllEEPiiNS8_6detail34convert_binary_result_type_wrapperINS8_3SumESH_iEEEE10hipError_tPvRmT1_T2_T3_mT4_P12ihipStream_tbEUlT_E0_NS1_11comp_targetILNS1_3genE3ELNS1_11target_archE908ELNS1_3gpuE7ELNS1_3repE0EEENS1_30default_config_static_selectorELNS0_4arch9wavefront6targetE0EEEvSQ_,"axG",@progbits,_ZN7rocprim17ROCPRIM_400000_NS6detail17trampoline_kernelINS0_14default_configENS1_22reduce_config_selectorIbEEZNS1_11reduce_implILb1ES3_N6hipcub16HIPCUB_304000_NS22TransformInputIteratorIbN2at6native12_GLOBAL__N_19NonZeroOpIlEEPKllEEPiiNS8_6detail34convert_binary_result_type_wrapperINS8_3SumESH_iEEEE10hipError_tPvRmT1_T2_T3_mT4_P12ihipStream_tbEUlT_E0_NS1_11comp_targetILNS1_3genE3ELNS1_11target_archE908ELNS1_3gpuE7ELNS1_3repE0EEENS1_30default_config_static_selectorELNS0_4arch9wavefront6targetE0EEEvSQ_,comdat
.Lfunc_end239:
	.size	_ZN7rocprim17ROCPRIM_400000_NS6detail17trampoline_kernelINS0_14default_configENS1_22reduce_config_selectorIbEEZNS1_11reduce_implILb1ES3_N6hipcub16HIPCUB_304000_NS22TransformInputIteratorIbN2at6native12_GLOBAL__N_19NonZeroOpIlEEPKllEEPiiNS8_6detail34convert_binary_result_type_wrapperINS8_3SumESH_iEEEE10hipError_tPvRmT1_T2_T3_mT4_P12ihipStream_tbEUlT_E0_NS1_11comp_targetILNS1_3genE3ELNS1_11target_archE908ELNS1_3gpuE7ELNS1_3repE0EEENS1_30default_config_static_selectorELNS0_4arch9wavefront6targetE0EEEvSQ_, .Lfunc_end239-_ZN7rocprim17ROCPRIM_400000_NS6detail17trampoline_kernelINS0_14default_configENS1_22reduce_config_selectorIbEEZNS1_11reduce_implILb1ES3_N6hipcub16HIPCUB_304000_NS22TransformInputIteratorIbN2at6native12_GLOBAL__N_19NonZeroOpIlEEPKllEEPiiNS8_6detail34convert_binary_result_type_wrapperINS8_3SumESH_iEEEE10hipError_tPvRmT1_T2_T3_mT4_P12ihipStream_tbEUlT_E0_NS1_11comp_targetILNS1_3genE3ELNS1_11target_archE908ELNS1_3gpuE7ELNS1_3repE0EEENS1_30default_config_static_selectorELNS0_4arch9wavefront6targetE0EEEvSQ_
                                        ; -- End function
	.section	.AMDGPU.csdata,"",@progbits
; Kernel info:
; codeLenInByte = 0
; NumSgprs: 0
; NumVgprs: 0
; ScratchSize: 0
; MemoryBound: 0
; FloatMode: 240
; IeeeMode: 1
; LDSByteSize: 0 bytes/workgroup (compile time only)
; SGPRBlocks: 0
; VGPRBlocks: 0
; NumSGPRsForWavesPerEU: 1
; NumVGPRsForWavesPerEU: 1
; Occupancy: 16
; WaveLimiterHint : 0
; COMPUTE_PGM_RSRC2:SCRATCH_EN: 0
; COMPUTE_PGM_RSRC2:USER_SGPR: 15
; COMPUTE_PGM_RSRC2:TRAP_HANDLER: 0
; COMPUTE_PGM_RSRC2:TGID_X_EN: 1
; COMPUTE_PGM_RSRC2:TGID_Y_EN: 0
; COMPUTE_PGM_RSRC2:TGID_Z_EN: 0
; COMPUTE_PGM_RSRC2:TIDIG_COMP_CNT: 0
	.section	.text._ZN7rocprim17ROCPRIM_400000_NS6detail17trampoline_kernelINS0_14default_configENS1_22reduce_config_selectorIbEEZNS1_11reduce_implILb1ES3_N6hipcub16HIPCUB_304000_NS22TransformInputIteratorIbN2at6native12_GLOBAL__N_19NonZeroOpIlEEPKllEEPiiNS8_6detail34convert_binary_result_type_wrapperINS8_3SumESH_iEEEE10hipError_tPvRmT1_T2_T3_mT4_P12ihipStream_tbEUlT_E0_NS1_11comp_targetILNS1_3genE2ELNS1_11target_archE906ELNS1_3gpuE6ELNS1_3repE0EEENS1_30default_config_static_selectorELNS0_4arch9wavefront6targetE0EEEvSQ_,"axG",@progbits,_ZN7rocprim17ROCPRIM_400000_NS6detail17trampoline_kernelINS0_14default_configENS1_22reduce_config_selectorIbEEZNS1_11reduce_implILb1ES3_N6hipcub16HIPCUB_304000_NS22TransformInputIteratorIbN2at6native12_GLOBAL__N_19NonZeroOpIlEEPKllEEPiiNS8_6detail34convert_binary_result_type_wrapperINS8_3SumESH_iEEEE10hipError_tPvRmT1_T2_T3_mT4_P12ihipStream_tbEUlT_E0_NS1_11comp_targetILNS1_3genE2ELNS1_11target_archE906ELNS1_3gpuE6ELNS1_3repE0EEENS1_30default_config_static_selectorELNS0_4arch9wavefront6targetE0EEEvSQ_,comdat
	.globl	_ZN7rocprim17ROCPRIM_400000_NS6detail17trampoline_kernelINS0_14default_configENS1_22reduce_config_selectorIbEEZNS1_11reduce_implILb1ES3_N6hipcub16HIPCUB_304000_NS22TransformInputIteratorIbN2at6native12_GLOBAL__N_19NonZeroOpIlEEPKllEEPiiNS8_6detail34convert_binary_result_type_wrapperINS8_3SumESH_iEEEE10hipError_tPvRmT1_T2_T3_mT4_P12ihipStream_tbEUlT_E0_NS1_11comp_targetILNS1_3genE2ELNS1_11target_archE906ELNS1_3gpuE6ELNS1_3repE0EEENS1_30default_config_static_selectorELNS0_4arch9wavefront6targetE0EEEvSQ_ ; -- Begin function _ZN7rocprim17ROCPRIM_400000_NS6detail17trampoline_kernelINS0_14default_configENS1_22reduce_config_selectorIbEEZNS1_11reduce_implILb1ES3_N6hipcub16HIPCUB_304000_NS22TransformInputIteratorIbN2at6native12_GLOBAL__N_19NonZeroOpIlEEPKllEEPiiNS8_6detail34convert_binary_result_type_wrapperINS8_3SumESH_iEEEE10hipError_tPvRmT1_T2_T3_mT4_P12ihipStream_tbEUlT_E0_NS1_11comp_targetILNS1_3genE2ELNS1_11target_archE906ELNS1_3gpuE6ELNS1_3repE0EEENS1_30default_config_static_selectorELNS0_4arch9wavefront6targetE0EEEvSQ_
	.p2align	8
	.type	_ZN7rocprim17ROCPRIM_400000_NS6detail17trampoline_kernelINS0_14default_configENS1_22reduce_config_selectorIbEEZNS1_11reduce_implILb1ES3_N6hipcub16HIPCUB_304000_NS22TransformInputIteratorIbN2at6native12_GLOBAL__N_19NonZeroOpIlEEPKllEEPiiNS8_6detail34convert_binary_result_type_wrapperINS8_3SumESH_iEEEE10hipError_tPvRmT1_T2_T3_mT4_P12ihipStream_tbEUlT_E0_NS1_11comp_targetILNS1_3genE2ELNS1_11target_archE906ELNS1_3gpuE6ELNS1_3repE0EEENS1_30default_config_static_selectorELNS0_4arch9wavefront6targetE0EEEvSQ_,@function
_ZN7rocprim17ROCPRIM_400000_NS6detail17trampoline_kernelINS0_14default_configENS1_22reduce_config_selectorIbEEZNS1_11reduce_implILb1ES3_N6hipcub16HIPCUB_304000_NS22TransformInputIteratorIbN2at6native12_GLOBAL__N_19NonZeroOpIlEEPKllEEPiiNS8_6detail34convert_binary_result_type_wrapperINS8_3SumESH_iEEEE10hipError_tPvRmT1_T2_T3_mT4_P12ihipStream_tbEUlT_E0_NS1_11comp_targetILNS1_3genE2ELNS1_11target_archE906ELNS1_3gpuE6ELNS1_3repE0EEENS1_30default_config_static_selectorELNS0_4arch9wavefront6targetE0EEEvSQ_: ; @_ZN7rocprim17ROCPRIM_400000_NS6detail17trampoline_kernelINS0_14default_configENS1_22reduce_config_selectorIbEEZNS1_11reduce_implILb1ES3_N6hipcub16HIPCUB_304000_NS22TransformInputIteratorIbN2at6native12_GLOBAL__N_19NonZeroOpIlEEPKllEEPiiNS8_6detail34convert_binary_result_type_wrapperINS8_3SumESH_iEEEE10hipError_tPvRmT1_T2_T3_mT4_P12ihipStream_tbEUlT_E0_NS1_11comp_targetILNS1_3genE2ELNS1_11target_archE906ELNS1_3gpuE6ELNS1_3repE0EEENS1_30default_config_static_selectorELNS0_4arch9wavefront6targetE0EEEvSQ_
; %bb.0:
	.section	.rodata,"a",@progbits
	.p2align	6, 0x0
	.amdhsa_kernel _ZN7rocprim17ROCPRIM_400000_NS6detail17trampoline_kernelINS0_14default_configENS1_22reduce_config_selectorIbEEZNS1_11reduce_implILb1ES3_N6hipcub16HIPCUB_304000_NS22TransformInputIteratorIbN2at6native12_GLOBAL__N_19NonZeroOpIlEEPKllEEPiiNS8_6detail34convert_binary_result_type_wrapperINS8_3SumESH_iEEEE10hipError_tPvRmT1_T2_T3_mT4_P12ihipStream_tbEUlT_E0_NS1_11comp_targetILNS1_3genE2ELNS1_11target_archE906ELNS1_3gpuE6ELNS1_3repE0EEENS1_30default_config_static_selectorELNS0_4arch9wavefront6targetE0EEEvSQ_
		.amdhsa_group_segment_fixed_size 0
		.amdhsa_private_segment_fixed_size 0
		.amdhsa_kernarg_size 64
		.amdhsa_user_sgpr_count 15
		.amdhsa_user_sgpr_dispatch_ptr 0
		.amdhsa_user_sgpr_queue_ptr 0
		.amdhsa_user_sgpr_kernarg_segment_ptr 1
		.amdhsa_user_sgpr_dispatch_id 0
		.amdhsa_user_sgpr_private_segment_size 0
		.amdhsa_wavefront_size32 1
		.amdhsa_uses_dynamic_stack 0
		.amdhsa_enable_private_segment 0
		.amdhsa_system_sgpr_workgroup_id_x 1
		.amdhsa_system_sgpr_workgroup_id_y 0
		.amdhsa_system_sgpr_workgroup_id_z 0
		.amdhsa_system_sgpr_workgroup_info 0
		.amdhsa_system_vgpr_workitem_id 0
		.amdhsa_next_free_vgpr 1
		.amdhsa_next_free_sgpr 1
		.amdhsa_reserve_vcc 0
		.amdhsa_float_round_mode_32 0
		.amdhsa_float_round_mode_16_64 0
		.amdhsa_float_denorm_mode_32 3
		.amdhsa_float_denorm_mode_16_64 3
		.amdhsa_dx10_clamp 1
		.amdhsa_ieee_mode 1
		.amdhsa_fp16_overflow 0
		.amdhsa_workgroup_processor_mode 1
		.amdhsa_memory_ordered 1
		.amdhsa_forward_progress 0
		.amdhsa_shared_vgpr_count 0
		.amdhsa_exception_fp_ieee_invalid_op 0
		.amdhsa_exception_fp_denorm_src 0
		.amdhsa_exception_fp_ieee_div_zero 0
		.amdhsa_exception_fp_ieee_overflow 0
		.amdhsa_exception_fp_ieee_underflow 0
		.amdhsa_exception_fp_ieee_inexact 0
		.amdhsa_exception_int_div_zero 0
	.end_amdhsa_kernel
	.section	.text._ZN7rocprim17ROCPRIM_400000_NS6detail17trampoline_kernelINS0_14default_configENS1_22reduce_config_selectorIbEEZNS1_11reduce_implILb1ES3_N6hipcub16HIPCUB_304000_NS22TransformInputIteratorIbN2at6native12_GLOBAL__N_19NonZeroOpIlEEPKllEEPiiNS8_6detail34convert_binary_result_type_wrapperINS8_3SumESH_iEEEE10hipError_tPvRmT1_T2_T3_mT4_P12ihipStream_tbEUlT_E0_NS1_11comp_targetILNS1_3genE2ELNS1_11target_archE906ELNS1_3gpuE6ELNS1_3repE0EEENS1_30default_config_static_selectorELNS0_4arch9wavefront6targetE0EEEvSQ_,"axG",@progbits,_ZN7rocprim17ROCPRIM_400000_NS6detail17trampoline_kernelINS0_14default_configENS1_22reduce_config_selectorIbEEZNS1_11reduce_implILb1ES3_N6hipcub16HIPCUB_304000_NS22TransformInputIteratorIbN2at6native12_GLOBAL__N_19NonZeroOpIlEEPKllEEPiiNS8_6detail34convert_binary_result_type_wrapperINS8_3SumESH_iEEEE10hipError_tPvRmT1_T2_T3_mT4_P12ihipStream_tbEUlT_E0_NS1_11comp_targetILNS1_3genE2ELNS1_11target_archE906ELNS1_3gpuE6ELNS1_3repE0EEENS1_30default_config_static_selectorELNS0_4arch9wavefront6targetE0EEEvSQ_,comdat
.Lfunc_end240:
	.size	_ZN7rocprim17ROCPRIM_400000_NS6detail17trampoline_kernelINS0_14default_configENS1_22reduce_config_selectorIbEEZNS1_11reduce_implILb1ES3_N6hipcub16HIPCUB_304000_NS22TransformInputIteratorIbN2at6native12_GLOBAL__N_19NonZeroOpIlEEPKllEEPiiNS8_6detail34convert_binary_result_type_wrapperINS8_3SumESH_iEEEE10hipError_tPvRmT1_T2_T3_mT4_P12ihipStream_tbEUlT_E0_NS1_11comp_targetILNS1_3genE2ELNS1_11target_archE906ELNS1_3gpuE6ELNS1_3repE0EEENS1_30default_config_static_selectorELNS0_4arch9wavefront6targetE0EEEvSQ_, .Lfunc_end240-_ZN7rocprim17ROCPRIM_400000_NS6detail17trampoline_kernelINS0_14default_configENS1_22reduce_config_selectorIbEEZNS1_11reduce_implILb1ES3_N6hipcub16HIPCUB_304000_NS22TransformInputIteratorIbN2at6native12_GLOBAL__N_19NonZeroOpIlEEPKllEEPiiNS8_6detail34convert_binary_result_type_wrapperINS8_3SumESH_iEEEE10hipError_tPvRmT1_T2_T3_mT4_P12ihipStream_tbEUlT_E0_NS1_11comp_targetILNS1_3genE2ELNS1_11target_archE906ELNS1_3gpuE6ELNS1_3repE0EEENS1_30default_config_static_selectorELNS0_4arch9wavefront6targetE0EEEvSQ_
                                        ; -- End function
	.section	.AMDGPU.csdata,"",@progbits
; Kernel info:
; codeLenInByte = 0
; NumSgprs: 0
; NumVgprs: 0
; ScratchSize: 0
; MemoryBound: 0
; FloatMode: 240
; IeeeMode: 1
; LDSByteSize: 0 bytes/workgroup (compile time only)
; SGPRBlocks: 0
; VGPRBlocks: 0
; NumSGPRsForWavesPerEU: 1
; NumVGPRsForWavesPerEU: 1
; Occupancy: 16
; WaveLimiterHint : 0
; COMPUTE_PGM_RSRC2:SCRATCH_EN: 0
; COMPUTE_PGM_RSRC2:USER_SGPR: 15
; COMPUTE_PGM_RSRC2:TRAP_HANDLER: 0
; COMPUTE_PGM_RSRC2:TGID_X_EN: 1
; COMPUTE_PGM_RSRC2:TGID_Y_EN: 0
; COMPUTE_PGM_RSRC2:TGID_Z_EN: 0
; COMPUTE_PGM_RSRC2:TIDIG_COMP_CNT: 0
	.section	.text._ZN7rocprim17ROCPRIM_400000_NS6detail17trampoline_kernelINS0_14default_configENS1_22reduce_config_selectorIbEEZNS1_11reduce_implILb1ES3_N6hipcub16HIPCUB_304000_NS22TransformInputIteratorIbN2at6native12_GLOBAL__N_19NonZeroOpIlEEPKllEEPiiNS8_6detail34convert_binary_result_type_wrapperINS8_3SumESH_iEEEE10hipError_tPvRmT1_T2_T3_mT4_P12ihipStream_tbEUlT_E0_NS1_11comp_targetILNS1_3genE10ELNS1_11target_archE1201ELNS1_3gpuE5ELNS1_3repE0EEENS1_30default_config_static_selectorELNS0_4arch9wavefront6targetE0EEEvSQ_,"axG",@progbits,_ZN7rocprim17ROCPRIM_400000_NS6detail17trampoline_kernelINS0_14default_configENS1_22reduce_config_selectorIbEEZNS1_11reduce_implILb1ES3_N6hipcub16HIPCUB_304000_NS22TransformInputIteratorIbN2at6native12_GLOBAL__N_19NonZeroOpIlEEPKllEEPiiNS8_6detail34convert_binary_result_type_wrapperINS8_3SumESH_iEEEE10hipError_tPvRmT1_T2_T3_mT4_P12ihipStream_tbEUlT_E0_NS1_11comp_targetILNS1_3genE10ELNS1_11target_archE1201ELNS1_3gpuE5ELNS1_3repE0EEENS1_30default_config_static_selectorELNS0_4arch9wavefront6targetE0EEEvSQ_,comdat
	.globl	_ZN7rocprim17ROCPRIM_400000_NS6detail17trampoline_kernelINS0_14default_configENS1_22reduce_config_selectorIbEEZNS1_11reduce_implILb1ES3_N6hipcub16HIPCUB_304000_NS22TransformInputIteratorIbN2at6native12_GLOBAL__N_19NonZeroOpIlEEPKllEEPiiNS8_6detail34convert_binary_result_type_wrapperINS8_3SumESH_iEEEE10hipError_tPvRmT1_T2_T3_mT4_P12ihipStream_tbEUlT_E0_NS1_11comp_targetILNS1_3genE10ELNS1_11target_archE1201ELNS1_3gpuE5ELNS1_3repE0EEENS1_30default_config_static_selectorELNS0_4arch9wavefront6targetE0EEEvSQ_ ; -- Begin function _ZN7rocprim17ROCPRIM_400000_NS6detail17trampoline_kernelINS0_14default_configENS1_22reduce_config_selectorIbEEZNS1_11reduce_implILb1ES3_N6hipcub16HIPCUB_304000_NS22TransformInputIteratorIbN2at6native12_GLOBAL__N_19NonZeroOpIlEEPKllEEPiiNS8_6detail34convert_binary_result_type_wrapperINS8_3SumESH_iEEEE10hipError_tPvRmT1_T2_T3_mT4_P12ihipStream_tbEUlT_E0_NS1_11comp_targetILNS1_3genE10ELNS1_11target_archE1201ELNS1_3gpuE5ELNS1_3repE0EEENS1_30default_config_static_selectorELNS0_4arch9wavefront6targetE0EEEvSQ_
	.p2align	8
	.type	_ZN7rocprim17ROCPRIM_400000_NS6detail17trampoline_kernelINS0_14default_configENS1_22reduce_config_selectorIbEEZNS1_11reduce_implILb1ES3_N6hipcub16HIPCUB_304000_NS22TransformInputIteratorIbN2at6native12_GLOBAL__N_19NonZeroOpIlEEPKllEEPiiNS8_6detail34convert_binary_result_type_wrapperINS8_3SumESH_iEEEE10hipError_tPvRmT1_T2_T3_mT4_P12ihipStream_tbEUlT_E0_NS1_11comp_targetILNS1_3genE10ELNS1_11target_archE1201ELNS1_3gpuE5ELNS1_3repE0EEENS1_30default_config_static_selectorELNS0_4arch9wavefront6targetE0EEEvSQ_,@function
_ZN7rocprim17ROCPRIM_400000_NS6detail17trampoline_kernelINS0_14default_configENS1_22reduce_config_selectorIbEEZNS1_11reduce_implILb1ES3_N6hipcub16HIPCUB_304000_NS22TransformInputIteratorIbN2at6native12_GLOBAL__N_19NonZeroOpIlEEPKllEEPiiNS8_6detail34convert_binary_result_type_wrapperINS8_3SumESH_iEEEE10hipError_tPvRmT1_T2_T3_mT4_P12ihipStream_tbEUlT_E0_NS1_11comp_targetILNS1_3genE10ELNS1_11target_archE1201ELNS1_3gpuE5ELNS1_3repE0EEENS1_30default_config_static_selectorELNS0_4arch9wavefront6targetE0EEEvSQ_: ; @_ZN7rocprim17ROCPRIM_400000_NS6detail17trampoline_kernelINS0_14default_configENS1_22reduce_config_selectorIbEEZNS1_11reduce_implILb1ES3_N6hipcub16HIPCUB_304000_NS22TransformInputIteratorIbN2at6native12_GLOBAL__N_19NonZeroOpIlEEPKllEEPiiNS8_6detail34convert_binary_result_type_wrapperINS8_3SumESH_iEEEE10hipError_tPvRmT1_T2_T3_mT4_P12ihipStream_tbEUlT_E0_NS1_11comp_targetILNS1_3genE10ELNS1_11target_archE1201ELNS1_3gpuE5ELNS1_3repE0EEENS1_30default_config_static_selectorELNS0_4arch9wavefront6targetE0EEEvSQ_
; %bb.0:
	.section	.rodata,"a",@progbits
	.p2align	6, 0x0
	.amdhsa_kernel _ZN7rocprim17ROCPRIM_400000_NS6detail17trampoline_kernelINS0_14default_configENS1_22reduce_config_selectorIbEEZNS1_11reduce_implILb1ES3_N6hipcub16HIPCUB_304000_NS22TransformInputIteratorIbN2at6native12_GLOBAL__N_19NonZeroOpIlEEPKllEEPiiNS8_6detail34convert_binary_result_type_wrapperINS8_3SumESH_iEEEE10hipError_tPvRmT1_T2_T3_mT4_P12ihipStream_tbEUlT_E0_NS1_11comp_targetILNS1_3genE10ELNS1_11target_archE1201ELNS1_3gpuE5ELNS1_3repE0EEENS1_30default_config_static_selectorELNS0_4arch9wavefront6targetE0EEEvSQ_
		.amdhsa_group_segment_fixed_size 0
		.amdhsa_private_segment_fixed_size 0
		.amdhsa_kernarg_size 64
		.amdhsa_user_sgpr_count 15
		.amdhsa_user_sgpr_dispatch_ptr 0
		.amdhsa_user_sgpr_queue_ptr 0
		.amdhsa_user_sgpr_kernarg_segment_ptr 1
		.amdhsa_user_sgpr_dispatch_id 0
		.amdhsa_user_sgpr_private_segment_size 0
		.amdhsa_wavefront_size32 1
		.amdhsa_uses_dynamic_stack 0
		.amdhsa_enable_private_segment 0
		.amdhsa_system_sgpr_workgroup_id_x 1
		.amdhsa_system_sgpr_workgroup_id_y 0
		.amdhsa_system_sgpr_workgroup_id_z 0
		.amdhsa_system_sgpr_workgroup_info 0
		.amdhsa_system_vgpr_workitem_id 0
		.amdhsa_next_free_vgpr 1
		.amdhsa_next_free_sgpr 1
		.amdhsa_reserve_vcc 0
		.amdhsa_float_round_mode_32 0
		.amdhsa_float_round_mode_16_64 0
		.amdhsa_float_denorm_mode_32 3
		.amdhsa_float_denorm_mode_16_64 3
		.amdhsa_dx10_clamp 1
		.amdhsa_ieee_mode 1
		.amdhsa_fp16_overflow 0
		.amdhsa_workgroup_processor_mode 1
		.amdhsa_memory_ordered 1
		.amdhsa_forward_progress 0
		.amdhsa_shared_vgpr_count 0
		.amdhsa_exception_fp_ieee_invalid_op 0
		.amdhsa_exception_fp_denorm_src 0
		.amdhsa_exception_fp_ieee_div_zero 0
		.amdhsa_exception_fp_ieee_overflow 0
		.amdhsa_exception_fp_ieee_underflow 0
		.amdhsa_exception_fp_ieee_inexact 0
		.amdhsa_exception_int_div_zero 0
	.end_amdhsa_kernel
	.section	.text._ZN7rocprim17ROCPRIM_400000_NS6detail17trampoline_kernelINS0_14default_configENS1_22reduce_config_selectorIbEEZNS1_11reduce_implILb1ES3_N6hipcub16HIPCUB_304000_NS22TransformInputIteratorIbN2at6native12_GLOBAL__N_19NonZeroOpIlEEPKllEEPiiNS8_6detail34convert_binary_result_type_wrapperINS8_3SumESH_iEEEE10hipError_tPvRmT1_T2_T3_mT4_P12ihipStream_tbEUlT_E0_NS1_11comp_targetILNS1_3genE10ELNS1_11target_archE1201ELNS1_3gpuE5ELNS1_3repE0EEENS1_30default_config_static_selectorELNS0_4arch9wavefront6targetE0EEEvSQ_,"axG",@progbits,_ZN7rocprim17ROCPRIM_400000_NS6detail17trampoline_kernelINS0_14default_configENS1_22reduce_config_selectorIbEEZNS1_11reduce_implILb1ES3_N6hipcub16HIPCUB_304000_NS22TransformInputIteratorIbN2at6native12_GLOBAL__N_19NonZeroOpIlEEPKllEEPiiNS8_6detail34convert_binary_result_type_wrapperINS8_3SumESH_iEEEE10hipError_tPvRmT1_T2_T3_mT4_P12ihipStream_tbEUlT_E0_NS1_11comp_targetILNS1_3genE10ELNS1_11target_archE1201ELNS1_3gpuE5ELNS1_3repE0EEENS1_30default_config_static_selectorELNS0_4arch9wavefront6targetE0EEEvSQ_,comdat
.Lfunc_end241:
	.size	_ZN7rocprim17ROCPRIM_400000_NS6detail17trampoline_kernelINS0_14default_configENS1_22reduce_config_selectorIbEEZNS1_11reduce_implILb1ES3_N6hipcub16HIPCUB_304000_NS22TransformInputIteratorIbN2at6native12_GLOBAL__N_19NonZeroOpIlEEPKllEEPiiNS8_6detail34convert_binary_result_type_wrapperINS8_3SumESH_iEEEE10hipError_tPvRmT1_T2_T3_mT4_P12ihipStream_tbEUlT_E0_NS1_11comp_targetILNS1_3genE10ELNS1_11target_archE1201ELNS1_3gpuE5ELNS1_3repE0EEENS1_30default_config_static_selectorELNS0_4arch9wavefront6targetE0EEEvSQ_, .Lfunc_end241-_ZN7rocprim17ROCPRIM_400000_NS6detail17trampoline_kernelINS0_14default_configENS1_22reduce_config_selectorIbEEZNS1_11reduce_implILb1ES3_N6hipcub16HIPCUB_304000_NS22TransformInputIteratorIbN2at6native12_GLOBAL__N_19NonZeroOpIlEEPKllEEPiiNS8_6detail34convert_binary_result_type_wrapperINS8_3SumESH_iEEEE10hipError_tPvRmT1_T2_T3_mT4_P12ihipStream_tbEUlT_E0_NS1_11comp_targetILNS1_3genE10ELNS1_11target_archE1201ELNS1_3gpuE5ELNS1_3repE0EEENS1_30default_config_static_selectorELNS0_4arch9wavefront6targetE0EEEvSQ_
                                        ; -- End function
	.section	.AMDGPU.csdata,"",@progbits
; Kernel info:
; codeLenInByte = 0
; NumSgprs: 0
; NumVgprs: 0
; ScratchSize: 0
; MemoryBound: 0
; FloatMode: 240
; IeeeMode: 1
; LDSByteSize: 0 bytes/workgroup (compile time only)
; SGPRBlocks: 0
; VGPRBlocks: 0
; NumSGPRsForWavesPerEU: 1
; NumVGPRsForWavesPerEU: 1
; Occupancy: 16
; WaveLimiterHint : 0
; COMPUTE_PGM_RSRC2:SCRATCH_EN: 0
; COMPUTE_PGM_RSRC2:USER_SGPR: 15
; COMPUTE_PGM_RSRC2:TRAP_HANDLER: 0
; COMPUTE_PGM_RSRC2:TGID_X_EN: 1
; COMPUTE_PGM_RSRC2:TGID_Y_EN: 0
; COMPUTE_PGM_RSRC2:TGID_Z_EN: 0
; COMPUTE_PGM_RSRC2:TIDIG_COMP_CNT: 0
	.section	.text._ZN7rocprim17ROCPRIM_400000_NS6detail17trampoline_kernelINS0_14default_configENS1_22reduce_config_selectorIbEEZNS1_11reduce_implILb1ES3_N6hipcub16HIPCUB_304000_NS22TransformInputIteratorIbN2at6native12_GLOBAL__N_19NonZeroOpIlEEPKllEEPiiNS8_6detail34convert_binary_result_type_wrapperINS8_3SumESH_iEEEE10hipError_tPvRmT1_T2_T3_mT4_P12ihipStream_tbEUlT_E0_NS1_11comp_targetILNS1_3genE10ELNS1_11target_archE1200ELNS1_3gpuE4ELNS1_3repE0EEENS1_30default_config_static_selectorELNS0_4arch9wavefront6targetE0EEEvSQ_,"axG",@progbits,_ZN7rocprim17ROCPRIM_400000_NS6detail17trampoline_kernelINS0_14default_configENS1_22reduce_config_selectorIbEEZNS1_11reduce_implILb1ES3_N6hipcub16HIPCUB_304000_NS22TransformInputIteratorIbN2at6native12_GLOBAL__N_19NonZeroOpIlEEPKllEEPiiNS8_6detail34convert_binary_result_type_wrapperINS8_3SumESH_iEEEE10hipError_tPvRmT1_T2_T3_mT4_P12ihipStream_tbEUlT_E0_NS1_11comp_targetILNS1_3genE10ELNS1_11target_archE1200ELNS1_3gpuE4ELNS1_3repE0EEENS1_30default_config_static_selectorELNS0_4arch9wavefront6targetE0EEEvSQ_,comdat
	.globl	_ZN7rocprim17ROCPRIM_400000_NS6detail17trampoline_kernelINS0_14default_configENS1_22reduce_config_selectorIbEEZNS1_11reduce_implILb1ES3_N6hipcub16HIPCUB_304000_NS22TransformInputIteratorIbN2at6native12_GLOBAL__N_19NonZeroOpIlEEPKllEEPiiNS8_6detail34convert_binary_result_type_wrapperINS8_3SumESH_iEEEE10hipError_tPvRmT1_T2_T3_mT4_P12ihipStream_tbEUlT_E0_NS1_11comp_targetILNS1_3genE10ELNS1_11target_archE1200ELNS1_3gpuE4ELNS1_3repE0EEENS1_30default_config_static_selectorELNS0_4arch9wavefront6targetE0EEEvSQ_ ; -- Begin function _ZN7rocprim17ROCPRIM_400000_NS6detail17trampoline_kernelINS0_14default_configENS1_22reduce_config_selectorIbEEZNS1_11reduce_implILb1ES3_N6hipcub16HIPCUB_304000_NS22TransformInputIteratorIbN2at6native12_GLOBAL__N_19NonZeroOpIlEEPKllEEPiiNS8_6detail34convert_binary_result_type_wrapperINS8_3SumESH_iEEEE10hipError_tPvRmT1_T2_T3_mT4_P12ihipStream_tbEUlT_E0_NS1_11comp_targetILNS1_3genE10ELNS1_11target_archE1200ELNS1_3gpuE4ELNS1_3repE0EEENS1_30default_config_static_selectorELNS0_4arch9wavefront6targetE0EEEvSQ_
	.p2align	8
	.type	_ZN7rocprim17ROCPRIM_400000_NS6detail17trampoline_kernelINS0_14default_configENS1_22reduce_config_selectorIbEEZNS1_11reduce_implILb1ES3_N6hipcub16HIPCUB_304000_NS22TransformInputIteratorIbN2at6native12_GLOBAL__N_19NonZeroOpIlEEPKllEEPiiNS8_6detail34convert_binary_result_type_wrapperINS8_3SumESH_iEEEE10hipError_tPvRmT1_T2_T3_mT4_P12ihipStream_tbEUlT_E0_NS1_11comp_targetILNS1_3genE10ELNS1_11target_archE1200ELNS1_3gpuE4ELNS1_3repE0EEENS1_30default_config_static_selectorELNS0_4arch9wavefront6targetE0EEEvSQ_,@function
_ZN7rocprim17ROCPRIM_400000_NS6detail17trampoline_kernelINS0_14default_configENS1_22reduce_config_selectorIbEEZNS1_11reduce_implILb1ES3_N6hipcub16HIPCUB_304000_NS22TransformInputIteratorIbN2at6native12_GLOBAL__N_19NonZeroOpIlEEPKllEEPiiNS8_6detail34convert_binary_result_type_wrapperINS8_3SumESH_iEEEE10hipError_tPvRmT1_T2_T3_mT4_P12ihipStream_tbEUlT_E0_NS1_11comp_targetILNS1_3genE10ELNS1_11target_archE1200ELNS1_3gpuE4ELNS1_3repE0EEENS1_30default_config_static_selectorELNS0_4arch9wavefront6targetE0EEEvSQ_: ; @_ZN7rocprim17ROCPRIM_400000_NS6detail17trampoline_kernelINS0_14default_configENS1_22reduce_config_selectorIbEEZNS1_11reduce_implILb1ES3_N6hipcub16HIPCUB_304000_NS22TransformInputIteratorIbN2at6native12_GLOBAL__N_19NonZeroOpIlEEPKllEEPiiNS8_6detail34convert_binary_result_type_wrapperINS8_3SumESH_iEEEE10hipError_tPvRmT1_T2_T3_mT4_P12ihipStream_tbEUlT_E0_NS1_11comp_targetILNS1_3genE10ELNS1_11target_archE1200ELNS1_3gpuE4ELNS1_3repE0EEENS1_30default_config_static_selectorELNS0_4arch9wavefront6targetE0EEEvSQ_
; %bb.0:
	.section	.rodata,"a",@progbits
	.p2align	6, 0x0
	.amdhsa_kernel _ZN7rocprim17ROCPRIM_400000_NS6detail17trampoline_kernelINS0_14default_configENS1_22reduce_config_selectorIbEEZNS1_11reduce_implILb1ES3_N6hipcub16HIPCUB_304000_NS22TransformInputIteratorIbN2at6native12_GLOBAL__N_19NonZeroOpIlEEPKllEEPiiNS8_6detail34convert_binary_result_type_wrapperINS8_3SumESH_iEEEE10hipError_tPvRmT1_T2_T3_mT4_P12ihipStream_tbEUlT_E0_NS1_11comp_targetILNS1_3genE10ELNS1_11target_archE1200ELNS1_3gpuE4ELNS1_3repE0EEENS1_30default_config_static_selectorELNS0_4arch9wavefront6targetE0EEEvSQ_
		.amdhsa_group_segment_fixed_size 0
		.amdhsa_private_segment_fixed_size 0
		.amdhsa_kernarg_size 64
		.amdhsa_user_sgpr_count 15
		.amdhsa_user_sgpr_dispatch_ptr 0
		.amdhsa_user_sgpr_queue_ptr 0
		.amdhsa_user_sgpr_kernarg_segment_ptr 1
		.amdhsa_user_sgpr_dispatch_id 0
		.amdhsa_user_sgpr_private_segment_size 0
		.amdhsa_wavefront_size32 1
		.amdhsa_uses_dynamic_stack 0
		.amdhsa_enable_private_segment 0
		.amdhsa_system_sgpr_workgroup_id_x 1
		.amdhsa_system_sgpr_workgroup_id_y 0
		.amdhsa_system_sgpr_workgroup_id_z 0
		.amdhsa_system_sgpr_workgroup_info 0
		.amdhsa_system_vgpr_workitem_id 0
		.amdhsa_next_free_vgpr 1
		.amdhsa_next_free_sgpr 1
		.amdhsa_reserve_vcc 0
		.amdhsa_float_round_mode_32 0
		.amdhsa_float_round_mode_16_64 0
		.amdhsa_float_denorm_mode_32 3
		.amdhsa_float_denorm_mode_16_64 3
		.amdhsa_dx10_clamp 1
		.amdhsa_ieee_mode 1
		.amdhsa_fp16_overflow 0
		.amdhsa_workgroup_processor_mode 1
		.amdhsa_memory_ordered 1
		.amdhsa_forward_progress 0
		.amdhsa_shared_vgpr_count 0
		.amdhsa_exception_fp_ieee_invalid_op 0
		.amdhsa_exception_fp_denorm_src 0
		.amdhsa_exception_fp_ieee_div_zero 0
		.amdhsa_exception_fp_ieee_overflow 0
		.amdhsa_exception_fp_ieee_underflow 0
		.amdhsa_exception_fp_ieee_inexact 0
		.amdhsa_exception_int_div_zero 0
	.end_amdhsa_kernel
	.section	.text._ZN7rocprim17ROCPRIM_400000_NS6detail17trampoline_kernelINS0_14default_configENS1_22reduce_config_selectorIbEEZNS1_11reduce_implILb1ES3_N6hipcub16HIPCUB_304000_NS22TransformInputIteratorIbN2at6native12_GLOBAL__N_19NonZeroOpIlEEPKllEEPiiNS8_6detail34convert_binary_result_type_wrapperINS8_3SumESH_iEEEE10hipError_tPvRmT1_T2_T3_mT4_P12ihipStream_tbEUlT_E0_NS1_11comp_targetILNS1_3genE10ELNS1_11target_archE1200ELNS1_3gpuE4ELNS1_3repE0EEENS1_30default_config_static_selectorELNS0_4arch9wavefront6targetE0EEEvSQ_,"axG",@progbits,_ZN7rocprim17ROCPRIM_400000_NS6detail17trampoline_kernelINS0_14default_configENS1_22reduce_config_selectorIbEEZNS1_11reduce_implILb1ES3_N6hipcub16HIPCUB_304000_NS22TransformInputIteratorIbN2at6native12_GLOBAL__N_19NonZeroOpIlEEPKllEEPiiNS8_6detail34convert_binary_result_type_wrapperINS8_3SumESH_iEEEE10hipError_tPvRmT1_T2_T3_mT4_P12ihipStream_tbEUlT_E0_NS1_11comp_targetILNS1_3genE10ELNS1_11target_archE1200ELNS1_3gpuE4ELNS1_3repE0EEENS1_30default_config_static_selectorELNS0_4arch9wavefront6targetE0EEEvSQ_,comdat
.Lfunc_end242:
	.size	_ZN7rocprim17ROCPRIM_400000_NS6detail17trampoline_kernelINS0_14default_configENS1_22reduce_config_selectorIbEEZNS1_11reduce_implILb1ES3_N6hipcub16HIPCUB_304000_NS22TransformInputIteratorIbN2at6native12_GLOBAL__N_19NonZeroOpIlEEPKllEEPiiNS8_6detail34convert_binary_result_type_wrapperINS8_3SumESH_iEEEE10hipError_tPvRmT1_T2_T3_mT4_P12ihipStream_tbEUlT_E0_NS1_11comp_targetILNS1_3genE10ELNS1_11target_archE1200ELNS1_3gpuE4ELNS1_3repE0EEENS1_30default_config_static_selectorELNS0_4arch9wavefront6targetE0EEEvSQ_, .Lfunc_end242-_ZN7rocprim17ROCPRIM_400000_NS6detail17trampoline_kernelINS0_14default_configENS1_22reduce_config_selectorIbEEZNS1_11reduce_implILb1ES3_N6hipcub16HIPCUB_304000_NS22TransformInputIteratorIbN2at6native12_GLOBAL__N_19NonZeroOpIlEEPKllEEPiiNS8_6detail34convert_binary_result_type_wrapperINS8_3SumESH_iEEEE10hipError_tPvRmT1_T2_T3_mT4_P12ihipStream_tbEUlT_E0_NS1_11comp_targetILNS1_3genE10ELNS1_11target_archE1200ELNS1_3gpuE4ELNS1_3repE0EEENS1_30default_config_static_selectorELNS0_4arch9wavefront6targetE0EEEvSQ_
                                        ; -- End function
	.section	.AMDGPU.csdata,"",@progbits
; Kernel info:
; codeLenInByte = 0
; NumSgprs: 0
; NumVgprs: 0
; ScratchSize: 0
; MemoryBound: 0
; FloatMode: 240
; IeeeMode: 1
; LDSByteSize: 0 bytes/workgroup (compile time only)
; SGPRBlocks: 0
; VGPRBlocks: 0
; NumSGPRsForWavesPerEU: 1
; NumVGPRsForWavesPerEU: 1
; Occupancy: 16
; WaveLimiterHint : 0
; COMPUTE_PGM_RSRC2:SCRATCH_EN: 0
; COMPUTE_PGM_RSRC2:USER_SGPR: 15
; COMPUTE_PGM_RSRC2:TRAP_HANDLER: 0
; COMPUTE_PGM_RSRC2:TGID_X_EN: 1
; COMPUTE_PGM_RSRC2:TGID_Y_EN: 0
; COMPUTE_PGM_RSRC2:TGID_Z_EN: 0
; COMPUTE_PGM_RSRC2:TIDIG_COMP_CNT: 0
	.section	.text._ZN7rocprim17ROCPRIM_400000_NS6detail17trampoline_kernelINS0_14default_configENS1_22reduce_config_selectorIbEEZNS1_11reduce_implILb1ES3_N6hipcub16HIPCUB_304000_NS22TransformInputIteratorIbN2at6native12_GLOBAL__N_19NonZeroOpIlEEPKllEEPiiNS8_6detail34convert_binary_result_type_wrapperINS8_3SumESH_iEEEE10hipError_tPvRmT1_T2_T3_mT4_P12ihipStream_tbEUlT_E0_NS1_11comp_targetILNS1_3genE9ELNS1_11target_archE1100ELNS1_3gpuE3ELNS1_3repE0EEENS1_30default_config_static_selectorELNS0_4arch9wavefront6targetE0EEEvSQ_,"axG",@progbits,_ZN7rocprim17ROCPRIM_400000_NS6detail17trampoline_kernelINS0_14default_configENS1_22reduce_config_selectorIbEEZNS1_11reduce_implILb1ES3_N6hipcub16HIPCUB_304000_NS22TransformInputIteratorIbN2at6native12_GLOBAL__N_19NonZeroOpIlEEPKllEEPiiNS8_6detail34convert_binary_result_type_wrapperINS8_3SumESH_iEEEE10hipError_tPvRmT1_T2_T3_mT4_P12ihipStream_tbEUlT_E0_NS1_11comp_targetILNS1_3genE9ELNS1_11target_archE1100ELNS1_3gpuE3ELNS1_3repE0EEENS1_30default_config_static_selectorELNS0_4arch9wavefront6targetE0EEEvSQ_,comdat
	.globl	_ZN7rocprim17ROCPRIM_400000_NS6detail17trampoline_kernelINS0_14default_configENS1_22reduce_config_selectorIbEEZNS1_11reduce_implILb1ES3_N6hipcub16HIPCUB_304000_NS22TransformInputIteratorIbN2at6native12_GLOBAL__N_19NonZeroOpIlEEPKllEEPiiNS8_6detail34convert_binary_result_type_wrapperINS8_3SumESH_iEEEE10hipError_tPvRmT1_T2_T3_mT4_P12ihipStream_tbEUlT_E0_NS1_11comp_targetILNS1_3genE9ELNS1_11target_archE1100ELNS1_3gpuE3ELNS1_3repE0EEENS1_30default_config_static_selectorELNS0_4arch9wavefront6targetE0EEEvSQ_ ; -- Begin function _ZN7rocprim17ROCPRIM_400000_NS6detail17trampoline_kernelINS0_14default_configENS1_22reduce_config_selectorIbEEZNS1_11reduce_implILb1ES3_N6hipcub16HIPCUB_304000_NS22TransformInputIteratorIbN2at6native12_GLOBAL__N_19NonZeroOpIlEEPKllEEPiiNS8_6detail34convert_binary_result_type_wrapperINS8_3SumESH_iEEEE10hipError_tPvRmT1_T2_T3_mT4_P12ihipStream_tbEUlT_E0_NS1_11comp_targetILNS1_3genE9ELNS1_11target_archE1100ELNS1_3gpuE3ELNS1_3repE0EEENS1_30default_config_static_selectorELNS0_4arch9wavefront6targetE0EEEvSQ_
	.p2align	8
	.type	_ZN7rocprim17ROCPRIM_400000_NS6detail17trampoline_kernelINS0_14default_configENS1_22reduce_config_selectorIbEEZNS1_11reduce_implILb1ES3_N6hipcub16HIPCUB_304000_NS22TransformInputIteratorIbN2at6native12_GLOBAL__N_19NonZeroOpIlEEPKllEEPiiNS8_6detail34convert_binary_result_type_wrapperINS8_3SumESH_iEEEE10hipError_tPvRmT1_T2_T3_mT4_P12ihipStream_tbEUlT_E0_NS1_11comp_targetILNS1_3genE9ELNS1_11target_archE1100ELNS1_3gpuE3ELNS1_3repE0EEENS1_30default_config_static_selectorELNS0_4arch9wavefront6targetE0EEEvSQ_,@function
_ZN7rocprim17ROCPRIM_400000_NS6detail17trampoline_kernelINS0_14default_configENS1_22reduce_config_selectorIbEEZNS1_11reduce_implILb1ES3_N6hipcub16HIPCUB_304000_NS22TransformInputIteratorIbN2at6native12_GLOBAL__N_19NonZeroOpIlEEPKllEEPiiNS8_6detail34convert_binary_result_type_wrapperINS8_3SumESH_iEEEE10hipError_tPvRmT1_T2_T3_mT4_P12ihipStream_tbEUlT_E0_NS1_11comp_targetILNS1_3genE9ELNS1_11target_archE1100ELNS1_3gpuE3ELNS1_3repE0EEENS1_30default_config_static_selectorELNS0_4arch9wavefront6targetE0EEEvSQ_: ; @_ZN7rocprim17ROCPRIM_400000_NS6detail17trampoline_kernelINS0_14default_configENS1_22reduce_config_selectorIbEEZNS1_11reduce_implILb1ES3_N6hipcub16HIPCUB_304000_NS22TransformInputIteratorIbN2at6native12_GLOBAL__N_19NonZeroOpIlEEPKllEEPiiNS8_6detail34convert_binary_result_type_wrapperINS8_3SumESH_iEEEE10hipError_tPvRmT1_T2_T3_mT4_P12ihipStream_tbEUlT_E0_NS1_11comp_targetILNS1_3genE9ELNS1_11target_archE1100ELNS1_3gpuE3ELNS1_3repE0EEENS1_30default_config_static_selectorELNS0_4arch9wavefront6targetE0EEEvSQ_
; %bb.0:
	s_clause 0x2
	s_load_b256 s[16:23], s[0:1], 0x10
	s_load_b64 s[4:5], s[0:1], 0x0
	s_load_b64 s[26:27], s[0:1], 0x30
	s_mov_b32 s3, 0
	v_lshlrev_b32_e32 v18, 3, v0
	v_mbcnt_lo_u32_b32 v17, -1, 0
	s_mov_b32 s24, s15
	s_mov_b32 s25, s3
	s_waitcnt lgkmcnt(0)
	s_lshl_b64 s[6:7], s[16:17], 3
	s_delay_alu instid0(SALU_CYCLE_1) | instskip(SKIP_4) | instid1(SALU_CYCLE_1)
	s_add_u32 s8, s4, s6
	s_addc_u32 s9, s5, s7
	s_lshl_b32 s2, s15, 11
	s_lshr_b64 s[6:7], s[18:19], 11
	s_lshl_b64 s[4:5], s[2:3], 3
	s_add_u32 s16, s8, s4
	s_addc_u32 s17, s9, s5
	s_cmp_lg_u64 s[6:7], s[24:25]
	s_cbranch_scc0 .LBB243_6
; %bb.1:
	s_clause 0x2
	global_load_b64 v[1:2], v18, s[16:17]
	global_load_b64 v[3:4], v18, s[16:17] offset:1024
	global_load_b64 v[5:6], v18, s[16:17] offset:2048
	v_add_co_u32 v25, s3, s16, v18
	s_delay_alu instid0(VALU_DEP_1) | instskip(SKIP_1) | instid1(VALU_DEP_2)
	v_add_co_ci_u32_e64 v26, null, s17, 0, s3
	s_mov_b32 s3, exec_lo
	v_add_co_u32 v7, vcc_lo, v25, 0x2000
	s_delay_alu instid0(VALU_DEP_2)
	v_add_co_ci_u32_e32 v8, vcc_lo, 0, v26, vcc_lo
	v_add_co_u32 v9, vcc_lo, 0x1000, v25
	v_add_co_ci_u32_e32 v10, vcc_lo, 0, v26, vcc_lo
	s_clause 0x2
	global_load_b64 v[11:12], v[7:8], off offset:-4096
	global_load_b64 v[13:14], v18, s[16:17] offset:3072
	global_load_b64 v[15:16], v[9:10], off offset:2048
	v_add_co_u32 v19, vcc_lo, 0x2000, v25
	v_add_co_ci_u32_e32 v20, vcc_lo, 0, v26, vcc_lo
	s_clause 0x3
	global_load_b64 v[21:22], v[9:10], off offset:1024
	global_load_b64 v[9:10], v[9:10], off offset:3072
	global_load_b64 v[7:8], v[7:8], off
	global_load_b64 v[23:24], v[19:20], off offset:2048
	v_add_co_u32 v25, vcc_lo, 0x3000, v25
	v_add_co_ci_u32_e32 v26, vcc_lo, 0, v26, vcc_lo
	s_clause 0x5
	global_load_b64 v[27:28], v[19:20], off offset:1024
	global_load_b64 v[29:30], v[25:26], off
	global_load_b64 v[19:20], v[19:20], off offset:3072
	global_load_b64 v[31:32], v[25:26], off offset:2048
	;; [unrolled: 1-line block ×4, first 2 shown]
	s_waitcnt vmcnt(15)
	v_cmp_ne_u64_e32 vcc_lo, 0, v[1:2]
	v_cndmask_b32_e64 v1, 0, 1, vcc_lo
	s_waitcnt vmcnt(13)
	v_cmp_ne_u64_e32 vcc_lo, 0, v[5:6]
	v_cndmask_b32_e64 v2, 0, 1, vcc_lo
	v_cmp_ne_u64_e32 vcc_lo, 0, v[3:4]
	v_add_co_ci_u32_e32 v1, vcc_lo, 0, v1, vcc_lo
	s_waitcnt vmcnt(12)
	v_cmp_ne_u64_e32 vcc_lo, 0, v[11:12]
	v_cndmask_b32_e64 v3, 0, 1, vcc_lo
	s_waitcnt vmcnt(11)
	v_cmp_ne_u64_e32 vcc_lo, 0, v[13:14]
	v_add_co_ci_u32_e32 v1, vcc_lo, v1, v2, vcc_lo
	s_waitcnt vmcnt(10)
	v_cmp_ne_u64_e32 vcc_lo, 0, v[15:16]
	v_cndmask_b32_e64 v2, 0, 1, vcc_lo
	s_waitcnt vmcnt(9)
	v_cmp_ne_u64_e32 vcc_lo, 0, v[21:22]
	v_add_co_ci_u32_e32 v1, vcc_lo, v1, v3, vcc_lo
	s_waitcnt vmcnt(7)
	v_cmp_ne_u64_e32 vcc_lo, 0, v[7:8]
	v_cndmask_b32_e64 v3, 0, 1, vcc_lo
	v_cmp_ne_u64_e32 vcc_lo, 0, v[9:10]
	v_add_co_ci_u32_e32 v1, vcc_lo, v1, v2, vcc_lo
	s_waitcnt vmcnt(6)
	v_cmp_ne_u64_e32 vcc_lo, 0, v[23:24]
	v_cndmask_b32_e64 v2, 0, 1, vcc_lo
	s_waitcnt vmcnt(5)
	v_cmp_ne_u64_e32 vcc_lo, 0, v[27:28]
	v_add_co_ci_u32_e32 v1, vcc_lo, v1, v3, vcc_lo
	s_waitcnt vmcnt(4)
	v_cmp_ne_u64_e32 vcc_lo, 0, v[29:30]
	v_cndmask_b32_e64 v3, 0, 1, vcc_lo
	s_waitcnt vmcnt(3)
	v_cmp_ne_u64_e32 vcc_lo, 0, v[19:20]
	v_add_co_ci_u32_e32 v1, vcc_lo, v1, v2, vcc_lo
	s_waitcnt vmcnt(2)
	v_cmp_ne_u64_e32 vcc_lo, 0, v[31:32]
	v_cndmask_b32_e64 v2, 0, 1, vcc_lo
	s_waitcnt vmcnt(1)
	v_cmp_ne_u64_e32 vcc_lo, 0, v[33:34]
	v_add_co_ci_u32_e32 v1, vcc_lo, v1, v3, vcc_lo
	s_waitcnt vmcnt(0)
	v_cmp_ne_u64_e32 vcc_lo, 0, v[25:26]
	v_mov_b32_e32 v3, 0
	s_delay_alu instid0(VALU_DEP_3) | instskip(NEXT) | instid1(VALU_DEP_1)
	v_add_co_ci_u32_e32 v1, vcc_lo, v1, v2, vcc_lo
	v_mov_b32_dpp v2, v1 quad_perm:[1,0,3,2] row_mask:0xf bank_mask:0xf
	s_delay_alu instid0(VALU_DEP_1) | instskip(NEXT) | instid1(VALU_DEP_1)
	v_add_nc_u32_e32 v1, v1, v2
	v_mov_b32_dpp v2, v1 quad_perm:[2,3,0,1] row_mask:0xf bank_mask:0xf
	s_delay_alu instid0(VALU_DEP_1) | instskip(NEXT) | instid1(VALU_DEP_1)
	v_add_nc_u32_e32 v1, v1, v2
	v_mov_b32_dpp v2, v1 row_ror:4 row_mask:0xf bank_mask:0xf
	s_delay_alu instid0(VALU_DEP_1) | instskip(NEXT) | instid1(VALU_DEP_1)
	v_add_nc_u32_e32 v1, v1, v2
	v_mov_b32_dpp v2, v1 row_ror:8 row_mask:0xf bank_mask:0xf
	s_delay_alu instid0(VALU_DEP_1)
	v_add_nc_u32_e32 v1, v1, v2
	ds_swizzle_b32 v2, v1 offset:swizzle(BROADCAST,32,15)
	s_waitcnt lgkmcnt(0)
	v_add_nc_u32_e32 v1, v1, v2
	ds_bpermute_b32 v1, v3, v1 offset:124
	v_cmpx_eq_u32_e32 0, v17
	s_cbranch_execz .LBB243_3
; %bb.2:
	v_lshrrev_b32_e32 v2, 3, v0
	s_delay_alu instid0(VALU_DEP_1)
	v_and_b32_e32 v2, 12, v2
	s_waitcnt lgkmcnt(0)
	ds_store_b32 v2, v1
.LBB243_3:
	s_or_b32 exec_lo, exec_lo, s3
	s_delay_alu instid0(SALU_CYCLE_1)
	s_mov_b32 s3, exec_lo
	s_waitcnt lgkmcnt(0)
	s_barrier
	buffer_gl0_inv
	v_cmpx_gt_u32_e32 32, v0
	s_cbranch_execz .LBB243_5
; %bb.4:
	v_and_b32_e32 v1, 3, v17
	s_delay_alu instid0(VALU_DEP_1) | instskip(SKIP_4) | instid1(VALU_DEP_2)
	v_lshlrev_b32_e32 v2, 2, v1
	v_cmp_ne_u32_e32 vcc_lo, 3, v1
	ds_load_b32 v2, v2
	v_add_co_ci_u32_e32 v3, vcc_lo, 0, v17, vcc_lo
	v_cmp_gt_u32_e32 vcc_lo, 2, v1
	v_lshlrev_b32_e32 v3, 2, v3
	v_cndmask_b32_e64 v1, 0, 1, vcc_lo
	s_delay_alu instid0(VALU_DEP_1) | instskip(NEXT) | instid1(VALU_DEP_1)
	v_lshlrev_b32_e32 v1, 1, v1
	v_add_lshl_u32 v1, v1, v17, 2
	s_waitcnt lgkmcnt(0)
	ds_bpermute_b32 v3, v3, v2
	s_waitcnt lgkmcnt(0)
	v_add_nc_u32_e32 v2, v3, v2
	ds_bpermute_b32 v1, v1, v2
	s_waitcnt lgkmcnt(0)
	v_add_nc_u32_e32 v1, v1, v2
.LBB243_5:
	s_or_b32 exec_lo, exec_lo, s3
	s_branch .LBB243_44
.LBB243_6:
                                        ; implicit-def: $vgpr1
	s_cbranch_execz .LBB243_44
; %bb.7:
	s_sub_i32 s28, s18, s2
	s_mov_b32 s2, exec_lo
                                        ; implicit-def: $vgpr1_vgpr2_vgpr3_vgpr4_vgpr5_vgpr6_vgpr7_vgpr8_vgpr9_vgpr10_vgpr11_vgpr12_vgpr13_vgpr14_vgpr15_vgpr16
	v_cmpx_gt_u32_e64 s28, v0
	s_cbranch_execz .LBB243_9
; %bb.8:
	global_load_b64 v[1:2], v18, s[16:17]
	s_waitcnt vmcnt(0)
	v_cmp_ne_u64_e32 vcc_lo, 0, v[1:2]
	v_cndmask_b32_e64 v1, 0, 1, vcc_lo
.LBB243_9:
	s_or_b32 exec_lo, exec_lo, s2
	v_or_b32_e32 v19, 0x80, v0
	s_delay_alu instid0(VALU_DEP_1)
	v_cmp_gt_u32_e32 vcc_lo, s28, v19
	s_and_saveexec_b32 s3, vcc_lo
	s_cbranch_execz .LBB243_11
; %bb.10:
	global_load_b64 v[19:20], v18, s[16:17] offset:1024
	s_waitcnt vmcnt(0)
	v_cmp_ne_u64_e64 s2, 0, v[19:20]
	s_delay_alu instid0(VALU_DEP_1)
	v_cndmask_b32_e64 v2, 0, 1, s2
.LBB243_11:
	s_or_b32 exec_lo, exec_lo, s3
	v_or_b32_e32 v19, 0x100, v0
	s_delay_alu instid0(VALU_DEP_1) | instskip(NEXT) | instid1(VALU_DEP_1)
	v_cmp_gt_u32_e64 s2, s28, v19
	s_and_saveexec_b32 s4, s2
	s_cbranch_execz .LBB243_13
; %bb.12:
	global_load_b64 v[19:20], v18, s[16:17] offset:2048
	s_waitcnt vmcnt(0)
	v_cmp_ne_u64_e64 s3, 0, v[19:20]
	s_delay_alu instid0(VALU_DEP_1)
	v_cndmask_b32_e64 v3, 0, 1, s3
.LBB243_13:
	s_or_b32 exec_lo, exec_lo, s4
	v_or_b32_e32 v19, 0x180, v0
	s_delay_alu instid0(VALU_DEP_1) | instskip(NEXT) | instid1(VALU_DEP_1)
	v_cmp_gt_u32_e64 s3, s28, v19
	s_and_saveexec_b32 s5, s3
	;; [unrolled: 13-line block ×3, first 2 shown]
	s_cbranch_execz .LBB243_17
; %bb.16:
	v_lshlrev_b32_e32 v5, 3, v18
	global_load_b64 v[18:19], v5, s[16:17]
	s_waitcnt vmcnt(0)
	v_cmp_ne_u64_e64 s5, 0, v[18:19]
	s_delay_alu instid0(VALU_DEP_1)
	v_cndmask_b32_e64 v5, 0, 1, s5
.LBB243_17:
	s_or_b32 exec_lo, exec_lo, s6
	v_or_b32_e32 v18, 0x280, v0
	s_delay_alu instid0(VALU_DEP_1) | instskip(NEXT) | instid1(VALU_DEP_1)
	v_cmp_gt_u32_e64 s5, s28, v18
	s_and_saveexec_b32 s7, s5
	s_cbranch_execz .LBB243_19
; %bb.18:
	v_lshlrev_b32_e32 v6, 3, v18
	global_load_b64 v[18:19], v6, s[16:17]
	s_waitcnt vmcnt(0)
	v_cmp_ne_u64_e64 s6, 0, v[18:19]
	s_delay_alu instid0(VALU_DEP_1)
	v_cndmask_b32_e64 v6, 0, 1, s6
.LBB243_19:
	s_or_b32 exec_lo, exec_lo, s7
	v_or_b32_e32 v18, 0x300, v0
	s_delay_alu instid0(VALU_DEP_1) | instskip(NEXT) | instid1(VALU_DEP_1)
	v_cmp_gt_u32_e64 s6, s28, v18
	s_and_saveexec_b32 s8, s6
	;; [unrolled: 14-line block ×11, first 2 shown]
	s_cbranch_execz .LBB243_39
; %bb.38:
	v_lshlrev_b32_e32 v16, 3, v18
	global_load_b64 v[18:19], v16, s[16:17]
	s_waitcnt vmcnt(0)
	v_cmp_ne_u64_e64 s16, 0, v[18:19]
	s_delay_alu instid0(VALU_DEP_1)
	v_cndmask_b32_e64 v16, 0, 1, s16
.LBB243_39:
	s_or_b32 exec_lo, exec_lo, s29
	v_cndmask_b32_e32 v2, 0, v2, vcc_lo
	v_cndmask_b32_e64 v3, 0, v3, s2
	v_cndmask_b32_e64 v4, 0, v4, s3
	v_cmp_ne_u32_e32 vcc_lo, 31, v17
	s_min_u32 s2, s28, 0x80
	v_add_nc_u32_e32 v1, v2, v1
	v_cndmask_b32_e64 v2, 0, v5, s4
	v_cndmask_b32_e64 v5, 0, v6, s5
	;; [unrolled: 1-line block ×3, first 2 shown]
	s_mov_b32 s3, exec_lo
	v_add3_u32 v1, v1, v3, v4
	v_cndmask_b32_e64 v3, 0, v7, s6
	v_cndmask_b32_e64 v4, 0, v8, s7
	s_delay_alu instid0(VALU_DEP_3) | instskip(SKIP_2) | instid1(VALU_DEP_3)
	v_add3_u32 v1, v1, v2, v5
	v_cndmask_b32_e64 v2, 0, v9, s8
	v_cndmask_b32_e64 v5, 0, v10, s9
	v_add3_u32 v1, v1, v3, v4
	v_cndmask_b32_e64 v3, 0, v11, s10
	v_cndmask_b32_e64 v4, 0, v12, s11
	s_delay_alu instid0(VALU_DEP_3) | instskip(SKIP_2) | instid1(VALU_DEP_3)
	v_add3_u32 v1, v1, v2, v5
	v_cndmask_b32_e64 v2, 0, v13, s12
	v_cndmask_b32_e64 v5, 0, v14, s13
	v_add3_u32 v1, v1, v3, v4
	v_cndmask_b32_e64 v3, 0, v16, s15
	v_add_co_ci_u32_e32 v4, vcc_lo, 0, v17, vcc_lo
	v_cmp_gt_u32_e32 vcc_lo, 30, v17
	s_delay_alu instid0(VALU_DEP_4) | instskip(NEXT) | instid1(VALU_DEP_3)
	v_add3_u32 v1, v1, v2, v5
	v_lshlrev_b32_e32 v2, 2, v4
	v_add_nc_u32_e32 v4, 1, v17
	v_cndmask_b32_e64 v5, 0, 1, vcc_lo
	s_delay_alu instid0(VALU_DEP_4) | instskip(SKIP_1) | instid1(VALU_DEP_3)
	v_add3_u32 v1, v1, v6, v3
	v_and_b32_e32 v3, 0x60, v0
	v_lshlrev_b32_e32 v5, 1, v5
	ds_bpermute_b32 v2, v2, v1
	v_sub_nc_u32_e64 v3, s2, v3 clamp
	s_delay_alu instid0(VALU_DEP_1) | instskip(SKIP_4) | instid1(VALU_DEP_2)
	v_cmp_lt_u32_e32 vcc_lo, v4, v3
	v_add_lshl_u32 v4, v5, v17, 2
	s_waitcnt lgkmcnt(0)
	v_dual_cndmask_b32 v2, 0, v2 :: v_dual_add_nc_u32 v5, 2, v17
	v_cmp_gt_u32_e32 vcc_lo, 28, v17
	v_add_nc_u32_e32 v1, v1, v2
	ds_bpermute_b32 v2, v4, v1
	v_cndmask_b32_e64 v4, 0, 1, vcc_lo
	v_cmp_lt_u32_e32 vcc_lo, v5, v3
	v_add_nc_u32_e32 v5, 4, v17
	s_delay_alu instid0(VALU_DEP_3) | instskip(NEXT) | instid1(VALU_DEP_1)
	v_lshlrev_b32_e32 v4, 2, v4
	v_add_lshl_u32 v4, v4, v17, 2
	s_waitcnt lgkmcnt(0)
	v_cndmask_b32_e32 v2, 0, v2, vcc_lo
	v_cmp_gt_u32_e32 vcc_lo, 24, v17
	s_delay_alu instid0(VALU_DEP_2) | instskip(SKIP_4) | instid1(VALU_DEP_3)
	v_add_nc_u32_e32 v1, v1, v2
	ds_bpermute_b32 v2, v4, v1
	v_cndmask_b32_e64 v4, 0, 1, vcc_lo
	v_cmp_lt_u32_e32 vcc_lo, v5, v3
	v_add_nc_u32_e32 v5, 8, v17
	v_lshlrev_b32_e32 v4, 3, v4
	s_delay_alu instid0(VALU_DEP_1) | instskip(SKIP_3) | instid1(VALU_DEP_2)
	v_add_lshl_u32 v4, v4, v17, 2
	s_waitcnt lgkmcnt(0)
	v_cndmask_b32_e32 v2, 0, v2, vcc_lo
	v_cmp_gt_u32_e32 vcc_lo, 16, v17
	v_add_nc_u32_e32 v1, v1, v2
	ds_bpermute_b32 v2, v4, v1
	v_cndmask_b32_e64 v4, 0, 1, vcc_lo
	v_cmp_lt_u32_e32 vcc_lo, v5, v3
	s_delay_alu instid0(VALU_DEP_2) | instskip(NEXT) | instid1(VALU_DEP_1)
	v_lshlrev_b32_e32 v4, 4, v4
	v_add_lshl_u32 v4, v4, v17, 2
	s_waitcnt lgkmcnt(0)
	v_cndmask_b32_e32 v2, 0, v2, vcc_lo
	s_delay_alu instid0(VALU_DEP_1) | instskip(SKIP_2) | instid1(VALU_DEP_1)
	v_add_nc_u32_e32 v1, v1, v2
	ds_bpermute_b32 v2, v4, v1
	v_add_nc_u32_e32 v4, 16, v17
	v_cmp_lt_u32_e32 vcc_lo, v4, v3
	s_waitcnt lgkmcnt(0)
	v_cndmask_b32_e32 v2, 0, v2, vcc_lo
	s_delay_alu instid0(VALU_DEP_1)
	v_add_nc_u32_e32 v1, v1, v2
	v_cmpx_eq_u32_e32 0, v17
	s_cbranch_execz .LBB243_41
; %bb.40:
	v_lshrrev_b32_e32 v2, 3, v0
	s_delay_alu instid0(VALU_DEP_1)
	v_and_b32_e32 v2, 12, v2
	ds_store_b32 v2, v1 offset:16
.LBB243_41:
	s_or_b32 exec_lo, exec_lo, s3
	s_delay_alu instid0(SALU_CYCLE_1)
	s_mov_b32 s3, exec_lo
	s_waitcnt lgkmcnt(0)
	s_barrier
	buffer_gl0_inv
	v_cmpx_gt_u32_e32 4, v0
	s_cbranch_execz .LBB243_43
; %bb.42:
	v_lshlrev_b32_e32 v1, 2, v17
	v_and_b32_e32 v2, 3, v17
	s_add_i32 s2, s2, 31
	s_delay_alu instid0(SALU_CYCLE_1)
	s_lshr_b32 s2, s2, 5
	ds_load_b32 v1, v1 offset:16
	v_cmp_ne_u32_e32 vcc_lo, 3, v2
	v_add_nc_u32_e32 v4, 1, v2
	v_add_co_ci_u32_e32 v3, vcc_lo, 0, v17, vcc_lo
	v_cmp_gt_u32_e32 vcc_lo, 2, v2
	s_delay_alu instid0(VALU_DEP_2) | instskip(SKIP_2) | instid1(VALU_DEP_2)
	v_lshlrev_b32_e32 v3, 2, v3
	v_cndmask_b32_e64 v5, 0, 1, vcc_lo
	v_cmp_gt_u32_e32 vcc_lo, s2, v4
	v_lshlrev_b32_e32 v4, 1, v5
	s_waitcnt lgkmcnt(0)
	ds_bpermute_b32 v3, v3, v1
	s_waitcnt lgkmcnt(0)
	v_dual_cndmask_b32 v3, 0, v3 :: v_dual_add_nc_u32 v2, 2, v2
	s_delay_alu instid0(VALU_DEP_1) | instskip(SKIP_1) | instid1(VALU_DEP_3)
	v_add_nc_u32_e32 v1, v3, v1
	v_add_lshl_u32 v3, v4, v17, 2
	v_cmp_gt_u32_e32 vcc_lo, s2, v2
	ds_bpermute_b32 v3, v3, v1
	s_waitcnt lgkmcnt(0)
	v_cndmask_b32_e32 v2, 0, v3, vcc_lo
	s_delay_alu instid0(VALU_DEP_1)
	v_add_nc_u32_e32 v1, v1, v2
.LBB243_43:
	s_or_b32 exec_lo, exec_lo, s3
.LBB243_44:
	s_load_b32 s0, s[0:1], 0x38
	s_mov_b32 s1, exec_lo
	v_cmpx_eq_u32_e32 0, v0
	s_cbranch_execz .LBB243_46
; %bb.45:
	s_mul_i32 s1, s26, s23
	s_mul_hi_u32 s2, s26, s22
	s_mul_i32 s3, s27, s22
	s_add_i32 s1, s2, s1
	s_mul_i32 s2, s26, s22
	s_add_i32 s3, s1, s3
	s_delay_alu instid0(SALU_CYCLE_1) | instskip(NEXT) | instid1(SALU_CYCLE_1)
	s_lshl_b64 s[2:3], s[2:3], 2
	s_add_u32 s2, s20, s2
	s_addc_u32 s3, s21, s3
	s_cmp_eq_u64 s[18:19], 0
	s_cselect_b32 s1, -1, 0
	s_waitcnt lgkmcnt(0)
	v_cndmask_b32_e64 v0, v1, s0, s1
	s_lshl_b64 s[0:1], s[24:25], 2
	v_mov_b32_e32 v1, 0
	s_add_u32 s0, s2, s0
	s_addc_u32 s1, s3, s1
	global_store_b32 v1, v0, s[0:1]
.LBB243_46:
	s_nop 0
	s_sendmsg sendmsg(MSG_DEALLOC_VGPRS)
	s_endpgm
	.section	.rodata,"a",@progbits
	.p2align	6, 0x0
	.amdhsa_kernel _ZN7rocprim17ROCPRIM_400000_NS6detail17trampoline_kernelINS0_14default_configENS1_22reduce_config_selectorIbEEZNS1_11reduce_implILb1ES3_N6hipcub16HIPCUB_304000_NS22TransformInputIteratorIbN2at6native12_GLOBAL__N_19NonZeroOpIlEEPKllEEPiiNS8_6detail34convert_binary_result_type_wrapperINS8_3SumESH_iEEEE10hipError_tPvRmT1_T2_T3_mT4_P12ihipStream_tbEUlT_E0_NS1_11comp_targetILNS1_3genE9ELNS1_11target_archE1100ELNS1_3gpuE3ELNS1_3repE0EEENS1_30default_config_static_selectorELNS0_4arch9wavefront6targetE0EEEvSQ_
		.amdhsa_group_segment_fixed_size 32
		.amdhsa_private_segment_fixed_size 0
		.amdhsa_kernarg_size 64
		.amdhsa_user_sgpr_count 15
		.amdhsa_user_sgpr_dispatch_ptr 0
		.amdhsa_user_sgpr_queue_ptr 0
		.amdhsa_user_sgpr_kernarg_segment_ptr 1
		.amdhsa_user_sgpr_dispatch_id 0
		.amdhsa_user_sgpr_private_segment_size 0
		.amdhsa_wavefront_size32 1
		.amdhsa_uses_dynamic_stack 0
		.amdhsa_enable_private_segment 0
		.amdhsa_system_sgpr_workgroup_id_x 1
		.amdhsa_system_sgpr_workgroup_id_y 0
		.amdhsa_system_sgpr_workgroup_id_z 0
		.amdhsa_system_sgpr_workgroup_info 0
		.amdhsa_system_vgpr_workitem_id 0
		.amdhsa_next_free_vgpr 35
		.amdhsa_next_free_sgpr 30
		.amdhsa_reserve_vcc 1
		.amdhsa_float_round_mode_32 0
		.amdhsa_float_round_mode_16_64 0
		.amdhsa_float_denorm_mode_32 3
		.amdhsa_float_denorm_mode_16_64 3
		.amdhsa_dx10_clamp 1
		.amdhsa_ieee_mode 1
		.amdhsa_fp16_overflow 0
		.amdhsa_workgroup_processor_mode 1
		.amdhsa_memory_ordered 1
		.amdhsa_forward_progress 0
		.amdhsa_shared_vgpr_count 0
		.amdhsa_exception_fp_ieee_invalid_op 0
		.amdhsa_exception_fp_denorm_src 0
		.amdhsa_exception_fp_ieee_div_zero 0
		.amdhsa_exception_fp_ieee_overflow 0
		.amdhsa_exception_fp_ieee_underflow 0
		.amdhsa_exception_fp_ieee_inexact 0
		.amdhsa_exception_int_div_zero 0
	.end_amdhsa_kernel
	.section	.text._ZN7rocprim17ROCPRIM_400000_NS6detail17trampoline_kernelINS0_14default_configENS1_22reduce_config_selectorIbEEZNS1_11reduce_implILb1ES3_N6hipcub16HIPCUB_304000_NS22TransformInputIteratorIbN2at6native12_GLOBAL__N_19NonZeroOpIlEEPKllEEPiiNS8_6detail34convert_binary_result_type_wrapperINS8_3SumESH_iEEEE10hipError_tPvRmT1_T2_T3_mT4_P12ihipStream_tbEUlT_E0_NS1_11comp_targetILNS1_3genE9ELNS1_11target_archE1100ELNS1_3gpuE3ELNS1_3repE0EEENS1_30default_config_static_selectorELNS0_4arch9wavefront6targetE0EEEvSQ_,"axG",@progbits,_ZN7rocprim17ROCPRIM_400000_NS6detail17trampoline_kernelINS0_14default_configENS1_22reduce_config_selectorIbEEZNS1_11reduce_implILb1ES3_N6hipcub16HIPCUB_304000_NS22TransformInputIteratorIbN2at6native12_GLOBAL__N_19NonZeroOpIlEEPKllEEPiiNS8_6detail34convert_binary_result_type_wrapperINS8_3SumESH_iEEEE10hipError_tPvRmT1_T2_T3_mT4_P12ihipStream_tbEUlT_E0_NS1_11comp_targetILNS1_3genE9ELNS1_11target_archE1100ELNS1_3gpuE3ELNS1_3repE0EEENS1_30default_config_static_selectorELNS0_4arch9wavefront6targetE0EEEvSQ_,comdat
.Lfunc_end243:
	.size	_ZN7rocprim17ROCPRIM_400000_NS6detail17trampoline_kernelINS0_14default_configENS1_22reduce_config_selectorIbEEZNS1_11reduce_implILb1ES3_N6hipcub16HIPCUB_304000_NS22TransformInputIteratorIbN2at6native12_GLOBAL__N_19NonZeroOpIlEEPKllEEPiiNS8_6detail34convert_binary_result_type_wrapperINS8_3SumESH_iEEEE10hipError_tPvRmT1_T2_T3_mT4_P12ihipStream_tbEUlT_E0_NS1_11comp_targetILNS1_3genE9ELNS1_11target_archE1100ELNS1_3gpuE3ELNS1_3repE0EEENS1_30default_config_static_selectorELNS0_4arch9wavefront6targetE0EEEvSQ_, .Lfunc_end243-_ZN7rocprim17ROCPRIM_400000_NS6detail17trampoline_kernelINS0_14default_configENS1_22reduce_config_selectorIbEEZNS1_11reduce_implILb1ES3_N6hipcub16HIPCUB_304000_NS22TransformInputIteratorIbN2at6native12_GLOBAL__N_19NonZeroOpIlEEPKllEEPiiNS8_6detail34convert_binary_result_type_wrapperINS8_3SumESH_iEEEE10hipError_tPvRmT1_T2_T3_mT4_P12ihipStream_tbEUlT_E0_NS1_11comp_targetILNS1_3genE9ELNS1_11target_archE1100ELNS1_3gpuE3ELNS1_3repE0EEENS1_30default_config_static_selectorELNS0_4arch9wavefront6targetE0EEEvSQ_
                                        ; -- End function
	.section	.AMDGPU.csdata,"",@progbits
; Kernel info:
; codeLenInByte = 2692
; NumSgprs: 32
; NumVgprs: 35
; ScratchSize: 0
; MemoryBound: 0
; FloatMode: 240
; IeeeMode: 1
; LDSByteSize: 32 bytes/workgroup (compile time only)
; SGPRBlocks: 3
; VGPRBlocks: 4
; NumSGPRsForWavesPerEU: 32
; NumVGPRsForWavesPerEU: 35
; Occupancy: 16
; WaveLimiterHint : 1
; COMPUTE_PGM_RSRC2:SCRATCH_EN: 0
; COMPUTE_PGM_RSRC2:USER_SGPR: 15
; COMPUTE_PGM_RSRC2:TRAP_HANDLER: 0
; COMPUTE_PGM_RSRC2:TGID_X_EN: 1
; COMPUTE_PGM_RSRC2:TGID_Y_EN: 0
; COMPUTE_PGM_RSRC2:TGID_Z_EN: 0
; COMPUTE_PGM_RSRC2:TIDIG_COMP_CNT: 0
	.section	.text._ZN7rocprim17ROCPRIM_400000_NS6detail17trampoline_kernelINS0_14default_configENS1_22reduce_config_selectorIbEEZNS1_11reduce_implILb1ES3_N6hipcub16HIPCUB_304000_NS22TransformInputIteratorIbN2at6native12_GLOBAL__N_19NonZeroOpIlEEPKllEEPiiNS8_6detail34convert_binary_result_type_wrapperINS8_3SumESH_iEEEE10hipError_tPvRmT1_T2_T3_mT4_P12ihipStream_tbEUlT_E0_NS1_11comp_targetILNS1_3genE8ELNS1_11target_archE1030ELNS1_3gpuE2ELNS1_3repE0EEENS1_30default_config_static_selectorELNS0_4arch9wavefront6targetE0EEEvSQ_,"axG",@progbits,_ZN7rocprim17ROCPRIM_400000_NS6detail17trampoline_kernelINS0_14default_configENS1_22reduce_config_selectorIbEEZNS1_11reduce_implILb1ES3_N6hipcub16HIPCUB_304000_NS22TransformInputIteratorIbN2at6native12_GLOBAL__N_19NonZeroOpIlEEPKllEEPiiNS8_6detail34convert_binary_result_type_wrapperINS8_3SumESH_iEEEE10hipError_tPvRmT1_T2_T3_mT4_P12ihipStream_tbEUlT_E0_NS1_11comp_targetILNS1_3genE8ELNS1_11target_archE1030ELNS1_3gpuE2ELNS1_3repE0EEENS1_30default_config_static_selectorELNS0_4arch9wavefront6targetE0EEEvSQ_,comdat
	.globl	_ZN7rocprim17ROCPRIM_400000_NS6detail17trampoline_kernelINS0_14default_configENS1_22reduce_config_selectorIbEEZNS1_11reduce_implILb1ES3_N6hipcub16HIPCUB_304000_NS22TransformInputIteratorIbN2at6native12_GLOBAL__N_19NonZeroOpIlEEPKllEEPiiNS8_6detail34convert_binary_result_type_wrapperINS8_3SumESH_iEEEE10hipError_tPvRmT1_T2_T3_mT4_P12ihipStream_tbEUlT_E0_NS1_11comp_targetILNS1_3genE8ELNS1_11target_archE1030ELNS1_3gpuE2ELNS1_3repE0EEENS1_30default_config_static_selectorELNS0_4arch9wavefront6targetE0EEEvSQ_ ; -- Begin function _ZN7rocprim17ROCPRIM_400000_NS6detail17trampoline_kernelINS0_14default_configENS1_22reduce_config_selectorIbEEZNS1_11reduce_implILb1ES3_N6hipcub16HIPCUB_304000_NS22TransformInputIteratorIbN2at6native12_GLOBAL__N_19NonZeroOpIlEEPKllEEPiiNS8_6detail34convert_binary_result_type_wrapperINS8_3SumESH_iEEEE10hipError_tPvRmT1_T2_T3_mT4_P12ihipStream_tbEUlT_E0_NS1_11comp_targetILNS1_3genE8ELNS1_11target_archE1030ELNS1_3gpuE2ELNS1_3repE0EEENS1_30default_config_static_selectorELNS0_4arch9wavefront6targetE0EEEvSQ_
	.p2align	8
	.type	_ZN7rocprim17ROCPRIM_400000_NS6detail17trampoline_kernelINS0_14default_configENS1_22reduce_config_selectorIbEEZNS1_11reduce_implILb1ES3_N6hipcub16HIPCUB_304000_NS22TransformInputIteratorIbN2at6native12_GLOBAL__N_19NonZeroOpIlEEPKllEEPiiNS8_6detail34convert_binary_result_type_wrapperINS8_3SumESH_iEEEE10hipError_tPvRmT1_T2_T3_mT4_P12ihipStream_tbEUlT_E0_NS1_11comp_targetILNS1_3genE8ELNS1_11target_archE1030ELNS1_3gpuE2ELNS1_3repE0EEENS1_30default_config_static_selectorELNS0_4arch9wavefront6targetE0EEEvSQ_,@function
_ZN7rocprim17ROCPRIM_400000_NS6detail17trampoline_kernelINS0_14default_configENS1_22reduce_config_selectorIbEEZNS1_11reduce_implILb1ES3_N6hipcub16HIPCUB_304000_NS22TransformInputIteratorIbN2at6native12_GLOBAL__N_19NonZeroOpIlEEPKllEEPiiNS8_6detail34convert_binary_result_type_wrapperINS8_3SumESH_iEEEE10hipError_tPvRmT1_T2_T3_mT4_P12ihipStream_tbEUlT_E0_NS1_11comp_targetILNS1_3genE8ELNS1_11target_archE1030ELNS1_3gpuE2ELNS1_3repE0EEENS1_30default_config_static_selectorELNS0_4arch9wavefront6targetE0EEEvSQ_: ; @_ZN7rocprim17ROCPRIM_400000_NS6detail17trampoline_kernelINS0_14default_configENS1_22reduce_config_selectorIbEEZNS1_11reduce_implILb1ES3_N6hipcub16HIPCUB_304000_NS22TransformInputIteratorIbN2at6native12_GLOBAL__N_19NonZeroOpIlEEPKllEEPiiNS8_6detail34convert_binary_result_type_wrapperINS8_3SumESH_iEEEE10hipError_tPvRmT1_T2_T3_mT4_P12ihipStream_tbEUlT_E0_NS1_11comp_targetILNS1_3genE8ELNS1_11target_archE1030ELNS1_3gpuE2ELNS1_3repE0EEENS1_30default_config_static_selectorELNS0_4arch9wavefront6targetE0EEEvSQ_
; %bb.0:
	.section	.rodata,"a",@progbits
	.p2align	6, 0x0
	.amdhsa_kernel _ZN7rocprim17ROCPRIM_400000_NS6detail17trampoline_kernelINS0_14default_configENS1_22reduce_config_selectorIbEEZNS1_11reduce_implILb1ES3_N6hipcub16HIPCUB_304000_NS22TransformInputIteratorIbN2at6native12_GLOBAL__N_19NonZeroOpIlEEPKllEEPiiNS8_6detail34convert_binary_result_type_wrapperINS8_3SumESH_iEEEE10hipError_tPvRmT1_T2_T3_mT4_P12ihipStream_tbEUlT_E0_NS1_11comp_targetILNS1_3genE8ELNS1_11target_archE1030ELNS1_3gpuE2ELNS1_3repE0EEENS1_30default_config_static_selectorELNS0_4arch9wavefront6targetE0EEEvSQ_
		.amdhsa_group_segment_fixed_size 0
		.amdhsa_private_segment_fixed_size 0
		.amdhsa_kernarg_size 64
		.amdhsa_user_sgpr_count 15
		.amdhsa_user_sgpr_dispatch_ptr 0
		.amdhsa_user_sgpr_queue_ptr 0
		.amdhsa_user_sgpr_kernarg_segment_ptr 1
		.amdhsa_user_sgpr_dispatch_id 0
		.amdhsa_user_sgpr_private_segment_size 0
		.amdhsa_wavefront_size32 1
		.amdhsa_uses_dynamic_stack 0
		.amdhsa_enable_private_segment 0
		.amdhsa_system_sgpr_workgroup_id_x 1
		.amdhsa_system_sgpr_workgroup_id_y 0
		.amdhsa_system_sgpr_workgroup_id_z 0
		.amdhsa_system_sgpr_workgroup_info 0
		.amdhsa_system_vgpr_workitem_id 0
		.amdhsa_next_free_vgpr 1
		.amdhsa_next_free_sgpr 1
		.amdhsa_reserve_vcc 0
		.amdhsa_float_round_mode_32 0
		.amdhsa_float_round_mode_16_64 0
		.amdhsa_float_denorm_mode_32 3
		.amdhsa_float_denorm_mode_16_64 3
		.amdhsa_dx10_clamp 1
		.amdhsa_ieee_mode 1
		.amdhsa_fp16_overflow 0
		.amdhsa_workgroup_processor_mode 1
		.amdhsa_memory_ordered 1
		.amdhsa_forward_progress 0
		.amdhsa_shared_vgpr_count 0
		.amdhsa_exception_fp_ieee_invalid_op 0
		.amdhsa_exception_fp_denorm_src 0
		.amdhsa_exception_fp_ieee_div_zero 0
		.amdhsa_exception_fp_ieee_overflow 0
		.amdhsa_exception_fp_ieee_underflow 0
		.amdhsa_exception_fp_ieee_inexact 0
		.amdhsa_exception_int_div_zero 0
	.end_amdhsa_kernel
	.section	.text._ZN7rocprim17ROCPRIM_400000_NS6detail17trampoline_kernelINS0_14default_configENS1_22reduce_config_selectorIbEEZNS1_11reduce_implILb1ES3_N6hipcub16HIPCUB_304000_NS22TransformInputIteratorIbN2at6native12_GLOBAL__N_19NonZeroOpIlEEPKllEEPiiNS8_6detail34convert_binary_result_type_wrapperINS8_3SumESH_iEEEE10hipError_tPvRmT1_T2_T3_mT4_P12ihipStream_tbEUlT_E0_NS1_11comp_targetILNS1_3genE8ELNS1_11target_archE1030ELNS1_3gpuE2ELNS1_3repE0EEENS1_30default_config_static_selectorELNS0_4arch9wavefront6targetE0EEEvSQ_,"axG",@progbits,_ZN7rocprim17ROCPRIM_400000_NS6detail17trampoline_kernelINS0_14default_configENS1_22reduce_config_selectorIbEEZNS1_11reduce_implILb1ES3_N6hipcub16HIPCUB_304000_NS22TransformInputIteratorIbN2at6native12_GLOBAL__N_19NonZeroOpIlEEPKllEEPiiNS8_6detail34convert_binary_result_type_wrapperINS8_3SumESH_iEEEE10hipError_tPvRmT1_T2_T3_mT4_P12ihipStream_tbEUlT_E0_NS1_11comp_targetILNS1_3genE8ELNS1_11target_archE1030ELNS1_3gpuE2ELNS1_3repE0EEENS1_30default_config_static_selectorELNS0_4arch9wavefront6targetE0EEEvSQ_,comdat
.Lfunc_end244:
	.size	_ZN7rocprim17ROCPRIM_400000_NS6detail17trampoline_kernelINS0_14default_configENS1_22reduce_config_selectorIbEEZNS1_11reduce_implILb1ES3_N6hipcub16HIPCUB_304000_NS22TransformInputIteratorIbN2at6native12_GLOBAL__N_19NonZeroOpIlEEPKllEEPiiNS8_6detail34convert_binary_result_type_wrapperINS8_3SumESH_iEEEE10hipError_tPvRmT1_T2_T3_mT4_P12ihipStream_tbEUlT_E0_NS1_11comp_targetILNS1_3genE8ELNS1_11target_archE1030ELNS1_3gpuE2ELNS1_3repE0EEENS1_30default_config_static_selectorELNS0_4arch9wavefront6targetE0EEEvSQ_, .Lfunc_end244-_ZN7rocprim17ROCPRIM_400000_NS6detail17trampoline_kernelINS0_14default_configENS1_22reduce_config_selectorIbEEZNS1_11reduce_implILb1ES3_N6hipcub16HIPCUB_304000_NS22TransformInputIteratorIbN2at6native12_GLOBAL__N_19NonZeroOpIlEEPKllEEPiiNS8_6detail34convert_binary_result_type_wrapperINS8_3SumESH_iEEEE10hipError_tPvRmT1_T2_T3_mT4_P12ihipStream_tbEUlT_E0_NS1_11comp_targetILNS1_3genE8ELNS1_11target_archE1030ELNS1_3gpuE2ELNS1_3repE0EEENS1_30default_config_static_selectorELNS0_4arch9wavefront6targetE0EEEvSQ_
                                        ; -- End function
	.section	.AMDGPU.csdata,"",@progbits
; Kernel info:
; codeLenInByte = 0
; NumSgprs: 0
; NumVgprs: 0
; ScratchSize: 0
; MemoryBound: 0
; FloatMode: 240
; IeeeMode: 1
; LDSByteSize: 0 bytes/workgroup (compile time only)
; SGPRBlocks: 0
; VGPRBlocks: 0
; NumSGPRsForWavesPerEU: 1
; NumVGPRsForWavesPerEU: 1
; Occupancy: 16
; WaveLimiterHint : 0
; COMPUTE_PGM_RSRC2:SCRATCH_EN: 0
; COMPUTE_PGM_RSRC2:USER_SGPR: 15
; COMPUTE_PGM_RSRC2:TRAP_HANDLER: 0
; COMPUTE_PGM_RSRC2:TGID_X_EN: 1
; COMPUTE_PGM_RSRC2:TGID_Y_EN: 0
; COMPUTE_PGM_RSRC2:TGID_Z_EN: 0
; COMPUTE_PGM_RSRC2:TIDIG_COMP_CNT: 0
	.section	.text._ZN7rocprim17ROCPRIM_400000_NS6detail17trampoline_kernelINS0_14default_configENS1_22reduce_config_selectorIbEEZNS1_11reduce_implILb1ES3_N6hipcub16HIPCUB_304000_NS22TransformInputIteratorIbN2at6native12_GLOBAL__N_19NonZeroOpIlEEPKllEEPiiNS8_6detail34convert_binary_result_type_wrapperINS8_3SumESH_iEEEE10hipError_tPvRmT1_T2_T3_mT4_P12ihipStream_tbEUlT_E1_NS1_11comp_targetILNS1_3genE0ELNS1_11target_archE4294967295ELNS1_3gpuE0ELNS1_3repE0EEENS1_30default_config_static_selectorELNS0_4arch9wavefront6targetE0EEEvSQ_,"axG",@progbits,_ZN7rocprim17ROCPRIM_400000_NS6detail17trampoline_kernelINS0_14default_configENS1_22reduce_config_selectorIbEEZNS1_11reduce_implILb1ES3_N6hipcub16HIPCUB_304000_NS22TransformInputIteratorIbN2at6native12_GLOBAL__N_19NonZeroOpIlEEPKllEEPiiNS8_6detail34convert_binary_result_type_wrapperINS8_3SumESH_iEEEE10hipError_tPvRmT1_T2_T3_mT4_P12ihipStream_tbEUlT_E1_NS1_11comp_targetILNS1_3genE0ELNS1_11target_archE4294967295ELNS1_3gpuE0ELNS1_3repE0EEENS1_30default_config_static_selectorELNS0_4arch9wavefront6targetE0EEEvSQ_,comdat
	.globl	_ZN7rocprim17ROCPRIM_400000_NS6detail17trampoline_kernelINS0_14default_configENS1_22reduce_config_selectorIbEEZNS1_11reduce_implILb1ES3_N6hipcub16HIPCUB_304000_NS22TransformInputIteratorIbN2at6native12_GLOBAL__N_19NonZeroOpIlEEPKllEEPiiNS8_6detail34convert_binary_result_type_wrapperINS8_3SumESH_iEEEE10hipError_tPvRmT1_T2_T3_mT4_P12ihipStream_tbEUlT_E1_NS1_11comp_targetILNS1_3genE0ELNS1_11target_archE4294967295ELNS1_3gpuE0ELNS1_3repE0EEENS1_30default_config_static_selectorELNS0_4arch9wavefront6targetE0EEEvSQ_ ; -- Begin function _ZN7rocprim17ROCPRIM_400000_NS6detail17trampoline_kernelINS0_14default_configENS1_22reduce_config_selectorIbEEZNS1_11reduce_implILb1ES3_N6hipcub16HIPCUB_304000_NS22TransformInputIteratorIbN2at6native12_GLOBAL__N_19NonZeroOpIlEEPKllEEPiiNS8_6detail34convert_binary_result_type_wrapperINS8_3SumESH_iEEEE10hipError_tPvRmT1_T2_T3_mT4_P12ihipStream_tbEUlT_E1_NS1_11comp_targetILNS1_3genE0ELNS1_11target_archE4294967295ELNS1_3gpuE0ELNS1_3repE0EEENS1_30default_config_static_selectorELNS0_4arch9wavefront6targetE0EEEvSQ_
	.p2align	8
	.type	_ZN7rocprim17ROCPRIM_400000_NS6detail17trampoline_kernelINS0_14default_configENS1_22reduce_config_selectorIbEEZNS1_11reduce_implILb1ES3_N6hipcub16HIPCUB_304000_NS22TransformInputIteratorIbN2at6native12_GLOBAL__N_19NonZeroOpIlEEPKllEEPiiNS8_6detail34convert_binary_result_type_wrapperINS8_3SumESH_iEEEE10hipError_tPvRmT1_T2_T3_mT4_P12ihipStream_tbEUlT_E1_NS1_11comp_targetILNS1_3genE0ELNS1_11target_archE4294967295ELNS1_3gpuE0ELNS1_3repE0EEENS1_30default_config_static_selectorELNS0_4arch9wavefront6targetE0EEEvSQ_,@function
_ZN7rocprim17ROCPRIM_400000_NS6detail17trampoline_kernelINS0_14default_configENS1_22reduce_config_selectorIbEEZNS1_11reduce_implILb1ES3_N6hipcub16HIPCUB_304000_NS22TransformInputIteratorIbN2at6native12_GLOBAL__N_19NonZeroOpIlEEPKllEEPiiNS8_6detail34convert_binary_result_type_wrapperINS8_3SumESH_iEEEE10hipError_tPvRmT1_T2_T3_mT4_P12ihipStream_tbEUlT_E1_NS1_11comp_targetILNS1_3genE0ELNS1_11target_archE4294967295ELNS1_3gpuE0ELNS1_3repE0EEENS1_30default_config_static_selectorELNS0_4arch9wavefront6targetE0EEEvSQ_: ; @_ZN7rocprim17ROCPRIM_400000_NS6detail17trampoline_kernelINS0_14default_configENS1_22reduce_config_selectorIbEEZNS1_11reduce_implILb1ES3_N6hipcub16HIPCUB_304000_NS22TransformInputIteratorIbN2at6native12_GLOBAL__N_19NonZeroOpIlEEPKllEEPiiNS8_6detail34convert_binary_result_type_wrapperINS8_3SumESH_iEEEE10hipError_tPvRmT1_T2_T3_mT4_P12ihipStream_tbEUlT_E1_NS1_11comp_targetILNS1_3genE0ELNS1_11target_archE4294967295ELNS1_3gpuE0ELNS1_3repE0EEENS1_30default_config_static_selectorELNS0_4arch9wavefront6targetE0EEEvSQ_
; %bb.0:
	.section	.rodata,"a",@progbits
	.p2align	6, 0x0
	.amdhsa_kernel _ZN7rocprim17ROCPRIM_400000_NS6detail17trampoline_kernelINS0_14default_configENS1_22reduce_config_selectorIbEEZNS1_11reduce_implILb1ES3_N6hipcub16HIPCUB_304000_NS22TransformInputIteratorIbN2at6native12_GLOBAL__N_19NonZeroOpIlEEPKllEEPiiNS8_6detail34convert_binary_result_type_wrapperINS8_3SumESH_iEEEE10hipError_tPvRmT1_T2_T3_mT4_P12ihipStream_tbEUlT_E1_NS1_11comp_targetILNS1_3genE0ELNS1_11target_archE4294967295ELNS1_3gpuE0ELNS1_3repE0EEENS1_30default_config_static_selectorELNS0_4arch9wavefront6targetE0EEEvSQ_
		.amdhsa_group_segment_fixed_size 0
		.amdhsa_private_segment_fixed_size 0
		.amdhsa_kernarg_size 48
		.amdhsa_user_sgpr_count 15
		.amdhsa_user_sgpr_dispatch_ptr 0
		.amdhsa_user_sgpr_queue_ptr 0
		.amdhsa_user_sgpr_kernarg_segment_ptr 1
		.amdhsa_user_sgpr_dispatch_id 0
		.amdhsa_user_sgpr_private_segment_size 0
		.amdhsa_wavefront_size32 1
		.amdhsa_uses_dynamic_stack 0
		.amdhsa_enable_private_segment 0
		.amdhsa_system_sgpr_workgroup_id_x 1
		.amdhsa_system_sgpr_workgroup_id_y 0
		.amdhsa_system_sgpr_workgroup_id_z 0
		.amdhsa_system_sgpr_workgroup_info 0
		.amdhsa_system_vgpr_workitem_id 0
		.amdhsa_next_free_vgpr 1
		.amdhsa_next_free_sgpr 1
		.amdhsa_reserve_vcc 0
		.amdhsa_float_round_mode_32 0
		.amdhsa_float_round_mode_16_64 0
		.amdhsa_float_denorm_mode_32 3
		.amdhsa_float_denorm_mode_16_64 3
		.amdhsa_dx10_clamp 1
		.amdhsa_ieee_mode 1
		.amdhsa_fp16_overflow 0
		.amdhsa_workgroup_processor_mode 1
		.amdhsa_memory_ordered 1
		.amdhsa_forward_progress 0
		.amdhsa_shared_vgpr_count 0
		.amdhsa_exception_fp_ieee_invalid_op 0
		.amdhsa_exception_fp_denorm_src 0
		.amdhsa_exception_fp_ieee_div_zero 0
		.amdhsa_exception_fp_ieee_overflow 0
		.amdhsa_exception_fp_ieee_underflow 0
		.amdhsa_exception_fp_ieee_inexact 0
		.amdhsa_exception_int_div_zero 0
	.end_amdhsa_kernel
	.section	.text._ZN7rocprim17ROCPRIM_400000_NS6detail17trampoline_kernelINS0_14default_configENS1_22reduce_config_selectorIbEEZNS1_11reduce_implILb1ES3_N6hipcub16HIPCUB_304000_NS22TransformInputIteratorIbN2at6native12_GLOBAL__N_19NonZeroOpIlEEPKllEEPiiNS8_6detail34convert_binary_result_type_wrapperINS8_3SumESH_iEEEE10hipError_tPvRmT1_T2_T3_mT4_P12ihipStream_tbEUlT_E1_NS1_11comp_targetILNS1_3genE0ELNS1_11target_archE4294967295ELNS1_3gpuE0ELNS1_3repE0EEENS1_30default_config_static_selectorELNS0_4arch9wavefront6targetE0EEEvSQ_,"axG",@progbits,_ZN7rocprim17ROCPRIM_400000_NS6detail17trampoline_kernelINS0_14default_configENS1_22reduce_config_selectorIbEEZNS1_11reduce_implILb1ES3_N6hipcub16HIPCUB_304000_NS22TransformInputIteratorIbN2at6native12_GLOBAL__N_19NonZeroOpIlEEPKllEEPiiNS8_6detail34convert_binary_result_type_wrapperINS8_3SumESH_iEEEE10hipError_tPvRmT1_T2_T3_mT4_P12ihipStream_tbEUlT_E1_NS1_11comp_targetILNS1_3genE0ELNS1_11target_archE4294967295ELNS1_3gpuE0ELNS1_3repE0EEENS1_30default_config_static_selectorELNS0_4arch9wavefront6targetE0EEEvSQ_,comdat
.Lfunc_end245:
	.size	_ZN7rocprim17ROCPRIM_400000_NS6detail17trampoline_kernelINS0_14default_configENS1_22reduce_config_selectorIbEEZNS1_11reduce_implILb1ES3_N6hipcub16HIPCUB_304000_NS22TransformInputIteratorIbN2at6native12_GLOBAL__N_19NonZeroOpIlEEPKllEEPiiNS8_6detail34convert_binary_result_type_wrapperINS8_3SumESH_iEEEE10hipError_tPvRmT1_T2_T3_mT4_P12ihipStream_tbEUlT_E1_NS1_11comp_targetILNS1_3genE0ELNS1_11target_archE4294967295ELNS1_3gpuE0ELNS1_3repE0EEENS1_30default_config_static_selectorELNS0_4arch9wavefront6targetE0EEEvSQ_, .Lfunc_end245-_ZN7rocprim17ROCPRIM_400000_NS6detail17trampoline_kernelINS0_14default_configENS1_22reduce_config_selectorIbEEZNS1_11reduce_implILb1ES3_N6hipcub16HIPCUB_304000_NS22TransformInputIteratorIbN2at6native12_GLOBAL__N_19NonZeroOpIlEEPKllEEPiiNS8_6detail34convert_binary_result_type_wrapperINS8_3SumESH_iEEEE10hipError_tPvRmT1_T2_T3_mT4_P12ihipStream_tbEUlT_E1_NS1_11comp_targetILNS1_3genE0ELNS1_11target_archE4294967295ELNS1_3gpuE0ELNS1_3repE0EEENS1_30default_config_static_selectorELNS0_4arch9wavefront6targetE0EEEvSQ_
                                        ; -- End function
	.section	.AMDGPU.csdata,"",@progbits
; Kernel info:
; codeLenInByte = 0
; NumSgprs: 0
; NumVgprs: 0
; ScratchSize: 0
; MemoryBound: 0
; FloatMode: 240
; IeeeMode: 1
; LDSByteSize: 0 bytes/workgroup (compile time only)
; SGPRBlocks: 0
; VGPRBlocks: 0
; NumSGPRsForWavesPerEU: 1
; NumVGPRsForWavesPerEU: 1
; Occupancy: 16
; WaveLimiterHint : 0
; COMPUTE_PGM_RSRC2:SCRATCH_EN: 0
; COMPUTE_PGM_RSRC2:USER_SGPR: 15
; COMPUTE_PGM_RSRC2:TRAP_HANDLER: 0
; COMPUTE_PGM_RSRC2:TGID_X_EN: 1
; COMPUTE_PGM_RSRC2:TGID_Y_EN: 0
; COMPUTE_PGM_RSRC2:TGID_Z_EN: 0
; COMPUTE_PGM_RSRC2:TIDIG_COMP_CNT: 0
	.section	.text._ZN7rocprim17ROCPRIM_400000_NS6detail17trampoline_kernelINS0_14default_configENS1_22reduce_config_selectorIbEEZNS1_11reduce_implILb1ES3_N6hipcub16HIPCUB_304000_NS22TransformInputIteratorIbN2at6native12_GLOBAL__N_19NonZeroOpIlEEPKllEEPiiNS8_6detail34convert_binary_result_type_wrapperINS8_3SumESH_iEEEE10hipError_tPvRmT1_T2_T3_mT4_P12ihipStream_tbEUlT_E1_NS1_11comp_targetILNS1_3genE5ELNS1_11target_archE942ELNS1_3gpuE9ELNS1_3repE0EEENS1_30default_config_static_selectorELNS0_4arch9wavefront6targetE0EEEvSQ_,"axG",@progbits,_ZN7rocprim17ROCPRIM_400000_NS6detail17trampoline_kernelINS0_14default_configENS1_22reduce_config_selectorIbEEZNS1_11reduce_implILb1ES3_N6hipcub16HIPCUB_304000_NS22TransformInputIteratorIbN2at6native12_GLOBAL__N_19NonZeroOpIlEEPKllEEPiiNS8_6detail34convert_binary_result_type_wrapperINS8_3SumESH_iEEEE10hipError_tPvRmT1_T2_T3_mT4_P12ihipStream_tbEUlT_E1_NS1_11comp_targetILNS1_3genE5ELNS1_11target_archE942ELNS1_3gpuE9ELNS1_3repE0EEENS1_30default_config_static_selectorELNS0_4arch9wavefront6targetE0EEEvSQ_,comdat
	.globl	_ZN7rocprim17ROCPRIM_400000_NS6detail17trampoline_kernelINS0_14default_configENS1_22reduce_config_selectorIbEEZNS1_11reduce_implILb1ES3_N6hipcub16HIPCUB_304000_NS22TransformInputIteratorIbN2at6native12_GLOBAL__N_19NonZeroOpIlEEPKllEEPiiNS8_6detail34convert_binary_result_type_wrapperINS8_3SumESH_iEEEE10hipError_tPvRmT1_T2_T3_mT4_P12ihipStream_tbEUlT_E1_NS1_11comp_targetILNS1_3genE5ELNS1_11target_archE942ELNS1_3gpuE9ELNS1_3repE0EEENS1_30default_config_static_selectorELNS0_4arch9wavefront6targetE0EEEvSQ_ ; -- Begin function _ZN7rocprim17ROCPRIM_400000_NS6detail17trampoline_kernelINS0_14default_configENS1_22reduce_config_selectorIbEEZNS1_11reduce_implILb1ES3_N6hipcub16HIPCUB_304000_NS22TransformInputIteratorIbN2at6native12_GLOBAL__N_19NonZeroOpIlEEPKllEEPiiNS8_6detail34convert_binary_result_type_wrapperINS8_3SumESH_iEEEE10hipError_tPvRmT1_T2_T3_mT4_P12ihipStream_tbEUlT_E1_NS1_11comp_targetILNS1_3genE5ELNS1_11target_archE942ELNS1_3gpuE9ELNS1_3repE0EEENS1_30default_config_static_selectorELNS0_4arch9wavefront6targetE0EEEvSQ_
	.p2align	8
	.type	_ZN7rocprim17ROCPRIM_400000_NS6detail17trampoline_kernelINS0_14default_configENS1_22reduce_config_selectorIbEEZNS1_11reduce_implILb1ES3_N6hipcub16HIPCUB_304000_NS22TransformInputIteratorIbN2at6native12_GLOBAL__N_19NonZeroOpIlEEPKllEEPiiNS8_6detail34convert_binary_result_type_wrapperINS8_3SumESH_iEEEE10hipError_tPvRmT1_T2_T3_mT4_P12ihipStream_tbEUlT_E1_NS1_11comp_targetILNS1_3genE5ELNS1_11target_archE942ELNS1_3gpuE9ELNS1_3repE0EEENS1_30default_config_static_selectorELNS0_4arch9wavefront6targetE0EEEvSQ_,@function
_ZN7rocprim17ROCPRIM_400000_NS6detail17trampoline_kernelINS0_14default_configENS1_22reduce_config_selectorIbEEZNS1_11reduce_implILb1ES3_N6hipcub16HIPCUB_304000_NS22TransformInputIteratorIbN2at6native12_GLOBAL__N_19NonZeroOpIlEEPKllEEPiiNS8_6detail34convert_binary_result_type_wrapperINS8_3SumESH_iEEEE10hipError_tPvRmT1_T2_T3_mT4_P12ihipStream_tbEUlT_E1_NS1_11comp_targetILNS1_3genE5ELNS1_11target_archE942ELNS1_3gpuE9ELNS1_3repE0EEENS1_30default_config_static_selectorELNS0_4arch9wavefront6targetE0EEEvSQ_: ; @_ZN7rocprim17ROCPRIM_400000_NS6detail17trampoline_kernelINS0_14default_configENS1_22reduce_config_selectorIbEEZNS1_11reduce_implILb1ES3_N6hipcub16HIPCUB_304000_NS22TransformInputIteratorIbN2at6native12_GLOBAL__N_19NonZeroOpIlEEPKllEEPiiNS8_6detail34convert_binary_result_type_wrapperINS8_3SumESH_iEEEE10hipError_tPvRmT1_T2_T3_mT4_P12ihipStream_tbEUlT_E1_NS1_11comp_targetILNS1_3genE5ELNS1_11target_archE942ELNS1_3gpuE9ELNS1_3repE0EEENS1_30default_config_static_selectorELNS0_4arch9wavefront6targetE0EEEvSQ_
; %bb.0:
	.section	.rodata,"a",@progbits
	.p2align	6, 0x0
	.amdhsa_kernel _ZN7rocprim17ROCPRIM_400000_NS6detail17trampoline_kernelINS0_14default_configENS1_22reduce_config_selectorIbEEZNS1_11reduce_implILb1ES3_N6hipcub16HIPCUB_304000_NS22TransformInputIteratorIbN2at6native12_GLOBAL__N_19NonZeroOpIlEEPKllEEPiiNS8_6detail34convert_binary_result_type_wrapperINS8_3SumESH_iEEEE10hipError_tPvRmT1_T2_T3_mT4_P12ihipStream_tbEUlT_E1_NS1_11comp_targetILNS1_3genE5ELNS1_11target_archE942ELNS1_3gpuE9ELNS1_3repE0EEENS1_30default_config_static_selectorELNS0_4arch9wavefront6targetE0EEEvSQ_
		.amdhsa_group_segment_fixed_size 0
		.amdhsa_private_segment_fixed_size 0
		.amdhsa_kernarg_size 48
		.amdhsa_user_sgpr_count 15
		.amdhsa_user_sgpr_dispatch_ptr 0
		.amdhsa_user_sgpr_queue_ptr 0
		.amdhsa_user_sgpr_kernarg_segment_ptr 1
		.amdhsa_user_sgpr_dispatch_id 0
		.amdhsa_user_sgpr_private_segment_size 0
		.amdhsa_wavefront_size32 1
		.amdhsa_uses_dynamic_stack 0
		.amdhsa_enable_private_segment 0
		.amdhsa_system_sgpr_workgroup_id_x 1
		.amdhsa_system_sgpr_workgroup_id_y 0
		.amdhsa_system_sgpr_workgroup_id_z 0
		.amdhsa_system_sgpr_workgroup_info 0
		.amdhsa_system_vgpr_workitem_id 0
		.amdhsa_next_free_vgpr 1
		.amdhsa_next_free_sgpr 1
		.amdhsa_reserve_vcc 0
		.amdhsa_float_round_mode_32 0
		.amdhsa_float_round_mode_16_64 0
		.amdhsa_float_denorm_mode_32 3
		.amdhsa_float_denorm_mode_16_64 3
		.amdhsa_dx10_clamp 1
		.amdhsa_ieee_mode 1
		.amdhsa_fp16_overflow 0
		.amdhsa_workgroup_processor_mode 1
		.amdhsa_memory_ordered 1
		.amdhsa_forward_progress 0
		.amdhsa_shared_vgpr_count 0
		.amdhsa_exception_fp_ieee_invalid_op 0
		.amdhsa_exception_fp_denorm_src 0
		.amdhsa_exception_fp_ieee_div_zero 0
		.amdhsa_exception_fp_ieee_overflow 0
		.amdhsa_exception_fp_ieee_underflow 0
		.amdhsa_exception_fp_ieee_inexact 0
		.amdhsa_exception_int_div_zero 0
	.end_amdhsa_kernel
	.section	.text._ZN7rocprim17ROCPRIM_400000_NS6detail17trampoline_kernelINS0_14default_configENS1_22reduce_config_selectorIbEEZNS1_11reduce_implILb1ES3_N6hipcub16HIPCUB_304000_NS22TransformInputIteratorIbN2at6native12_GLOBAL__N_19NonZeroOpIlEEPKllEEPiiNS8_6detail34convert_binary_result_type_wrapperINS8_3SumESH_iEEEE10hipError_tPvRmT1_T2_T3_mT4_P12ihipStream_tbEUlT_E1_NS1_11comp_targetILNS1_3genE5ELNS1_11target_archE942ELNS1_3gpuE9ELNS1_3repE0EEENS1_30default_config_static_selectorELNS0_4arch9wavefront6targetE0EEEvSQ_,"axG",@progbits,_ZN7rocprim17ROCPRIM_400000_NS6detail17trampoline_kernelINS0_14default_configENS1_22reduce_config_selectorIbEEZNS1_11reduce_implILb1ES3_N6hipcub16HIPCUB_304000_NS22TransformInputIteratorIbN2at6native12_GLOBAL__N_19NonZeroOpIlEEPKllEEPiiNS8_6detail34convert_binary_result_type_wrapperINS8_3SumESH_iEEEE10hipError_tPvRmT1_T2_T3_mT4_P12ihipStream_tbEUlT_E1_NS1_11comp_targetILNS1_3genE5ELNS1_11target_archE942ELNS1_3gpuE9ELNS1_3repE0EEENS1_30default_config_static_selectorELNS0_4arch9wavefront6targetE0EEEvSQ_,comdat
.Lfunc_end246:
	.size	_ZN7rocprim17ROCPRIM_400000_NS6detail17trampoline_kernelINS0_14default_configENS1_22reduce_config_selectorIbEEZNS1_11reduce_implILb1ES3_N6hipcub16HIPCUB_304000_NS22TransformInputIteratorIbN2at6native12_GLOBAL__N_19NonZeroOpIlEEPKllEEPiiNS8_6detail34convert_binary_result_type_wrapperINS8_3SumESH_iEEEE10hipError_tPvRmT1_T2_T3_mT4_P12ihipStream_tbEUlT_E1_NS1_11comp_targetILNS1_3genE5ELNS1_11target_archE942ELNS1_3gpuE9ELNS1_3repE0EEENS1_30default_config_static_selectorELNS0_4arch9wavefront6targetE0EEEvSQ_, .Lfunc_end246-_ZN7rocprim17ROCPRIM_400000_NS6detail17trampoline_kernelINS0_14default_configENS1_22reduce_config_selectorIbEEZNS1_11reduce_implILb1ES3_N6hipcub16HIPCUB_304000_NS22TransformInputIteratorIbN2at6native12_GLOBAL__N_19NonZeroOpIlEEPKllEEPiiNS8_6detail34convert_binary_result_type_wrapperINS8_3SumESH_iEEEE10hipError_tPvRmT1_T2_T3_mT4_P12ihipStream_tbEUlT_E1_NS1_11comp_targetILNS1_3genE5ELNS1_11target_archE942ELNS1_3gpuE9ELNS1_3repE0EEENS1_30default_config_static_selectorELNS0_4arch9wavefront6targetE0EEEvSQ_
                                        ; -- End function
	.section	.AMDGPU.csdata,"",@progbits
; Kernel info:
; codeLenInByte = 0
; NumSgprs: 0
; NumVgprs: 0
; ScratchSize: 0
; MemoryBound: 0
; FloatMode: 240
; IeeeMode: 1
; LDSByteSize: 0 bytes/workgroup (compile time only)
; SGPRBlocks: 0
; VGPRBlocks: 0
; NumSGPRsForWavesPerEU: 1
; NumVGPRsForWavesPerEU: 1
; Occupancy: 16
; WaveLimiterHint : 0
; COMPUTE_PGM_RSRC2:SCRATCH_EN: 0
; COMPUTE_PGM_RSRC2:USER_SGPR: 15
; COMPUTE_PGM_RSRC2:TRAP_HANDLER: 0
; COMPUTE_PGM_RSRC2:TGID_X_EN: 1
; COMPUTE_PGM_RSRC2:TGID_Y_EN: 0
; COMPUTE_PGM_RSRC2:TGID_Z_EN: 0
; COMPUTE_PGM_RSRC2:TIDIG_COMP_CNT: 0
	.section	.text._ZN7rocprim17ROCPRIM_400000_NS6detail17trampoline_kernelINS0_14default_configENS1_22reduce_config_selectorIbEEZNS1_11reduce_implILb1ES3_N6hipcub16HIPCUB_304000_NS22TransformInputIteratorIbN2at6native12_GLOBAL__N_19NonZeroOpIlEEPKllEEPiiNS8_6detail34convert_binary_result_type_wrapperINS8_3SumESH_iEEEE10hipError_tPvRmT1_T2_T3_mT4_P12ihipStream_tbEUlT_E1_NS1_11comp_targetILNS1_3genE4ELNS1_11target_archE910ELNS1_3gpuE8ELNS1_3repE0EEENS1_30default_config_static_selectorELNS0_4arch9wavefront6targetE0EEEvSQ_,"axG",@progbits,_ZN7rocprim17ROCPRIM_400000_NS6detail17trampoline_kernelINS0_14default_configENS1_22reduce_config_selectorIbEEZNS1_11reduce_implILb1ES3_N6hipcub16HIPCUB_304000_NS22TransformInputIteratorIbN2at6native12_GLOBAL__N_19NonZeroOpIlEEPKllEEPiiNS8_6detail34convert_binary_result_type_wrapperINS8_3SumESH_iEEEE10hipError_tPvRmT1_T2_T3_mT4_P12ihipStream_tbEUlT_E1_NS1_11comp_targetILNS1_3genE4ELNS1_11target_archE910ELNS1_3gpuE8ELNS1_3repE0EEENS1_30default_config_static_selectorELNS0_4arch9wavefront6targetE0EEEvSQ_,comdat
	.globl	_ZN7rocprim17ROCPRIM_400000_NS6detail17trampoline_kernelINS0_14default_configENS1_22reduce_config_selectorIbEEZNS1_11reduce_implILb1ES3_N6hipcub16HIPCUB_304000_NS22TransformInputIteratorIbN2at6native12_GLOBAL__N_19NonZeroOpIlEEPKllEEPiiNS8_6detail34convert_binary_result_type_wrapperINS8_3SumESH_iEEEE10hipError_tPvRmT1_T2_T3_mT4_P12ihipStream_tbEUlT_E1_NS1_11comp_targetILNS1_3genE4ELNS1_11target_archE910ELNS1_3gpuE8ELNS1_3repE0EEENS1_30default_config_static_selectorELNS0_4arch9wavefront6targetE0EEEvSQ_ ; -- Begin function _ZN7rocprim17ROCPRIM_400000_NS6detail17trampoline_kernelINS0_14default_configENS1_22reduce_config_selectorIbEEZNS1_11reduce_implILb1ES3_N6hipcub16HIPCUB_304000_NS22TransformInputIteratorIbN2at6native12_GLOBAL__N_19NonZeroOpIlEEPKllEEPiiNS8_6detail34convert_binary_result_type_wrapperINS8_3SumESH_iEEEE10hipError_tPvRmT1_T2_T3_mT4_P12ihipStream_tbEUlT_E1_NS1_11comp_targetILNS1_3genE4ELNS1_11target_archE910ELNS1_3gpuE8ELNS1_3repE0EEENS1_30default_config_static_selectorELNS0_4arch9wavefront6targetE0EEEvSQ_
	.p2align	8
	.type	_ZN7rocprim17ROCPRIM_400000_NS6detail17trampoline_kernelINS0_14default_configENS1_22reduce_config_selectorIbEEZNS1_11reduce_implILb1ES3_N6hipcub16HIPCUB_304000_NS22TransformInputIteratorIbN2at6native12_GLOBAL__N_19NonZeroOpIlEEPKllEEPiiNS8_6detail34convert_binary_result_type_wrapperINS8_3SumESH_iEEEE10hipError_tPvRmT1_T2_T3_mT4_P12ihipStream_tbEUlT_E1_NS1_11comp_targetILNS1_3genE4ELNS1_11target_archE910ELNS1_3gpuE8ELNS1_3repE0EEENS1_30default_config_static_selectorELNS0_4arch9wavefront6targetE0EEEvSQ_,@function
_ZN7rocprim17ROCPRIM_400000_NS6detail17trampoline_kernelINS0_14default_configENS1_22reduce_config_selectorIbEEZNS1_11reduce_implILb1ES3_N6hipcub16HIPCUB_304000_NS22TransformInputIteratorIbN2at6native12_GLOBAL__N_19NonZeroOpIlEEPKllEEPiiNS8_6detail34convert_binary_result_type_wrapperINS8_3SumESH_iEEEE10hipError_tPvRmT1_T2_T3_mT4_P12ihipStream_tbEUlT_E1_NS1_11comp_targetILNS1_3genE4ELNS1_11target_archE910ELNS1_3gpuE8ELNS1_3repE0EEENS1_30default_config_static_selectorELNS0_4arch9wavefront6targetE0EEEvSQ_: ; @_ZN7rocprim17ROCPRIM_400000_NS6detail17trampoline_kernelINS0_14default_configENS1_22reduce_config_selectorIbEEZNS1_11reduce_implILb1ES3_N6hipcub16HIPCUB_304000_NS22TransformInputIteratorIbN2at6native12_GLOBAL__N_19NonZeroOpIlEEPKllEEPiiNS8_6detail34convert_binary_result_type_wrapperINS8_3SumESH_iEEEE10hipError_tPvRmT1_T2_T3_mT4_P12ihipStream_tbEUlT_E1_NS1_11comp_targetILNS1_3genE4ELNS1_11target_archE910ELNS1_3gpuE8ELNS1_3repE0EEENS1_30default_config_static_selectorELNS0_4arch9wavefront6targetE0EEEvSQ_
; %bb.0:
	.section	.rodata,"a",@progbits
	.p2align	6, 0x0
	.amdhsa_kernel _ZN7rocprim17ROCPRIM_400000_NS6detail17trampoline_kernelINS0_14default_configENS1_22reduce_config_selectorIbEEZNS1_11reduce_implILb1ES3_N6hipcub16HIPCUB_304000_NS22TransformInputIteratorIbN2at6native12_GLOBAL__N_19NonZeroOpIlEEPKllEEPiiNS8_6detail34convert_binary_result_type_wrapperINS8_3SumESH_iEEEE10hipError_tPvRmT1_T2_T3_mT4_P12ihipStream_tbEUlT_E1_NS1_11comp_targetILNS1_3genE4ELNS1_11target_archE910ELNS1_3gpuE8ELNS1_3repE0EEENS1_30default_config_static_selectorELNS0_4arch9wavefront6targetE0EEEvSQ_
		.amdhsa_group_segment_fixed_size 0
		.amdhsa_private_segment_fixed_size 0
		.amdhsa_kernarg_size 48
		.amdhsa_user_sgpr_count 15
		.amdhsa_user_sgpr_dispatch_ptr 0
		.amdhsa_user_sgpr_queue_ptr 0
		.amdhsa_user_sgpr_kernarg_segment_ptr 1
		.amdhsa_user_sgpr_dispatch_id 0
		.amdhsa_user_sgpr_private_segment_size 0
		.amdhsa_wavefront_size32 1
		.amdhsa_uses_dynamic_stack 0
		.amdhsa_enable_private_segment 0
		.amdhsa_system_sgpr_workgroup_id_x 1
		.amdhsa_system_sgpr_workgroup_id_y 0
		.amdhsa_system_sgpr_workgroup_id_z 0
		.amdhsa_system_sgpr_workgroup_info 0
		.amdhsa_system_vgpr_workitem_id 0
		.amdhsa_next_free_vgpr 1
		.amdhsa_next_free_sgpr 1
		.amdhsa_reserve_vcc 0
		.amdhsa_float_round_mode_32 0
		.amdhsa_float_round_mode_16_64 0
		.amdhsa_float_denorm_mode_32 3
		.amdhsa_float_denorm_mode_16_64 3
		.amdhsa_dx10_clamp 1
		.amdhsa_ieee_mode 1
		.amdhsa_fp16_overflow 0
		.amdhsa_workgroup_processor_mode 1
		.amdhsa_memory_ordered 1
		.amdhsa_forward_progress 0
		.amdhsa_shared_vgpr_count 0
		.amdhsa_exception_fp_ieee_invalid_op 0
		.amdhsa_exception_fp_denorm_src 0
		.amdhsa_exception_fp_ieee_div_zero 0
		.amdhsa_exception_fp_ieee_overflow 0
		.amdhsa_exception_fp_ieee_underflow 0
		.amdhsa_exception_fp_ieee_inexact 0
		.amdhsa_exception_int_div_zero 0
	.end_amdhsa_kernel
	.section	.text._ZN7rocprim17ROCPRIM_400000_NS6detail17trampoline_kernelINS0_14default_configENS1_22reduce_config_selectorIbEEZNS1_11reduce_implILb1ES3_N6hipcub16HIPCUB_304000_NS22TransformInputIteratorIbN2at6native12_GLOBAL__N_19NonZeroOpIlEEPKllEEPiiNS8_6detail34convert_binary_result_type_wrapperINS8_3SumESH_iEEEE10hipError_tPvRmT1_T2_T3_mT4_P12ihipStream_tbEUlT_E1_NS1_11comp_targetILNS1_3genE4ELNS1_11target_archE910ELNS1_3gpuE8ELNS1_3repE0EEENS1_30default_config_static_selectorELNS0_4arch9wavefront6targetE0EEEvSQ_,"axG",@progbits,_ZN7rocprim17ROCPRIM_400000_NS6detail17trampoline_kernelINS0_14default_configENS1_22reduce_config_selectorIbEEZNS1_11reduce_implILb1ES3_N6hipcub16HIPCUB_304000_NS22TransformInputIteratorIbN2at6native12_GLOBAL__N_19NonZeroOpIlEEPKllEEPiiNS8_6detail34convert_binary_result_type_wrapperINS8_3SumESH_iEEEE10hipError_tPvRmT1_T2_T3_mT4_P12ihipStream_tbEUlT_E1_NS1_11comp_targetILNS1_3genE4ELNS1_11target_archE910ELNS1_3gpuE8ELNS1_3repE0EEENS1_30default_config_static_selectorELNS0_4arch9wavefront6targetE0EEEvSQ_,comdat
.Lfunc_end247:
	.size	_ZN7rocprim17ROCPRIM_400000_NS6detail17trampoline_kernelINS0_14default_configENS1_22reduce_config_selectorIbEEZNS1_11reduce_implILb1ES3_N6hipcub16HIPCUB_304000_NS22TransformInputIteratorIbN2at6native12_GLOBAL__N_19NonZeroOpIlEEPKllEEPiiNS8_6detail34convert_binary_result_type_wrapperINS8_3SumESH_iEEEE10hipError_tPvRmT1_T2_T3_mT4_P12ihipStream_tbEUlT_E1_NS1_11comp_targetILNS1_3genE4ELNS1_11target_archE910ELNS1_3gpuE8ELNS1_3repE0EEENS1_30default_config_static_selectorELNS0_4arch9wavefront6targetE0EEEvSQ_, .Lfunc_end247-_ZN7rocprim17ROCPRIM_400000_NS6detail17trampoline_kernelINS0_14default_configENS1_22reduce_config_selectorIbEEZNS1_11reduce_implILb1ES3_N6hipcub16HIPCUB_304000_NS22TransformInputIteratorIbN2at6native12_GLOBAL__N_19NonZeroOpIlEEPKllEEPiiNS8_6detail34convert_binary_result_type_wrapperINS8_3SumESH_iEEEE10hipError_tPvRmT1_T2_T3_mT4_P12ihipStream_tbEUlT_E1_NS1_11comp_targetILNS1_3genE4ELNS1_11target_archE910ELNS1_3gpuE8ELNS1_3repE0EEENS1_30default_config_static_selectorELNS0_4arch9wavefront6targetE0EEEvSQ_
                                        ; -- End function
	.section	.AMDGPU.csdata,"",@progbits
; Kernel info:
; codeLenInByte = 0
; NumSgprs: 0
; NumVgprs: 0
; ScratchSize: 0
; MemoryBound: 0
; FloatMode: 240
; IeeeMode: 1
; LDSByteSize: 0 bytes/workgroup (compile time only)
; SGPRBlocks: 0
; VGPRBlocks: 0
; NumSGPRsForWavesPerEU: 1
; NumVGPRsForWavesPerEU: 1
; Occupancy: 16
; WaveLimiterHint : 0
; COMPUTE_PGM_RSRC2:SCRATCH_EN: 0
; COMPUTE_PGM_RSRC2:USER_SGPR: 15
; COMPUTE_PGM_RSRC2:TRAP_HANDLER: 0
; COMPUTE_PGM_RSRC2:TGID_X_EN: 1
; COMPUTE_PGM_RSRC2:TGID_Y_EN: 0
; COMPUTE_PGM_RSRC2:TGID_Z_EN: 0
; COMPUTE_PGM_RSRC2:TIDIG_COMP_CNT: 0
	.section	.text._ZN7rocprim17ROCPRIM_400000_NS6detail17trampoline_kernelINS0_14default_configENS1_22reduce_config_selectorIbEEZNS1_11reduce_implILb1ES3_N6hipcub16HIPCUB_304000_NS22TransformInputIteratorIbN2at6native12_GLOBAL__N_19NonZeroOpIlEEPKllEEPiiNS8_6detail34convert_binary_result_type_wrapperINS8_3SumESH_iEEEE10hipError_tPvRmT1_T2_T3_mT4_P12ihipStream_tbEUlT_E1_NS1_11comp_targetILNS1_3genE3ELNS1_11target_archE908ELNS1_3gpuE7ELNS1_3repE0EEENS1_30default_config_static_selectorELNS0_4arch9wavefront6targetE0EEEvSQ_,"axG",@progbits,_ZN7rocprim17ROCPRIM_400000_NS6detail17trampoline_kernelINS0_14default_configENS1_22reduce_config_selectorIbEEZNS1_11reduce_implILb1ES3_N6hipcub16HIPCUB_304000_NS22TransformInputIteratorIbN2at6native12_GLOBAL__N_19NonZeroOpIlEEPKllEEPiiNS8_6detail34convert_binary_result_type_wrapperINS8_3SumESH_iEEEE10hipError_tPvRmT1_T2_T3_mT4_P12ihipStream_tbEUlT_E1_NS1_11comp_targetILNS1_3genE3ELNS1_11target_archE908ELNS1_3gpuE7ELNS1_3repE0EEENS1_30default_config_static_selectorELNS0_4arch9wavefront6targetE0EEEvSQ_,comdat
	.globl	_ZN7rocprim17ROCPRIM_400000_NS6detail17trampoline_kernelINS0_14default_configENS1_22reduce_config_selectorIbEEZNS1_11reduce_implILb1ES3_N6hipcub16HIPCUB_304000_NS22TransformInputIteratorIbN2at6native12_GLOBAL__N_19NonZeroOpIlEEPKllEEPiiNS8_6detail34convert_binary_result_type_wrapperINS8_3SumESH_iEEEE10hipError_tPvRmT1_T2_T3_mT4_P12ihipStream_tbEUlT_E1_NS1_11comp_targetILNS1_3genE3ELNS1_11target_archE908ELNS1_3gpuE7ELNS1_3repE0EEENS1_30default_config_static_selectorELNS0_4arch9wavefront6targetE0EEEvSQ_ ; -- Begin function _ZN7rocprim17ROCPRIM_400000_NS6detail17trampoline_kernelINS0_14default_configENS1_22reduce_config_selectorIbEEZNS1_11reduce_implILb1ES3_N6hipcub16HIPCUB_304000_NS22TransformInputIteratorIbN2at6native12_GLOBAL__N_19NonZeroOpIlEEPKllEEPiiNS8_6detail34convert_binary_result_type_wrapperINS8_3SumESH_iEEEE10hipError_tPvRmT1_T2_T3_mT4_P12ihipStream_tbEUlT_E1_NS1_11comp_targetILNS1_3genE3ELNS1_11target_archE908ELNS1_3gpuE7ELNS1_3repE0EEENS1_30default_config_static_selectorELNS0_4arch9wavefront6targetE0EEEvSQ_
	.p2align	8
	.type	_ZN7rocprim17ROCPRIM_400000_NS6detail17trampoline_kernelINS0_14default_configENS1_22reduce_config_selectorIbEEZNS1_11reduce_implILb1ES3_N6hipcub16HIPCUB_304000_NS22TransformInputIteratorIbN2at6native12_GLOBAL__N_19NonZeroOpIlEEPKllEEPiiNS8_6detail34convert_binary_result_type_wrapperINS8_3SumESH_iEEEE10hipError_tPvRmT1_T2_T3_mT4_P12ihipStream_tbEUlT_E1_NS1_11comp_targetILNS1_3genE3ELNS1_11target_archE908ELNS1_3gpuE7ELNS1_3repE0EEENS1_30default_config_static_selectorELNS0_4arch9wavefront6targetE0EEEvSQ_,@function
_ZN7rocprim17ROCPRIM_400000_NS6detail17trampoline_kernelINS0_14default_configENS1_22reduce_config_selectorIbEEZNS1_11reduce_implILb1ES3_N6hipcub16HIPCUB_304000_NS22TransformInputIteratorIbN2at6native12_GLOBAL__N_19NonZeroOpIlEEPKllEEPiiNS8_6detail34convert_binary_result_type_wrapperINS8_3SumESH_iEEEE10hipError_tPvRmT1_T2_T3_mT4_P12ihipStream_tbEUlT_E1_NS1_11comp_targetILNS1_3genE3ELNS1_11target_archE908ELNS1_3gpuE7ELNS1_3repE0EEENS1_30default_config_static_selectorELNS0_4arch9wavefront6targetE0EEEvSQ_: ; @_ZN7rocprim17ROCPRIM_400000_NS6detail17trampoline_kernelINS0_14default_configENS1_22reduce_config_selectorIbEEZNS1_11reduce_implILb1ES3_N6hipcub16HIPCUB_304000_NS22TransformInputIteratorIbN2at6native12_GLOBAL__N_19NonZeroOpIlEEPKllEEPiiNS8_6detail34convert_binary_result_type_wrapperINS8_3SumESH_iEEEE10hipError_tPvRmT1_T2_T3_mT4_P12ihipStream_tbEUlT_E1_NS1_11comp_targetILNS1_3genE3ELNS1_11target_archE908ELNS1_3gpuE7ELNS1_3repE0EEENS1_30default_config_static_selectorELNS0_4arch9wavefront6targetE0EEEvSQ_
; %bb.0:
	.section	.rodata,"a",@progbits
	.p2align	6, 0x0
	.amdhsa_kernel _ZN7rocprim17ROCPRIM_400000_NS6detail17trampoline_kernelINS0_14default_configENS1_22reduce_config_selectorIbEEZNS1_11reduce_implILb1ES3_N6hipcub16HIPCUB_304000_NS22TransformInputIteratorIbN2at6native12_GLOBAL__N_19NonZeroOpIlEEPKllEEPiiNS8_6detail34convert_binary_result_type_wrapperINS8_3SumESH_iEEEE10hipError_tPvRmT1_T2_T3_mT4_P12ihipStream_tbEUlT_E1_NS1_11comp_targetILNS1_3genE3ELNS1_11target_archE908ELNS1_3gpuE7ELNS1_3repE0EEENS1_30default_config_static_selectorELNS0_4arch9wavefront6targetE0EEEvSQ_
		.amdhsa_group_segment_fixed_size 0
		.amdhsa_private_segment_fixed_size 0
		.amdhsa_kernarg_size 48
		.amdhsa_user_sgpr_count 15
		.amdhsa_user_sgpr_dispatch_ptr 0
		.amdhsa_user_sgpr_queue_ptr 0
		.amdhsa_user_sgpr_kernarg_segment_ptr 1
		.amdhsa_user_sgpr_dispatch_id 0
		.amdhsa_user_sgpr_private_segment_size 0
		.amdhsa_wavefront_size32 1
		.amdhsa_uses_dynamic_stack 0
		.amdhsa_enable_private_segment 0
		.amdhsa_system_sgpr_workgroup_id_x 1
		.amdhsa_system_sgpr_workgroup_id_y 0
		.amdhsa_system_sgpr_workgroup_id_z 0
		.amdhsa_system_sgpr_workgroup_info 0
		.amdhsa_system_vgpr_workitem_id 0
		.amdhsa_next_free_vgpr 1
		.amdhsa_next_free_sgpr 1
		.amdhsa_reserve_vcc 0
		.amdhsa_float_round_mode_32 0
		.amdhsa_float_round_mode_16_64 0
		.amdhsa_float_denorm_mode_32 3
		.amdhsa_float_denorm_mode_16_64 3
		.amdhsa_dx10_clamp 1
		.amdhsa_ieee_mode 1
		.amdhsa_fp16_overflow 0
		.amdhsa_workgroup_processor_mode 1
		.amdhsa_memory_ordered 1
		.amdhsa_forward_progress 0
		.amdhsa_shared_vgpr_count 0
		.amdhsa_exception_fp_ieee_invalid_op 0
		.amdhsa_exception_fp_denorm_src 0
		.amdhsa_exception_fp_ieee_div_zero 0
		.amdhsa_exception_fp_ieee_overflow 0
		.amdhsa_exception_fp_ieee_underflow 0
		.amdhsa_exception_fp_ieee_inexact 0
		.amdhsa_exception_int_div_zero 0
	.end_amdhsa_kernel
	.section	.text._ZN7rocprim17ROCPRIM_400000_NS6detail17trampoline_kernelINS0_14default_configENS1_22reduce_config_selectorIbEEZNS1_11reduce_implILb1ES3_N6hipcub16HIPCUB_304000_NS22TransformInputIteratorIbN2at6native12_GLOBAL__N_19NonZeroOpIlEEPKllEEPiiNS8_6detail34convert_binary_result_type_wrapperINS8_3SumESH_iEEEE10hipError_tPvRmT1_T2_T3_mT4_P12ihipStream_tbEUlT_E1_NS1_11comp_targetILNS1_3genE3ELNS1_11target_archE908ELNS1_3gpuE7ELNS1_3repE0EEENS1_30default_config_static_selectorELNS0_4arch9wavefront6targetE0EEEvSQ_,"axG",@progbits,_ZN7rocprim17ROCPRIM_400000_NS6detail17trampoline_kernelINS0_14default_configENS1_22reduce_config_selectorIbEEZNS1_11reduce_implILb1ES3_N6hipcub16HIPCUB_304000_NS22TransformInputIteratorIbN2at6native12_GLOBAL__N_19NonZeroOpIlEEPKllEEPiiNS8_6detail34convert_binary_result_type_wrapperINS8_3SumESH_iEEEE10hipError_tPvRmT1_T2_T3_mT4_P12ihipStream_tbEUlT_E1_NS1_11comp_targetILNS1_3genE3ELNS1_11target_archE908ELNS1_3gpuE7ELNS1_3repE0EEENS1_30default_config_static_selectorELNS0_4arch9wavefront6targetE0EEEvSQ_,comdat
.Lfunc_end248:
	.size	_ZN7rocprim17ROCPRIM_400000_NS6detail17trampoline_kernelINS0_14default_configENS1_22reduce_config_selectorIbEEZNS1_11reduce_implILb1ES3_N6hipcub16HIPCUB_304000_NS22TransformInputIteratorIbN2at6native12_GLOBAL__N_19NonZeroOpIlEEPKllEEPiiNS8_6detail34convert_binary_result_type_wrapperINS8_3SumESH_iEEEE10hipError_tPvRmT1_T2_T3_mT4_P12ihipStream_tbEUlT_E1_NS1_11comp_targetILNS1_3genE3ELNS1_11target_archE908ELNS1_3gpuE7ELNS1_3repE0EEENS1_30default_config_static_selectorELNS0_4arch9wavefront6targetE0EEEvSQ_, .Lfunc_end248-_ZN7rocprim17ROCPRIM_400000_NS6detail17trampoline_kernelINS0_14default_configENS1_22reduce_config_selectorIbEEZNS1_11reduce_implILb1ES3_N6hipcub16HIPCUB_304000_NS22TransformInputIteratorIbN2at6native12_GLOBAL__N_19NonZeroOpIlEEPKllEEPiiNS8_6detail34convert_binary_result_type_wrapperINS8_3SumESH_iEEEE10hipError_tPvRmT1_T2_T3_mT4_P12ihipStream_tbEUlT_E1_NS1_11comp_targetILNS1_3genE3ELNS1_11target_archE908ELNS1_3gpuE7ELNS1_3repE0EEENS1_30default_config_static_selectorELNS0_4arch9wavefront6targetE0EEEvSQ_
                                        ; -- End function
	.section	.AMDGPU.csdata,"",@progbits
; Kernel info:
; codeLenInByte = 0
; NumSgprs: 0
; NumVgprs: 0
; ScratchSize: 0
; MemoryBound: 0
; FloatMode: 240
; IeeeMode: 1
; LDSByteSize: 0 bytes/workgroup (compile time only)
; SGPRBlocks: 0
; VGPRBlocks: 0
; NumSGPRsForWavesPerEU: 1
; NumVGPRsForWavesPerEU: 1
; Occupancy: 16
; WaveLimiterHint : 0
; COMPUTE_PGM_RSRC2:SCRATCH_EN: 0
; COMPUTE_PGM_RSRC2:USER_SGPR: 15
; COMPUTE_PGM_RSRC2:TRAP_HANDLER: 0
; COMPUTE_PGM_RSRC2:TGID_X_EN: 1
; COMPUTE_PGM_RSRC2:TGID_Y_EN: 0
; COMPUTE_PGM_RSRC2:TGID_Z_EN: 0
; COMPUTE_PGM_RSRC2:TIDIG_COMP_CNT: 0
	.section	.text._ZN7rocprim17ROCPRIM_400000_NS6detail17trampoline_kernelINS0_14default_configENS1_22reduce_config_selectorIbEEZNS1_11reduce_implILb1ES3_N6hipcub16HIPCUB_304000_NS22TransformInputIteratorIbN2at6native12_GLOBAL__N_19NonZeroOpIlEEPKllEEPiiNS8_6detail34convert_binary_result_type_wrapperINS8_3SumESH_iEEEE10hipError_tPvRmT1_T2_T3_mT4_P12ihipStream_tbEUlT_E1_NS1_11comp_targetILNS1_3genE2ELNS1_11target_archE906ELNS1_3gpuE6ELNS1_3repE0EEENS1_30default_config_static_selectorELNS0_4arch9wavefront6targetE0EEEvSQ_,"axG",@progbits,_ZN7rocprim17ROCPRIM_400000_NS6detail17trampoline_kernelINS0_14default_configENS1_22reduce_config_selectorIbEEZNS1_11reduce_implILb1ES3_N6hipcub16HIPCUB_304000_NS22TransformInputIteratorIbN2at6native12_GLOBAL__N_19NonZeroOpIlEEPKllEEPiiNS8_6detail34convert_binary_result_type_wrapperINS8_3SumESH_iEEEE10hipError_tPvRmT1_T2_T3_mT4_P12ihipStream_tbEUlT_E1_NS1_11comp_targetILNS1_3genE2ELNS1_11target_archE906ELNS1_3gpuE6ELNS1_3repE0EEENS1_30default_config_static_selectorELNS0_4arch9wavefront6targetE0EEEvSQ_,comdat
	.globl	_ZN7rocprim17ROCPRIM_400000_NS6detail17trampoline_kernelINS0_14default_configENS1_22reduce_config_selectorIbEEZNS1_11reduce_implILb1ES3_N6hipcub16HIPCUB_304000_NS22TransformInputIteratorIbN2at6native12_GLOBAL__N_19NonZeroOpIlEEPKllEEPiiNS8_6detail34convert_binary_result_type_wrapperINS8_3SumESH_iEEEE10hipError_tPvRmT1_T2_T3_mT4_P12ihipStream_tbEUlT_E1_NS1_11comp_targetILNS1_3genE2ELNS1_11target_archE906ELNS1_3gpuE6ELNS1_3repE0EEENS1_30default_config_static_selectorELNS0_4arch9wavefront6targetE0EEEvSQ_ ; -- Begin function _ZN7rocprim17ROCPRIM_400000_NS6detail17trampoline_kernelINS0_14default_configENS1_22reduce_config_selectorIbEEZNS1_11reduce_implILb1ES3_N6hipcub16HIPCUB_304000_NS22TransformInputIteratorIbN2at6native12_GLOBAL__N_19NonZeroOpIlEEPKllEEPiiNS8_6detail34convert_binary_result_type_wrapperINS8_3SumESH_iEEEE10hipError_tPvRmT1_T2_T3_mT4_P12ihipStream_tbEUlT_E1_NS1_11comp_targetILNS1_3genE2ELNS1_11target_archE906ELNS1_3gpuE6ELNS1_3repE0EEENS1_30default_config_static_selectorELNS0_4arch9wavefront6targetE0EEEvSQ_
	.p2align	8
	.type	_ZN7rocprim17ROCPRIM_400000_NS6detail17trampoline_kernelINS0_14default_configENS1_22reduce_config_selectorIbEEZNS1_11reduce_implILb1ES3_N6hipcub16HIPCUB_304000_NS22TransformInputIteratorIbN2at6native12_GLOBAL__N_19NonZeroOpIlEEPKllEEPiiNS8_6detail34convert_binary_result_type_wrapperINS8_3SumESH_iEEEE10hipError_tPvRmT1_T2_T3_mT4_P12ihipStream_tbEUlT_E1_NS1_11comp_targetILNS1_3genE2ELNS1_11target_archE906ELNS1_3gpuE6ELNS1_3repE0EEENS1_30default_config_static_selectorELNS0_4arch9wavefront6targetE0EEEvSQ_,@function
_ZN7rocprim17ROCPRIM_400000_NS6detail17trampoline_kernelINS0_14default_configENS1_22reduce_config_selectorIbEEZNS1_11reduce_implILb1ES3_N6hipcub16HIPCUB_304000_NS22TransformInputIteratorIbN2at6native12_GLOBAL__N_19NonZeroOpIlEEPKllEEPiiNS8_6detail34convert_binary_result_type_wrapperINS8_3SumESH_iEEEE10hipError_tPvRmT1_T2_T3_mT4_P12ihipStream_tbEUlT_E1_NS1_11comp_targetILNS1_3genE2ELNS1_11target_archE906ELNS1_3gpuE6ELNS1_3repE0EEENS1_30default_config_static_selectorELNS0_4arch9wavefront6targetE0EEEvSQ_: ; @_ZN7rocprim17ROCPRIM_400000_NS6detail17trampoline_kernelINS0_14default_configENS1_22reduce_config_selectorIbEEZNS1_11reduce_implILb1ES3_N6hipcub16HIPCUB_304000_NS22TransformInputIteratorIbN2at6native12_GLOBAL__N_19NonZeroOpIlEEPKllEEPiiNS8_6detail34convert_binary_result_type_wrapperINS8_3SumESH_iEEEE10hipError_tPvRmT1_T2_T3_mT4_P12ihipStream_tbEUlT_E1_NS1_11comp_targetILNS1_3genE2ELNS1_11target_archE906ELNS1_3gpuE6ELNS1_3repE0EEENS1_30default_config_static_selectorELNS0_4arch9wavefront6targetE0EEEvSQ_
; %bb.0:
	.section	.rodata,"a",@progbits
	.p2align	6, 0x0
	.amdhsa_kernel _ZN7rocprim17ROCPRIM_400000_NS6detail17trampoline_kernelINS0_14default_configENS1_22reduce_config_selectorIbEEZNS1_11reduce_implILb1ES3_N6hipcub16HIPCUB_304000_NS22TransformInputIteratorIbN2at6native12_GLOBAL__N_19NonZeroOpIlEEPKllEEPiiNS8_6detail34convert_binary_result_type_wrapperINS8_3SumESH_iEEEE10hipError_tPvRmT1_T2_T3_mT4_P12ihipStream_tbEUlT_E1_NS1_11comp_targetILNS1_3genE2ELNS1_11target_archE906ELNS1_3gpuE6ELNS1_3repE0EEENS1_30default_config_static_selectorELNS0_4arch9wavefront6targetE0EEEvSQ_
		.amdhsa_group_segment_fixed_size 0
		.amdhsa_private_segment_fixed_size 0
		.amdhsa_kernarg_size 48
		.amdhsa_user_sgpr_count 15
		.amdhsa_user_sgpr_dispatch_ptr 0
		.amdhsa_user_sgpr_queue_ptr 0
		.amdhsa_user_sgpr_kernarg_segment_ptr 1
		.amdhsa_user_sgpr_dispatch_id 0
		.amdhsa_user_sgpr_private_segment_size 0
		.amdhsa_wavefront_size32 1
		.amdhsa_uses_dynamic_stack 0
		.amdhsa_enable_private_segment 0
		.amdhsa_system_sgpr_workgroup_id_x 1
		.amdhsa_system_sgpr_workgroup_id_y 0
		.amdhsa_system_sgpr_workgroup_id_z 0
		.amdhsa_system_sgpr_workgroup_info 0
		.amdhsa_system_vgpr_workitem_id 0
		.amdhsa_next_free_vgpr 1
		.amdhsa_next_free_sgpr 1
		.amdhsa_reserve_vcc 0
		.amdhsa_float_round_mode_32 0
		.amdhsa_float_round_mode_16_64 0
		.amdhsa_float_denorm_mode_32 3
		.amdhsa_float_denorm_mode_16_64 3
		.amdhsa_dx10_clamp 1
		.amdhsa_ieee_mode 1
		.amdhsa_fp16_overflow 0
		.amdhsa_workgroup_processor_mode 1
		.amdhsa_memory_ordered 1
		.amdhsa_forward_progress 0
		.amdhsa_shared_vgpr_count 0
		.amdhsa_exception_fp_ieee_invalid_op 0
		.amdhsa_exception_fp_denorm_src 0
		.amdhsa_exception_fp_ieee_div_zero 0
		.amdhsa_exception_fp_ieee_overflow 0
		.amdhsa_exception_fp_ieee_underflow 0
		.amdhsa_exception_fp_ieee_inexact 0
		.amdhsa_exception_int_div_zero 0
	.end_amdhsa_kernel
	.section	.text._ZN7rocprim17ROCPRIM_400000_NS6detail17trampoline_kernelINS0_14default_configENS1_22reduce_config_selectorIbEEZNS1_11reduce_implILb1ES3_N6hipcub16HIPCUB_304000_NS22TransformInputIteratorIbN2at6native12_GLOBAL__N_19NonZeroOpIlEEPKllEEPiiNS8_6detail34convert_binary_result_type_wrapperINS8_3SumESH_iEEEE10hipError_tPvRmT1_T2_T3_mT4_P12ihipStream_tbEUlT_E1_NS1_11comp_targetILNS1_3genE2ELNS1_11target_archE906ELNS1_3gpuE6ELNS1_3repE0EEENS1_30default_config_static_selectorELNS0_4arch9wavefront6targetE0EEEvSQ_,"axG",@progbits,_ZN7rocprim17ROCPRIM_400000_NS6detail17trampoline_kernelINS0_14default_configENS1_22reduce_config_selectorIbEEZNS1_11reduce_implILb1ES3_N6hipcub16HIPCUB_304000_NS22TransformInputIteratorIbN2at6native12_GLOBAL__N_19NonZeroOpIlEEPKllEEPiiNS8_6detail34convert_binary_result_type_wrapperINS8_3SumESH_iEEEE10hipError_tPvRmT1_T2_T3_mT4_P12ihipStream_tbEUlT_E1_NS1_11comp_targetILNS1_3genE2ELNS1_11target_archE906ELNS1_3gpuE6ELNS1_3repE0EEENS1_30default_config_static_selectorELNS0_4arch9wavefront6targetE0EEEvSQ_,comdat
.Lfunc_end249:
	.size	_ZN7rocprim17ROCPRIM_400000_NS6detail17trampoline_kernelINS0_14default_configENS1_22reduce_config_selectorIbEEZNS1_11reduce_implILb1ES3_N6hipcub16HIPCUB_304000_NS22TransformInputIteratorIbN2at6native12_GLOBAL__N_19NonZeroOpIlEEPKllEEPiiNS8_6detail34convert_binary_result_type_wrapperINS8_3SumESH_iEEEE10hipError_tPvRmT1_T2_T3_mT4_P12ihipStream_tbEUlT_E1_NS1_11comp_targetILNS1_3genE2ELNS1_11target_archE906ELNS1_3gpuE6ELNS1_3repE0EEENS1_30default_config_static_selectorELNS0_4arch9wavefront6targetE0EEEvSQ_, .Lfunc_end249-_ZN7rocprim17ROCPRIM_400000_NS6detail17trampoline_kernelINS0_14default_configENS1_22reduce_config_selectorIbEEZNS1_11reduce_implILb1ES3_N6hipcub16HIPCUB_304000_NS22TransformInputIteratorIbN2at6native12_GLOBAL__N_19NonZeroOpIlEEPKllEEPiiNS8_6detail34convert_binary_result_type_wrapperINS8_3SumESH_iEEEE10hipError_tPvRmT1_T2_T3_mT4_P12ihipStream_tbEUlT_E1_NS1_11comp_targetILNS1_3genE2ELNS1_11target_archE906ELNS1_3gpuE6ELNS1_3repE0EEENS1_30default_config_static_selectorELNS0_4arch9wavefront6targetE0EEEvSQ_
                                        ; -- End function
	.section	.AMDGPU.csdata,"",@progbits
; Kernel info:
; codeLenInByte = 0
; NumSgprs: 0
; NumVgprs: 0
; ScratchSize: 0
; MemoryBound: 0
; FloatMode: 240
; IeeeMode: 1
; LDSByteSize: 0 bytes/workgroup (compile time only)
; SGPRBlocks: 0
; VGPRBlocks: 0
; NumSGPRsForWavesPerEU: 1
; NumVGPRsForWavesPerEU: 1
; Occupancy: 16
; WaveLimiterHint : 0
; COMPUTE_PGM_RSRC2:SCRATCH_EN: 0
; COMPUTE_PGM_RSRC2:USER_SGPR: 15
; COMPUTE_PGM_RSRC2:TRAP_HANDLER: 0
; COMPUTE_PGM_RSRC2:TGID_X_EN: 1
; COMPUTE_PGM_RSRC2:TGID_Y_EN: 0
; COMPUTE_PGM_RSRC2:TGID_Z_EN: 0
; COMPUTE_PGM_RSRC2:TIDIG_COMP_CNT: 0
	.section	.text._ZN7rocprim17ROCPRIM_400000_NS6detail17trampoline_kernelINS0_14default_configENS1_22reduce_config_selectorIbEEZNS1_11reduce_implILb1ES3_N6hipcub16HIPCUB_304000_NS22TransformInputIteratorIbN2at6native12_GLOBAL__N_19NonZeroOpIlEEPKllEEPiiNS8_6detail34convert_binary_result_type_wrapperINS8_3SumESH_iEEEE10hipError_tPvRmT1_T2_T3_mT4_P12ihipStream_tbEUlT_E1_NS1_11comp_targetILNS1_3genE10ELNS1_11target_archE1201ELNS1_3gpuE5ELNS1_3repE0EEENS1_30default_config_static_selectorELNS0_4arch9wavefront6targetE0EEEvSQ_,"axG",@progbits,_ZN7rocprim17ROCPRIM_400000_NS6detail17trampoline_kernelINS0_14default_configENS1_22reduce_config_selectorIbEEZNS1_11reduce_implILb1ES3_N6hipcub16HIPCUB_304000_NS22TransformInputIteratorIbN2at6native12_GLOBAL__N_19NonZeroOpIlEEPKllEEPiiNS8_6detail34convert_binary_result_type_wrapperINS8_3SumESH_iEEEE10hipError_tPvRmT1_T2_T3_mT4_P12ihipStream_tbEUlT_E1_NS1_11comp_targetILNS1_3genE10ELNS1_11target_archE1201ELNS1_3gpuE5ELNS1_3repE0EEENS1_30default_config_static_selectorELNS0_4arch9wavefront6targetE0EEEvSQ_,comdat
	.globl	_ZN7rocprim17ROCPRIM_400000_NS6detail17trampoline_kernelINS0_14default_configENS1_22reduce_config_selectorIbEEZNS1_11reduce_implILb1ES3_N6hipcub16HIPCUB_304000_NS22TransformInputIteratorIbN2at6native12_GLOBAL__N_19NonZeroOpIlEEPKllEEPiiNS8_6detail34convert_binary_result_type_wrapperINS8_3SumESH_iEEEE10hipError_tPvRmT1_T2_T3_mT4_P12ihipStream_tbEUlT_E1_NS1_11comp_targetILNS1_3genE10ELNS1_11target_archE1201ELNS1_3gpuE5ELNS1_3repE0EEENS1_30default_config_static_selectorELNS0_4arch9wavefront6targetE0EEEvSQ_ ; -- Begin function _ZN7rocprim17ROCPRIM_400000_NS6detail17trampoline_kernelINS0_14default_configENS1_22reduce_config_selectorIbEEZNS1_11reduce_implILb1ES3_N6hipcub16HIPCUB_304000_NS22TransformInputIteratorIbN2at6native12_GLOBAL__N_19NonZeroOpIlEEPKllEEPiiNS8_6detail34convert_binary_result_type_wrapperINS8_3SumESH_iEEEE10hipError_tPvRmT1_T2_T3_mT4_P12ihipStream_tbEUlT_E1_NS1_11comp_targetILNS1_3genE10ELNS1_11target_archE1201ELNS1_3gpuE5ELNS1_3repE0EEENS1_30default_config_static_selectorELNS0_4arch9wavefront6targetE0EEEvSQ_
	.p2align	8
	.type	_ZN7rocprim17ROCPRIM_400000_NS6detail17trampoline_kernelINS0_14default_configENS1_22reduce_config_selectorIbEEZNS1_11reduce_implILb1ES3_N6hipcub16HIPCUB_304000_NS22TransformInputIteratorIbN2at6native12_GLOBAL__N_19NonZeroOpIlEEPKllEEPiiNS8_6detail34convert_binary_result_type_wrapperINS8_3SumESH_iEEEE10hipError_tPvRmT1_T2_T3_mT4_P12ihipStream_tbEUlT_E1_NS1_11comp_targetILNS1_3genE10ELNS1_11target_archE1201ELNS1_3gpuE5ELNS1_3repE0EEENS1_30default_config_static_selectorELNS0_4arch9wavefront6targetE0EEEvSQ_,@function
_ZN7rocprim17ROCPRIM_400000_NS6detail17trampoline_kernelINS0_14default_configENS1_22reduce_config_selectorIbEEZNS1_11reduce_implILb1ES3_N6hipcub16HIPCUB_304000_NS22TransformInputIteratorIbN2at6native12_GLOBAL__N_19NonZeroOpIlEEPKllEEPiiNS8_6detail34convert_binary_result_type_wrapperINS8_3SumESH_iEEEE10hipError_tPvRmT1_T2_T3_mT4_P12ihipStream_tbEUlT_E1_NS1_11comp_targetILNS1_3genE10ELNS1_11target_archE1201ELNS1_3gpuE5ELNS1_3repE0EEENS1_30default_config_static_selectorELNS0_4arch9wavefront6targetE0EEEvSQ_: ; @_ZN7rocprim17ROCPRIM_400000_NS6detail17trampoline_kernelINS0_14default_configENS1_22reduce_config_selectorIbEEZNS1_11reduce_implILb1ES3_N6hipcub16HIPCUB_304000_NS22TransformInputIteratorIbN2at6native12_GLOBAL__N_19NonZeroOpIlEEPKllEEPiiNS8_6detail34convert_binary_result_type_wrapperINS8_3SumESH_iEEEE10hipError_tPvRmT1_T2_T3_mT4_P12ihipStream_tbEUlT_E1_NS1_11comp_targetILNS1_3genE10ELNS1_11target_archE1201ELNS1_3gpuE5ELNS1_3repE0EEENS1_30default_config_static_selectorELNS0_4arch9wavefront6targetE0EEEvSQ_
; %bb.0:
	.section	.rodata,"a",@progbits
	.p2align	6, 0x0
	.amdhsa_kernel _ZN7rocprim17ROCPRIM_400000_NS6detail17trampoline_kernelINS0_14default_configENS1_22reduce_config_selectorIbEEZNS1_11reduce_implILb1ES3_N6hipcub16HIPCUB_304000_NS22TransformInputIteratorIbN2at6native12_GLOBAL__N_19NonZeroOpIlEEPKllEEPiiNS8_6detail34convert_binary_result_type_wrapperINS8_3SumESH_iEEEE10hipError_tPvRmT1_T2_T3_mT4_P12ihipStream_tbEUlT_E1_NS1_11comp_targetILNS1_3genE10ELNS1_11target_archE1201ELNS1_3gpuE5ELNS1_3repE0EEENS1_30default_config_static_selectorELNS0_4arch9wavefront6targetE0EEEvSQ_
		.amdhsa_group_segment_fixed_size 0
		.amdhsa_private_segment_fixed_size 0
		.amdhsa_kernarg_size 48
		.amdhsa_user_sgpr_count 15
		.amdhsa_user_sgpr_dispatch_ptr 0
		.amdhsa_user_sgpr_queue_ptr 0
		.amdhsa_user_sgpr_kernarg_segment_ptr 1
		.amdhsa_user_sgpr_dispatch_id 0
		.amdhsa_user_sgpr_private_segment_size 0
		.amdhsa_wavefront_size32 1
		.amdhsa_uses_dynamic_stack 0
		.amdhsa_enable_private_segment 0
		.amdhsa_system_sgpr_workgroup_id_x 1
		.amdhsa_system_sgpr_workgroup_id_y 0
		.amdhsa_system_sgpr_workgroup_id_z 0
		.amdhsa_system_sgpr_workgroup_info 0
		.amdhsa_system_vgpr_workitem_id 0
		.amdhsa_next_free_vgpr 1
		.amdhsa_next_free_sgpr 1
		.amdhsa_reserve_vcc 0
		.amdhsa_float_round_mode_32 0
		.amdhsa_float_round_mode_16_64 0
		.amdhsa_float_denorm_mode_32 3
		.amdhsa_float_denorm_mode_16_64 3
		.amdhsa_dx10_clamp 1
		.amdhsa_ieee_mode 1
		.amdhsa_fp16_overflow 0
		.amdhsa_workgroup_processor_mode 1
		.amdhsa_memory_ordered 1
		.amdhsa_forward_progress 0
		.amdhsa_shared_vgpr_count 0
		.amdhsa_exception_fp_ieee_invalid_op 0
		.amdhsa_exception_fp_denorm_src 0
		.amdhsa_exception_fp_ieee_div_zero 0
		.amdhsa_exception_fp_ieee_overflow 0
		.amdhsa_exception_fp_ieee_underflow 0
		.amdhsa_exception_fp_ieee_inexact 0
		.amdhsa_exception_int_div_zero 0
	.end_amdhsa_kernel
	.section	.text._ZN7rocprim17ROCPRIM_400000_NS6detail17trampoline_kernelINS0_14default_configENS1_22reduce_config_selectorIbEEZNS1_11reduce_implILb1ES3_N6hipcub16HIPCUB_304000_NS22TransformInputIteratorIbN2at6native12_GLOBAL__N_19NonZeroOpIlEEPKllEEPiiNS8_6detail34convert_binary_result_type_wrapperINS8_3SumESH_iEEEE10hipError_tPvRmT1_T2_T3_mT4_P12ihipStream_tbEUlT_E1_NS1_11comp_targetILNS1_3genE10ELNS1_11target_archE1201ELNS1_3gpuE5ELNS1_3repE0EEENS1_30default_config_static_selectorELNS0_4arch9wavefront6targetE0EEEvSQ_,"axG",@progbits,_ZN7rocprim17ROCPRIM_400000_NS6detail17trampoline_kernelINS0_14default_configENS1_22reduce_config_selectorIbEEZNS1_11reduce_implILb1ES3_N6hipcub16HIPCUB_304000_NS22TransformInputIteratorIbN2at6native12_GLOBAL__N_19NonZeroOpIlEEPKllEEPiiNS8_6detail34convert_binary_result_type_wrapperINS8_3SumESH_iEEEE10hipError_tPvRmT1_T2_T3_mT4_P12ihipStream_tbEUlT_E1_NS1_11comp_targetILNS1_3genE10ELNS1_11target_archE1201ELNS1_3gpuE5ELNS1_3repE0EEENS1_30default_config_static_selectorELNS0_4arch9wavefront6targetE0EEEvSQ_,comdat
.Lfunc_end250:
	.size	_ZN7rocprim17ROCPRIM_400000_NS6detail17trampoline_kernelINS0_14default_configENS1_22reduce_config_selectorIbEEZNS1_11reduce_implILb1ES3_N6hipcub16HIPCUB_304000_NS22TransformInputIteratorIbN2at6native12_GLOBAL__N_19NonZeroOpIlEEPKllEEPiiNS8_6detail34convert_binary_result_type_wrapperINS8_3SumESH_iEEEE10hipError_tPvRmT1_T2_T3_mT4_P12ihipStream_tbEUlT_E1_NS1_11comp_targetILNS1_3genE10ELNS1_11target_archE1201ELNS1_3gpuE5ELNS1_3repE0EEENS1_30default_config_static_selectorELNS0_4arch9wavefront6targetE0EEEvSQ_, .Lfunc_end250-_ZN7rocprim17ROCPRIM_400000_NS6detail17trampoline_kernelINS0_14default_configENS1_22reduce_config_selectorIbEEZNS1_11reduce_implILb1ES3_N6hipcub16HIPCUB_304000_NS22TransformInputIteratorIbN2at6native12_GLOBAL__N_19NonZeroOpIlEEPKllEEPiiNS8_6detail34convert_binary_result_type_wrapperINS8_3SumESH_iEEEE10hipError_tPvRmT1_T2_T3_mT4_P12ihipStream_tbEUlT_E1_NS1_11comp_targetILNS1_3genE10ELNS1_11target_archE1201ELNS1_3gpuE5ELNS1_3repE0EEENS1_30default_config_static_selectorELNS0_4arch9wavefront6targetE0EEEvSQ_
                                        ; -- End function
	.section	.AMDGPU.csdata,"",@progbits
; Kernel info:
; codeLenInByte = 0
; NumSgprs: 0
; NumVgprs: 0
; ScratchSize: 0
; MemoryBound: 0
; FloatMode: 240
; IeeeMode: 1
; LDSByteSize: 0 bytes/workgroup (compile time only)
; SGPRBlocks: 0
; VGPRBlocks: 0
; NumSGPRsForWavesPerEU: 1
; NumVGPRsForWavesPerEU: 1
; Occupancy: 16
; WaveLimiterHint : 0
; COMPUTE_PGM_RSRC2:SCRATCH_EN: 0
; COMPUTE_PGM_RSRC2:USER_SGPR: 15
; COMPUTE_PGM_RSRC2:TRAP_HANDLER: 0
; COMPUTE_PGM_RSRC2:TGID_X_EN: 1
; COMPUTE_PGM_RSRC2:TGID_Y_EN: 0
; COMPUTE_PGM_RSRC2:TGID_Z_EN: 0
; COMPUTE_PGM_RSRC2:TIDIG_COMP_CNT: 0
	.section	.text._ZN7rocprim17ROCPRIM_400000_NS6detail17trampoline_kernelINS0_14default_configENS1_22reduce_config_selectorIbEEZNS1_11reduce_implILb1ES3_N6hipcub16HIPCUB_304000_NS22TransformInputIteratorIbN2at6native12_GLOBAL__N_19NonZeroOpIlEEPKllEEPiiNS8_6detail34convert_binary_result_type_wrapperINS8_3SumESH_iEEEE10hipError_tPvRmT1_T2_T3_mT4_P12ihipStream_tbEUlT_E1_NS1_11comp_targetILNS1_3genE10ELNS1_11target_archE1200ELNS1_3gpuE4ELNS1_3repE0EEENS1_30default_config_static_selectorELNS0_4arch9wavefront6targetE0EEEvSQ_,"axG",@progbits,_ZN7rocprim17ROCPRIM_400000_NS6detail17trampoline_kernelINS0_14default_configENS1_22reduce_config_selectorIbEEZNS1_11reduce_implILb1ES3_N6hipcub16HIPCUB_304000_NS22TransformInputIteratorIbN2at6native12_GLOBAL__N_19NonZeroOpIlEEPKllEEPiiNS8_6detail34convert_binary_result_type_wrapperINS8_3SumESH_iEEEE10hipError_tPvRmT1_T2_T3_mT4_P12ihipStream_tbEUlT_E1_NS1_11comp_targetILNS1_3genE10ELNS1_11target_archE1200ELNS1_3gpuE4ELNS1_3repE0EEENS1_30default_config_static_selectorELNS0_4arch9wavefront6targetE0EEEvSQ_,comdat
	.globl	_ZN7rocprim17ROCPRIM_400000_NS6detail17trampoline_kernelINS0_14default_configENS1_22reduce_config_selectorIbEEZNS1_11reduce_implILb1ES3_N6hipcub16HIPCUB_304000_NS22TransformInputIteratorIbN2at6native12_GLOBAL__N_19NonZeroOpIlEEPKllEEPiiNS8_6detail34convert_binary_result_type_wrapperINS8_3SumESH_iEEEE10hipError_tPvRmT1_T2_T3_mT4_P12ihipStream_tbEUlT_E1_NS1_11comp_targetILNS1_3genE10ELNS1_11target_archE1200ELNS1_3gpuE4ELNS1_3repE0EEENS1_30default_config_static_selectorELNS0_4arch9wavefront6targetE0EEEvSQ_ ; -- Begin function _ZN7rocprim17ROCPRIM_400000_NS6detail17trampoline_kernelINS0_14default_configENS1_22reduce_config_selectorIbEEZNS1_11reduce_implILb1ES3_N6hipcub16HIPCUB_304000_NS22TransformInputIteratorIbN2at6native12_GLOBAL__N_19NonZeroOpIlEEPKllEEPiiNS8_6detail34convert_binary_result_type_wrapperINS8_3SumESH_iEEEE10hipError_tPvRmT1_T2_T3_mT4_P12ihipStream_tbEUlT_E1_NS1_11comp_targetILNS1_3genE10ELNS1_11target_archE1200ELNS1_3gpuE4ELNS1_3repE0EEENS1_30default_config_static_selectorELNS0_4arch9wavefront6targetE0EEEvSQ_
	.p2align	8
	.type	_ZN7rocprim17ROCPRIM_400000_NS6detail17trampoline_kernelINS0_14default_configENS1_22reduce_config_selectorIbEEZNS1_11reduce_implILb1ES3_N6hipcub16HIPCUB_304000_NS22TransformInputIteratorIbN2at6native12_GLOBAL__N_19NonZeroOpIlEEPKllEEPiiNS8_6detail34convert_binary_result_type_wrapperINS8_3SumESH_iEEEE10hipError_tPvRmT1_T2_T3_mT4_P12ihipStream_tbEUlT_E1_NS1_11comp_targetILNS1_3genE10ELNS1_11target_archE1200ELNS1_3gpuE4ELNS1_3repE0EEENS1_30default_config_static_selectorELNS0_4arch9wavefront6targetE0EEEvSQ_,@function
_ZN7rocprim17ROCPRIM_400000_NS6detail17trampoline_kernelINS0_14default_configENS1_22reduce_config_selectorIbEEZNS1_11reduce_implILb1ES3_N6hipcub16HIPCUB_304000_NS22TransformInputIteratorIbN2at6native12_GLOBAL__N_19NonZeroOpIlEEPKllEEPiiNS8_6detail34convert_binary_result_type_wrapperINS8_3SumESH_iEEEE10hipError_tPvRmT1_T2_T3_mT4_P12ihipStream_tbEUlT_E1_NS1_11comp_targetILNS1_3genE10ELNS1_11target_archE1200ELNS1_3gpuE4ELNS1_3repE0EEENS1_30default_config_static_selectorELNS0_4arch9wavefront6targetE0EEEvSQ_: ; @_ZN7rocprim17ROCPRIM_400000_NS6detail17trampoline_kernelINS0_14default_configENS1_22reduce_config_selectorIbEEZNS1_11reduce_implILb1ES3_N6hipcub16HIPCUB_304000_NS22TransformInputIteratorIbN2at6native12_GLOBAL__N_19NonZeroOpIlEEPKllEEPiiNS8_6detail34convert_binary_result_type_wrapperINS8_3SumESH_iEEEE10hipError_tPvRmT1_T2_T3_mT4_P12ihipStream_tbEUlT_E1_NS1_11comp_targetILNS1_3genE10ELNS1_11target_archE1200ELNS1_3gpuE4ELNS1_3repE0EEENS1_30default_config_static_selectorELNS0_4arch9wavefront6targetE0EEEvSQ_
; %bb.0:
	.section	.rodata,"a",@progbits
	.p2align	6, 0x0
	.amdhsa_kernel _ZN7rocprim17ROCPRIM_400000_NS6detail17trampoline_kernelINS0_14default_configENS1_22reduce_config_selectorIbEEZNS1_11reduce_implILb1ES3_N6hipcub16HIPCUB_304000_NS22TransformInputIteratorIbN2at6native12_GLOBAL__N_19NonZeroOpIlEEPKllEEPiiNS8_6detail34convert_binary_result_type_wrapperINS8_3SumESH_iEEEE10hipError_tPvRmT1_T2_T3_mT4_P12ihipStream_tbEUlT_E1_NS1_11comp_targetILNS1_3genE10ELNS1_11target_archE1200ELNS1_3gpuE4ELNS1_3repE0EEENS1_30default_config_static_selectorELNS0_4arch9wavefront6targetE0EEEvSQ_
		.amdhsa_group_segment_fixed_size 0
		.amdhsa_private_segment_fixed_size 0
		.amdhsa_kernarg_size 48
		.amdhsa_user_sgpr_count 15
		.amdhsa_user_sgpr_dispatch_ptr 0
		.amdhsa_user_sgpr_queue_ptr 0
		.amdhsa_user_sgpr_kernarg_segment_ptr 1
		.amdhsa_user_sgpr_dispatch_id 0
		.amdhsa_user_sgpr_private_segment_size 0
		.amdhsa_wavefront_size32 1
		.amdhsa_uses_dynamic_stack 0
		.amdhsa_enable_private_segment 0
		.amdhsa_system_sgpr_workgroup_id_x 1
		.amdhsa_system_sgpr_workgroup_id_y 0
		.amdhsa_system_sgpr_workgroup_id_z 0
		.amdhsa_system_sgpr_workgroup_info 0
		.amdhsa_system_vgpr_workitem_id 0
		.amdhsa_next_free_vgpr 1
		.amdhsa_next_free_sgpr 1
		.amdhsa_reserve_vcc 0
		.amdhsa_float_round_mode_32 0
		.amdhsa_float_round_mode_16_64 0
		.amdhsa_float_denorm_mode_32 3
		.amdhsa_float_denorm_mode_16_64 3
		.amdhsa_dx10_clamp 1
		.amdhsa_ieee_mode 1
		.amdhsa_fp16_overflow 0
		.amdhsa_workgroup_processor_mode 1
		.amdhsa_memory_ordered 1
		.amdhsa_forward_progress 0
		.amdhsa_shared_vgpr_count 0
		.amdhsa_exception_fp_ieee_invalid_op 0
		.amdhsa_exception_fp_denorm_src 0
		.amdhsa_exception_fp_ieee_div_zero 0
		.amdhsa_exception_fp_ieee_overflow 0
		.amdhsa_exception_fp_ieee_underflow 0
		.amdhsa_exception_fp_ieee_inexact 0
		.amdhsa_exception_int_div_zero 0
	.end_amdhsa_kernel
	.section	.text._ZN7rocprim17ROCPRIM_400000_NS6detail17trampoline_kernelINS0_14default_configENS1_22reduce_config_selectorIbEEZNS1_11reduce_implILb1ES3_N6hipcub16HIPCUB_304000_NS22TransformInputIteratorIbN2at6native12_GLOBAL__N_19NonZeroOpIlEEPKllEEPiiNS8_6detail34convert_binary_result_type_wrapperINS8_3SumESH_iEEEE10hipError_tPvRmT1_T2_T3_mT4_P12ihipStream_tbEUlT_E1_NS1_11comp_targetILNS1_3genE10ELNS1_11target_archE1200ELNS1_3gpuE4ELNS1_3repE0EEENS1_30default_config_static_selectorELNS0_4arch9wavefront6targetE0EEEvSQ_,"axG",@progbits,_ZN7rocprim17ROCPRIM_400000_NS6detail17trampoline_kernelINS0_14default_configENS1_22reduce_config_selectorIbEEZNS1_11reduce_implILb1ES3_N6hipcub16HIPCUB_304000_NS22TransformInputIteratorIbN2at6native12_GLOBAL__N_19NonZeroOpIlEEPKllEEPiiNS8_6detail34convert_binary_result_type_wrapperINS8_3SumESH_iEEEE10hipError_tPvRmT1_T2_T3_mT4_P12ihipStream_tbEUlT_E1_NS1_11comp_targetILNS1_3genE10ELNS1_11target_archE1200ELNS1_3gpuE4ELNS1_3repE0EEENS1_30default_config_static_selectorELNS0_4arch9wavefront6targetE0EEEvSQ_,comdat
.Lfunc_end251:
	.size	_ZN7rocprim17ROCPRIM_400000_NS6detail17trampoline_kernelINS0_14default_configENS1_22reduce_config_selectorIbEEZNS1_11reduce_implILb1ES3_N6hipcub16HIPCUB_304000_NS22TransformInputIteratorIbN2at6native12_GLOBAL__N_19NonZeroOpIlEEPKllEEPiiNS8_6detail34convert_binary_result_type_wrapperINS8_3SumESH_iEEEE10hipError_tPvRmT1_T2_T3_mT4_P12ihipStream_tbEUlT_E1_NS1_11comp_targetILNS1_3genE10ELNS1_11target_archE1200ELNS1_3gpuE4ELNS1_3repE0EEENS1_30default_config_static_selectorELNS0_4arch9wavefront6targetE0EEEvSQ_, .Lfunc_end251-_ZN7rocprim17ROCPRIM_400000_NS6detail17trampoline_kernelINS0_14default_configENS1_22reduce_config_selectorIbEEZNS1_11reduce_implILb1ES3_N6hipcub16HIPCUB_304000_NS22TransformInputIteratorIbN2at6native12_GLOBAL__N_19NonZeroOpIlEEPKllEEPiiNS8_6detail34convert_binary_result_type_wrapperINS8_3SumESH_iEEEE10hipError_tPvRmT1_T2_T3_mT4_P12ihipStream_tbEUlT_E1_NS1_11comp_targetILNS1_3genE10ELNS1_11target_archE1200ELNS1_3gpuE4ELNS1_3repE0EEENS1_30default_config_static_selectorELNS0_4arch9wavefront6targetE0EEEvSQ_
                                        ; -- End function
	.section	.AMDGPU.csdata,"",@progbits
; Kernel info:
; codeLenInByte = 0
; NumSgprs: 0
; NumVgprs: 0
; ScratchSize: 0
; MemoryBound: 0
; FloatMode: 240
; IeeeMode: 1
; LDSByteSize: 0 bytes/workgroup (compile time only)
; SGPRBlocks: 0
; VGPRBlocks: 0
; NumSGPRsForWavesPerEU: 1
; NumVGPRsForWavesPerEU: 1
; Occupancy: 16
; WaveLimiterHint : 0
; COMPUTE_PGM_RSRC2:SCRATCH_EN: 0
; COMPUTE_PGM_RSRC2:USER_SGPR: 15
; COMPUTE_PGM_RSRC2:TRAP_HANDLER: 0
; COMPUTE_PGM_RSRC2:TGID_X_EN: 1
; COMPUTE_PGM_RSRC2:TGID_Y_EN: 0
; COMPUTE_PGM_RSRC2:TGID_Z_EN: 0
; COMPUTE_PGM_RSRC2:TIDIG_COMP_CNT: 0
	.section	.text._ZN7rocprim17ROCPRIM_400000_NS6detail17trampoline_kernelINS0_14default_configENS1_22reduce_config_selectorIbEEZNS1_11reduce_implILb1ES3_N6hipcub16HIPCUB_304000_NS22TransformInputIteratorIbN2at6native12_GLOBAL__N_19NonZeroOpIlEEPKllEEPiiNS8_6detail34convert_binary_result_type_wrapperINS8_3SumESH_iEEEE10hipError_tPvRmT1_T2_T3_mT4_P12ihipStream_tbEUlT_E1_NS1_11comp_targetILNS1_3genE9ELNS1_11target_archE1100ELNS1_3gpuE3ELNS1_3repE0EEENS1_30default_config_static_selectorELNS0_4arch9wavefront6targetE0EEEvSQ_,"axG",@progbits,_ZN7rocprim17ROCPRIM_400000_NS6detail17trampoline_kernelINS0_14default_configENS1_22reduce_config_selectorIbEEZNS1_11reduce_implILb1ES3_N6hipcub16HIPCUB_304000_NS22TransformInputIteratorIbN2at6native12_GLOBAL__N_19NonZeroOpIlEEPKllEEPiiNS8_6detail34convert_binary_result_type_wrapperINS8_3SumESH_iEEEE10hipError_tPvRmT1_T2_T3_mT4_P12ihipStream_tbEUlT_E1_NS1_11comp_targetILNS1_3genE9ELNS1_11target_archE1100ELNS1_3gpuE3ELNS1_3repE0EEENS1_30default_config_static_selectorELNS0_4arch9wavefront6targetE0EEEvSQ_,comdat
	.globl	_ZN7rocprim17ROCPRIM_400000_NS6detail17trampoline_kernelINS0_14default_configENS1_22reduce_config_selectorIbEEZNS1_11reduce_implILb1ES3_N6hipcub16HIPCUB_304000_NS22TransformInputIteratorIbN2at6native12_GLOBAL__N_19NonZeroOpIlEEPKllEEPiiNS8_6detail34convert_binary_result_type_wrapperINS8_3SumESH_iEEEE10hipError_tPvRmT1_T2_T3_mT4_P12ihipStream_tbEUlT_E1_NS1_11comp_targetILNS1_3genE9ELNS1_11target_archE1100ELNS1_3gpuE3ELNS1_3repE0EEENS1_30default_config_static_selectorELNS0_4arch9wavefront6targetE0EEEvSQ_ ; -- Begin function _ZN7rocprim17ROCPRIM_400000_NS6detail17trampoline_kernelINS0_14default_configENS1_22reduce_config_selectorIbEEZNS1_11reduce_implILb1ES3_N6hipcub16HIPCUB_304000_NS22TransformInputIteratorIbN2at6native12_GLOBAL__N_19NonZeroOpIlEEPKllEEPiiNS8_6detail34convert_binary_result_type_wrapperINS8_3SumESH_iEEEE10hipError_tPvRmT1_T2_T3_mT4_P12ihipStream_tbEUlT_E1_NS1_11comp_targetILNS1_3genE9ELNS1_11target_archE1100ELNS1_3gpuE3ELNS1_3repE0EEENS1_30default_config_static_selectorELNS0_4arch9wavefront6targetE0EEEvSQ_
	.p2align	8
	.type	_ZN7rocprim17ROCPRIM_400000_NS6detail17trampoline_kernelINS0_14default_configENS1_22reduce_config_selectorIbEEZNS1_11reduce_implILb1ES3_N6hipcub16HIPCUB_304000_NS22TransformInputIteratorIbN2at6native12_GLOBAL__N_19NonZeroOpIlEEPKllEEPiiNS8_6detail34convert_binary_result_type_wrapperINS8_3SumESH_iEEEE10hipError_tPvRmT1_T2_T3_mT4_P12ihipStream_tbEUlT_E1_NS1_11comp_targetILNS1_3genE9ELNS1_11target_archE1100ELNS1_3gpuE3ELNS1_3repE0EEENS1_30default_config_static_selectorELNS0_4arch9wavefront6targetE0EEEvSQ_,@function
_ZN7rocprim17ROCPRIM_400000_NS6detail17trampoline_kernelINS0_14default_configENS1_22reduce_config_selectorIbEEZNS1_11reduce_implILb1ES3_N6hipcub16HIPCUB_304000_NS22TransformInputIteratorIbN2at6native12_GLOBAL__N_19NonZeroOpIlEEPKllEEPiiNS8_6detail34convert_binary_result_type_wrapperINS8_3SumESH_iEEEE10hipError_tPvRmT1_T2_T3_mT4_P12ihipStream_tbEUlT_E1_NS1_11comp_targetILNS1_3genE9ELNS1_11target_archE1100ELNS1_3gpuE3ELNS1_3repE0EEENS1_30default_config_static_selectorELNS0_4arch9wavefront6targetE0EEEvSQ_: ; @_ZN7rocprim17ROCPRIM_400000_NS6detail17trampoline_kernelINS0_14default_configENS1_22reduce_config_selectorIbEEZNS1_11reduce_implILb1ES3_N6hipcub16HIPCUB_304000_NS22TransformInputIteratorIbN2at6native12_GLOBAL__N_19NonZeroOpIlEEPKllEEPiiNS8_6detail34convert_binary_result_type_wrapperINS8_3SumESH_iEEEE10hipError_tPvRmT1_T2_T3_mT4_P12ihipStream_tbEUlT_E1_NS1_11comp_targetILNS1_3genE9ELNS1_11target_archE1100ELNS1_3gpuE3ELNS1_3repE0EEENS1_30default_config_static_selectorELNS0_4arch9wavefront6targetE0EEEvSQ_
; %bb.0:
	s_clause 0x2
	s_load_b32 s19, s[0:1], 0x4
	s_load_b64 s[26:27], s[0:1], 0x8
	s_load_b128 s[20:23], s[0:1], 0x18
	s_mov_b32 s24, s15
	s_waitcnt lgkmcnt(0)
	s_cmp_lt_i32 s19, 16
	s_cbranch_scc1 .LBB252_12
; %bb.1:
	s_cmp_gt_i32 s19, 63
	s_cbranch_scc0 .LBB252_13
; %bb.2:
	s_cmpk_gt_i32 s19, 0x7f
	s_cbranch_scc0 .LBB252_22
; %bb.3:
	s_cmpk_eq_i32 s19, 0x80
	s_mov_b32 s33, 0
	s_cbranch_scc0 .LBB252_23
; %bb.4:
	s_mov_b32 s25, 0
	s_lshl_b32 s30, s24, 14
	s_mov_b32 s31, s25
	s_lshr_b64 s[4:5], s[20:21], 14
	s_lshl_b64 s[2:3], s[30:31], 3
	s_delay_alu instid0(SALU_CYCLE_1)
	s_add_u32 s28, s26, s2
	s_addc_u32 s29, s27, s3
	s_cmp_lg_u64 s[4:5], s[24:25]
	s_cbranch_scc0 .LBB252_34
; %bb.5:
	v_lshlrev_b32_e32 v57, 3, v0
	global_load_b64 v[1:2], v57, s[28:29]
	v_add_co_u32 v15, s2, s28, v57
	s_delay_alu instid0(VALU_DEP_1) | instskip(NEXT) | instid1(VALU_DEP_2)
	v_add_co_ci_u32_e64 v16, null, s29, 0, s2
	v_add_co_u32 v7, vcc_lo, v15, 0x2000
	s_delay_alu instid0(VALU_DEP_2)
	v_add_co_ci_u32_e32 v8, vcc_lo, 0, v16, vcc_lo
	v_add_co_u32 v17, vcc_lo, 0x1000, v15
	v_add_co_ci_u32_e32 v18, vcc_lo, 0, v16, vcc_lo
	s_clause 0x2
	global_load_b64 v[9:10], v57, s[28:29] offset:1024
	global_load_b64 v[3:4], v[7:8], off offset:-4096
	global_load_b64 v[5:6], v[17:18], off offset:2048
	v_add_co_u32 v19, vcc_lo, 0x2000, v15
	v_add_co_ci_u32_e32 v20, vcc_lo, 0, v16, vcc_lo
	global_load_b64 v[7:8], v[7:8], off
	v_add_co_u32 v21, vcc_lo, v15, 0x4000
	v_add_co_ci_u32_e32 v22, vcc_lo, 0, v16, vcc_lo
	s_clause 0x2
	global_load_b64 v[11:12], v[19:20], off offset:2048
	global_load_b64 v[13:14], v[21:22], off offset:-4096
	global_load_b64 v[21:22], v[21:22], off
	v_add_co_u32 v23, vcc_lo, 0x4000, v15
	v_add_co_ci_u32_e32 v24, vcc_lo, 0, v16, vcc_lo
	v_add_co_u32 v27, vcc_lo, v15, 0x6000
	v_add_co_ci_u32_e32 v28, vcc_lo, 0, v16, vcc_lo
	global_load_b64 v[25:26], v[23:24], off offset:2048
	v_add_co_u32 v29, vcc_lo, 0x5000, v15
	v_add_co_ci_u32_e32 v30, vcc_lo, 0, v16, vcc_lo
	s_clause 0x2
	global_load_b64 v[31:32], v[27:28], off offset:-4096
	global_load_b64 v[33:34], v[29:30], off offset:2048
	global_load_b64 v[27:28], v[27:28], off
	v_add_co_u32 v35, vcc_lo, v15, 0x8000
	v_add_co_ci_u32_e32 v36, vcc_lo, 0, v16, vcc_lo
	v_add_co_u32 v37, vcc_lo, 0x7000, v15
	v_add_co_ci_u32_e32 v38, vcc_lo, 0, v16, vcc_lo
	s_clause 0x2
	global_load_b64 v[39:40], v[35:36], off offset:-4096
	global_load_b64 v[41:42], v[37:38], off offset:2048
	global_load_b64 v[35:36], v[35:36], off
	v_add_co_u32 v43, vcc_lo, 0x8000, v15
	v_add_co_ci_u32_e32 v44, vcc_lo, 0, v16, vcc_lo
	v_add_co_u32 v45, vcc_lo, v15, 0xa000
	v_add_co_ci_u32_e32 v46, vcc_lo, 0, v16, vcc_lo
	s_clause 0x1
	global_load_b64 v[47:48], v[43:44], off offset:2048
	global_load_b64 v[49:50], v[45:46], off offset:-4096
	v_add_co_u32 v51, vcc_lo, 0x9000, v15
	v_add_co_ci_u32_e32 v52, vcc_lo, 0, v16, vcc_lo
	s_clause 0x3
	global_load_b64 v[53:54], v[51:52], off offset:2048
	global_load_b64 v[55:56], v57, s[28:29] offset:2048
	global_load_b64 v[57:58], v57, s[28:29] offset:3072
	global_load_b64 v[45:46], v[45:46], off
	v_add_co_u32 v59, vcc_lo, 0x3000, v15
	v_add_co_ci_u32_e32 v60, vcc_lo, 0, v16, vcc_lo
	s_clause 0x2
	global_load_b64 v[107:108], v[17:18], off offset:3072
	global_load_b64 v[109:110], v[19:20], off offset:1024
	;; [unrolled: 1-line block ×3, first 2 shown]
	v_add_co_u32 v61, vcc_lo, 0x6000, v15
	v_add_co_ci_u32_e32 v62, vcc_lo, 0, v16, vcc_lo
	v_add_co_u32 v63, vcc_lo, 0xa000, v15
	v_add_co_ci_u32_e32 v64, vcc_lo, 0, v16, vcc_lo
	;; [unrolled: 2-line block ×13, first 2 shown]
	v_add_co_u32 v87, vcc_lo, 0x12000, v15
	s_clause 0x2
	global_load_b64 v[121:122], v[63:64], off offset:2048
	global_load_b64 v[19:20], v[19:20], off offset:3072
	;; [unrolled: 1-line block ×3, first 2 shown]
	v_add_co_ci_u32_e32 v88, vcc_lo, 0, v16, vcc_lo
	v_add_co_u32 v89, vcc_lo, 0x13000, v15
	v_add_co_ci_u32_e32 v90, vcc_lo, 0, v16, vcc_lo
	v_add_co_u32 v91, vcc_lo, v15, 0x14000
	;; [unrolled: 2-line block ×7, first 2 shown]
	global_load_b64 v[127:128], v[59:60], off offset:2048
	v_add_co_ci_u32_e32 v102, vcc_lo, 0, v16, vcc_lo
	v_add_co_u32 v103, vcc_lo, v15, 0x18000
	v_add_co_ci_u32_e32 v104, vcc_lo, 0, v16, vcc_lo
	v_add_co_u32 v105, vcc_lo, 0x18000, v15
	s_clause 0x2
	global_load_b64 v[133:134], v[67:68], off offset:-4096
	global_load_b64 v[135:136], v[65:66], off offset:2048
	global_load_b64 v[59:60], v[59:60], off offset:3072
	v_add_co_ci_u32_e32 v106, vcc_lo, 0, v16, vcc_lo
	v_add_co_u32 v111, vcc_lo, 0x19000, v15
	v_add_co_ci_u32_e32 v112, vcc_lo, 0, v16, vcc_lo
	v_add_co_u32 v113, vcc_lo, v15, 0x1a000
	;; [unrolled: 2-line block ×9, first 2 shown]
	v_add_co_ci_u32_e32 v138, vcc_lo, 0, v16, vcc_lo
	v_add_co_u32 v15, s2, 0x1e000, v15
	s_delay_alu instid0(VALU_DEP_1)
	v_add_co_ci_u32_e64 v16, s2, 0, v16, s2
	s_waitcnt vmcnt(30)
	v_cmp_ne_u64_e32 vcc_lo, 0, v[1:2]
	s_clause 0x1
	global_load_b64 v[1:2], v[23:24], off offset:3072
	global_load_b64 v[23:24], v[23:24], off offset:1024
	v_cndmask_b32_e64 v139, 0, 1, vcc_lo
	s_waitcnt vmcnt(31)
	v_cmp_ne_u64_e32 vcc_lo, 0, v[9:10]
	global_load_b64 v[9:10], v[137:138], off offset:3072
	s_waitcnt vmcnt(31)
	v_cmp_ne_u64_e64 s2, 0, v[3:4]
	s_waitcnt vmcnt(30)
	v_cmp_ne_u64_e64 s3, 0, v[5:6]
	s_clause 0x3
	global_load_b64 v[3:4], v[29:30], off offset:3072
	global_load_b64 v[5:6], v[61:62], off offset:1024
	;; [unrolled: 1-line block ×3, first 2 shown]
	global_load_b64 v[67:68], v[67:68], off
	s_waitcnt vmcnt(33)
	v_cmp_ne_u64_e64 s4, 0, v[7:8]
	global_load_b64 v[7:8], v[61:62], off offset:2048
	v_cndmask_b32_e64 v141, 0, 1, s3
	s_waitcnt vmcnt(33)
	v_cmp_ne_u64_e64 s5, 0, v[11:12]
	global_load_b64 v[11:12], v[69:70], off offset:2048
	s_waitcnt vmcnt(33)
	v_cmp_ne_u64_e64 s6, 0, v[13:14]
	s_clause 0x1
	global_load_b64 v[13:14], v[73:74], off offset:-4096
	global_load_b64 v[61:62], v[61:62], off offset:3072
	s_waitcnt vmcnt(34)
	v_cmp_ne_u64_e64 s7, 0, v[21:22]
	s_clause 0x1
	global_load_b64 v[21:22], v[37:38], off offset:1024
	global_load_b64 v[37:38], v[37:38], off offset:3072
	s_waitcnt vmcnt(35)
	v_cmp_ne_u64_e64 s8, 0, v[25:26]
	s_clause 0x2
	global_load_b64 v[25:26], v[43:44], off offset:3072
	global_load_b64 v[43:44], v[43:44], off offset:1024
	global_load_b64 v[73:74], v[73:74], off
	s_waitcnt vmcnt(37)
	v_cmp_ne_u64_e64 s9, 0, v[31:32]
	s_waitcnt vmcnt(36)
	v_cmp_ne_u64_e64 s10, 0, v[33:34]
	s_clause 0x2
	global_load_b64 v[31:32], v[51:52], off offset:3072
	global_load_b64 v[33:34], v[63:64], off offset:1024
	;; [unrolled: 1-line block ×3, first 2 shown]
	s_waitcnt vmcnt(38)
	v_cmp_ne_u64_e64 s11, 0, v[27:28]
	s_clause 0x1
	global_load_b64 v[27:28], v[75:76], off offset:2048
	global_load_b64 v[63:64], v[63:64], off offset:3072
	s_waitcnt vmcnt(39)
	v_cmp_ne_u64_e64 s12, 0, v[39:40]
	global_load_b64 v[39:40], v[79:80], off offset:-4096
	s_waitcnt vmcnt(39)
	v_cmp_ne_u64_e64 s13, 0, v[41:42]
	s_clause 0x1
	global_load_b64 v[41:42], v[65:66], off offset:1024
	global_load_b64 v[65:66], v[65:66], off offset:3072
	s_waitcnt vmcnt(40)
	v_cmp_ne_u64_e64 s14, 0, v[35:36]
	s_clause 0x1
	global_load_b64 v[35:36], v[69:70], off offset:3072
	global_load_b64 v[69:70], v[69:70], off offset:1024
	s_waitcnt vmcnt(41)
	v_cmp_ne_u64_e64 s15, 0, v[47:48]
	global_load_b64 v[47:48], v[71:72], off offset:1024
	s_waitcnt vmcnt(41)
	v_cmp_ne_u64_e64 s16, 0, v[49:50]
	s_clause 0x1
	global_load_b64 v[49:50], v[71:72], off offset:2048
	global_load_b64 v[71:72], v[71:72], off offset:3072
	s_waitcnt vmcnt(42)
	v_cmp_ne_u64_e64 s17, 0, v[53:54]
	s_waitcnt vmcnt(41)
	v_cmp_ne_u64_e64 s18, 0, v[55:56]
	global_load_b64 v[53:54], v[75:76], off offset:1024
	v_add_co_ci_u32_e32 v56, vcc_lo, 0, v139, vcc_lo
	v_cndmask_b32_e64 v139, 0, 1, s2
	s_waitcnt vmcnt(41)
	v_cmp_ne_u64_e64 s2, 0, v[57:58]
	v_cndmask_b32_e64 v55, 0, 1, s18
	s_waitcnt vmcnt(40)
	v_cmp_ne_u64_e32 vcc_lo, 0, v[45:46]
	s_delay_alu instid0(VALU_DEP_2)
	v_add_co_ci_u32_e64 v140, s2, v56, v55, s2
	s_clause 0x2
	global_load_b64 v[45:46], v[75:76], off offset:3072
	global_load_b64 v[55:56], v[77:78], off offset:1024
	;; [unrolled: 1-line block ×3, first 2 shown]
	s_waitcnt vmcnt(40)
	v_cmp_ne_u64_e64 s2, 0, v[17:18]
	s_clause 0x3
	global_load_b64 v[17:18], v[77:78], off offset:3072
	global_load_b64 v[75:76], v[81:82], off offset:1024
	;; [unrolled: 1-line block ×4, first 2 shown]
	v_add_co_ci_u32_e64 v139, s2, v140, v139, s2
	v_cmp_ne_u64_e64 s2, 0, v[107:108]
	s_clause 0x2
	global_load_b64 v[79:80], v[79:80], off
	global_load_b64 v[107:108], v[85:86], off offset:-4096
	global_load_b64 v[85:86], v[85:86], off
	v_cndmask_b32_e64 v140, 0, 1, s4
	v_add_co_ci_u32_e64 v139, s2, v139, v141, s2
	v_cmp_ne_u64_e64 s2, 0, v[109:110]
	v_cndmask_b32_e64 v109, 0, 1, s5
	s_delay_alu instid0(VALU_DEP_2)
	v_add_co_ci_u32_e64 v110, s2, v139, v140, s2
	v_cndmask_b32_e64 v139, 0, 1, s6
	s_waitcnt vmcnt(46)
	v_cmp_ne_u64_e64 s2, 0, v[121:122]
	s_waitcnt vmcnt(45)
	v_cmp_ne_u64_e64 s3, 0, v[19:20]
	s_delay_alu instid0(VALU_DEP_1)
	v_add_co_ci_u32_e64 v140, s3, v110, v109, s3
	s_clause 0x3
	global_load_b64 v[19:20], v[83:84], off offset:1024
	global_load_b64 v[109:110], v[83:84], off offset:2048
	;; [unrolled: 1-line block ×4, first 2 shown]
	s_waitcnt vmcnt(48)
	v_cmp_ne_u64_e64 s3, 0, v[123:124]
	global_load_b64 v[123:124], v[91:92], off offset:-4096
	s_waitcnt vmcnt(48)
	v_cmp_ne_u64_e64 s4, 0, v[127:128]
	v_add_co_ci_u32_e64 v128, s3, v140, v139, s3
	v_cndmask_b32_e64 v139, 0, 1, s7
	s_delay_alu instid0(VALU_DEP_3)
	v_cndmask_b32_e64 v127, 0, 1, s4
	s_waitcnt vmcnt(47)
	v_cmp_ne_u64_e64 s3, 0, v[133:134]
	s_waitcnt vmcnt(46)
	v_cmp_ne_u64_e64 s4, 0, v[135:136]
	;; [unrolled: 2-line block ×3, first 2 shown]
	v_cndmask_b32_e64 v136, 0, 1, s8
	s_delay_alu instid0(VALU_DEP_2)
	v_add_co_ci_u32_e64 v135, s5, v128, v127, s5
	s_clause 0x3
	global_load_b64 v[59:60], v[87:88], off offset:2048
	global_load_b64 v[87:88], v[87:88], off offset:3072
	;; [unrolled: 1-line block ×4, first 2 shown]
	s_waitcnt vmcnt(47)
	v_cmp_ne_u64_e64 s5, 0, v[23:24]
	s_delay_alu instid0(VALU_DEP_1)
	v_add_co_ci_u32_e64 v135, s5, v135, v139, s5
	v_cmp_ne_u64_e64 s5, 0, v[1:2]
	s_clause 0x3
	global_load_b64 v[1:2], v[89:90], off offset:3072
	global_load_b64 v[23:24], v[93:94], off offset:1024
	;; [unrolled: 1-line block ×4, first 2 shown]
	v_cndmask_b32_e64 v139, 0, 1, s9
	s_waitcnt vmcnt(49)
	v_cmp_ne_u64_e64 s6, 0, v[3:4]
	v_add_co_ci_u32_e64 v135, s5, v135, v136, s5
	s_waitcnt vmcnt(47)
	v_cmp_ne_u64_e64 s5, 0, v[29:30]
	s_clause 0x2
	global_load_b64 v[29:30], v[91:92], off
	global_load_b64 v[91:92], v[97:98], off offset:-4096
	global_load_b64 v[97:98], v[97:98], off
	v_cndmask_b32_e64 v136, 0, 1, s10
	s_waitcnt vmcnt(48)
	v_cmp_ne_u64_e64 s7, 0, v[7:8]
	v_add_co_ci_u32_e64 v135, s5, v135, v139, s5
	v_cmp_ne_u64_e64 s5, 0, v[67:68]
	v_cndmask_b32_e64 v139, 0, 1, s11
	s_delay_alu instid0(VALU_DEP_3)
	v_add_co_ci_u32_e64 v135, s6, v135, v136, s6
	v_cmp_ne_u64_e64 s6, 0, v[5:6]
	s_clause 0x4
	global_load_b64 v[3:4], v[95:96], off offset:1024
	global_load_b64 v[5:6], v[95:96], off offset:2048
	;; [unrolled: 1-line block ×4, first 2 shown]
	global_load_b64 v[7:8], v[103:104], off offset:-4096
	v_cndmask_b32_e64 v136, 0, 1, s7
	s_waitcnt vmcnt(51)
	v_cmp_ne_u64_e64 s7, 0, v[13:14]
	s_waitcnt vmcnt(50)
	v_cmp_ne_u64_e64 s8, 0, v[61:62]
	v_add_co_ci_u32_e64 v135, s6, v135, v139, s6
	v_cmp_ne_u64_e64 s6, 0, v[11:12]
	s_clause 0x3
	global_load_b64 v[11:12], v[99:100], off offset:2048
	global_load_b64 v[13:14], v[99:100], off offset:3072
	;; [unrolled: 1-line block ×4, first 2 shown]
	v_cndmask_b32_e64 v139, 0, 1, s12
	v_add_co_ci_u32_e64 v135, s8, v135, v136, s8
	s_waitcnt vmcnt(53)
	v_cmp_ne_u64_e64 s8, 0, v[21:22]
	v_cndmask_b32_e64 v136, 0, 1, s13
	s_waitcnt vmcnt(51)
	v_cmp_ne_u64_e64 s9, 0, v[25:26]
	s_delay_alu instid0(VALU_DEP_3)
	v_add_co_ci_u32_e64 v135, s8, v135, v139, s8
	v_cmp_ne_u64_e64 s8, 0, v[37:38]
	s_clause 0x3
	global_load_b64 v[21:22], v[101:102], off offset:3072
	global_load_b64 v[37:38], v[105:106], off offset:1024
	;; [unrolled: 1-line block ×4, first 2 shown]
	v_cndmask_b32_e64 v139, 0, 1, s14
	v_add_co_ci_u32_e64 v135, s8, v135, v136, s8
	s_waitcnt vmcnt(54)
	v_cmp_ne_u64_e64 s8, 0, v[43:44]
	s_clause 0x2
	global_load_b64 v[43:44], v[103:104], off
	global_load_b64 v[103:104], v[113:114], off offset:-4096
	global_load_b64 v[113:114], v[113:114], off
	v_cndmask_b32_e64 v136, 0, 1, s15
	v_add_co_ci_u32_e64 v135, s8, v135, v139, s8
	v_cndmask_b32_e64 v139, 0, 1, s16
	s_waitcnt vmcnt(56)
	v_cmp_ne_u64_e64 s8, 0, v[73:74]
	s_delay_alu instid0(VALU_DEP_3)
	v_add_co_ci_u32_e64 v135, s9, v135, v136, s9
	s_waitcnt vmcnt(53)
	v_cmp_ne_u64_e64 s9, 0, v[51:52]
	v_cndmask_b32_e64 v136, 0, 1, s17
	s_clause 0x3
	global_load_b64 v[25:26], v[111:112], off offset:1024
	global_load_b64 v[51:52], v[111:112], off offset:2048
	;; [unrolled: 1-line block ×4, first 2 shown]
	v_add_co_ci_u32_e64 v135, s9, v135, v139, s9
	v_cmp_ne_u64_e64 s9, 0, v[31:32]
	v_cndmask_b32_e64 v139, 0, 1, vcc_lo
	s_waitcnt vmcnt(56)
	v_cmp_ne_u64_e32 vcc_lo, 0, v[27:28]
	s_delay_alu instid0(VALU_DEP_3)
	v_add_co_ci_u32_e64 v135, s9, v135, v136, s9
	v_cmp_ne_u64_e64 s9, 0, v[33:34]
	v_cndmask_b32_e64 v136, 0, 1, s2
	s_clause 0x3
	global_load_b64 v[27:28], v[115:116], off offset:2048
	global_load_b64 v[31:32], v[115:116], off offset:3072
	global_load_b64 v[33:34], v[117:118], off offset:1024
	global_load_b64 v[115:116], v[117:118], off offset:2048
	v_add_co_ci_u32_e64 v135, s2, v135, v139, s9
	s_waitcnt vmcnt(59)
	v_cmp_ne_u64_e64 s2, 0, v[63:64]
	v_cndmask_b32_e64 v139, 0, 1, s3
	s_waitcnt vmcnt(57)
	v_cmp_ne_u64_e64 s3, 0, v[41:42]
	s_clause 0x1
	global_load_b64 v[63:64], v[119:120], off offset:-4096
	global_load_b64 v[119:120], v[119:120], off
	v_add_co_ci_u32_e64 v135, s2, v135, v136, s2
	v_cndmask_b32_e64 v136, 0, 1, s4
	s_waitcnt vmcnt(54)
	v_cmp_ne_u64_e64 s4, 0, v[49:50]
	v_cmp_ne_u64_e64 s2, 0, v[39:40]
	v_add_co_ci_u32_e64 v135, s3, v135, v139, s3
	v_cmp_ne_u64_e64 s3, 0, v[65:66]
	v_cndmask_b32_e64 v139, 0, 1, s5
	s_clause 0x4
	global_load_b64 v[39:40], v[117:118], off offset:3072
	global_load_b64 v[41:42], v[125:126], off offset:1024
	;; [unrolled: 1-line block ×4, first 2 shown]
	global_load_b64 v[65:66], v[131:132], off offset:-4096
	v_add_co_ci_u32_e64 v135, s3, v135, v136, s3
	v_cmp_ne_u64_e64 s3, 0, v[69:70]
	v_cndmask_b32_e64 v136, 0, 1, s6
	s_delay_alu instid0(VALU_DEP_2)
	v_add_co_ci_u32_e64 v135, s3, v135, v139, s3
	v_cmp_ne_u64_e64 s3, 0, v[35:36]
	v_cndmask_b32_e64 v139, 0, 1, s7
	s_clause 0x2
	global_load_b64 v[35:36], v[129:130], off offset:1024
	global_load_b64 v[69:70], v[129:130], off offset:2048
	global_load_b64 v[131:132], v[131:132], off
	v_add_co_ci_u32_e64 v135, s3, v135, v136, s3
	v_cmp_ne_u64_e64 s3, 0, v[47:48]
	v_cndmask_b32_e64 v136, 0, 1, s4
	s_clause 0x2
	global_load_b64 v[47:48], v[129:130], off offset:3072
	global_load_b64 v[129:130], v[15:16], off offset:1024
	;; [unrolled: 1-line block ×3, first 2 shown]
	v_add_co_ci_u32_e64 v135, s3, v135, v139, s3
	s_waitcnt vmcnt(62)
	v_cmp_ne_u64_e64 s3, 0, v[71:72]
	v_cndmask_b32_e64 v139, 0, 1, s8
	s_clause 0x1
	global_load_b64 v[15:16], v[15:16], off offset:3072
	global_load_b64 v[71:72], v[137:138], off
	v_add_co_ci_u32_e64 v140, s3, v135, v136, s3
	v_cmp_ne_u64_e64 s3, 0, v[53:54]
	s_clause 0x1
	global_load_b64 v[53:54], v[137:138], off offset:2048
	global_load_b64 v[135:136], v[137:138], off offset:1024
	v_cndmask_b32_e64 v137, 0, 1, vcc_lo
	v_add_co_ci_u32_e64 v138, vcc_lo, v140, v139, s3
	v_cmp_ne_u64_e32 vcc_lo, 0, v[45:46]
	v_cndmask_b32_e64 v139, 0, 1, s2
	s_mov_b32 s2, exec_lo
	s_delay_alu instid0(VALU_DEP_3)
	v_add_co_ci_u32_e32 v45, vcc_lo, v138, v137, vcc_lo
	s_waitcnt vmcnt(62)
	v_cmp_ne_u64_e32 vcc_lo, 0, v[57:58]
	v_cndmask_b32_e64 v46, 0, 1, vcc_lo
	v_cmp_ne_u64_e32 vcc_lo, 0, v[55:56]
	v_add_co_ci_u32_e32 v45, vcc_lo, v45, v139, vcc_lo
	s_waitcnt vmcnt(59)
	v_cmp_ne_u64_e32 vcc_lo, 0, v[79:80]
	v_cndmask_b32_e64 v55, 0, 1, vcc_lo
	v_cmp_ne_u64_e32 vcc_lo, 0, v[17:18]
	v_add_co_ci_u32_e32 v17, vcc_lo, v45, v46, vcc_lo
	v_cmp_ne_u64_e32 vcc_lo, 0, v[77:78]
	v_cndmask_b32_e64 v18, 0, 1, vcc_lo
	v_cmp_ne_u64_e32 vcc_lo, 0, v[75:76]
	s_delay_alu instid0(VALU_DEP_4)
	v_add_co_ci_u32_e32 v17, vcc_lo, v17, v55, vcc_lo
	s_waitcnt vmcnt(58)
	v_cmp_ne_u64_e32 vcc_lo, 0, v[107:108]
	v_cndmask_b32_e64 v45, 0, 1, vcc_lo
	v_cmp_ne_u64_e32 vcc_lo, 0, v[81:82]
	v_add_co_ci_u32_e32 v17, vcc_lo, v17, v18, vcc_lo
	s_waitcnt vmcnt(55)
	v_cmp_ne_u64_e32 vcc_lo, 0, v[109:110]
	v_cndmask_b32_e64 v18, 0, 1, vcc_lo
	v_cmp_ne_u64_e32 vcc_lo, 0, v[19:20]
	v_add_co_ci_u32_e32 v17, vcc_lo, v17, v45, vcc_lo
	v_cmp_ne_u64_e32 vcc_lo, 0, v[85:86]
	v_cndmask_b32_e64 v19, 0, 1, vcc_lo
	s_waitcnt vmcnt(54)
	v_cmp_ne_u64_e32 vcc_lo, 0, v[83:84]
	v_add_co_ci_u32_e32 v17, vcc_lo, v17, v18, vcc_lo
	s_waitcnt vmcnt(51)
	v_cmp_ne_u64_e32 vcc_lo, 0, v[59:60]
	v_cndmask_b32_e64 v18, 0, 1, vcc_lo
	v_cmp_ne_u64_e32 vcc_lo, 0, v[121:122]
	v_add_co_ci_u32_e32 v17, vcc_lo, v17, v19, vcc_lo
	v_cmp_ne_u64_e32 vcc_lo, 0, v[123:124]
	v_cndmask_b32_e64 v19, 0, 1, vcc_lo
	s_waitcnt vmcnt(50)
	v_cmp_ne_u64_e32 vcc_lo, 0, v[87:88]
	v_add_co_ci_u32_e32 v17, vcc_lo, v17, v18, vcc_lo
	s_waitcnt vmcnt(48)
	v_cmp_ne_u64_e32 vcc_lo, 0, v[133:134]
	v_cndmask_b32_e64 v18, 0, 1, vcc_lo
	v_cmp_ne_u64_e32 vcc_lo, 0, v[127:128]
	v_add_co_ci_u32_e32 v17, vcc_lo, v17, v19, vcc_lo
	s_waitcnt vmcnt(43)
	v_cmp_ne_u64_e32 vcc_lo, 0, v[29:30]
	v_cndmask_b32_e64 v19, 0, 1, vcc_lo
	v_cmp_ne_u64_e32 vcc_lo, 0, v[1:2]
	v_add_co_ci_u32_e32 v1, vcc_lo, v17, v18, vcc_lo
	v_cmp_ne_u64_e32 vcc_lo, 0, v[89:90]
	v_cndmask_b32_e64 v2, 0, 1, vcc_lo
	v_cmp_ne_u64_e32 vcc_lo, 0, v[23:24]
	s_delay_alu instid0(VALU_DEP_4)
	v_add_co_ci_u32_e32 v1, vcc_lo, v1, v19, vcc_lo
	s_waitcnt vmcnt(42)
	v_cmp_ne_u64_e32 vcc_lo, 0, v[91:92]
	v_cndmask_b32_e64 v17, 0, 1, vcc_lo
	v_cmp_ne_u64_e32 vcc_lo, 0, v[93:94]
	v_add_co_ci_u32_e32 v1, vcc_lo, v1, v2, vcc_lo
	s_waitcnt vmcnt(39)
	v_cmp_ne_u64_e32 vcc_lo, 0, v[5:6]
	v_cndmask_b32_e64 v2, 0, 1, vcc_lo
	v_cmp_ne_u64_e32 vcc_lo, 0, v[3:4]
	v_add_co_ci_u32_e32 v1, vcc_lo, v1, v17, vcc_lo
	v_cmp_ne_u64_e32 vcc_lo, 0, v[97:98]
	v_cndmask_b32_e64 v3, 0, 1, vcc_lo
	s_waitcnt vmcnt(38)
	v_cmp_ne_u64_e32 vcc_lo, 0, v[67:68]
	v_add_co_ci_u32_e32 v1, vcc_lo, v1, v2, vcc_lo
	s_waitcnt vmcnt(35)
	v_cmp_ne_u64_e32 vcc_lo, 0, v[11:12]
	v_cndmask_b32_e64 v2, 0, 1, vcc_lo
	v_cmp_ne_u64_e32 vcc_lo, 0, v[95:96]
	v_add_co_ci_u32_e32 v1, vcc_lo, v1, v3, vcc_lo
	v_cmp_ne_u64_e32 vcc_lo, 0, v[7:8]
	v_cndmask_b32_e64 v3, 0, 1, vcc_lo
	s_waitcnt vmcnt(34)
	v_cmp_ne_u64_e32 vcc_lo, 0, v[13:14]
	v_add_co_ci_u32_e32 v1, vcc_lo, v1, v2, vcc_lo
	s_waitcnt vmcnt(32)
	v_cmp_ne_u64_e32 vcc_lo, 0, v[99:100]
	v_cndmask_b32_e64 v2, 0, 1, vcc_lo
	v_cmp_ne_u64_e32 vcc_lo, 0, v[61:62]
	v_add_co_ci_u32_e32 v1, vcc_lo, v1, v3, vcc_lo
	s_waitcnt vmcnt(27)
	v_cmp_ne_u64_e32 vcc_lo, 0, v[43:44]
	v_cndmask_b32_e64 v3, 0, 1, vcc_lo
	v_cmp_ne_u64_e32 vcc_lo, 0, v[21:22]
	v_add_co_ci_u32_e32 v1, vcc_lo, v1, v2, vcc_lo
	v_cmp_ne_u64_e32 vcc_lo, 0, v[101:102]
	v_cndmask_b32_e64 v2, 0, 1, vcc_lo
	v_cmp_ne_u64_e32 vcc_lo, 0, v[37:38]
	s_delay_alu instid0(VALU_DEP_4)
	v_add_co_ci_u32_e32 v1, vcc_lo, v1, v3, vcc_lo
	s_waitcnt vmcnt(26)
	v_cmp_ne_u64_e32 vcc_lo, 0, v[103:104]
	v_cndmask_b32_e64 v3, 0, 1, vcc_lo
	v_cmp_ne_u64_e32 vcc_lo, 0, v[105:106]
	v_add_co_ci_u32_e32 v1, vcc_lo, v1, v2, vcc_lo
	s_waitcnt vmcnt(23)
	v_cmp_ne_u64_e32 vcc_lo, 0, v[51:52]
	v_cndmask_b32_e64 v2, 0, 1, vcc_lo
	v_cmp_ne_u64_e32 vcc_lo, 0, v[25:26]
	v_add_co_ci_u32_e32 v1, vcc_lo, v1, v3, vcc_lo
	v_cmp_ne_u64_e32 vcc_lo, 0, v[113:114]
	v_cndmask_b32_e64 v3, 0, 1, vcc_lo
	s_waitcnt vmcnt(22)
	v_cmp_ne_u64_e32 vcc_lo, 0, v[73:74]
	v_add_co_ci_u32_e32 v1, vcc_lo, v1, v2, vcc_lo
	s_waitcnt vmcnt(20)
	v_cmp_ne_u64_e32 vcc_lo, 0, v[27:28]
	v_cndmask_b32_e64 v2, 0, 1, vcc_lo
	v_cmp_ne_u64_e32 vcc_lo, 0, v[111:112]
	v_add_co_ci_u32_e32 v1, vcc_lo, v1, v3, vcc_lo
	s_waitcnt vmcnt(16)
	v_cmp_ne_u64_e32 vcc_lo, 0, v[63:64]
	v_cndmask_b32_e64 v3, 0, 1, vcc_lo
	v_cmp_ne_u64_e32 vcc_lo, 0, v[31:32]
	v_add_co_ci_u32_e32 v1, vcc_lo, v1, v2, vcc_lo
	v_cmp_ne_u64_e32 vcc_lo, 0, v[115:116]
	v_cndmask_b32_e64 v2, 0, 1, vcc_lo
	v_cmp_ne_u64_e32 vcc_lo, 0, v[33:34]
	s_delay_alu instid0(VALU_DEP_4)
	v_add_co_ci_u32_e32 v1, vcc_lo, v1, v3, vcc_lo
	s_waitcnt vmcnt(15)
	v_cmp_ne_u64_e32 vcc_lo, 0, v[119:120]
	v_cndmask_b32_e64 v3, 0, 1, vcc_lo
	s_waitcnt vmcnt(14)
	v_cmp_ne_u64_e32 vcc_lo, 0, v[39:40]
	v_add_co_ci_u32_e32 v1, vcc_lo, v1, v2, vcc_lo
	s_waitcnt vmcnt(12)
	v_cmp_ne_u64_e32 vcc_lo, 0, v[117:118]
	v_cndmask_b32_e64 v2, 0, 1, vcc_lo
	v_cmp_ne_u64_e32 vcc_lo, 0, v[41:42]
	v_add_co_ci_u32_e32 v1, vcc_lo, v1, v3, vcc_lo
	s_waitcnt vmcnt(10)
	v_cmp_ne_u64_e32 vcc_lo, 0, v[65:66]
	v_cndmask_b32_e64 v3, 0, 1, vcc_lo
	;; [unrolled: 5-line block ×4, first 2 shown]
	s_waitcnt vmcnt(6)
	v_cmp_ne_u64_e32 vcc_lo, 0, v[47:48]
	v_add_co_ci_u32_e32 v1, vcc_lo, v1, v2, vcc_lo
	s_waitcnt vmcnt(4)
	v_cmp_ne_u64_e32 vcc_lo, 0, v[49:50]
	v_cndmask_b32_e64 v2, 0, 1, vcc_lo
	v_cmp_ne_u64_e32 vcc_lo, 0, v[129:130]
	v_add_co_ci_u32_e32 v1, vcc_lo, v1, v3, vcc_lo
	s_waitcnt vmcnt(2)
	v_cmp_ne_u64_e32 vcc_lo, 0, v[71:72]
	v_cndmask_b32_e64 v3, 0, 1, vcc_lo
	;; [unrolled: 5-line block ×3, first 2 shown]
	s_waitcnt vmcnt(0)
	v_cmp_ne_u64_e32 vcc_lo, 0, v[135:136]
	v_add_co_ci_u32_e32 v1, vcc_lo, v1, v3, vcc_lo
	v_cmp_ne_u64_e32 vcc_lo, 0, v[9:10]
	v_mov_b32_e32 v3, 0
	s_delay_alu instid0(VALU_DEP_3) | instskip(NEXT) | instid1(VALU_DEP_1)
	v_add_co_ci_u32_e32 v1, vcc_lo, v1, v2, vcc_lo
	v_mov_b32_dpp v2, v1 quad_perm:[1,0,3,2] row_mask:0xf bank_mask:0xf
	s_delay_alu instid0(VALU_DEP_1) | instskip(NEXT) | instid1(VALU_DEP_1)
	v_add_nc_u32_e32 v1, v1, v2
	v_mov_b32_dpp v2, v1 quad_perm:[2,3,0,1] row_mask:0xf bank_mask:0xf
	s_delay_alu instid0(VALU_DEP_1) | instskip(NEXT) | instid1(VALU_DEP_1)
	v_add_nc_u32_e32 v1, v1, v2
	v_mov_b32_dpp v2, v1 row_ror:4 row_mask:0xf bank_mask:0xf
	s_delay_alu instid0(VALU_DEP_1) | instskip(NEXT) | instid1(VALU_DEP_1)
	v_add_nc_u32_e32 v1, v1, v2
	v_mov_b32_dpp v2, v1 row_ror:8 row_mask:0xf bank_mask:0xf
	s_delay_alu instid0(VALU_DEP_1)
	v_add_nc_u32_e32 v1, v1, v2
	ds_swizzle_b32 v2, v1 offset:swizzle(BROADCAST,32,15)
	s_waitcnt lgkmcnt(0)
	v_add_nc_u32_e32 v1, v1, v2
	v_mbcnt_lo_u32_b32 v2, -1, 0
	ds_bpermute_b32 v1, v3, v1 offset:124
	v_cmpx_eq_u32_e32 0, v2
	s_cbranch_execz .LBB252_7
; %bb.6:
	v_lshrrev_b32_e32 v3, 3, v0
	s_delay_alu instid0(VALU_DEP_1)
	v_and_b32_e32 v3, 12, v3
	s_waitcnt lgkmcnt(0)
	ds_store_b32 v3, v1
.LBB252_7:
	s_or_b32 exec_lo, exec_lo, s2
	s_delay_alu instid0(SALU_CYCLE_1)
	s_mov_b32 s2, exec_lo
	s_waitcnt lgkmcnt(0)
	s_barrier
	buffer_gl0_inv
	v_cmpx_gt_u32_e32 32, v0
	s_cbranch_execz .LBB252_9
; %bb.8:
	v_and_b32_e32 v1, 3, v2
	s_delay_alu instid0(VALU_DEP_1) | instskip(SKIP_4) | instid1(VALU_DEP_2)
	v_lshlrev_b32_e32 v3, 2, v1
	v_cmp_ne_u32_e32 vcc_lo, 3, v1
	ds_load_b32 v3, v3
	v_add_co_ci_u32_e32 v4, vcc_lo, 0, v2, vcc_lo
	v_cmp_gt_u32_e32 vcc_lo, 2, v1
	v_lshlrev_b32_e32 v4, 2, v4
	v_cndmask_b32_e64 v1, 0, 1, vcc_lo
	s_delay_alu instid0(VALU_DEP_1) | instskip(NEXT) | instid1(VALU_DEP_1)
	v_lshlrev_b32_e32 v1, 1, v1
	v_add_lshl_u32 v1, v1, v2, 2
	s_waitcnt lgkmcnt(0)
	ds_bpermute_b32 v4, v4, v3
	s_waitcnt lgkmcnt(0)
	v_add_nc_u32_e32 v3, v4, v3
	ds_bpermute_b32 v1, v1, v3
	s_waitcnt lgkmcnt(0)
	v_add_nc_u32_e32 v1, v1, v3
.LBB252_9:
	s_or_b32 exec_lo, exec_lo, s2
.LBB252_10:
	v_cmp_eq_u32_e64 s2, 0, v0
	s_and_b32 vcc_lo, exec_lo, s33
	s_cbranch_vccnz .LBB252_24
.LBB252_11:
	s_branch .LBB252_512
.LBB252_12:
	s_mov_b32 s2, 0
                                        ; implicit-def: $vgpr1
	s_cbranch_execz .LBB252_623
	s_branch .LBB252_513
.LBB252_13:
	s_mov_b32 s2, 0
                                        ; implicit-def: $vgpr1
	s_cbranch_execz .LBB252_512
; %bb.14:
	s_cmp_gt_i32 s19, 31
	s_cbranch_scc0 .LBB252_31
; %bb.15:
	s_cmp_eq_u32 s19, 32
	s_cbranch_scc0 .LBB252_32
; %bb.16:
	s_mov_b32 s25, 0
	s_lshl_b32 s4, s24, 12
	s_mov_b32 s5, s25
	s_lshr_b64 s[6:7], s[20:21], 12
	s_lshl_b64 s[2:3], s[4:5], 3
	s_delay_alu instid0(SALU_CYCLE_1)
	s_add_u32 s2, s26, s2
	s_addc_u32 s3, s27, s3
	s_cmp_lg_u64 s[6:7], s[24:25]
	s_cbranch_scc0 .LBB252_296
; %bb.17:
	v_lshlrev_b32_e32 v7, 3, v0
	s_delay_alu instid0(VALU_DEP_1)
	v_add_co_u32 v53, s5, s2, v7
	s_clause 0x3
	global_load_b64 v[1:2], v7, s[2:3]
	global_load_b64 v[3:4], v7, s[2:3] offset:1024
	global_load_b64 v[5:6], v7, s[2:3] offset:2048
	;; [unrolled: 1-line block ×3, first 2 shown]
	v_add_co_ci_u32_e64 v54, null, s3, 0, s5
	v_add_co_u32 v9, vcc_lo, v53, 0x2000
	s_mov_b32 s5, exec_lo
	s_delay_alu instid0(VALU_DEP_2)
	v_add_co_ci_u32_e32 v10, vcc_lo, 0, v54, vcc_lo
	v_add_co_u32 v11, vcc_lo, 0x1000, v53
	v_add_co_ci_u32_e32 v12, vcc_lo, 0, v54, vcc_lo
	global_load_b64 v[13:14], v[9:10], off offset:-4096
	v_add_co_u32 v15, vcc_lo, 0x2000, v53
	v_add_co_ci_u32_e32 v16, vcc_lo, 0, v54, vcc_lo
	s_clause 0x6
	global_load_b64 v[17:18], v[11:12], off offset:2048
	global_load_b64 v[19:20], v[11:12], off offset:1024
	global_load_b64 v[9:10], v[9:10], off
	global_load_b64 v[11:12], v[11:12], off offset:3072
	global_load_b64 v[21:22], v[15:16], off offset:1024
	;; [unrolled: 1-line block ×4, first 2 shown]
	v_add_co_u32 v25, vcc_lo, v53, 0x4000
	v_add_co_ci_u32_e32 v26, vcc_lo, 0, v54, vcc_lo
	v_add_co_u32 v27, vcc_lo, 0x3000, v53
	v_add_co_ci_u32_e32 v28, vcc_lo, 0, v54, vcc_lo
	global_load_b64 v[29:30], v[25:26], off offset:-4096
	v_add_co_u32 v31, vcc_lo, 0x4000, v53
	v_add_co_ci_u32_e32 v32, vcc_lo, 0, v54, vcc_lo
	s_clause 0x5
	global_load_b64 v[33:34], v[27:28], off offset:2048
	global_load_b64 v[35:36], v[27:28], off offset:1024
	global_load_b64 v[25:26], v[25:26], off
	global_load_b64 v[27:28], v[27:28], off offset:3072
	global_load_b64 v[37:38], v[31:32], off offset:1024
	global_load_b64 v[39:40], v[31:32], off offset:2048
	v_add_co_u32 v41, vcc_lo, v53, 0x6000
	v_add_co_ci_u32_e32 v42, vcc_lo, 0, v54, vcc_lo
	v_add_co_u32 v43, vcc_lo, 0x5000, v53
	v_add_co_ci_u32_e32 v44, vcc_lo, 0, v54, vcc_lo
	s_clause 0x5
	global_load_b64 v[45:46], v[41:42], off offset:-4096
	global_load_b64 v[31:32], v[31:32], off offset:3072
	global_load_b64 v[47:48], v[43:44], off offset:1024
	;; [unrolled: 1-line block ×4, first 2 shown]
	global_load_b64 v[41:42], v[41:42], off
	v_add_co_u32 v51, vcc_lo, 0x6000, v53
	v_add_co_ci_u32_e32 v52, vcc_lo, 0, v54, vcc_lo
	v_add_co_u32 v53, vcc_lo, 0x7000, v53
	v_add_co_ci_u32_e32 v54, vcc_lo, 0, v54, vcc_lo
	s_clause 0x6
	global_load_b64 v[55:56], v[51:52], off offset:2048
	global_load_b64 v[57:58], v[51:52], off offset:1024
	global_load_b64 v[59:60], v[53:54], off
	global_load_b64 v[51:52], v[51:52], off offset:3072
	global_load_b64 v[61:62], v[53:54], off offset:2048
	;; [unrolled: 1-line block ×4, first 2 shown]
	s_waitcnt vmcnt(31)
	v_cmp_ne_u64_e32 vcc_lo, 0, v[1:2]
	v_cndmask_b32_e64 v1, 0, 1, vcc_lo
	s_waitcnt vmcnt(29)
	v_cmp_ne_u64_e32 vcc_lo, 0, v[5:6]
	v_cndmask_b32_e64 v2, 0, 1, vcc_lo
	v_cmp_ne_u64_e32 vcc_lo, 0, v[3:4]
	v_add_co_ci_u32_e32 v1, vcc_lo, 0, v1, vcc_lo
	s_waitcnt vmcnt(27)
	v_cmp_ne_u64_e32 vcc_lo, 0, v[13:14]
	v_cndmask_b32_e64 v3, 0, 1, vcc_lo
	v_cmp_ne_u64_e32 vcc_lo, 0, v[7:8]
	v_add_co_ci_u32_e32 v1, vcc_lo, v1, v2, vcc_lo
	s_waitcnt vmcnt(26)
	v_cmp_ne_u64_e32 vcc_lo, 0, v[17:18]
	v_cndmask_b32_e64 v2, 0, 1, vcc_lo
	s_waitcnt vmcnt(25)
	v_cmp_ne_u64_e32 vcc_lo, 0, v[19:20]
	v_add_co_ci_u32_e32 v1, vcc_lo, v1, v3, vcc_lo
	s_waitcnt vmcnt(24)
	v_cmp_ne_u64_e32 vcc_lo, 0, v[9:10]
	v_cndmask_b32_e64 v3, 0, 1, vcc_lo
	s_waitcnt vmcnt(23)
	v_cmp_ne_u64_e32 vcc_lo, 0, v[11:12]
	v_add_co_ci_u32_e32 v1, vcc_lo, v1, v2, vcc_lo
	s_waitcnt vmcnt(21)
	v_cmp_ne_u64_e32 vcc_lo, 0, v[23:24]
	v_cndmask_b32_e64 v2, 0, 1, vcc_lo
	v_cmp_ne_u64_e32 vcc_lo, 0, v[21:22]
	v_add_co_ci_u32_e32 v1, vcc_lo, v1, v3, vcc_lo
	s_waitcnt vmcnt(19)
	v_cmp_ne_u64_e32 vcc_lo, 0, v[29:30]
	v_cndmask_b32_e64 v3, 0, 1, vcc_lo
	;; [unrolled: 5-line block ×3, first 2 shown]
	s_waitcnt vmcnt(17)
	v_cmp_ne_u64_e32 vcc_lo, 0, v[35:36]
	v_add_co_ci_u32_e32 v1, vcc_lo, v1, v3, vcc_lo
	s_waitcnt vmcnt(16)
	v_cmp_ne_u64_e32 vcc_lo, 0, v[25:26]
	v_cndmask_b32_e64 v3, 0, 1, vcc_lo
	s_waitcnt vmcnt(15)
	v_cmp_ne_u64_e32 vcc_lo, 0, v[27:28]
	v_add_co_ci_u32_e32 v1, vcc_lo, v1, v2, vcc_lo
	s_waitcnt vmcnt(13)
	v_cmp_ne_u64_e32 vcc_lo, 0, v[39:40]
	v_cndmask_b32_e64 v2, 0, 1, vcc_lo
	v_cmp_ne_u64_e32 vcc_lo, 0, v[37:38]
	v_add_co_ci_u32_e32 v1, vcc_lo, v1, v3, vcc_lo
	s_waitcnt vmcnt(12)
	v_cmp_ne_u64_e32 vcc_lo, 0, v[45:46]
	v_cndmask_b32_e64 v3, 0, 1, vcc_lo
	s_waitcnt vmcnt(11)
	v_cmp_ne_u64_e32 vcc_lo, 0, v[31:32]
	v_add_co_ci_u32_e32 v1, vcc_lo, v1, v2, vcc_lo
	s_waitcnt vmcnt(9)
	v_cmp_ne_u64_e32 vcc_lo, 0, v[49:50]
	v_cndmask_b32_e64 v2, 0, 1, vcc_lo
	v_cmp_ne_u64_e32 vcc_lo, 0, v[47:48]
	v_add_co_ci_u32_e32 v1, vcc_lo, v1, v3, vcc_lo
	s_waitcnt vmcnt(7)
	v_cmp_ne_u64_e32 vcc_lo, 0, v[41:42]
	v_cndmask_b32_e64 v3, 0, 1, vcc_lo
	;; [unrolled: 5-line block ×3, first 2 shown]
	s_waitcnt vmcnt(5)
	v_cmp_ne_u64_e32 vcc_lo, 0, v[57:58]
	v_add_co_ci_u32_e32 v1, vcc_lo, v1, v3, vcc_lo
	s_waitcnt vmcnt(4)
	v_cmp_ne_u64_e32 vcc_lo, 0, v[59:60]
	v_cndmask_b32_e64 v3, 0, 1, vcc_lo
	s_waitcnt vmcnt(3)
	v_cmp_ne_u64_e32 vcc_lo, 0, v[51:52]
	v_add_co_ci_u32_e32 v1, vcc_lo, v1, v2, vcc_lo
	s_waitcnt vmcnt(2)
	v_cmp_ne_u64_e32 vcc_lo, 0, v[61:62]
	v_cndmask_b32_e64 v2, 0, 1, vcc_lo
	s_waitcnt vmcnt(1)
	v_cmp_ne_u64_e32 vcc_lo, 0, v[63:64]
	v_add_co_ci_u32_e32 v1, vcc_lo, v1, v3, vcc_lo
	s_waitcnt vmcnt(0)
	v_cmp_ne_u64_e32 vcc_lo, 0, v[53:54]
	v_mov_b32_e32 v3, 0
	s_delay_alu instid0(VALU_DEP_3) | instskip(NEXT) | instid1(VALU_DEP_1)
	v_add_co_ci_u32_e32 v1, vcc_lo, v1, v2, vcc_lo
	v_mov_b32_dpp v2, v1 quad_perm:[1,0,3,2] row_mask:0xf bank_mask:0xf
	s_delay_alu instid0(VALU_DEP_1) | instskip(NEXT) | instid1(VALU_DEP_1)
	v_add_nc_u32_e32 v1, v1, v2
	v_mov_b32_dpp v2, v1 quad_perm:[2,3,0,1] row_mask:0xf bank_mask:0xf
	s_delay_alu instid0(VALU_DEP_1) | instskip(NEXT) | instid1(VALU_DEP_1)
	v_add_nc_u32_e32 v1, v1, v2
	v_mov_b32_dpp v2, v1 row_ror:4 row_mask:0xf bank_mask:0xf
	s_delay_alu instid0(VALU_DEP_1) | instskip(NEXT) | instid1(VALU_DEP_1)
	v_add_nc_u32_e32 v1, v1, v2
	v_mov_b32_dpp v2, v1 row_ror:8 row_mask:0xf bank_mask:0xf
	s_delay_alu instid0(VALU_DEP_1)
	v_add_nc_u32_e32 v1, v1, v2
	ds_swizzle_b32 v2, v1 offset:swizzle(BROADCAST,32,15)
	s_waitcnt lgkmcnt(0)
	v_add_nc_u32_e32 v1, v1, v2
	v_mbcnt_lo_u32_b32 v2, -1, 0
	ds_bpermute_b32 v1, v3, v1 offset:124
	v_cmpx_eq_u32_e32 0, v2
	s_cbranch_execz .LBB252_19
; %bb.18:
	v_lshrrev_b32_e32 v3, 3, v0
	s_delay_alu instid0(VALU_DEP_1)
	v_and_b32_e32 v3, 12, v3
	s_waitcnt lgkmcnt(0)
	ds_store_b32 v3, v1 offset:64
.LBB252_19:
	s_or_b32 exec_lo, exec_lo, s5
	s_delay_alu instid0(SALU_CYCLE_1)
	s_mov_b32 s5, exec_lo
	s_waitcnt lgkmcnt(0)
	s_barrier
	buffer_gl0_inv
	v_cmpx_gt_u32_e32 32, v0
	s_cbranch_execz .LBB252_21
; %bb.20:
	v_and_b32_e32 v1, 3, v2
	s_delay_alu instid0(VALU_DEP_1) | instskip(SKIP_4) | instid1(VALU_DEP_2)
	v_lshlrev_b32_e32 v3, 2, v1
	v_cmp_ne_u32_e32 vcc_lo, 3, v1
	ds_load_b32 v3, v3 offset:64
	v_add_co_ci_u32_e32 v4, vcc_lo, 0, v2, vcc_lo
	v_cmp_gt_u32_e32 vcc_lo, 2, v1
	v_lshlrev_b32_e32 v4, 2, v4
	v_cndmask_b32_e64 v1, 0, 1, vcc_lo
	s_delay_alu instid0(VALU_DEP_1) | instskip(NEXT) | instid1(VALU_DEP_1)
	v_lshlrev_b32_e32 v1, 1, v1
	v_add_lshl_u32 v1, v1, v2, 2
	s_waitcnt lgkmcnt(0)
	ds_bpermute_b32 v4, v4, v3
	s_waitcnt lgkmcnt(0)
	v_add_nc_u32_e32 v3, v4, v3
	ds_bpermute_b32 v1, v1, v3
	s_waitcnt lgkmcnt(0)
	v_add_nc_u32_e32 v1, v1, v3
.LBB252_21:
	s_or_b32 exec_lo, exec_lo, s5
	s_mov_b32 s5, 0
	s_branch .LBB252_297
.LBB252_22:
	s_mov_b32 s33, -1
.LBB252_23:
	s_mov_b32 s2, 0
                                        ; implicit-def: $vgpr1
	s_and_b32 vcc_lo, exec_lo, s33
	s_cbranch_vccz .LBB252_11
.LBB252_24:
	s_cmp_eq_u32 s19, 64
	s_cbranch_scc0 .LBB252_33
; %bb.25:
	s_mov_b32 s25, 0
	s_lshl_b32 s4, s24, 13
	s_mov_b32 s5, s25
	s_lshr_b64 s[6:7], s[20:21], 13
	s_lshl_b64 s[2:3], s[4:5], 3
	s_delay_alu instid0(SALU_CYCLE_1)
	s_add_u32 s2, s26, s2
	s_addc_u32 s3, s27, s3
	s_cmp_lg_u64 s[6:7], s[24:25]
	s_cbranch_scc0 .LBB252_376
; %bb.26:
	v_lshlrev_b32_e32 v13, 3, v0
	s_clause 0x2
	global_load_b64 v[1:2], v13, s[2:3]
	global_load_b64 v[3:4], v13, s[2:3] offset:1024
	global_load_b64 v[5:6], v13, s[2:3] offset:2048
	v_add_co_u32 v117, s5, s2, v13
	s_delay_alu instid0(VALU_DEP_1) | instskip(SKIP_1) | instid1(VALU_DEP_2)
	v_add_co_ci_u32_e64 v118, null, s3, 0, s5
	s_mov_b32 s5, exec_lo
	v_add_co_u32 v7, vcc_lo, 0x1000, v117
	s_delay_alu instid0(VALU_DEP_2)
	v_add_co_ci_u32_e32 v8, vcc_lo, 0, v118, vcc_lo
	v_add_co_u32 v9, vcc_lo, v117, 0x2000
	v_add_co_ci_u32_e32 v10, vcc_lo, 0, v118, vcc_lo
	v_add_co_u32 v11, vcc_lo, 0x2000, v117
	v_add_co_ci_u32_e32 v12, vcc_lo, 0, v118, vcc_lo
	s_clause 0x5
	global_load_b64 v[13:14], v13, s[2:3] offset:3072
	global_load_b64 v[15:16], v[9:10], off offset:-4096
	global_load_b64 v[17:18], v[7:8], off offset:3072
	global_load_b64 v[19:20], v[11:12], off offset:1024
	;; [unrolled: 1-line block ×4, first 2 shown]
	v_add_co_u32 v23, vcc_lo, v117, 0x4000
	v_add_co_ci_u32_e32 v24, vcc_lo, 0, v118, vcc_lo
	s_clause 0x2
	global_load_b64 v[9:10], v[9:10], off
	global_load_b64 v[25:26], v[11:12], off offset:2048
	global_load_b64 v[27:28], v[23:24], off offset:-4096
	v_add_co_u32 v29, vcc_lo, 0x3000, v117
	v_add_co_ci_u32_e32 v30, vcc_lo, 0, v118, vcc_lo
	s_clause 0x2
	global_load_b64 v[11:12], v[11:12], off offset:3072
	global_load_b64 v[33:34], v[29:30], off offset:1024
	;; [unrolled: 1-line block ×3, first 2 shown]
	v_add_co_u32 v31, vcc_lo, v117, 0x6000
	v_add_co_ci_u32_e32 v32, vcc_lo, 0, v118, vcc_lo
	v_add_co_u32 v37, vcc_lo, 0x4000, v117
	v_add_co_ci_u32_e32 v38, vcc_lo, 0, v118, vcc_lo
	s_clause 0x5
	global_load_b64 v[23:24], v[23:24], off
	global_load_b64 v[39:40], v[31:32], off offset:-4096
	global_load_b64 v[29:30], v[29:30], off offset:3072
	global_load_b64 v[41:42], v[37:38], off offset:3072
	;; [unrolled: 1-line block ×4, first 2 shown]
	v_add_co_u32 v45, vcc_lo, 0x5000, v117
	v_add_co_ci_u32_e32 v46, vcc_lo, 0, v118, vcc_lo
	s_clause 0x1
	global_load_b64 v[49:50], v[45:46], off offset:1024
	global_load_b64 v[51:52], v[45:46], off offset:2048
	v_add_co_u32 v47, vcc_lo, 0x6000, v117
	v_add_co_ci_u32_e32 v48, vcc_lo, 0, v118, vcc_lo
	s_clause 0x2
	global_load_b64 v[31:32], v[31:32], off
	global_load_b64 v[45:46], v[45:46], off offset:3072
	global_load_b64 v[55:56], v[47:48], off offset:2048
	v_add_co_u32 v53, vcc_lo, v117, 0x8000
	v_add_co_ci_u32_e32 v54, vcc_lo, 0, v118, vcc_lo
	s_clause 0x2
	global_load_b64 v[59:60], v[47:48], off offset:1024
	global_load_b64 v[61:62], v[53:54], off offset:-4096
	global_load_b64 v[47:48], v[47:48], off offset:3072
	v_add_co_u32 v57, vcc_lo, 0x7000, v117
	v_add_co_ci_u32_e32 v58, vcc_lo, 0, v118, vcc_lo
	s_clause 0x1
	global_load_b64 v[65:66], v[57:58], off offset:1024
	global_load_b64 v[67:68], v[57:58], off offset:2048
	v_add_co_u32 v63, vcc_lo, 0x8000, v117
	v_add_co_ci_u32_e32 v64, vcc_lo, 0, v118, vcc_lo
	s_clause 0x3
	global_load_b64 v[53:54], v[53:54], off
	global_load_b64 v[57:58], v[57:58], off offset:3072
	global_load_b64 v[71:72], v[63:64], off offset:1024
	;; [unrolled: 1-line block ×3, first 2 shown]
	v_add_co_u32 v69, vcc_lo, v117, 0xa000
	v_add_co_ci_u32_e32 v70, vcc_lo, 0, v118, vcc_lo
	s_clause 0x1
	global_load_b64 v[63:64], v[63:64], off offset:3072
	global_load_b64 v[77:78], v[69:70], off offset:-4096
	v_add_co_u32 v75, vcc_lo, 0x9000, v117
	v_add_co_ci_u32_e32 v76, vcc_lo, 0, v118, vcc_lo
	s_clause 0x1
	global_load_b64 v[81:82], v[75:76], off offset:1024
	global_load_b64 v[83:84], v[75:76], off offset:2048
	v_add_co_u32 v79, vcc_lo, 0xa000, v117
	v_add_co_ci_u32_e32 v80, vcc_lo, 0, v118, vcc_lo
	s_clause 0x2
	global_load_b64 v[69:70], v[69:70], off
	global_load_b64 v[75:76], v[75:76], off offset:3072
	global_load_b64 v[87:88], v[79:80], off offset:2048
	v_add_co_u32 v85, vcc_lo, v117, 0xc000
	v_add_co_ci_u32_e32 v86, vcc_lo, 0, v118, vcc_lo
	v_add_co_u32 v89, vcc_lo, 0xb000, v117
	v_add_co_ci_u32_e32 v90, vcc_lo, 0, v118, vcc_lo
	s_clause 0x4
	global_load_b64 v[91:92], v[79:80], off offset:1024
	global_load_b64 v[93:94], v[85:86], off offset:-4096
	global_load_b64 v[79:80], v[79:80], off offset:3072
	global_load_b64 v[95:96], v[89:90], off offset:1024
	;; [unrolled: 1-line block ×3, first 2 shown]
	v_add_co_u32 v99, vcc_lo, 0xc000, v117
	global_load_b64 v[85:86], v[85:86], off
	v_add_co_ci_u32_e32 v100, vcc_lo, 0, v118, vcc_lo
	v_add_co_u32 v101, vcc_lo, v117, 0xe000
	v_add_co_ci_u32_e32 v102, vcc_lo, 0, v118, vcc_lo
	v_add_co_u32 v107, vcc_lo, 0xd000, v117
	s_clause 0x2
	global_load_b64 v[89:90], v[89:90], off offset:3072
	global_load_b64 v[103:104], v[99:100], off offset:1024
	;; [unrolled: 1-line block ×3, first 2 shown]
	v_add_co_ci_u32_e32 v108, vcc_lo, 0, v118, vcc_lo
	v_add_co_u32 v115, vcc_lo, 0xe000, v117
	v_add_co_ci_u32_e32 v116, vcc_lo, 0, v118, vcc_lo
	v_add_co_u32 v117, vcc_lo, 0xf000, v117
	v_add_co_ci_u32_e32 v118, vcc_lo, 0, v118, vcc_lo
	s_clause 0xc
	global_load_b64 v[109:110], v[101:102], off offset:-4096
	global_load_b64 v[99:100], v[99:100], off offset:3072
	global_load_b64 v[111:112], v[107:108], off offset:1024
	;; [unrolled: 1-line block ×3, first 2 shown]
	global_load_b64 v[101:102], v[101:102], off
	global_load_b64 v[107:108], v[107:108], off offset:3072
	global_load_b64 v[119:120], v[115:116], off offset:2048
	;; [unrolled: 1-line block ×3, first 2 shown]
	global_load_b64 v[123:124], v[117:118], off
	global_load_b64 v[115:116], v[115:116], off offset:3072
	global_load_b64 v[125:126], v[117:118], off offset:2048
	;; [unrolled: 1-line block ×4, first 2 shown]
	s_waitcnt vmcnt(62)
	v_cmp_ne_u64_e32 vcc_lo, 0, v[1:2]
	v_cndmask_b32_e64 v1, 0, 1, vcc_lo
	s_waitcnt vmcnt(61)
	v_cmp_ne_u64_e32 vcc_lo, 0, v[5:6]
	v_cndmask_b32_e64 v2, 0, 1, vcc_lo
	v_cmp_ne_u64_e32 vcc_lo, 0, v[3:4]
	v_add_co_ci_u32_e32 v1, vcc_lo, 0, v1, vcc_lo
	s_waitcnt vmcnt(59)
	v_cmp_ne_u64_e32 vcc_lo, 0, v[15:16]
	v_cndmask_b32_e64 v3, 0, 1, vcc_lo
	v_cmp_ne_u64_e32 vcc_lo, 0, v[13:14]
	v_add_co_ci_u32_e32 v1, vcc_lo, v1, v2, vcc_lo
	s_waitcnt vmcnt(56)
	v_cmp_ne_u64_e32 vcc_lo, 0, v[21:22]
	v_cndmask_b32_e64 v2, 0, 1, vcc_lo
	s_waitcnt vmcnt(55)
	v_cmp_ne_u64_e32 vcc_lo, 0, v[7:8]
	v_add_co_ci_u32_e32 v1, vcc_lo, v1, v3, vcc_lo
	s_waitcnt vmcnt(54)
	v_cmp_ne_u64_e32 vcc_lo, 0, v[9:10]
	v_cndmask_b32_e64 v3, 0, 1, vcc_lo
	v_cmp_ne_u64_e32 vcc_lo, 0, v[17:18]
	v_add_co_ci_u32_e32 v1, vcc_lo, v1, v2, vcc_lo
	s_waitcnt vmcnt(53)
	v_cmp_ne_u64_e32 vcc_lo, 0, v[25:26]
	v_cndmask_b32_e64 v2, 0, 1, vcc_lo
	;; [unrolled: 5-line block ×3, first 2 shown]
	s_waitcnt vmcnt(51)
	v_cmp_ne_u64_e32 vcc_lo, 0, v[11:12]
	v_add_co_ci_u32_e32 v1, vcc_lo, v1, v2, vcc_lo
	s_waitcnt vmcnt(49)
	v_cmp_ne_u64_e32 vcc_lo, 0, v[35:36]
	v_cndmask_b32_e64 v2, 0, 1, vcc_lo
	v_cmp_ne_u64_e32 vcc_lo, 0, v[33:34]
	v_add_co_ci_u32_e32 v1, vcc_lo, v1, v3, vcc_lo
	s_waitcnt vmcnt(48)
	v_cmp_ne_u64_e32 vcc_lo, 0, v[23:24]
	v_cndmask_b32_e64 v3, 0, 1, vcc_lo
	s_waitcnt vmcnt(46)
	v_cmp_ne_u64_e32 vcc_lo, 0, v[29:30]
	v_add_co_ci_u32_e32 v1, vcc_lo, v1, v2, vcc_lo
	s_waitcnt vmcnt(44)
	v_cmp_ne_u64_e32 vcc_lo, 0, v[43:44]
	v_cndmask_b32_e64 v2, 0, 1, vcc_lo
	s_waitcnt vmcnt(43)
	v_cmp_ne_u64_e32 vcc_lo, 0, v[37:38]
	v_add_co_ci_u32_e32 v1, vcc_lo, v1, v3, vcc_lo
	v_cmp_ne_u64_e32 vcc_lo, 0, v[39:40]
	v_cndmask_b32_e64 v3, 0, 1, vcc_lo
	v_cmp_ne_u64_e32 vcc_lo, 0, v[41:42]
	s_delay_alu instid0(VALU_DEP_4)
	v_add_co_ci_u32_e32 v1, vcc_lo, v1, v2, vcc_lo
	s_waitcnt vmcnt(41)
	v_cmp_ne_u64_e32 vcc_lo, 0, v[51:52]
	v_cndmask_b32_e64 v2, 0, 1, vcc_lo
	v_cmp_ne_u64_e32 vcc_lo, 0, v[49:50]
	v_add_co_ci_u32_e32 v1, vcc_lo, v1, v3, vcc_lo
	s_waitcnt vmcnt(40)
	v_cmp_ne_u64_e32 vcc_lo, 0, v[31:32]
	v_cndmask_b32_e64 v3, 0, 1, vcc_lo
	s_waitcnt vmcnt(39)
	v_cmp_ne_u64_e32 vcc_lo, 0, v[45:46]
	v_add_co_ci_u32_e32 v1, vcc_lo, v1, v2, vcc_lo
	s_waitcnt vmcnt(38)
	v_cmp_ne_u64_e32 vcc_lo, 0, v[55:56]
	v_cndmask_b32_e64 v2, 0, 1, vcc_lo
	s_waitcnt vmcnt(37)
	v_cmp_ne_u64_e32 vcc_lo, 0, v[59:60]
	v_add_co_ci_u32_e32 v1, vcc_lo, v1, v3, vcc_lo
	s_waitcnt vmcnt(36)
	v_cmp_ne_u64_e32 vcc_lo, 0, v[61:62]
	v_cndmask_b32_e64 v3, 0, 1, vcc_lo
	s_waitcnt vmcnt(35)
	v_cmp_ne_u64_e32 vcc_lo, 0, v[47:48]
	v_add_co_ci_u32_e32 v1, vcc_lo, v1, v2, vcc_lo
	s_waitcnt vmcnt(33)
	v_cmp_ne_u64_e32 vcc_lo, 0, v[67:68]
	v_cndmask_b32_e64 v2, 0, 1, vcc_lo
	v_cmp_ne_u64_e32 vcc_lo, 0, v[65:66]
	v_add_co_ci_u32_e32 v1, vcc_lo, v1, v3, vcc_lo
	s_waitcnt vmcnt(32)
	v_cmp_ne_u64_e32 vcc_lo, 0, v[53:54]
	v_cndmask_b32_e64 v3, 0, 1, vcc_lo
	s_waitcnt vmcnt(31)
	v_cmp_ne_u64_e32 vcc_lo, 0, v[57:58]
	v_add_co_ci_u32_e32 v1, vcc_lo, v1, v2, vcc_lo
	s_waitcnt vmcnt(29)
	v_cmp_ne_u64_e32 vcc_lo, 0, v[73:74]
	v_cndmask_b32_e64 v2, 0, 1, vcc_lo
	v_cmp_ne_u64_e32 vcc_lo, 0, v[71:72]
	v_add_co_ci_u32_e32 v1, vcc_lo, v1, v3, vcc_lo
	s_waitcnt vmcnt(27)
	v_cmp_ne_u64_e32 vcc_lo, 0, v[77:78]
	v_cndmask_b32_e64 v3, 0, 1, vcc_lo
	;; [unrolled: 5-line block ×4, first 2 shown]
	s_waitcnt vmcnt(23)
	v_cmp_ne_u64_e32 vcc_lo, 0, v[75:76]
	v_add_co_ci_u32_e32 v1, vcc_lo, v1, v2, vcc_lo
	s_waitcnt vmcnt(22)
	v_cmp_ne_u64_e32 vcc_lo, 0, v[87:88]
	v_cndmask_b32_e64 v2, 0, 1, vcc_lo
	s_waitcnt vmcnt(21)
	v_cmp_ne_u64_e32 vcc_lo, 0, v[91:92]
	v_add_co_ci_u32_e32 v1, vcc_lo, v1, v3, vcc_lo
	s_waitcnt vmcnt(20)
	v_cmp_ne_u64_e32 vcc_lo, 0, v[93:94]
	v_cndmask_b32_e64 v3, 0, 1, vcc_lo
	;; [unrolled: 6-line block ×3, first 2 shown]
	v_cmp_ne_u64_e32 vcc_lo, 0, v[95:96]
	v_add_co_ci_u32_e32 v1, vcc_lo, v1, v3, vcc_lo
	s_waitcnt vmcnt(16)
	v_cmp_ne_u64_e32 vcc_lo, 0, v[85:86]
	v_cndmask_b32_e64 v3, 0, 1, vcc_lo
	s_waitcnt vmcnt(15)
	v_cmp_ne_u64_e32 vcc_lo, 0, v[89:90]
	v_add_co_ci_u32_e32 v1, vcc_lo, v1, v2, vcc_lo
	s_waitcnt vmcnt(13)
	v_cmp_ne_u64_e32 vcc_lo, 0, v[105:106]
	v_cndmask_b32_e64 v2, 0, 1, vcc_lo
	v_cmp_ne_u64_e32 vcc_lo, 0, v[103:104]
	v_add_co_ci_u32_e32 v1, vcc_lo, v1, v3, vcc_lo
	s_waitcnt vmcnt(12)
	v_cmp_ne_u64_e32 vcc_lo, 0, v[109:110]
	v_cndmask_b32_e64 v3, 0, 1, vcc_lo
	s_waitcnt vmcnt(11)
	v_cmp_ne_u64_e32 vcc_lo, 0, v[99:100]
	v_add_co_ci_u32_e32 v1, vcc_lo, v1, v2, vcc_lo
	s_waitcnt vmcnt(9)
	v_cmp_ne_u64_e32 vcc_lo, 0, v[113:114]
	v_cndmask_b32_e64 v2, 0, 1, vcc_lo
	;; [unrolled: 11-line block ×3, first 2 shown]
	s_waitcnt vmcnt(5)
	v_cmp_ne_u64_e32 vcc_lo, 0, v[121:122]
	v_add_co_ci_u32_e32 v1, vcc_lo, v1, v3, vcc_lo
	s_waitcnt vmcnt(4)
	v_cmp_ne_u64_e32 vcc_lo, 0, v[123:124]
	v_cndmask_b32_e64 v3, 0, 1, vcc_lo
	s_waitcnt vmcnt(3)
	v_cmp_ne_u64_e32 vcc_lo, 0, v[115:116]
	v_add_co_ci_u32_e32 v1, vcc_lo, v1, v2, vcc_lo
	s_waitcnt vmcnt(2)
	v_cmp_ne_u64_e32 vcc_lo, 0, v[125:126]
	v_cndmask_b32_e64 v2, 0, 1, vcc_lo
	s_waitcnt vmcnt(1)
	v_cmp_ne_u64_e32 vcc_lo, 0, v[127:128]
	v_add_co_ci_u32_e32 v1, vcc_lo, v1, v3, vcc_lo
	s_waitcnt vmcnt(0)
	v_cmp_ne_u64_e32 vcc_lo, 0, v[117:118]
	v_mov_b32_e32 v3, 0
	s_delay_alu instid0(VALU_DEP_3) | instskip(NEXT) | instid1(VALU_DEP_1)
	v_add_co_ci_u32_e32 v1, vcc_lo, v1, v2, vcc_lo
	v_mov_b32_dpp v2, v1 quad_perm:[1,0,3,2] row_mask:0xf bank_mask:0xf
	s_delay_alu instid0(VALU_DEP_1) | instskip(NEXT) | instid1(VALU_DEP_1)
	v_add_nc_u32_e32 v1, v1, v2
	v_mov_b32_dpp v2, v1 quad_perm:[2,3,0,1] row_mask:0xf bank_mask:0xf
	s_delay_alu instid0(VALU_DEP_1) | instskip(NEXT) | instid1(VALU_DEP_1)
	v_add_nc_u32_e32 v1, v1, v2
	v_mov_b32_dpp v2, v1 row_ror:4 row_mask:0xf bank_mask:0xf
	s_delay_alu instid0(VALU_DEP_1) | instskip(NEXT) | instid1(VALU_DEP_1)
	v_add_nc_u32_e32 v1, v1, v2
	v_mov_b32_dpp v2, v1 row_ror:8 row_mask:0xf bank_mask:0xf
	s_delay_alu instid0(VALU_DEP_1)
	v_add_nc_u32_e32 v1, v1, v2
	ds_swizzle_b32 v2, v1 offset:swizzle(BROADCAST,32,15)
	s_waitcnt lgkmcnt(0)
	v_add_nc_u32_e32 v1, v1, v2
	v_mbcnt_lo_u32_b32 v2, -1, 0
	ds_bpermute_b32 v1, v3, v1 offset:124
	v_cmpx_eq_u32_e32 0, v2
	s_cbranch_execz .LBB252_28
; %bb.27:
	v_lshrrev_b32_e32 v3, 3, v0
	s_delay_alu instid0(VALU_DEP_1)
	v_and_b32_e32 v3, 12, v3
	s_waitcnt lgkmcnt(0)
	ds_store_b32 v3, v1 offset:96
.LBB252_28:
	s_or_b32 exec_lo, exec_lo, s5
	s_delay_alu instid0(SALU_CYCLE_1)
	s_mov_b32 s5, exec_lo
	s_waitcnt lgkmcnt(0)
	s_barrier
	buffer_gl0_inv
	v_cmpx_gt_u32_e32 32, v0
	s_cbranch_execz .LBB252_30
; %bb.29:
	v_and_b32_e32 v1, 3, v2
	s_delay_alu instid0(VALU_DEP_1) | instskip(SKIP_4) | instid1(VALU_DEP_2)
	v_lshlrev_b32_e32 v3, 2, v1
	v_cmp_ne_u32_e32 vcc_lo, 3, v1
	ds_load_b32 v3, v3 offset:96
	v_add_co_ci_u32_e32 v4, vcc_lo, 0, v2, vcc_lo
	v_cmp_gt_u32_e32 vcc_lo, 2, v1
	v_lshlrev_b32_e32 v4, 2, v4
	v_cndmask_b32_e64 v1, 0, 1, vcc_lo
	s_delay_alu instid0(VALU_DEP_1) | instskip(NEXT) | instid1(VALU_DEP_1)
	v_lshlrev_b32_e32 v1, 1, v1
	v_add_lshl_u32 v1, v1, v2, 2
	s_waitcnt lgkmcnt(0)
	ds_bpermute_b32 v4, v4, v3
	s_waitcnt lgkmcnt(0)
	v_add_nc_u32_e32 v3, v4, v3
	ds_bpermute_b32 v1, v1, v3
	s_waitcnt lgkmcnt(0)
	v_add_nc_u32_e32 v1, v1, v3
.LBB252_30:
	s_or_b32 exec_lo, exec_lo, s5
	s_mov_b32 s5, 0
	s_branch .LBB252_377
.LBB252_31:
                                        ; implicit-def: $vgpr1
	s_cbranch_execz .LBB252_512
	s_branch .LBB252_368
.LBB252_32:
                                        ; implicit-def: $vgpr1
	s_branch .LBB252_512
.LBB252_33:
                                        ; implicit-def: $vgpr1
	s_branch .LBB252_512
.LBB252_34:
                                        ; implicit-def: $vgpr1
	s_cbranch_execz .LBB252_10
; %bb.35:
	s_sub_i32 s2, s20, s30
	s_mov_b32 s3, exec_lo
                                        ; implicit-def: $vgpr1
	v_cmpx_gt_u32_e64 s2, v0
	s_cbranch_execz .LBB252_37
; %bb.36:
	v_lshlrev_b32_e32 v1, 3, v0
	global_load_b64 v[1:2], v1, s[28:29]
	s_waitcnt vmcnt(0)
	v_cmp_ne_u64_e32 vcc_lo, 0, v[1:2]
	v_cndmask_b32_e64 v1, 0, 1, vcc_lo
.LBB252_37:
	s_or_b32 exec_lo, exec_lo, s3
	v_or_b32_e32 v3, 0x80, v0
	v_mov_b32_e32 v2, 0
	s_delay_alu instid0(VALU_DEP_2)
	v_cmp_gt_u32_e32 vcc_lo, s2, v3
	v_mov_b32_e32 v3, 0
	s_and_saveexec_b32 s3, vcc_lo
	s_cbranch_execz .LBB252_39
; %bb.38:
	v_lshlrev_b32_e32 v3, 3, v0
	global_load_b64 v[3:4], v3, s[28:29] offset:1024
	s_waitcnt vmcnt(0)
	v_cmp_ne_u64_e32 vcc_lo, 0, v[3:4]
	v_cndmask_b32_e64 v3, 0, 1, vcc_lo
.LBB252_39:
	s_or_b32 exec_lo, exec_lo, s3
	v_or_b32_e32 v4, 0x100, v0
	s_mov_b32 s3, exec_lo
	s_delay_alu instid0(VALU_DEP_1)
	v_cmpx_gt_u32_e64 s2, v4
	s_cbranch_execz .LBB252_41
; %bb.40:
	v_lshlrev_b32_e32 v2, 3, v0
	global_load_b64 v[4:5], v2, s[28:29] offset:2048
	s_waitcnt vmcnt(0)
	v_cmp_ne_u64_e32 vcc_lo, 0, v[4:5]
	v_cndmask_b32_e64 v2, 0, 1, vcc_lo
.LBB252_41:
	s_or_b32 exec_lo, exec_lo, s3
	v_or_b32_e32 v5, 0x180, v0
	v_mov_b32_e32 v4, 0
	s_delay_alu instid0(VALU_DEP_2)
	v_cmp_gt_u32_e32 vcc_lo, s2, v5
	v_mov_b32_e32 v5, 0
	s_and_saveexec_b32 s3, vcc_lo
	s_cbranch_execz .LBB252_43
; %bb.42:
	v_lshlrev_b32_e32 v5, 3, v0
	global_load_b64 v[5:6], v5, s[28:29] offset:3072
	s_waitcnt vmcnt(0)
	v_cmp_ne_u64_e32 vcc_lo, 0, v[5:6]
	v_cndmask_b32_e64 v5, 0, 1, vcc_lo
.LBB252_43:
	s_or_b32 exec_lo, exec_lo, s3
	v_or_b32_e32 v6, 0x200, v0
	s_mov_b32 s3, exec_lo
	s_delay_alu instid0(VALU_DEP_1)
	v_cmpx_gt_u32_e64 s2, v6
	s_cbranch_execz .LBB252_45
; %bb.44:
	v_lshlrev_b32_e32 v4, 3, v6
	global_load_b64 v[6:7], v4, s[28:29]
	s_waitcnt vmcnt(0)
	v_cmp_ne_u64_e32 vcc_lo, 0, v[6:7]
	v_cndmask_b32_e64 v4, 0, 1, vcc_lo
.LBB252_45:
	s_or_b32 exec_lo, exec_lo, s3
	v_or_b32_e32 v8, 0x280, v0
	v_dual_mov_b32 v6, 0 :: v_dual_mov_b32 v7, 0
	s_mov_b32 s3, exec_lo
	s_delay_alu instid0(VALU_DEP_2)
	v_cmpx_gt_u32_e64 s2, v8
	s_cbranch_execz .LBB252_47
; %bb.46:
	v_lshlrev_b32_e32 v7, 3, v8
	global_load_b64 v[7:8], v7, s[28:29]
	s_waitcnt vmcnt(0)
	v_cmp_ne_u64_e32 vcc_lo, 0, v[7:8]
	v_cndmask_b32_e64 v7, 0, 1, vcc_lo
.LBB252_47:
	s_or_b32 exec_lo, exec_lo, s3
	v_or_b32_e32 v8, 0x300, v0
	s_mov_b32 s3, exec_lo
	s_delay_alu instid0(VALU_DEP_1)
	v_cmpx_gt_u32_e64 s2, v8
	s_cbranch_execz .LBB252_49
; %bb.48:
	v_lshlrev_b32_e32 v6, 3, v8
	global_load_b64 v[8:9], v6, s[28:29]
	s_waitcnt vmcnt(0)
	v_cmp_ne_u64_e32 vcc_lo, 0, v[8:9]
	v_cndmask_b32_e64 v6, 0, 1, vcc_lo
.LBB252_49:
	s_or_b32 exec_lo, exec_lo, s3
	v_or_b32_e32 v10, 0x380, v0
	v_dual_mov_b32 v8, 0 :: v_dual_mov_b32 v9, 0
	s_mov_b32 s3, exec_lo
	s_delay_alu instid0(VALU_DEP_2)
	v_cmpx_gt_u32_e64 s2, v10
	s_cbranch_execz .LBB252_51
; %bb.50:
	v_lshlrev_b32_e32 v9, 3, v10
	global_load_b64 v[9:10], v9, s[28:29]
	s_waitcnt vmcnt(0)
	v_cmp_ne_u64_e32 vcc_lo, 0, v[9:10]
	v_cndmask_b32_e64 v9, 0, 1, vcc_lo
.LBB252_51:
	;; [unrolled: 27-line block ×61, first 2 shown]
	s_or_b32 exec_lo, exec_lo, s3
	v_or_b32_e32 v128, 0x3f00, v0
	s_mov_b32 s3, exec_lo
	s_delay_alu instid0(VALU_DEP_1)
	v_cmpx_gt_u32_e64 s2, v128
	s_cbranch_execz .LBB252_289
; %bb.288:
	v_lshlrev_b32_e32 v126, 3, v128
	global_load_b64 v[128:129], v126, s[28:29]
	s_waitcnt vmcnt(0)
	v_cmp_ne_u64_e32 vcc_lo, 0, v[128:129]
	v_cndmask_b32_e64 v126, 0, 1, vcc_lo
.LBB252_289:
	s_or_b32 exec_lo, exec_lo, s3
	v_or_b32_e32 v129, 0x3f80, v0
	v_mov_b32_e32 v128, 0
	s_mov_b32 s3, exec_lo
	s_delay_alu instid0(VALU_DEP_2)
	v_cmpx_gt_u32_e64 s2, v129
	s_cbranch_execz .LBB252_291
; %bb.290:
	v_lshlrev_b32_e32 v128, 3, v129
	global_load_b64 v[128:129], v128, s[28:29]
	s_waitcnt vmcnt(0)
	v_cmp_ne_u64_e32 vcc_lo, 0, v[128:129]
	v_cndmask_b32_e64 v128, 0, 1, vcc_lo
.LBB252_291:
	s_or_b32 exec_lo, exec_lo, s3
	v_add_nc_u32_e32 v1, v3, v1
	s_min_u32 s2, s2, 0x80
	s_mov_b32 s3, exec_lo
	s_delay_alu instid0(VALU_DEP_1) | instskip(SKIP_1) | instid1(VALU_DEP_2)
	v_add3_u32 v1, v1, v2, v5
	v_mbcnt_lo_u32_b32 v2, -1, 0
	v_add3_u32 v1, v1, v4, v7
	s_delay_alu instid0(VALU_DEP_2) | instskip(NEXT) | instid1(VALU_DEP_2)
	v_cmp_ne_u32_e32 vcc_lo, 31, v2
	v_add3_u32 v1, v1, v6, v9
	v_add_co_ci_u32_e32 v3, vcc_lo, 0, v2, vcc_lo
	v_cmp_gt_u32_e32 vcc_lo, 30, v2
	v_add_nc_u32_e32 v6, 1, v2
	s_delay_alu instid0(VALU_DEP_4) | instskip(NEXT) | instid1(VALU_DEP_4)
	v_add3_u32 v1, v1, v8, v11
	v_lshlrev_b32_e32 v3, 2, v3
	v_cndmask_b32_e64 v5, 0, 1, vcc_lo
	s_delay_alu instid0(VALU_DEP_3) | instskip(NEXT) | instid1(VALU_DEP_2)
	v_add3_u32 v1, v1, v10, v13
	v_lshlrev_b32_e32 v5, 1, v5
	s_delay_alu instid0(VALU_DEP_2) | instskip(NEXT) | instid1(VALU_DEP_2)
	v_add3_u32 v1, v1, v12, v15
	v_add_lshl_u32 v5, v5, v2, 2
	s_delay_alu instid0(VALU_DEP_2) | instskip(NEXT) | instid1(VALU_DEP_1)
	v_add3_u32 v1, v1, v14, v17
	v_add3_u32 v1, v1, v16, v19
	s_delay_alu instid0(VALU_DEP_1) | instskip(NEXT) | instid1(VALU_DEP_1)
	v_add3_u32 v1, v1, v18, v21
	v_add3_u32 v1, v1, v20, v23
	s_delay_alu instid0(VALU_DEP_1) | instskip(NEXT) | instid1(VALU_DEP_1)
	;; [unrolled: 3-line block ×27, first 2 shown]
	v_add3_u32 v1, v1, v122, v125
	v_add3_u32 v1, v1, v124, v127
	s_delay_alu instid0(VALU_DEP_1) | instskip(SKIP_2) | instid1(VALU_DEP_1)
	v_add3_u32 v1, v1, v126, v128
	ds_bpermute_b32 v3, v3, v1
	v_and_b32_e32 v4, 0x60, v0
	v_sub_nc_u32_e64 v4, s2, v4 clamp
	s_delay_alu instid0(VALU_DEP_1) | instskip(SKIP_3) | instid1(VALU_DEP_2)
	v_cmp_lt_u32_e32 vcc_lo, v6, v4
	s_waitcnt lgkmcnt(0)
	v_dual_cndmask_b32 v3, 0, v3 :: v_dual_add_nc_u32 v6, 2, v2
	v_cmp_gt_u32_e32 vcc_lo, 28, v2
	v_add_nc_u32_e32 v1, v3, v1
	ds_bpermute_b32 v3, v5, v1
	v_cndmask_b32_e64 v5, 0, 1, vcc_lo
	v_cmp_lt_u32_e32 vcc_lo, v6, v4
	v_add_nc_u32_e32 v6, 4, v2
	s_delay_alu instid0(VALU_DEP_3) | instskip(NEXT) | instid1(VALU_DEP_1)
	v_lshlrev_b32_e32 v5, 2, v5
	v_add_lshl_u32 v5, v5, v2, 2
	s_waitcnt lgkmcnt(0)
	v_cndmask_b32_e32 v3, 0, v3, vcc_lo
	v_cmp_gt_u32_e32 vcc_lo, 24, v2
	s_delay_alu instid0(VALU_DEP_2) | instskip(SKIP_4) | instid1(VALU_DEP_3)
	v_add_nc_u32_e32 v1, v1, v3
	ds_bpermute_b32 v3, v5, v1
	v_cndmask_b32_e64 v5, 0, 1, vcc_lo
	v_cmp_lt_u32_e32 vcc_lo, v6, v4
	v_add_nc_u32_e32 v6, 8, v2
	v_lshlrev_b32_e32 v5, 3, v5
	s_delay_alu instid0(VALU_DEP_1) | instskip(SKIP_3) | instid1(VALU_DEP_2)
	v_add_lshl_u32 v5, v5, v2, 2
	s_waitcnt lgkmcnt(0)
	v_cndmask_b32_e32 v3, 0, v3, vcc_lo
	v_cmp_gt_u32_e32 vcc_lo, 16, v2
	v_add_nc_u32_e32 v1, v1, v3
	ds_bpermute_b32 v3, v5, v1
	v_cndmask_b32_e64 v5, 0, 1, vcc_lo
	v_cmp_lt_u32_e32 vcc_lo, v6, v4
	s_delay_alu instid0(VALU_DEP_2) | instskip(NEXT) | instid1(VALU_DEP_1)
	v_lshlrev_b32_e32 v5, 4, v5
	v_add_lshl_u32 v5, v5, v2, 2
	s_waitcnt lgkmcnt(0)
	v_cndmask_b32_e32 v3, 0, v3, vcc_lo
	s_delay_alu instid0(VALU_DEP_1) | instskip(SKIP_2) | instid1(VALU_DEP_1)
	v_add_nc_u32_e32 v1, v1, v3
	ds_bpermute_b32 v3, v5, v1
	v_add_nc_u32_e32 v5, 16, v2
	v_cmp_lt_u32_e32 vcc_lo, v5, v4
	s_waitcnt lgkmcnt(0)
	v_cndmask_b32_e32 v3, 0, v3, vcc_lo
	s_delay_alu instid0(VALU_DEP_1)
	v_add_nc_u32_e32 v1, v1, v3
	v_cmpx_eq_u32_e32 0, v2
	s_cbranch_execz .LBB252_293
; %bb.292:
	v_lshrrev_b32_e32 v3, 3, v0
	s_delay_alu instid0(VALU_DEP_1)
	v_and_b32_e32 v3, 12, v3
	ds_store_b32 v3, v1 offset:128
.LBB252_293:
	s_or_b32 exec_lo, exec_lo, s3
	s_delay_alu instid0(SALU_CYCLE_1)
	s_mov_b32 s3, exec_lo
	s_waitcnt lgkmcnt(0)
	s_barrier
	buffer_gl0_inv
	v_cmpx_gt_u32_e32 4, v0
	s_cbranch_execz .LBB252_295
; %bb.294:
	v_and_b32_e32 v3, 3, v2
	s_add_i32 s2, s2, 31
	s_delay_alu instid0(SALU_CYCLE_1) | instskip(NEXT) | instid1(VALU_DEP_1)
	s_lshr_b32 s2, s2, 5
	v_cmp_ne_u32_e32 vcc_lo, 3, v3
	v_add_nc_u32_e32 v5, 1, v3
	v_add_co_ci_u32_e32 v4, vcc_lo, 0, v2, vcc_lo
	v_cmp_gt_u32_e32 vcc_lo, 2, v3
	v_add_nc_u32_e32 v3, 2, v3
	s_delay_alu instid0(VALU_DEP_3) | instskip(SKIP_3) | instid1(VALU_DEP_3)
	v_lshlrev_b32_e32 v4, 2, v4
	v_cndmask_b32_e64 v6, 0, 1, vcc_lo
	v_cmp_gt_u32_e32 vcc_lo, s2, v5
	v_lshlrev_b32_e32 v1, 2, v2
	v_lshlrev_b32_e32 v5, 1, v6
	ds_load_b32 v1, v1 offset:128
	v_add_lshl_u32 v2, v5, v2, 2
	s_waitcnt lgkmcnt(0)
	ds_bpermute_b32 v4, v4, v1
	s_waitcnt lgkmcnt(0)
	v_cndmask_b32_e32 v4, 0, v4, vcc_lo
	v_cmp_gt_u32_e32 vcc_lo, s2, v3
	s_delay_alu instid0(VALU_DEP_2) | instskip(SKIP_3) | instid1(VALU_DEP_1)
	v_add_nc_u32_e32 v1, v4, v1
	ds_bpermute_b32 v2, v2, v1
	s_waitcnt lgkmcnt(0)
	v_cndmask_b32_e32 v2, 0, v2, vcc_lo
	v_add_nc_u32_e32 v1, v1, v2
.LBB252_295:
	s_or_b32 exec_lo, exec_lo, s3
	v_cmp_eq_u32_e64 s2, 0, v0
	s_and_b32 vcc_lo, exec_lo, s33
	s_cbranch_vccnz .LBB252_24
	s_branch .LBB252_11
.LBB252_296:
	s_mov_b32 s5, -1
                                        ; implicit-def: $vgpr1
.LBB252_297:
	s_delay_alu instid0(SALU_CYCLE_1)
	s_and_b32 vcc_lo, exec_lo, s5
	s_cbranch_vccz .LBB252_367
; %bb.298:
	s_sub_i32 s4, s20, s4
	s_mov_b32 s5, exec_lo
                                        ; implicit-def: $vgpr1
	v_cmpx_gt_u32_e64 s4, v0
	s_cbranch_execz .LBB252_300
; %bb.299:
	v_lshlrev_b32_e32 v1, 3, v0
	global_load_b64 v[1:2], v1, s[2:3]
	s_waitcnt vmcnt(0)
	v_cmp_ne_u64_e32 vcc_lo, 0, v[1:2]
	v_cndmask_b32_e64 v1, 0, 1, vcc_lo
.LBB252_300:
	s_or_b32 exec_lo, exec_lo, s5
	v_or_b32_e32 v3, 0x80, v0
	v_mov_b32_e32 v2, 0
	s_delay_alu instid0(VALU_DEP_2)
	v_cmp_gt_u32_e32 vcc_lo, s4, v3
	v_mov_b32_e32 v3, 0
	s_and_saveexec_b32 s5, vcc_lo
	s_cbranch_execz .LBB252_302
; %bb.301:
	v_lshlrev_b32_e32 v3, 3, v0
	global_load_b64 v[3:4], v3, s[2:3] offset:1024
	s_waitcnt vmcnt(0)
	v_cmp_ne_u64_e32 vcc_lo, 0, v[3:4]
	v_cndmask_b32_e64 v3, 0, 1, vcc_lo
.LBB252_302:
	s_or_b32 exec_lo, exec_lo, s5
	v_or_b32_e32 v4, 0x100, v0
	s_mov_b32 s5, exec_lo
	s_delay_alu instid0(VALU_DEP_1)
	v_cmpx_gt_u32_e64 s4, v4
	s_cbranch_execz .LBB252_304
; %bb.303:
	v_lshlrev_b32_e32 v2, 3, v0
	global_load_b64 v[4:5], v2, s[2:3] offset:2048
	s_waitcnt vmcnt(0)
	v_cmp_ne_u64_e32 vcc_lo, 0, v[4:5]
	v_cndmask_b32_e64 v2, 0, 1, vcc_lo
.LBB252_304:
	s_or_b32 exec_lo, exec_lo, s5
	v_or_b32_e32 v5, 0x180, v0
	v_mov_b32_e32 v4, 0
	s_delay_alu instid0(VALU_DEP_2)
	v_cmp_gt_u32_e32 vcc_lo, s4, v5
	v_mov_b32_e32 v5, 0
	s_and_saveexec_b32 s5, vcc_lo
	s_cbranch_execz .LBB252_306
; %bb.305:
	v_lshlrev_b32_e32 v5, 3, v0
	global_load_b64 v[5:6], v5, s[2:3] offset:3072
	s_waitcnt vmcnt(0)
	v_cmp_ne_u64_e32 vcc_lo, 0, v[5:6]
	v_cndmask_b32_e64 v5, 0, 1, vcc_lo
.LBB252_306:
	s_or_b32 exec_lo, exec_lo, s5
	v_or_b32_e32 v6, 0x200, v0
	s_mov_b32 s5, exec_lo
	s_delay_alu instid0(VALU_DEP_1)
	v_cmpx_gt_u32_e64 s4, v6
	s_cbranch_execz .LBB252_308
; %bb.307:
	v_lshlrev_b32_e32 v4, 3, v6
	global_load_b64 v[6:7], v4, s[2:3]
	s_waitcnt vmcnt(0)
	v_cmp_ne_u64_e32 vcc_lo, 0, v[6:7]
	v_cndmask_b32_e64 v4, 0, 1, vcc_lo
.LBB252_308:
	s_or_b32 exec_lo, exec_lo, s5
	v_or_b32_e32 v8, 0x280, v0
	v_dual_mov_b32 v6, 0 :: v_dual_mov_b32 v7, 0
	s_mov_b32 s5, exec_lo
	s_delay_alu instid0(VALU_DEP_2)
	v_cmpx_gt_u32_e64 s4, v8
	s_cbranch_execz .LBB252_310
; %bb.309:
	v_lshlrev_b32_e32 v7, 3, v8
	global_load_b64 v[7:8], v7, s[2:3]
	s_waitcnt vmcnt(0)
	v_cmp_ne_u64_e32 vcc_lo, 0, v[7:8]
	v_cndmask_b32_e64 v7, 0, 1, vcc_lo
.LBB252_310:
	s_or_b32 exec_lo, exec_lo, s5
	v_or_b32_e32 v8, 0x300, v0
	s_mov_b32 s5, exec_lo
	s_delay_alu instid0(VALU_DEP_1)
	v_cmpx_gt_u32_e64 s4, v8
	s_cbranch_execz .LBB252_312
; %bb.311:
	v_lshlrev_b32_e32 v6, 3, v8
	global_load_b64 v[8:9], v6, s[2:3]
	s_waitcnt vmcnt(0)
	v_cmp_ne_u64_e32 vcc_lo, 0, v[8:9]
	v_cndmask_b32_e64 v6, 0, 1, vcc_lo
.LBB252_312:
	s_or_b32 exec_lo, exec_lo, s5
	v_or_b32_e32 v10, 0x380, v0
	v_dual_mov_b32 v8, 0 :: v_dual_mov_b32 v9, 0
	s_mov_b32 s5, exec_lo
	s_delay_alu instid0(VALU_DEP_2)
	v_cmpx_gt_u32_e64 s4, v10
	s_cbranch_execz .LBB252_314
; %bb.313:
	v_lshlrev_b32_e32 v9, 3, v10
	global_load_b64 v[9:10], v9, s[2:3]
	s_waitcnt vmcnt(0)
	v_cmp_ne_u64_e32 vcc_lo, 0, v[9:10]
	v_cndmask_b32_e64 v9, 0, 1, vcc_lo
.LBB252_314:
	;; [unrolled: 27-line block ×13, first 2 shown]
	s_or_b32 exec_lo, exec_lo, s5
	v_or_b32_e32 v32, 0xf00, v0
	s_mov_b32 s5, exec_lo
	s_delay_alu instid0(VALU_DEP_1)
	v_cmpx_gt_u32_e64 s4, v32
	s_cbranch_execz .LBB252_360
; %bb.359:
	v_lshlrev_b32_e32 v30, 3, v32
	global_load_b64 v[32:33], v30, s[2:3]
	s_waitcnt vmcnt(0)
	v_cmp_ne_u64_e32 vcc_lo, 0, v[32:33]
	v_cndmask_b32_e64 v30, 0, 1, vcc_lo
.LBB252_360:
	s_or_b32 exec_lo, exec_lo, s5
	v_or_b32_e32 v33, 0xf80, v0
	v_mov_b32_e32 v32, 0
	s_mov_b32 s5, exec_lo
	s_delay_alu instid0(VALU_DEP_2)
	v_cmpx_gt_u32_e64 s4, v33
	s_cbranch_execz .LBB252_362
; %bb.361:
	v_lshlrev_b32_e32 v32, 3, v33
	global_load_b64 v[32:33], v32, s[2:3]
	s_waitcnt vmcnt(0)
	v_cmp_ne_u64_e32 vcc_lo, 0, v[32:33]
	v_cndmask_b32_e64 v32, 0, 1, vcc_lo
.LBB252_362:
	s_or_b32 exec_lo, exec_lo, s5
	v_add_nc_u32_e32 v1, v3, v1
	s_min_u32 s2, s4, 0x80
	s_mov_b32 s3, exec_lo
	s_delay_alu instid0(VALU_DEP_1) | instskip(SKIP_1) | instid1(VALU_DEP_2)
	v_add3_u32 v1, v1, v2, v5
	v_mbcnt_lo_u32_b32 v2, -1, 0
	v_add3_u32 v1, v1, v4, v7
	s_delay_alu instid0(VALU_DEP_2) | instskip(NEXT) | instid1(VALU_DEP_2)
	v_cmp_ne_u32_e32 vcc_lo, 31, v2
	v_add3_u32 v1, v1, v6, v9
	v_add_co_ci_u32_e32 v3, vcc_lo, 0, v2, vcc_lo
	v_cmp_gt_u32_e32 vcc_lo, 30, v2
	v_add_nc_u32_e32 v6, 1, v2
	s_delay_alu instid0(VALU_DEP_4) | instskip(NEXT) | instid1(VALU_DEP_4)
	v_add3_u32 v1, v1, v8, v11
	v_lshlrev_b32_e32 v3, 2, v3
	v_cndmask_b32_e64 v5, 0, 1, vcc_lo
	s_delay_alu instid0(VALU_DEP_3) | instskip(NEXT) | instid1(VALU_DEP_2)
	v_add3_u32 v1, v1, v10, v13
	v_lshlrev_b32_e32 v5, 1, v5
	s_delay_alu instid0(VALU_DEP_2) | instskip(NEXT) | instid1(VALU_DEP_2)
	v_add3_u32 v1, v1, v12, v15
	v_add_lshl_u32 v5, v5, v2, 2
	s_delay_alu instid0(VALU_DEP_2) | instskip(NEXT) | instid1(VALU_DEP_1)
	v_add3_u32 v1, v1, v14, v17
	v_add3_u32 v1, v1, v16, v19
	s_delay_alu instid0(VALU_DEP_1) | instskip(NEXT) | instid1(VALU_DEP_1)
	v_add3_u32 v1, v1, v18, v21
	v_add3_u32 v1, v1, v20, v23
	s_delay_alu instid0(VALU_DEP_1) | instskip(NEXT) | instid1(VALU_DEP_1)
	;; [unrolled: 3-line block ×3, first 2 shown]
	v_add3_u32 v1, v1, v26, v29
	v_add3_u32 v1, v1, v28, v31
	s_delay_alu instid0(VALU_DEP_1) | instskip(SKIP_2) | instid1(VALU_DEP_1)
	v_add3_u32 v1, v1, v30, v32
	ds_bpermute_b32 v3, v3, v1
	v_and_b32_e32 v4, 0x60, v0
	v_sub_nc_u32_e64 v4, s2, v4 clamp
	s_delay_alu instid0(VALU_DEP_1) | instskip(SKIP_3) | instid1(VALU_DEP_2)
	v_cmp_lt_u32_e32 vcc_lo, v6, v4
	s_waitcnt lgkmcnt(0)
	v_dual_cndmask_b32 v3, 0, v3 :: v_dual_add_nc_u32 v6, 2, v2
	v_cmp_gt_u32_e32 vcc_lo, 28, v2
	v_add_nc_u32_e32 v1, v3, v1
	ds_bpermute_b32 v3, v5, v1
	v_cndmask_b32_e64 v5, 0, 1, vcc_lo
	v_cmp_lt_u32_e32 vcc_lo, v6, v4
	v_add_nc_u32_e32 v6, 4, v2
	s_delay_alu instid0(VALU_DEP_3) | instskip(NEXT) | instid1(VALU_DEP_1)
	v_lshlrev_b32_e32 v5, 2, v5
	v_add_lshl_u32 v5, v5, v2, 2
	s_waitcnt lgkmcnt(0)
	v_cndmask_b32_e32 v3, 0, v3, vcc_lo
	v_cmp_gt_u32_e32 vcc_lo, 24, v2
	s_delay_alu instid0(VALU_DEP_2) | instskip(SKIP_4) | instid1(VALU_DEP_3)
	v_add_nc_u32_e32 v1, v1, v3
	ds_bpermute_b32 v3, v5, v1
	v_cndmask_b32_e64 v5, 0, 1, vcc_lo
	v_cmp_lt_u32_e32 vcc_lo, v6, v4
	v_add_nc_u32_e32 v6, 8, v2
	v_lshlrev_b32_e32 v5, 3, v5
	s_delay_alu instid0(VALU_DEP_1) | instskip(SKIP_3) | instid1(VALU_DEP_2)
	v_add_lshl_u32 v5, v5, v2, 2
	s_waitcnt lgkmcnt(0)
	v_cndmask_b32_e32 v3, 0, v3, vcc_lo
	v_cmp_gt_u32_e32 vcc_lo, 16, v2
	v_add_nc_u32_e32 v1, v1, v3
	ds_bpermute_b32 v3, v5, v1
	v_cndmask_b32_e64 v5, 0, 1, vcc_lo
	v_cmp_lt_u32_e32 vcc_lo, v6, v4
	s_delay_alu instid0(VALU_DEP_2) | instskip(NEXT) | instid1(VALU_DEP_1)
	v_lshlrev_b32_e32 v5, 4, v5
	v_add_lshl_u32 v5, v5, v2, 2
	s_waitcnt lgkmcnt(0)
	v_cndmask_b32_e32 v3, 0, v3, vcc_lo
	s_delay_alu instid0(VALU_DEP_1) | instskip(SKIP_2) | instid1(VALU_DEP_1)
	v_add_nc_u32_e32 v1, v1, v3
	ds_bpermute_b32 v3, v5, v1
	v_add_nc_u32_e32 v5, 16, v2
	v_cmp_lt_u32_e32 vcc_lo, v5, v4
	s_waitcnt lgkmcnt(0)
	v_cndmask_b32_e32 v3, 0, v3, vcc_lo
	s_delay_alu instid0(VALU_DEP_1)
	v_add_nc_u32_e32 v1, v1, v3
	v_cmpx_eq_u32_e32 0, v2
	s_cbranch_execz .LBB252_364
; %bb.363:
	v_lshrrev_b32_e32 v3, 3, v0
	s_delay_alu instid0(VALU_DEP_1)
	v_and_b32_e32 v3, 12, v3
	ds_store_b32 v3, v1 offset:128
.LBB252_364:
	s_or_b32 exec_lo, exec_lo, s3
	s_delay_alu instid0(SALU_CYCLE_1)
	s_mov_b32 s3, exec_lo
	s_waitcnt lgkmcnt(0)
	s_barrier
	buffer_gl0_inv
	v_cmpx_gt_u32_e32 4, v0
	s_cbranch_execz .LBB252_366
; %bb.365:
	v_and_b32_e32 v3, 3, v2
	s_add_i32 s2, s2, 31
	s_delay_alu instid0(SALU_CYCLE_1) | instskip(NEXT) | instid1(VALU_DEP_1)
	s_lshr_b32 s2, s2, 5
	v_cmp_ne_u32_e32 vcc_lo, 3, v3
	v_add_nc_u32_e32 v5, 1, v3
	v_add_co_ci_u32_e32 v4, vcc_lo, 0, v2, vcc_lo
	v_cmp_gt_u32_e32 vcc_lo, 2, v3
	v_add_nc_u32_e32 v3, 2, v3
	s_delay_alu instid0(VALU_DEP_3) | instskip(SKIP_3) | instid1(VALU_DEP_3)
	v_lshlrev_b32_e32 v4, 2, v4
	v_cndmask_b32_e64 v6, 0, 1, vcc_lo
	v_cmp_gt_u32_e32 vcc_lo, s2, v5
	v_lshlrev_b32_e32 v1, 2, v2
	v_lshlrev_b32_e32 v5, 1, v6
	ds_load_b32 v1, v1 offset:128
	v_add_lshl_u32 v2, v5, v2, 2
	s_waitcnt lgkmcnt(0)
	ds_bpermute_b32 v4, v4, v1
	s_waitcnt lgkmcnt(0)
	v_cndmask_b32_e32 v4, 0, v4, vcc_lo
	v_cmp_gt_u32_e32 vcc_lo, s2, v3
	s_delay_alu instid0(VALU_DEP_2) | instskip(SKIP_3) | instid1(VALU_DEP_1)
	v_add_nc_u32_e32 v1, v4, v1
	ds_bpermute_b32 v2, v2, v1
	s_waitcnt lgkmcnt(0)
	v_cndmask_b32_e32 v2, 0, v2, vcc_lo
	v_add_nc_u32_e32 v1, v1, v2
.LBB252_366:
	s_or_b32 exec_lo, exec_lo, s3
.LBB252_367:
	v_cmp_eq_u32_e64 s2, 0, v0
	s_branch .LBB252_512
.LBB252_368:
	s_cmp_eq_u32 s19, 16
	s_cbranch_scc0 .LBB252_375
; %bb.369:
	s_mov_b32 s25, 0
	s_lshl_b32 s2, s24, 11
	s_mov_b32 s3, s25
	s_lshr_b64 s[6:7], s[20:21], 11
	s_lshl_b64 s[4:5], s[2:3], 3
	s_delay_alu instid0(SALU_CYCLE_1)
	s_add_u32 s16, s26, s4
	s_addc_u32 s17, s27, s5
	s_cmp_lg_u64 s[6:7], s[24:25]
	s_cbranch_scc0 .LBB252_533
; %bb.370:
	v_lshlrev_b32_e32 v13, 3, v0
	s_clause 0x2
	global_load_b64 v[1:2], v13, s[16:17]
	global_load_b64 v[3:4], v13, s[16:17] offset:1024
	global_load_b64 v[5:6], v13, s[16:17] offset:2048
	v_add_co_u32 v21, s3, s16, v13
	s_delay_alu instid0(VALU_DEP_1) | instskip(SKIP_1) | instid1(VALU_DEP_2)
	v_add_co_ci_u32_e64 v22, null, s17, 0, s3
	s_mov_b32 s3, exec_lo
	v_add_co_u32 v7, vcc_lo, v21, 0x2000
	s_delay_alu instid0(VALU_DEP_2)
	v_add_co_ci_u32_e32 v8, vcc_lo, 0, v22, vcc_lo
	v_add_co_u32 v9, vcc_lo, 0x1000, v21
	v_add_co_ci_u32_e32 v10, vcc_lo, 0, v22, vcc_lo
	s_clause 0x5
	global_load_b64 v[11:12], v[7:8], off offset:-4096
	global_load_b64 v[13:14], v13, s[16:17] offset:3072
	global_load_b64 v[15:16], v[9:10], off offset:1024
	global_load_b64 v[17:18], v[9:10], off offset:2048
	;; [unrolled: 1-line block ×3, first 2 shown]
	global_load_b64 v[7:8], v[7:8], off
	v_add_co_u32 v19, vcc_lo, 0x2000, v21
	v_add_co_ci_u32_e32 v20, vcc_lo, 0, v22, vcc_lo
	v_add_co_u32 v21, vcc_lo, 0x3000, v21
	v_add_co_ci_u32_e32 v22, vcc_lo, 0, v22, vcc_lo
	s_clause 0x6
	global_load_b64 v[23:24], v[19:20], off offset:2048
	global_load_b64 v[25:26], v[19:20], off offset:1024
	global_load_b64 v[27:28], v[21:22], off
	global_load_b64 v[19:20], v[19:20], off offset:3072
	global_load_b64 v[29:30], v[21:22], off offset:2048
	;; [unrolled: 1-line block ×4, first 2 shown]
	s_waitcnt vmcnt(15)
	v_cmp_ne_u64_e32 vcc_lo, 0, v[1:2]
	v_cndmask_b32_e64 v1, 0, 1, vcc_lo
	s_waitcnt vmcnt(13)
	v_cmp_ne_u64_e32 vcc_lo, 0, v[5:6]
	v_cndmask_b32_e64 v2, 0, 1, vcc_lo
	v_cmp_ne_u64_e32 vcc_lo, 0, v[3:4]
	v_add_co_ci_u32_e32 v1, vcc_lo, 0, v1, vcc_lo
	s_waitcnt vmcnt(12)
	v_cmp_ne_u64_e32 vcc_lo, 0, v[11:12]
	v_cndmask_b32_e64 v3, 0, 1, vcc_lo
	s_waitcnt vmcnt(11)
	v_cmp_ne_u64_e32 vcc_lo, 0, v[13:14]
	v_add_co_ci_u32_e32 v1, vcc_lo, v1, v2, vcc_lo
	s_waitcnt vmcnt(9)
	v_cmp_ne_u64_e32 vcc_lo, 0, v[17:18]
	v_cndmask_b32_e64 v2, 0, 1, vcc_lo
	v_cmp_ne_u64_e32 vcc_lo, 0, v[15:16]
	v_add_co_ci_u32_e32 v1, vcc_lo, v1, v3, vcc_lo
	s_waitcnt vmcnt(7)
	v_cmp_ne_u64_e32 vcc_lo, 0, v[7:8]
	v_cndmask_b32_e64 v3, 0, 1, vcc_lo
	;; [unrolled: 5-line block ×3, first 2 shown]
	s_waitcnt vmcnt(5)
	v_cmp_ne_u64_e32 vcc_lo, 0, v[25:26]
	v_add_co_ci_u32_e32 v1, vcc_lo, v1, v3, vcc_lo
	s_waitcnt vmcnt(4)
	v_cmp_ne_u64_e32 vcc_lo, 0, v[27:28]
	v_cndmask_b32_e64 v3, 0, 1, vcc_lo
	s_waitcnt vmcnt(3)
	v_cmp_ne_u64_e32 vcc_lo, 0, v[19:20]
	v_add_co_ci_u32_e32 v1, vcc_lo, v1, v2, vcc_lo
	s_waitcnt vmcnt(2)
	v_cmp_ne_u64_e32 vcc_lo, 0, v[29:30]
	v_cndmask_b32_e64 v2, 0, 1, vcc_lo
	s_waitcnt vmcnt(1)
	v_cmp_ne_u64_e32 vcc_lo, 0, v[31:32]
	v_add_co_ci_u32_e32 v1, vcc_lo, v1, v3, vcc_lo
	s_waitcnt vmcnt(0)
	v_cmp_ne_u64_e32 vcc_lo, 0, v[21:22]
	v_mov_b32_e32 v3, 0
	s_delay_alu instid0(VALU_DEP_3) | instskip(NEXT) | instid1(VALU_DEP_1)
	v_add_co_ci_u32_e32 v1, vcc_lo, v1, v2, vcc_lo
	v_mov_b32_dpp v2, v1 quad_perm:[1,0,3,2] row_mask:0xf bank_mask:0xf
	s_delay_alu instid0(VALU_DEP_1) | instskip(NEXT) | instid1(VALU_DEP_1)
	v_add_nc_u32_e32 v1, v1, v2
	v_mov_b32_dpp v2, v1 quad_perm:[2,3,0,1] row_mask:0xf bank_mask:0xf
	s_delay_alu instid0(VALU_DEP_1) | instskip(NEXT) | instid1(VALU_DEP_1)
	v_add_nc_u32_e32 v1, v1, v2
	v_mov_b32_dpp v2, v1 row_ror:4 row_mask:0xf bank_mask:0xf
	s_delay_alu instid0(VALU_DEP_1) | instskip(NEXT) | instid1(VALU_DEP_1)
	v_add_nc_u32_e32 v1, v1, v2
	v_mov_b32_dpp v2, v1 row_ror:8 row_mask:0xf bank_mask:0xf
	s_delay_alu instid0(VALU_DEP_1)
	v_add_nc_u32_e32 v1, v1, v2
	ds_swizzle_b32 v2, v1 offset:swizzle(BROADCAST,32,15)
	s_waitcnt lgkmcnt(0)
	v_add_nc_u32_e32 v1, v1, v2
	v_mbcnt_lo_u32_b32 v2, -1, 0
	ds_bpermute_b32 v1, v3, v1 offset:124
	v_cmpx_eq_u32_e32 0, v2
	s_cbranch_execz .LBB252_372
; %bb.371:
	v_lshrrev_b32_e32 v3, 3, v0
	s_delay_alu instid0(VALU_DEP_1)
	v_and_b32_e32 v3, 12, v3
	s_waitcnt lgkmcnt(0)
	ds_store_b32 v3, v1 offset:16
.LBB252_372:
	s_or_b32 exec_lo, exec_lo, s3
	s_delay_alu instid0(SALU_CYCLE_1)
	s_mov_b32 s3, exec_lo
	s_waitcnt lgkmcnt(0)
	s_barrier
	buffer_gl0_inv
	v_cmpx_gt_u32_e32 32, v0
	s_cbranch_execz .LBB252_374
; %bb.373:
	v_and_b32_e32 v1, 3, v2
	s_delay_alu instid0(VALU_DEP_1) | instskip(SKIP_4) | instid1(VALU_DEP_2)
	v_lshlrev_b32_e32 v3, 2, v1
	v_cmp_ne_u32_e32 vcc_lo, 3, v1
	ds_load_b32 v3, v3 offset:16
	v_add_co_ci_u32_e32 v4, vcc_lo, 0, v2, vcc_lo
	v_cmp_gt_u32_e32 vcc_lo, 2, v1
	v_lshlrev_b32_e32 v4, 2, v4
	v_cndmask_b32_e64 v1, 0, 1, vcc_lo
	s_delay_alu instid0(VALU_DEP_1) | instskip(NEXT) | instid1(VALU_DEP_1)
	v_lshlrev_b32_e32 v1, 1, v1
	v_add_lshl_u32 v1, v1, v2, 2
	s_waitcnt lgkmcnt(0)
	ds_bpermute_b32 v4, v4, v3
	s_waitcnt lgkmcnt(0)
	v_add_nc_u32_e32 v3, v4, v3
	ds_bpermute_b32 v1, v1, v3
	s_waitcnt lgkmcnt(0)
	v_add_nc_u32_e32 v1, v1, v3
.LBB252_374:
	s_or_b32 exec_lo, exec_lo, s3
	s_mov_b32 s3, 0
	s_branch .LBB252_534
.LBB252_375:
                                        ; implicit-def: $vgpr1
	s_branch .LBB252_623
.LBB252_376:
	s_mov_b32 s5, -1
                                        ; implicit-def: $vgpr1
.LBB252_377:
	s_delay_alu instid0(SALU_CYCLE_1)
	s_and_b32 vcc_lo, exec_lo, s5
	s_cbranch_vccz .LBB252_511
; %bb.378:
	s_sub_i32 s4, s20, s4
	s_mov_b32 s5, exec_lo
                                        ; implicit-def: $vgpr1
	v_cmpx_gt_u32_e64 s4, v0
	s_cbranch_execz .LBB252_380
; %bb.379:
	v_lshlrev_b32_e32 v1, 3, v0
	global_load_b64 v[1:2], v1, s[2:3]
	s_waitcnt vmcnt(0)
	v_cmp_ne_u64_e32 vcc_lo, 0, v[1:2]
	v_cndmask_b32_e64 v1, 0, 1, vcc_lo
.LBB252_380:
	s_or_b32 exec_lo, exec_lo, s5
	v_or_b32_e32 v3, 0x80, v0
	v_mov_b32_e32 v2, 0
	s_delay_alu instid0(VALU_DEP_2)
	v_cmp_gt_u32_e32 vcc_lo, s4, v3
	v_mov_b32_e32 v3, 0
	s_and_saveexec_b32 s5, vcc_lo
	s_cbranch_execz .LBB252_382
; %bb.381:
	v_lshlrev_b32_e32 v3, 3, v0
	global_load_b64 v[3:4], v3, s[2:3] offset:1024
	s_waitcnt vmcnt(0)
	v_cmp_ne_u64_e32 vcc_lo, 0, v[3:4]
	v_cndmask_b32_e64 v3, 0, 1, vcc_lo
.LBB252_382:
	s_or_b32 exec_lo, exec_lo, s5
	v_or_b32_e32 v4, 0x100, v0
	s_mov_b32 s5, exec_lo
	s_delay_alu instid0(VALU_DEP_1)
	v_cmpx_gt_u32_e64 s4, v4
	s_cbranch_execz .LBB252_384
; %bb.383:
	v_lshlrev_b32_e32 v2, 3, v0
	global_load_b64 v[4:5], v2, s[2:3] offset:2048
	s_waitcnt vmcnt(0)
	v_cmp_ne_u64_e32 vcc_lo, 0, v[4:5]
	v_cndmask_b32_e64 v2, 0, 1, vcc_lo
.LBB252_384:
	s_or_b32 exec_lo, exec_lo, s5
	v_or_b32_e32 v5, 0x180, v0
	v_mov_b32_e32 v4, 0
	s_delay_alu instid0(VALU_DEP_2)
	v_cmp_gt_u32_e32 vcc_lo, s4, v5
	v_mov_b32_e32 v5, 0
	s_and_saveexec_b32 s5, vcc_lo
	s_cbranch_execz .LBB252_386
; %bb.385:
	v_lshlrev_b32_e32 v5, 3, v0
	global_load_b64 v[5:6], v5, s[2:3] offset:3072
	s_waitcnt vmcnt(0)
	v_cmp_ne_u64_e32 vcc_lo, 0, v[5:6]
	v_cndmask_b32_e64 v5, 0, 1, vcc_lo
.LBB252_386:
	s_or_b32 exec_lo, exec_lo, s5
	v_or_b32_e32 v6, 0x200, v0
	s_mov_b32 s5, exec_lo
	s_delay_alu instid0(VALU_DEP_1)
	v_cmpx_gt_u32_e64 s4, v6
	s_cbranch_execz .LBB252_388
; %bb.387:
	v_lshlrev_b32_e32 v4, 3, v6
	global_load_b64 v[6:7], v4, s[2:3]
	s_waitcnt vmcnt(0)
	v_cmp_ne_u64_e32 vcc_lo, 0, v[6:7]
	v_cndmask_b32_e64 v4, 0, 1, vcc_lo
.LBB252_388:
	s_or_b32 exec_lo, exec_lo, s5
	v_or_b32_e32 v8, 0x280, v0
	v_dual_mov_b32 v6, 0 :: v_dual_mov_b32 v7, 0
	s_mov_b32 s5, exec_lo
	s_delay_alu instid0(VALU_DEP_2)
	v_cmpx_gt_u32_e64 s4, v8
	s_cbranch_execz .LBB252_390
; %bb.389:
	v_lshlrev_b32_e32 v7, 3, v8
	global_load_b64 v[7:8], v7, s[2:3]
	s_waitcnt vmcnt(0)
	v_cmp_ne_u64_e32 vcc_lo, 0, v[7:8]
	v_cndmask_b32_e64 v7, 0, 1, vcc_lo
.LBB252_390:
	s_or_b32 exec_lo, exec_lo, s5
	v_or_b32_e32 v8, 0x300, v0
	s_mov_b32 s5, exec_lo
	s_delay_alu instid0(VALU_DEP_1)
	v_cmpx_gt_u32_e64 s4, v8
	s_cbranch_execz .LBB252_392
; %bb.391:
	v_lshlrev_b32_e32 v6, 3, v8
	global_load_b64 v[8:9], v6, s[2:3]
	s_waitcnt vmcnt(0)
	v_cmp_ne_u64_e32 vcc_lo, 0, v[8:9]
	v_cndmask_b32_e64 v6, 0, 1, vcc_lo
.LBB252_392:
	s_or_b32 exec_lo, exec_lo, s5
	v_or_b32_e32 v10, 0x380, v0
	v_dual_mov_b32 v8, 0 :: v_dual_mov_b32 v9, 0
	s_mov_b32 s5, exec_lo
	s_delay_alu instid0(VALU_DEP_2)
	v_cmpx_gt_u32_e64 s4, v10
	s_cbranch_execz .LBB252_394
; %bb.393:
	v_lshlrev_b32_e32 v9, 3, v10
	global_load_b64 v[9:10], v9, s[2:3]
	s_waitcnt vmcnt(0)
	v_cmp_ne_u64_e32 vcc_lo, 0, v[9:10]
	v_cndmask_b32_e64 v9, 0, 1, vcc_lo
.LBB252_394:
	s_or_b32 exec_lo, exec_lo, s5
	v_or_b32_e32 v10, 0x400, v0
	s_mov_b32 s5, exec_lo
	s_delay_alu instid0(VALU_DEP_1)
	v_cmpx_gt_u32_e64 s4, v10
	s_cbranch_execz .LBB252_396
; %bb.395:
	v_lshlrev_b32_e32 v8, 3, v10
	global_load_b64 v[10:11], v8, s[2:3]
	s_waitcnt vmcnt(0)
	v_cmp_ne_u64_e32 vcc_lo, 0, v[10:11]
	v_cndmask_b32_e64 v8, 0, 1, vcc_lo
.LBB252_396:
	s_or_b32 exec_lo, exec_lo, s5
	v_or_b32_e32 v12, 0x480, v0
	v_dual_mov_b32 v10, 0 :: v_dual_mov_b32 v11, 0
	s_mov_b32 s5, exec_lo
	s_delay_alu instid0(VALU_DEP_2)
	v_cmpx_gt_u32_e64 s4, v12
	s_cbranch_execz .LBB252_398
; %bb.397:
	v_lshlrev_b32_e32 v11, 3, v12
	global_load_b64 v[11:12], v11, s[2:3]
	s_waitcnt vmcnt(0)
	v_cmp_ne_u64_e32 vcc_lo, 0, v[11:12]
	v_cndmask_b32_e64 v11, 0, 1, vcc_lo
.LBB252_398:
	s_or_b32 exec_lo, exec_lo, s5
	v_or_b32_e32 v12, 0x500, v0
	s_mov_b32 s5, exec_lo
	s_delay_alu instid0(VALU_DEP_1)
	v_cmpx_gt_u32_e64 s4, v12
	s_cbranch_execz .LBB252_400
; %bb.399:
	v_lshlrev_b32_e32 v10, 3, v12
	global_load_b64 v[12:13], v10, s[2:3]
	s_waitcnt vmcnt(0)
	v_cmp_ne_u64_e32 vcc_lo, 0, v[12:13]
	v_cndmask_b32_e64 v10, 0, 1, vcc_lo
.LBB252_400:
	s_or_b32 exec_lo, exec_lo, s5
	v_or_b32_e32 v14, 0x580, v0
	v_dual_mov_b32 v12, 0 :: v_dual_mov_b32 v13, 0
	s_mov_b32 s5, exec_lo
	s_delay_alu instid0(VALU_DEP_2)
	v_cmpx_gt_u32_e64 s4, v14
	s_cbranch_execz .LBB252_402
; %bb.401:
	v_lshlrev_b32_e32 v13, 3, v14
	global_load_b64 v[13:14], v13, s[2:3]
	s_waitcnt vmcnt(0)
	v_cmp_ne_u64_e32 vcc_lo, 0, v[13:14]
	v_cndmask_b32_e64 v13, 0, 1, vcc_lo
.LBB252_402:
	s_or_b32 exec_lo, exec_lo, s5
	v_or_b32_e32 v14, 0x600, v0
	s_mov_b32 s5, exec_lo
	s_delay_alu instid0(VALU_DEP_1)
	v_cmpx_gt_u32_e64 s4, v14
	s_cbranch_execz .LBB252_404
; %bb.403:
	v_lshlrev_b32_e32 v12, 3, v14
	global_load_b64 v[14:15], v12, s[2:3]
	s_waitcnt vmcnt(0)
	v_cmp_ne_u64_e32 vcc_lo, 0, v[14:15]
	v_cndmask_b32_e64 v12, 0, 1, vcc_lo
.LBB252_404:
	s_or_b32 exec_lo, exec_lo, s5
	v_or_b32_e32 v16, 0x680, v0
	v_dual_mov_b32 v14, 0 :: v_dual_mov_b32 v15, 0
	s_mov_b32 s5, exec_lo
	s_delay_alu instid0(VALU_DEP_2)
	v_cmpx_gt_u32_e64 s4, v16
	s_cbranch_execz .LBB252_406
; %bb.405:
	v_lshlrev_b32_e32 v15, 3, v16
	global_load_b64 v[15:16], v15, s[2:3]
	s_waitcnt vmcnt(0)
	v_cmp_ne_u64_e32 vcc_lo, 0, v[15:16]
	v_cndmask_b32_e64 v15, 0, 1, vcc_lo
.LBB252_406:
	s_or_b32 exec_lo, exec_lo, s5
	v_or_b32_e32 v16, 0x700, v0
	s_mov_b32 s5, exec_lo
	s_delay_alu instid0(VALU_DEP_1)
	v_cmpx_gt_u32_e64 s4, v16
	s_cbranch_execz .LBB252_408
; %bb.407:
	v_lshlrev_b32_e32 v14, 3, v16
	global_load_b64 v[16:17], v14, s[2:3]
	s_waitcnt vmcnt(0)
	v_cmp_ne_u64_e32 vcc_lo, 0, v[16:17]
	v_cndmask_b32_e64 v14, 0, 1, vcc_lo
.LBB252_408:
	s_or_b32 exec_lo, exec_lo, s5
	v_or_b32_e32 v18, 0x780, v0
	v_dual_mov_b32 v16, 0 :: v_dual_mov_b32 v17, 0
	s_mov_b32 s5, exec_lo
	s_delay_alu instid0(VALU_DEP_2)
	v_cmpx_gt_u32_e64 s4, v18
	s_cbranch_execz .LBB252_410
; %bb.409:
	v_lshlrev_b32_e32 v17, 3, v18
	global_load_b64 v[17:18], v17, s[2:3]
	s_waitcnt vmcnt(0)
	v_cmp_ne_u64_e32 vcc_lo, 0, v[17:18]
	v_cndmask_b32_e64 v17, 0, 1, vcc_lo
.LBB252_410:
	s_or_b32 exec_lo, exec_lo, s5
	v_or_b32_e32 v18, 0x800, v0
	s_mov_b32 s5, exec_lo
	s_delay_alu instid0(VALU_DEP_1)
	v_cmpx_gt_u32_e64 s4, v18
	s_cbranch_execz .LBB252_412
; %bb.411:
	v_lshlrev_b32_e32 v16, 3, v18
	global_load_b64 v[18:19], v16, s[2:3]
	s_waitcnt vmcnt(0)
	v_cmp_ne_u64_e32 vcc_lo, 0, v[18:19]
	v_cndmask_b32_e64 v16, 0, 1, vcc_lo
.LBB252_412:
	s_or_b32 exec_lo, exec_lo, s5
	v_or_b32_e32 v20, 0x880, v0
	v_dual_mov_b32 v18, 0 :: v_dual_mov_b32 v19, 0
	s_mov_b32 s5, exec_lo
	s_delay_alu instid0(VALU_DEP_2)
	v_cmpx_gt_u32_e64 s4, v20
	s_cbranch_execz .LBB252_414
; %bb.413:
	v_lshlrev_b32_e32 v19, 3, v20
	global_load_b64 v[19:20], v19, s[2:3]
	s_waitcnt vmcnt(0)
	v_cmp_ne_u64_e32 vcc_lo, 0, v[19:20]
	v_cndmask_b32_e64 v19, 0, 1, vcc_lo
.LBB252_414:
	s_or_b32 exec_lo, exec_lo, s5
	v_or_b32_e32 v20, 0x900, v0
	s_mov_b32 s5, exec_lo
	s_delay_alu instid0(VALU_DEP_1)
	v_cmpx_gt_u32_e64 s4, v20
	s_cbranch_execz .LBB252_416
; %bb.415:
	v_lshlrev_b32_e32 v18, 3, v20
	global_load_b64 v[20:21], v18, s[2:3]
	s_waitcnt vmcnt(0)
	v_cmp_ne_u64_e32 vcc_lo, 0, v[20:21]
	v_cndmask_b32_e64 v18, 0, 1, vcc_lo
.LBB252_416:
	s_or_b32 exec_lo, exec_lo, s5
	v_or_b32_e32 v22, 0x980, v0
	v_dual_mov_b32 v20, 0 :: v_dual_mov_b32 v21, 0
	s_mov_b32 s5, exec_lo
	s_delay_alu instid0(VALU_DEP_2)
	v_cmpx_gt_u32_e64 s4, v22
	s_cbranch_execz .LBB252_418
; %bb.417:
	v_lshlrev_b32_e32 v21, 3, v22
	global_load_b64 v[21:22], v21, s[2:3]
	s_waitcnt vmcnt(0)
	v_cmp_ne_u64_e32 vcc_lo, 0, v[21:22]
	v_cndmask_b32_e64 v21, 0, 1, vcc_lo
.LBB252_418:
	s_or_b32 exec_lo, exec_lo, s5
	v_or_b32_e32 v22, 0xa00, v0
	s_mov_b32 s5, exec_lo
	s_delay_alu instid0(VALU_DEP_1)
	v_cmpx_gt_u32_e64 s4, v22
	s_cbranch_execz .LBB252_420
; %bb.419:
	v_lshlrev_b32_e32 v20, 3, v22
	global_load_b64 v[22:23], v20, s[2:3]
	s_waitcnt vmcnt(0)
	v_cmp_ne_u64_e32 vcc_lo, 0, v[22:23]
	v_cndmask_b32_e64 v20, 0, 1, vcc_lo
.LBB252_420:
	s_or_b32 exec_lo, exec_lo, s5
	v_or_b32_e32 v24, 0xa80, v0
	v_dual_mov_b32 v22, 0 :: v_dual_mov_b32 v23, 0
	s_mov_b32 s5, exec_lo
	s_delay_alu instid0(VALU_DEP_2)
	v_cmpx_gt_u32_e64 s4, v24
	s_cbranch_execz .LBB252_422
; %bb.421:
	v_lshlrev_b32_e32 v23, 3, v24
	global_load_b64 v[23:24], v23, s[2:3]
	s_waitcnt vmcnt(0)
	v_cmp_ne_u64_e32 vcc_lo, 0, v[23:24]
	v_cndmask_b32_e64 v23, 0, 1, vcc_lo
.LBB252_422:
	s_or_b32 exec_lo, exec_lo, s5
	v_or_b32_e32 v24, 0xb00, v0
	s_mov_b32 s5, exec_lo
	s_delay_alu instid0(VALU_DEP_1)
	v_cmpx_gt_u32_e64 s4, v24
	s_cbranch_execz .LBB252_424
; %bb.423:
	v_lshlrev_b32_e32 v22, 3, v24
	global_load_b64 v[24:25], v22, s[2:3]
	s_waitcnt vmcnt(0)
	v_cmp_ne_u64_e32 vcc_lo, 0, v[24:25]
	v_cndmask_b32_e64 v22, 0, 1, vcc_lo
.LBB252_424:
	s_or_b32 exec_lo, exec_lo, s5
	v_or_b32_e32 v26, 0xb80, v0
	v_dual_mov_b32 v24, 0 :: v_dual_mov_b32 v25, 0
	s_mov_b32 s5, exec_lo
	s_delay_alu instid0(VALU_DEP_2)
	v_cmpx_gt_u32_e64 s4, v26
	s_cbranch_execz .LBB252_426
; %bb.425:
	v_lshlrev_b32_e32 v25, 3, v26
	global_load_b64 v[25:26], v25, s[2:3]
	s_waitcnt vmcnt(0)
	v_cmp_ne_u64_e32 vcc_lo, 0, v[25:26]
	v_cndmask_b32_e64 v25, 0, 1, vcc_lo
.LBB252_426:
	s_or_b32 exec_lo, exec_lo, s5
	v_or_b32_e32 v26, 0xc00, v0
	s_mov_b32 s5, exec_lo
	s_delay_alu instid0(VALU_DEP_1)
	v_cmpx_gt_u32_e64 s4, v26
	s_cbranch_execz .LBB252_428
; %bb.427:
	v_lshlrev_b32_e32 v24, 3, v26
	global_load_b64 v[26:27], v24, s[2:3]
	s_waitcnt vmcnt(0)
	v_cmp_ne_u64_e32 vcc_lo, 0, v[26:27]
	v_cndmask_b32_e64 v24, 0, 1, vcc_lo
.LBB252_428:
	s_or_b32 exec_lo, exec_lo, s5
	v_or_b32_e32 v28, 0xc80, v0
	v_dual_mov_b32 v26, 0 :: v_dual_mov_b32 v27, 0
	s_mov_b32 s5, exec_lo
	s_delay_alu instid0(VALU_DEP_2)
	v_cmpx_gt_u32_e64 s4, v28
	s_cbranch_execz .LBB252_430
; %bb.429:
	v_lshlrev_b32_e32 v27, 3, v28
	global_load_b64 v[27:28], v27, s[2:3]
	s_waitcnt vmcnt(0)
	v_cmp_ne_u64_e32 vcc_lo, 0, v[27:28]
	v_cndmask_b32_e64 v27, 0, 1, vcc_lo
.LBB252_430:
	s_or_b32 exec_lo, exec_lo, s5
	v_or_b32_e32 v28, 0xd00, v0
	s_mov_b32 s5, exec_lo
	s_delay_alu instid0(VALU_DEP_1)
	v_cmpx_gt_u32_e64 s4, v28
	s_cbranch_execz .LBB252_432
; %bb.431:
	v_lshlrev_b32_e32 v26, 3, v28
	global_load_b64 v[28:29], v26, s[2:3]
	s_waitcnt vmcnt(0)
	v_cmp_ne_u64_e32 vcc_lo, 0, v[28:29]
	v_cndmask_b32_e64 v26, 0, 1, vcc_lo
.LBB252_432:
	s_or_b32 exec_lo, exec_lo, s5
	v_or_b32_e32 v30, 0xd80, v0
	v_dual_mov_b32 v28, 0 :: v_dual_mov_b32 v29, 0
	s_mov_b32 s5, exec_lo
	s_delay_alu instid0(VALU_DEP_2)
	v_cmpx_gt_u32_e64 s4, v30
	s_cbranch_execz .LBB252_434
; %bb.433:
	v_lshlrev_b32_e32 v29, 3, v30
	global_load_b64 v[29:30], v29, s[2:3]
	s_waitcnt vmcnt(0)
	v_cmp_ne_u64_e32 vcc_lo, 0, v[29:30]
	v_cndmask_b32_e64 v29, 0, 1, vcc_lo
.LBB252_434:
	s_or_b32 exec_lo, exec_lo, s5
	v_or_b32_e32 v30, 0xe00, v0
	s_mov_b32 s5, exec_lo
	s_delay_alu instid0(VALU_DEP_1)
	v_cmpx_gt_u32_e64 s4, v30
	s_cbranch_execz .LBB252_436
; %bb.435:
	v_lshlrev_b32_e32 v28, 3, v30
	global_load_b64 v[30:31], v28, s[2:3]
	s_waitcnt vmcnt(0)
	v_cmp_ne_u64_e32 vcc_lo, 0, v[30:31]
	v_cndmask_b32_e64 v28, 0, 1, vcc_lo
.LBB252_436:
	s_or_b32 exec_lo, exec_lo, s5
	v_or_b32_e32 v32, 0xe80, v0
	v_dual_mov_b32 v30, 0 :: v_dual_mov_b32 v31, 0
	s_mov_b32 s5, exec_lo
	s_delay_alu instid0(VALU_DEP_2)
	v_cmpx_gt_u32_e64 s4, v32
	s_cbranch_execz .LBB252_438
; %bb.437:
	v_lshlrev_b32_e32 v31, 3, v32
	global_load_b64 v[31:32], v31, s[2:3]
	s_waitcnt vmcnt(0)
	v_cmp_ne_u64_e32 vcc_lo, 0, v[31:32]
	v_cndmask_b32_e64 v31, 0, 1, vcc_lo
.LBB252_438:
	s_or_b32 exec_lo, exec_lo, s5
	v_or_b32_e32 v32, 0xf00, v0
	s_mov_b32 s5, exec_lo
	s_delay_alu instid0(VALU_DEP_1)
	v_cmpx_gt_u32_e64 s4, v32
	s_cbranch_execz .LBB252_440
; %bb.439:
	v_lshlrev_b32_e32 v30, 3, v32
	global_load_b64 v[32:33], v30, s[2:3]
	s_waitcnt vmcnt(0)
	v_cmp_ne_u64_e32 vcc_lo, 0, v[32:33]
	v_cndmask_b32_e64 v30, 0, 1, vcc_lo
.LBB252_440:
	s_or_b32 exec_lo, exec_lo, s5
	v_or_b32_e32 v34, 0xf80, v0
	v_dual_mov_b32 v32, 0 :: v_dual_mov_b32 v33, 0
	s_mov_b32 s5, exec_lo
	s_delay_alu instid0(VALU_DEP_2)
	v_cmpx_gt_u32_e64 s4, v34
	s_cbranch_execz .LBB252_442
; %bb.441:
	v_lshlrev_b32_e32 v33, 3, v34
	global_load_b64 v[33:34], v33, s[2:3]
	s_waitcnt vmcnt(0)
	v_cmp_ne_u64_e32 vcc_lo, 0, v[33:34]
	v_cndmask_b32_e64 v33, 0, 1, vcc_lo
.LBB252_442:
	s_or_b32 exec_lo, exec_lo, s5
	v_or_b32_e32 v34, 0x1000, v0
	s_mov_b32 s5, exec_lo
	s_delay_alu instid0(VALU_DEP_1)
	v_cmpx_gt_u32_e64 s4, v34
	s_cbranch_execz .LBB252_444
; %bb.443:
	v_lshlrev_b32_e32 v32, 3, v34
	global_load_b64 v[34:35], v32, s[2:3]
	s_waitcnt vmcnt(0)
	v_cmp_ne_u64_e32 vcc_lo, 0, v[34:35]
	v_cndmask_b32_e64 v32, 0, 1, vcc_lo
.LBB252_444:
	s_or_b32 exec_lo, exec_lo, s5
	v_or_b32_e32 v36, 0x1080, v0
	v_dual_mov_b32 v34, 0 :: v_dual_mov_b32 v35, 0
	s_mov_b32 s5, exec_lo
	s_delay_alu instid0(VALU_DEP_2)
	v_cmpx_gt_u32_e64 s4, v36
	s_cbranch_execz .LBB252_446
; %bb.445:
	v_lshlrev_b32_e32 v35, 3, v36
	global_load_b64 v[35:36], v35, s[2:3]
	s_waitcnt vmcnt(0)
	v_cmp_ne_u64_e32 vcc_lo, 0, v[35:36]
	v_cndmask_b32_e64 v35, 0, 1, vcc_lo
.LBB252_446:
	s_or_b32 exec_lo, exec_lo, s5
	v_or_b32_e32 v36, 0x1100, v0
	s_mov_b32 s5, exec_lo
	s_delay_alu instid0(VALU_DEP_1)
	v_cmpx_gt_u32_e64 s4, v36
	s_cbranch_execz .LBB252_448
; %bb.447:
	v_lshlrev_b32_e32 v34, 3, v36
	global_load_b64 v[36:37], v34, s[2:3]
	s_waitcnt vmcnt(0)
	v_cmp_ne_u64_e32 vcc_lo, 0, v[36:37]
	v_cndmask_b32_e64 v34, 0, 1, vcc_lo
.LBB252_448:
	s_or_b32 exec_lo, exec_lo, s5
	v_or_b32_e32 v38, 0x1180, v0
	v_dual_mov_b32 v36, 0 :: v_dual_mov_b32 v37, 0
	s_mov_b32 s5, exec_lo
	s_delay_alu instid0(VALU_DEP_2)
	v_cmpx_gt_u32_e64 s4, v38
	s_cbranch_execz .LBB252_450
; %bb.449:
	v_lshlrev_b32_e32 v37, 3, v38
	global_load_b64 v[37:38], v37, s[2:3]
	s_waitcnt vmcnt(0)
	v_cmp_ne_u64_e32 vcc_lo, 0, v[37:38]
	v_cndmask_b32_e64 v37, 0, 1, vcc_lo
.LBB252_450:
	s_or_b32 exec_lo, exec_lo, s5
	v_or_b32_e32 v38, 0x1200, v0
	s_mov_b32 s5, exec_lo
	s_delay_alu instid0(VALU_DEP_1)
	v_cmpx_gt_u32_e64 s4, v38
	s_cbranch_execz .LBB252_452
; %bb.451:
	v_lshlrev_b32_e32 v36, 3, v38
	global_load_b64 v[38:39], v36, s[2:3]
	s_waitcnt vmcnt(0)
	v_cmp_ne_u64_e32 vcc_lo, 0, v[38:39]
	v_cndmask_b32_e64 v36, 0, 1, vcc_lo
.LBB252_452:
	s_or_b32 exec_lo, exec_lo, s5
	v_or_b32_e32 v40, 0x1280, v0
	v_dual_mov_b32 v38, 0 :: v_dual_mov_b32 v39, 0
	s_mov_b32 s5, exec_lo
	s_delay_alu instid0(VALU_DEP_2)
	v_cmpx_gt_u32_e64 s4, v40
	s_cbranch_execz .LBB252_454
; %bb.453:
	v_lshlrev_b32_e32 v39, 3, v40
	global_load_b64 v[39:40], v39, s[2:3]
	s_waitcnt vmcnt(0)
	v_cmp_ne_u64_e32 vcc_lo, 0, v[39:40]
	v_cndmask_b32_e64 v39, 0, 1, vcc_lo
.LBB252_454:
	s_or_b32 exec_lo, exec_lo, s5
	v_or_b32_e32 v40, 0x1300, v0
	s_mov_b32 s5, exec_lo
	s_delay_alu instid0(VALU_DEP_1)
	v_cmpx_gt_u32_e64 s4, v40
	s_cbranch_execz .LBB252_456
; %bb.455:
	v_lshlrev_b32_e32 v38, 3, v40
	global_load_b64 v[40:41], v38, s[2:3]
	s_waitcnt vmcnt(0)
	v_cmp_ne_u64_e32 vcc_lo, 0, v[40:41]
	v_cndmask_b32_e64 v38, 0, 1, vcc_lo
.LBB252_456:
	s_or_b32 exec_lo, exec_lo, s5
	v_or_b32_e32 v42, 0x1380, v0
	v_dual_mov_b32 v40, 0 :: v_dual_mov_b32 v41, 0
	s_mov_b32 s5, exec_lo
	s_delay_alu instid0(VALU_DEP_2)
	v_cmpx_gt_u32_e64 s4, v42
	s_cbranch_execz .LBB252_458
; %bb.457:
	v_lshlrev_b32_e32 v41, 3, v42
	global_load_b64 v[41:42], v41, s[2:3]
	s_waitcnt vmcnt(0)
	v_cmp_ne_u64_e32 vcc_lo, 0, v[41:42]
	v_cndmask_b32_e64 v41, 0, 1, vcc_lo
.LBB252_458:
	s_or_b32 exec_lo, exec_lo, s5
	v_or_b32_e32 v42, 0x1400, v0
	s_mov_b32 s5, exec_lo
	s_delay_alu instid0(VALU_DEP_1)
	v_cmpx_gt_u32_e64 s4, v42
	s_cbranch_execz .LBB252_460
; %bb.459:
	v_lshlrev_b32_e32 v40, 3, v42
	global_load_b64 v[42:43], v40, s[2:3]
	s_waitcnt vmcnt(0)
	v_cmp_ne_u64_e32 vcc_lo, 0, v[42:43]
	v_cndmask_b32_e64 v40, 0, 1, vcc_lo
.LBB252_460:
	s_or_b32 exec_lo, exec_lo, s5
	v_or_b32_e32 v44, 0x1480, v0
	v_dual_mov_b32 v42, 0 :: v_dual_mov_b32 v43, 0
	s_mov_b32 s5, exec_lo
	s_delay_alu instid0(VALU_DEP_2)
	v_cmpx_gt_u32_e64 s4, v44
	s_cbranch_execz .LBB252_462
; %bb.461:
	v_lshlrev_b32_e32 v43, 3, v44
	global_load_b64 v[43:44], v43, s[2:3]
	s_waitcnt vmcnt(0)
	v_cmp_ne_u64_e32 vcc_lo, 0, v[43:44]
	v_cndmask_b32_e64 v43, 0, 1, vcc_lo
.LBB252_462:
	s_or_b32 exec_lo, exec_lo, s5
	v_or_b32_e32 v44, 0x1500, v0
	s_mov_b32 s5, exec_lo
	s_delay_alu instid0(VALU_DEP_1)
	v_cmpx_gt_u32_e64 s4, v44
	s_cbranch_execz .LBB252_464
; %bb.463:
	v_lshlrev_b32_e32 v42, 3, v44
	global_load_b64 v[44:45], v42, s[2:3]
	s_waitcnt vmcnt(0)
	v_cmp_ne_u64_e32 vcc_lo, 0, v[44:45]
	v_cndmask_b32_e64 v42, 0, 1, vcc_lo
.LBB252_464:
	s_or_b32 exec_lo, exec_lo, s5
	v_or_b32_e32 v46, 0x1580, v0
	v_dual_mov_b32 v44, 0 :: v_dual_mov_b32 v45, 0
	s_mov_b32 s5, exec_lo
	s_delay_alu instid0(VALU_DEP_2)
	v_cmpx_gt_u32_e64 s4, v46
	s_cbranch_execz .LBB252_466
; %bb.465:
	v_lshlrev_b32_e32 v45, 3, v46
	global_load_b64 v[45:46], v45, s[2:3]
	s_waitcnt vmcnt(0)
	v_cmp_ne_u64_e32 vcc_lo, 0, v[45:46]
	v_cndmask_b32_e64 v45, 0, 1, vcc_lo
.LBB252_466:
	s_or_b32 exec_lo, exec_lo, s5
	v_or_b32_e32 v46, 0x1600, v0
	s_mov_b32 s5, exec_lo
	s_delay_alu instid0(VALU_DEP_1)
	v_cmpx_gt_u32_e64 s4, v46
	s_cbranch_execz .LBB252_468
; %bb.467:
	v_lshlrev_b32_e32 v44, 3, v46
	global_load_b64 v[46:47], v44, s[2:3]
	s_waitcnt vmcnt(0)
	v_cmp_ne_u64_e32 vcc_lo, 0, v[46:47]
	v_cndmask_b32_e64 v44, 0, 1, vcc_lo
.LBB252_468:
	s_or_b32 exec_lo, exec_lo, s5
	v_or_b32_e32 v48, 0x1680, v0
	v_dual_mov_b32 v46, 0 :: v_dual_mov_b32 v47, 0
	s_mov_b32 s5, exec_lo
	s_delay_alu instid0(VALU_DEP_2)
	v_cmpx_gt_u32_e64 s4, v48
	s_cbranch_execz .LBB252_470
; %bb.469:
	v_lshlrev_b32_e32 v47, 3, v48
	global_load_b64 v[47:48], v47, s[2:3]
	s_waitcnt vmcnt(0)
	v_cmp_ne_u64_e32 vcc_lo, 0, v[47:48]
	v_cndmask_b32_e64 v47, 0, 1, vcc_lo
.LBB252_470:
	s_or_b32 exec_lo, exec_lo, s5
	v_or_b32_e32 v48, 0x1700, v0
	s_mov_b32 s5, exec_lo
	s_delay_alu instid0(VALU_DEP_1)
	v_cmpx_gt_u32_e64 s4, v48
	s_cbranch_execz .LBB252_472
; %bb.471:
	v_lshlrev_b32_e32 v46, 3, v48
	global_load_b64 v[48:49], v46, s[2:3]
	s_waitcnt vmcnt(0)
	v_cmp_ne_u64_e32 vcc_lo, 0, v[48:49]
	v_cndmask_b32_e64 v46, 0, 1, vcc_lo
.LBB252_472:
	s_or_b32 exec_lo, exec_lo, s5
	v_or_b32_e32 v50, 0x1780, v0
	v_dual_mov_b32 v48, 0 :: v_dual_mov_b32 v49, 0
	s_mov_b32 s5, exec_lo
	s_delay_alu instid0(VALU_DEP_2)
	v_cmpx_gt_u32_e64 s4, v50
	s_cbranch_execz .LBB252_474
; %bb.473:
	v_lshlrev_b32_e32 v49, 3, v50
	global_load_b64 v[49:50], v49, s[2:3]
	s_waitcnt vmcnt(0)
	v_cmp_ne_u64_e32 vcc_lo, 0, v[49:50]
	v_cndmask_b32_e64 v49, 0, 1, vcc_lo
.LBB252_474:
	s_or_b32 exec_lo, exec_lo, s5
	v_or_b32_e32 v50, 0x1800, v0
	s_mov_b32 s5, exec_lo
	s_delay_alu instid0(VALU_DEP_1)
	v_cmpx_gt_u32_e64 s4, v50
	s_cbranch_execz .LBB252_476
; %bb.475:
	v_lshlrev_b32_e32 v48, 3, v50
	global_load_b64 v[50:51], v48, s[2:3]
	s_waitcnt vmcnt(0)
	v_cmp_ne_u64_e32 vcc_lo, 0, v[50:51]
	v_cndmask_b32_e64 v48, 0, 1, vcc_lo
.LBB252_476:
	s_or_b32 exec_lo, exec_lo, s5
	v_or_b32_e32 v52, 0x1880, v0
	v_dual_mov_b32 v50, 0 :: v_dual_mov_b32 v51, 0
	s_mov_b32 s5, exec_lo
	s_delay_alu instid0(VALU_DEP_2)
	v_cmpx_gt_u32_e64 s4, v52
	s_cbranch_execz .LBB252_478
; %bb.477:
	v_lshlrev_b32_e32 v51, 3, v52
	global_load_b64 v[51:52], v51, s[2:3]
	s_waitcnt vmcnt(0)
	v_cmp_ne_u64_e32 vcc_lo, 0, v[51:52]
	v_cndmask_b32_e64 v51, 0, 1, vcc_lo
.LBB252_478:
	s_or_b32 exec_lo, exec_lo, s5
	v_or_b32_e32 v52, 0x1900, v0
	s_mov_b32 s5, exec_lo
	s_delay_alu instid0(VALU_DEP_1)
	v_cmpx_gt_u32_e64 s4, v52
	s_cbranch_execz .LBB252_480
; %bb.479:
	v_lshlrev_b32_e32 v50, 3, v52
	global_load_b64 v[52:53], v50, s[2:3]
	s_waitcnt vmcnt(0)
	v_cmp_ne_u64_e32 vcc_lo, 0, v[52:53]
	v_cndmask_b32_e64 v50, 0, 1, vcc_lo
.LBB252_480:
	s_or_b32 exec_lo, exec_lo, s5
	v_or_b32_e32 v54, 0x1980, v0
	v_dual_mov_b32 v52, 0 :: v_dual_mov_b32 v53, 0
	s_mov_b32 s5, exec_lo
	s_delay_alu instid0(VALU_DEP_2)
	v_cmpx_gt_u32_e64 s4, v54
	s_cbranch_execz .LBB252_482
; %bb.481:
	v_lshlrev_b32_e32 v53, 3, v54
	global_load_b64 v[53:54], v53, s[2:3]
	s_waitcnt vmcnt(0)
	v_cmp_ne_u64_e32 vcc_lo, 0, v[53:54]
	v_cndmask_b32_e64 v53, 0, 1, vcc_lo
.LBB252_482:
	s_or_b32 exec_lo, exec_lo, s5
	v_or_b32_e32 v54, 0x1a00, v0
	s_mov_b32 s5, exec_lo
	s_delay_alu instid0(VALU_DEP_1)
	v_cmpx_gt_u32_e64 s4, v54
	s_cbranch_execz .LBB252_484
; %bb.483:
	v_lshlrev_b32_e32 v52, 3, v54
	global_load_b64 v[54:55], v52, s[2:3]
	s_waitcnt vmcnt(0)
	v_cmp_ne_u64_e32 vcc_lo, 0, v[54:55]
	v_cndmask_b32_e64 v52, 0, 1, vcc_lo
.LBB252_484:
	s_or_b32 exec_lo, exec_lo, s5
	v_or_b32_e32 v56, 0x1a80, v0
	v_dual_mov_b32 v54, 0 :: v_dual_mov_b32 v55, 0
	s_mov_b32 s5, exec_lo
	s_delay_alu instid0(VALU_DEP_2)
	v_cmpx_gt_u32_e64 s4, v56
	s_cbranch_execz .LBB252_486
; %bb.485:
	v_lshlrev_b32_e32 v55, 3, v56
	global_load_b64 v[55:56], v55, s[2:3]
	s_waitcnt vmcnt(0)
	v_cmp_ne_u64_e32 vcc_lo, 0, v[55:56]
	v_cndmask_b32_e64 v55, 0, 1, vcc_lo
.LBB252_486:
	s_or_b32 exec_lo, exec_lo, s5
	v_or_b32_e32 v56, 0x1b00, v0
	s_mov_b32 s5, exec_lo
	s_delay_alu instid0(VALU_DEP_1)
	v_cmpx_gt_u32_e64 s4, v56
	s_cbranch_execz .LBB252_488
; %bb.487:
	v_lshlrev_b32_e32 v54, 3, v56
	global_load_b64 v[56:57], v54, s[2:3]
	s_waitcnt vmcnt(0)
	v_cmp_ne_u64_e32 vcc_lo, 0, v[56:57]
	v_cndmask_b32_e64 v54, 0, 1, vcc_lo
.LBB252_488:
	s_or_b32 exec_lo, exec_lo, s5
	v_or_b32_e32 v58, 0x1b80, v0
	v_dual_mov_b32 v56, 0 :: v_dual_mov_b32 v57, 0
	s_mov_b32 s5, exec_lo
	s_delay_alu instid0(VALU_DEP_2)
	v_cmpx_gt_u32_e64 s4, v58
	s_cbranch_execz .LBB252_490
; %bb.489:
	v_lshlrev_b32_e32 v57, 3, v58
	global_load_b64 v[57:58], v57, s[2:3]
	s_waitcnt vmcnt(0)
	v_cmp_ne_u64_e32 vcc_lo, 0, v[57:58]
	v_cndmask_b32_e64 v57, 0, 1, vcc_lo
.LBB252_490:
	s_or_b32 exec_lo, exec_lo, s5
	v_or_b32_e32 v58, 0x1c00, v0
	s_mov_b32 s5, exec_lo
	s_delay_alu instid0(VALU_DEP_1)
	v_cmpx_gt_u32_e64 s4, v58
	s_cbranch_execz .LBB252_492
; %bb.491:
	v_lshlrev_b32_e32 v56, 3, v58
	global_load_b64 v[58:59], v56, s[2:3]
	s_waitcnt vmcnt(0)
	v_cmp_ne_u64_e32 vcc_lo, 0, v[58:59]
	v_cndmask_b32_e64 v56, 0, 1, vcc_lo
.LBB252_492:
	s_or_b32 exec_lo, exec_lo, s5
	v_or_b32_e32 v60, 0x1c80, v0
	v_dual_mov_b32 v58, 0 :: v_dual_mov_b32 v59, 0
	s_mov_b32 s5, exec_lo
	s_delay_alu instid0(VALU_DEP_2)
	v_cmpx_gt_u32_e64 s4, v60
	s_cbranch_execz .LBB252_494
; %bb.493:
	v_lshlrev_b32_e32 v59, 3, v60
	global_load_b64 v[59:60], v59, s[2:3]
	s_waitcnt vmcnt(0)
	v_cmp_ne_u64_e32 vcc_lo, 0, v[59:60]
	v_cndmask_b32_e64 v59, 0, 1, vcc_lo
.LBB252_494:
	s_or_b32 exec_lo, exec_lo, s5
	v_or_b32_e32 v60, 0x1d00, v0
	s_mov_b32 s5, exec_lo
	s_delay_alu instid0(VALU_DEP_1)
	v_cmpx_gt_u32_e64 s4, v60
	s_cbranch_execz .LBB252_496
; %bb.495:
	v_lshlrev_b32_e32 v58, 3, v60
	global_load_b64 v[60:61], v58, s[2:3]
	s_waitcnt vmcnt(0)
	v_cmp_ne_u64_e32 vcc_lo, 0, v[60:61]
	v_cndmask_b32_e64 v58, 0, 1, vcc_lo
.LBB252_496:
	s_or_b32 exec_lo, exec_lo, s5
	v_or_b32_e32 v62, 0x1d80, v0
	v_dual_mov_b32 v60, 0 :: v_dual_mov_b32 v61, 0
	s_mov_b32 s5, exec_lo
	s_delay_alu instid0(VALU_DEP_2)
	v_cmpx_gt_u32_e64 s4, v62
	s_cbranch_execz .LBB252_498
; %bb.497:
	v_lshlrev_b32_e32 v61, 3, v62
	global_load_b64 v[61:62], v61, s[2:3]
	s_waitcnt vmcnt(0)
	v_cmp_ne_u64_e32 vcc_lo, 0, v[61:62]
	v_cndmask_b32_e64 v61, 0, 1, vcc_lo
.LBB252_498:
	s_or_b32 exec_lo, exec_lo, s5
	v_or_b32_e32 v62, 0x1e00, v0
	s_mov_b32 s5, exec_lo
	s_delay_alu instid0(VALU_DEP_1)
	v_cmpx_gt_u32_e64 s4, v62
	s_cbranch_execz .LBB252_500
; %bb.499:
	v_lshlrev_b32_e32 v60, 3, v62
	global_load_b64 v[62:63], v60, s[2:3]
	s_waitcnt vmcnt(0)
	v_cmp_ne_u64_e32 vcc_lo, 0, v[62:63]
	v_cndmask_b32_e64 v60, 0, 1, vcc_lo
.LBB252_500:
	s_or_b32 exec_lo, exec_lo, s5
	v_or_b32_e32 v64, 0x1e80, v0
	v_dual_mov_b32 v62, 0 :: v_dual_mov_b32 v63, 0
	s_mov_b32 s5, exec_lo
	s_delay_alu instid0(VALU_DEP_2)
	v_cmpx_gt_u32_e64 s4, v64
	s_cbranch_execz .LBB252_502
; %bb.501:
	v_lshlrev_b32_e32 v63, 3, v64
	global_load_b64 v[63:64], v63, s[2:3]
	s_waitcnt vmcnt(0)
	v_cmp_ne_u64_e32 vcc_lo, 0, v[63:64]
	v_cndmask_b32_e64 v63, 0, 1, vcc_lo
.LBB252_502:
	s_or_b32 exec_lo, exec_lo, s5
	v_or_b32_e32 v64, 0x1f00, v0
	s_mov_b32 s5, exec_lo
	s_delay_alu instid0(VALU_DEP_1)
	v_cmpx_gt_u32_e64 s4, v64
	s_cbranch_execz .LBB252_504
; %bb.503:
	v_lshlrev_b32_e32 v62, 3, v64
	global_load_b64 v[64:65], v62, s[2:3]
	s_waitcnt vmcnt(0)
	v_cmp_ne_u64_e32 vcc_lo, 0, v[64:65]
	v_cndmask_b32_e64 v62, 0, 1, vcc_lo
.LBB252_504:
	s_or_b32 exec_lo, exec_lo, s5
	v_or_b32_e32 v65, 0x1f80, v0
	v_mov_b32_e32 v64, 0
	s_mov_b32 s5, exec_lo
	s_delay_alu instid0(VALU_DEP_2)
	v_cmpx_gt_u32_e64 s4, v65
	s_cbranch_execz .LBB252_506
; %bb.505:
	v_lshlrev_b32_e32 v64, 3, v65
	global_load_b64 v[64:65], v64, s[2:3]
	s_waitcnt vmcnt(0)
	v_cmp_ne_u64_e32 vcc_lo, 0, v[64:65]
	v_cndmask_b32_e64 v64, 0, 1, vcc_lo
.LBB252_506:
	s_or_b32 exec_lo, exec_lo, s5
	v_add_nc_u32_e32 v1, v3, v1
	s_min_u32 s2, s4, 0x80
	s_mov_b32 s3, exec_lo
	s_delay_alu instid0(VALU_DEP_1) | instskip(SKIP_1) | instid1(VALU_DEP_2)
	v_add3_u32 v1, v1, v2, v5
	v_mbcnt_lo_u32_b32 v2, -1, 0
	v_add3_u32 v1, v1, v4, v7
	s_delay_alu instid0(VALU_DEP_2) | instskip(NEXT) | instid1(VALU_DEP_2)
	v_cmp_ne_u32_e32 vcc_lo, 31, v2
	v_add3_u32 v1, v1, v6, v9
	v_add_co_ci_u32_e32 v3, vcc_lo, 0, v2, vcc_lo
	v_cmp_gt_u32_e32 vcc_lo, 30, v2
	v_add_nc_u32_e32 v6, 1, v2
	s_delay_alu instid0(VALU_DEP_4) | instskip(NEXT) | instid1(VALU_DEP_4)
	v_add3_u32 v1, v1, v8, v11
	v_lshlrev_b32_e32 v3, 2, v3
	v_cndmask_b32_e64 v5, 0, 1, vcc_lo
	s_delay_alu instid0(VALU_DEP_3) | instskip(NEXT) | instid1(VALU_DEP_2)
	v_add3_u32 v1, v1, v10, v13
	v_lshlrev_b32_e32 v5, 1, v5
	s_delay_alu instid0(VALU_DEP_2) | instskip(NEXT) | instid1(VALU_DEP_2)
	v_add3_u32 v1, v1, v12, v15
	v_add_lshl_u32 v5, v5, v2, 2
	s_delay_alu instid0(VALU_DEP_2) | instskip(NEXT) | instid1(VALU_DEP_1)
	v_add3_u32 v1, v1, v14, v17
	v_add3_u32 v1, v1, v16, v19
	s_delay_alu instid0(VALU_DEP_1) | instskip(NEXT) | instid1(VALU_DEP_1)
	v_add3_u32 v1, v1, v18, v21
	v_add3_u32 v1, v1, v20, v23
	s_delay_alu instid0(VALU_DEP_1) | instskip(NEXT) | instid1(VALU_DEP_1)
	;; [unrolled: 3-line block ×11, first 2 shown]
	v_add3_u32 v1, v1, v58, v61
	v_add3_u32 v1, v1, v60, v63
	s_delay_alu instid0(VALU_DEP_1) | instskip(SKIP_2) | instid1(VALU_DEP_1)
	v_add3_u32 v1, v1, v62, v64
	ds_bpermute_b32 v3, v3, v1
	v_and_b32_e32 v4, 0x60, v0
	v_sub_nc_u32_e64 v4, s2, v4 clamp
	s_delay_alu instid0(VALU_DEP_1) | instskip(SKIP_3) | instid1(VALU_DEP_2)
	v_cmp_lt_u32_e32 vcc_lo, v6, v4
	s_waitcnt lgkmcnt(0)
	v_dual_cndmask_b32 v3, 0, v3 :: v_dual_add_nc_u32 v6, 2, v2
	v_cmp_gt_u32_e32 vcc_lo, 28, v2
	v_add_nc_u32_e32 v1, v3, v1
	ds_bpermute_b32 v3, v5, v1
	v_cndmask_b32_e64 v5, 0, 1, vcc_lo
	v_cmp_lt_u32_e32 vcc_lo, v6, v4
	v_add_nc_u32_e32 v6, 4, v2
	s_delay_alu instid0(VALU_DEP_3) | instskip(NEXT) | instid1(VALU_DEP_1)
	v_lshlrev_b32_e32 v5, 2, v5
	v_add_lshl_u32 v5, v5, v2, 2
	s_waitcnt lgkmcnt(0)
	v_cndmask_b32_e32 v3, 0, v3, vcc_lo
	v_cmp_gt_u32_e32 vcc_lo, 24, v2
	s_delay_alu instid0(VALU_DEP_2) | instskip(SKIP_4) | instid1(VALU_DEP_3)
	v_add_nc_u32_e32 v1, v1, v3
	ds_bpermute_b32 v3, v5, v1
	v_cndmask_b32_e64 v5, 0, 1, vcc_lo
	v_cmp_lt_u32_e32 vcc_lo, v6, v4
	v_add_nc_u32_e32 v6, 8, v2
	v_lshlrev_b32_e32 v5, 3, v5
	s_delay_alu instid0(VALU_DEP_1) | instskip(SKIP_3) | instid1(VALU_DEP_2)
	v_add_lshl_u32 v5, v5, v2, 2
	s_waitcnt lgkmcnt(0)
	v_cndmask_b32_e32 v3, 0, v3, vcc_lo
	v_cmp_gt_u32_e32 vcc_lo, 16, v2
	v_add_nc_u32_e32 v1, v1, v3
	ds_bpermute_b32 v3, v5, v1
	v_cndmask_b32_e64 v5, 0, 1, vcc_lo
	v_cmp_lt_u32_e32 vcc_lo, v6, v4
	s_delay_alu instid0(VALU_DEP_2) | instskip(NEXT) | instid1(VALU_DEP_1)
	v_lshlrev_b32_e32 v5, 4, v5
	v_add_lshl_u32 v5, v5, v2, 2
	s_waitcnt lgkmcnt(0)
	v_cndmask_b32_e32 v3, 0, v3, vcc_lo
	s_delay_alu instid0(VALU_DEP_1) | instskip(SKIP_2) | instid1(VALU_DEP_1)
	v_add_nc_u32_e32 v1, v1, v3
	ds_bpermute_b32 v3, v5, v1
	v_add_nc_u32_e32 v5, 16, v2
	v_cmp_lt_u32_e32 vcc_lo, v5, v4
	s_waitcnt lgkmcnt(0)
	v_cndmask_b32_e32 v3, 0, v3, vcc_lo
	s_delay_alu instid0(VALU_DEP_1)
	v_add_nc_u32_e32 v1, v1, v3
	v_cmpx_eq_u32_e32 0, v2
	s_cbranch_execz .LBB252_508
; %bb.507:
	v_lshrrev_b32_e32 v3, 3, v0
	s_delay_alu instid0(VALU_DEP_1)
	v_and_b32_e32 v3, 12, v3
	ds_store_b32 v3, v1 offset:128
.LBB252_508:
	s_or_b32 exec_lo, exec_lo, s3
	s_delay_alu instid0(SALU_CYCLE_1)
	s_mov_b32 s3, exec_lo
	s_waitcnt lgkmcnt(0)
	s_barrier
	buffer_gl0_inv
	v_cmpx_gt_u32_e32 4, v0
	s_cbranch_execz .LBB252_510
; %bb.509:
	v_and_b32_e32 v3, 3, v2
	s_add_i32 s2, s2, 31
	s_delay_alu instid0(SALU_CYCLE_1) | instskip(NEXT) | instid1(VALU_DEP_1)
	s_lshr_b32 s2, s2, 5
	v_cmp_ne_u32_e32 vcc_lo, 3, v3
	v_add_nc_u32_e32 v5, 1, v3
	v_add_co_ci_u32_e32 v4, vcc_lo, 0, v2, vcc_lo
	v_cmp_gt_u32_e32 vcc_lo, 2, v3
	v_add_nc_u32_e32 v3, 2, v3
	s_delay_alu instid0(VALU_DEP_3) | instskip(SKIP_3) | instid1(VALU_DEP_3)
	v_lshlrev_b32_e32 v4, 2, v4
	v_cndmask_b32_e64 v6, 0, 1, vcc_lo
	v_cmp_gt_u32_e32 vcc_lo, s2, v5
	v_lshlrev_b32_e32 v1, 2, v2
	v_lshlrev_b32_e32 v5, 1, v6
	ds_load_b32 v1, v1 offset:128
	v_add_lshl_u32 v2, v5, v2, 2
	s_waitcnt lgkmcnt(0)
	ds_bpermute_b32 v4, v4, v1
	s_waitcnt lgkmcnt(0)
	v_cndmask_b32_e32 v4, 0, v4, vcc_lo
	v_cmp_gt_u32_e32 vcc_lo, s2, v3
	s_delay_alu instid0(VALU_DEP_2) | instskip(SKIP_3) | instid1(VALU_DEP_1)
	v_add_nc_u32_e32 v1, v4, v1
	ds_bpermute_b32 v2, v2, v1
	s_waitcnt lgkmcnt(0)
	v_cndmask_b32_e32 v2, 0, v2, vcc_lo
	v_add_nc_u32_e32 v1, v1, v2
.LBB252_510:
	s_or_b32 exec_lo, exec_lo, s3
.LBB252_511:
	v_cmp_eq_u32_e64 s2, 0, v0
.LBB252_512:
	s_branch .LBB252_623
.LBB252_513:
	s_cmp_gt_i32 s19, 3
	s_cbranch_scc0 .LBB252_522
; %bb.514:
	s_cmp_gt_i32 s19, 7
	s_cbranch_scc0 .LBB252_523
; %bb.515:
	s_cmp_eq_u32 s19, 8
	s_cbranch_scc0 .LBB252_531
; %bb.516:
	s_mov_b32 s25, 0
	s_lshl_b32 s2, s24, 10
	s_mov_b32 s3, s25
	s_lshr_b64 s[6:7], s[20:21], 10
	s_lshl_b64 s[4:5], s[2:3], 3
	s_delay_alu instid0(SALU_CYCLE_1)
	s_add_u32 s8, s26, s4
	s_addc_u32 s9, s27, s5
	s_cmp_lg_u64 s[6:7], s[24:25]
	s_cbranch_scc0 .LBB252_573
; %bb.517:
	v_lshlrev_b32_e32 v11, 3, v0
	s_clause 0x1
	global_load_b64 v[1:2], v11, s[8:9]
	global_load_b64 v[3:4], v11, s[8:9] offset:2048
	v_add_co_u32 v5, s3, s8, v11
	s_delay_alu instid0(VALU_DEP_1) | instskip(SKIP_1) | instid1(VALU_DEP_2)
	v_add_co_ci_u32_e64 v6, null, s9, 0, s3
	s_mov_b32 s3, exec_lo
	v_add_co_u32 v5, vcc_lo, 0x1000, v5
	s_delay_alu instid0(VALU_DEP_2)
	v_add_co_ci_u32_e32 v6, vcc_lo, 0, v6, vcc_lo
	s_clause 0x5
	global_load_b64 v[7:8], v11, s[8:9] offset:1024
	global_load_b64 v[9:10], v[5:6], off
	global_load_b64 v[11:12], v11, s[8:9] offset:3072
	global_load_b64 v[13:14], v[5:6], off offset:2048
	global_load_b64 v[15:16], v[5:6], off offset:1024
	;; [unrolled: 1-line block ×3, first 2 shown]
	s_waitcnt vmcnt(7)
	v_cmp_ne_u64_e32 vcc_lo, 0, v[1:2]
	v_cndmask_b32_e64 v1, 0, 1, vcc_lo
	s_waitcnt vmcnt(6)
	v_cmp_ne_u64_e32 vcc_lo, 0, v[3:4]
	v_cndmask_b32_e64 v2, 0, 1, vcc_lo
	s_waitcnt vmcnt(5)
	v_cmp_ne_u64_e32 vcc_lo, 0, v[7:8]
	v_add_co_ci_u32_e32 v1, vcc_lo, 0, v1, vcc_lo
	s_waitcnt vmcnt(4)
	v_cmp_ne_u64_e32 vcc_lo, 0, v[9:10]
	v_cndmask_b32_e64 v3, 0, 1, vcc_lo
	s_waitcnt vmcnt(3)
	v_cmp_ne_u64_e32 vcc_lo, 0, v[11:12]
	v_add_co_ci_u32_e32 v1, vcc_lo, v1, v2, vcc_lo
	s_waitcnt vmcnt(2)
	v_cmp_ne_u64_e32 vcc_lo, 0, v[13:14]
	v_cndmask_b32_e64 v2, 0, 1, vcc_lo
	s_waitcnt vmcnt(1)
	v_cmp_ne_u64_e32 vcc_lo, 0, v[15:16]
	v_add_co_ci_u32_e32 v1, vcc_lo, v1, v3, vcc_lo
	s_waitcnt vmcnt(0)
	v_cmp_ne_u64_e32 vcc_lo, 0, v[5:6]
	v_mov_b32_e32 v3, 0
	s_delay_alu instid0(VALU_DEP_3) | instskip(NEXT) | instid1(VALU_DEP_1)
	v_add_co_ci_u32_e32 v1, vcc_lo, v1, v2, vcc_lo
	v_mov_b32_dpp v2, v1 quad_perm:[1,0,3,2] row_mask:0xf bank_mask:0xf
	s_delay_alu instid0(VALU_DEP_1) | instskip(NEXT) | instid1(VALU_DEP_1)
	v_add_nc_u32_e32 v1, v1, v2
	v_mov_b32_dpp v2, v1 quad_perm:[2,3,0,1] row_mask:0xf bank_mask:0xf
	s_delay_alu instid0(VALU_DEP_1) | instskip(NEXT) | instid1(VALU_DEP_1)
	v_add_nc_u32_e32 v1, v1, v2
	v_mov_b32_dpp v2, v1 row_ror:4 row_mask:0xf bank_mask:0xf
	s_delay_alu instid0(VALU_DEP_1) | instskip(NEXT) | instid1(VALU_DEP_1)
	v_add_nc_u32_e32 v1, v1, v2
	v_mov_b32_dpp v2, v1 row_ror:8 row_mask:0xf bank_mask:0xf
	s_delay_alu instid0(VALU_DEP_1)
	v_add_nc_u32_e32 v1, v1, v2
	ds_swizzle_b32 v2, v1 offset:swizzle(BROADCAST,32,15)
	s_waitcnt lgkmcnt(0)
	v_add_nc_u32_e32 v1, v1, v2
	v_mbcnt_lo_u32_b32 v2, -1, 0
	ds_bpermute_b32 v1, v3, v1 offset:124
	v_cmpx_eq_u32_e32 0, v2
	s_cbranch_execz .LBB252_519
; %bb.518:
	v_lshrrev_b32_e32 v3, 3, v0
	s_delay_alu instid0(VALU_DEP_1)
	v_and_b32_e32 v3, 12, v3
	s_waitcnt lgkmcnt(0)
	ds_store_b32 v3, v1 offset:112
.LBB252_519:
	s_or_b32 exec_lo, exec_lo, s3
	s_delay_alu instid0(SALU_CYCLE_1)
	s_mov_b32 s3, exec_lo
	s_waitcnt lgkmcnt(0)
	s_barrier
	buffer_gl0_inv
	v_cmpx_gt_u32_e32 32, v0
	s_cbranch_execz .LBB252_521
; %bb.520:
	v_lshl_or_b32 v1, v2, 2, 0x70
	v_and_b32_e32 v3, 3, v2
	ds_load_b32 v1, v1
	v_cmp_ne_u32_e32 vcc_lo, 3, v3
	v_add_co_ci_u32_e32 v4, vcc_lo, 0, v2, vcc_lo
	v_cmp_gt_u32_e32 vcc_lo, 2, v3
	s_delay_alu instid0(VALU_DEP_2) | instskip(SKIP_1) | instid1(VALU_DEP_1)
	v_lshlrev_b32_e32 v4, 2, v4
	v_cndmask_b32_e64 v3, 0, 1, vcc_lo
	v_lshlrev_b32_e32 v3, 1, v3
	s_waitcnt lgkmcnt(0)
	ds_bpermute_b32 v4, v4, v1
	v_add_lshl_u32 v2, v3, v2, 2
	s_waitcnt lgkmcnt(0)
	v_add_nc_u32_e32 v1, v4, v1
	ds_bpermute_b32 v2, v2, v1
	s_waitcnt lgkmcnt(0)
	v_add_nc_u32_e32 v1, v2, v1
.LBB252_521:
	s_or_b32 exec_lo, exec_lo, s3
	s_mov_b32 s3, 0
	s_branch .LBB252_574
.LBB252_522:
                                        ; implicit-def: $vgpr1
	s_cbranch_execnz .LBB252_614
	s_branch .LBB252_623
.LBB252_523:
                                        ; implicit-def: $vgpr1
	s_cbranch_execz .LBB252_597
; %bb.524:
	s_cmp_eq_u32 s19, 4
	s_cbranch_scc0 .LBB252_532
; %bb.525:
	s_mov_b32 s25, 0
	s_lshl_b32 s2, s24, 9
	s_mov_b32 s3, s25
	s_lshr_b64 s[6:7], s[20:21], 9
	s_lshl_b64 s[4:5], s[2:3], 3
	s_delay_alu instid0(SALU_CYCLE_1)
	s_add_u32 s4, s26, s4
	s_addc_u32 s5, s27, s5
	s_cmp_lg_u64 s[6:7], s[24:25]
	s_cbranch_scc0 .LBB252_598
; %bb.526:
	v_lshlrev_b32_e32 v7, 3, v0
	s_mov_b32 s3, exec_lo
	s_clause 0x3
	global_load_b64 v[1:2], v7, s[4:5]
	global_load_b64 v[3:4], v7, s[4:5] offset:2048
	global_load_b64 v[5:6], v7, s[4:5] offset:1024
	;; [unrolled: 1-line block ×3, first 2 shown]
	s_waitcnt vmcnt(3)
	v_cmp_ne_u64_e32 vcc_lo, 0, v[1:2]
	v_cndmask_b32_e64 v1, 0, 1, vcc_lo
	s_waitcnt vmcnt(2)
	v_cmp_ne_u64_e32 vcc_lo, 0, v[3:4]
	v_cndmask_b32_e64 v2, 0, 1, vcc_lo
	s_waitcnt vmcnt(1)
	v_cmp_ne_u64_e32 vcc_lo, 0, v[5:6]
	v_add_co_ci_u32_e32 v1, vcc_lo, 0, v1, vcc_lo
	s_waitcnt vmcnt(0)
	v_cmp_ne_u64_e32 vcc_lo, 0, v[7:8]
	s_delay_alu instid0(VALU_DEP_2) | instskip(NEXT) | instid1(VALU_DEP_1)
	v_add_co_ci_u32_e32 v1, vcc_lo, v1, v2, vcc_lo
	v_mov_b32_dpp v2, v1 quad_perm:[1,0,3,2] row_mask:0xf bank_mask:0xf
	s_delay_alu instid0(VALU_DEP_1) | instskip(NEXT) | instid1(VALU_DEP_1)
	v_add_nc_u32_e32 v1, v1, v2
	v_mov_b32_dpp v2, v1 quad_perm:[2,3,0,1] row_mask:0xf bank_mask:0xf
	s_delay_alu instid0(VALU_DEP_1) | instskip(NEXT) | instid1(VALU_DEP_1)
	v_add_nc_u32_e32 v1, v1, v2
	v_mov_b32_dpp v2, v1 row_ror:4 row_mask:0xf bank_mask:0xf
	s_delay_alu instid0(VALU_DEP_1) | instskip(NEXT) | instid1(VALU_DEP_1)
	v_add_nc_u32_e32 v1, v1, v2
	v_mov_b32_dpp v2, v1 row_ror:8 row_mask:0xf bank_mask:0xf
	s_delay_alu instid0(VALU_DEP_1)
	v_add_nc_u32_e32 v1, v1, v2
	ds_swizzle_b32 v2, v1 offset:swizzle(BROADCAST,32,15)
	s_waitcnt lgkmcnt(0)
	v_dual_mov_b32 v2, 0 :: v_dual_add_nc_u32 v1, v1, v2
	ds_bpermute_b32 v1, v2, v1 offset:124
	v_mbcnt_lo_u32_b32 v2, -1, 0
	s_delay_alu instid0(VALU_DEP_1)
	v_cmpx_eq_u32_e32 0, v2
	s_cbranch_execz .LBB252_528
; %bb.527:
	v_lshrrev_b32_e32 v3, 3, v0
	s_delay_alu instid0(VALU_DEP_1)
	v_and_b32_e32 v3, 12, v3
	s_waitcnt lgkmcnt(0)
	ds_store_b32 v3, v1 offset:80
.LBB252_528:
	s_or_b32 exec_lo, exec_lo, s3
	s_delay_alu instid0(SALU_CYCLE_1)
	s_mov_b32 s3, exec_lo
	s_waitcnt lgkmcnt(0)
	s_barrier
	buffer_gl0_inv
	v_cmpx_gt_u32_e32 32, v0
	s_cbranch_execz .LBB252_530
; %bb.529:
	v_and_b32_e32 v1, 3, v2
	s_delay_alu instid0(VALU_DEP_1) | instskip(SKIP_4) | instid1(VALU_DEP_2)
	v_lshlrev_b32_e32 v3, 2, v1
	v_cmp_ne_u32_e32 vcc_lo, 3, v1
	ds_load_b32 v3, v3 offset:80
	v_add_co_ci_u32_e32 v4, vcc_lo, 0, v2, vcc_lo
	v_cmp_gt_u32_e32 vcc_lo, 2, v1
	v_lshlrev_b32_e32 v4, 2, v4
	v_cndmask_b32_e64 v1, 0, 1, vcc_lo
	s_delay_alu instid0(VALU_DEP_1) | instskip(NEXT) | instid1(VALU_DEP_1)
	v_lshlrev_b32_e32 v1, 1, v1
	v_add_lshl_u32 v1, v1, v2, 2
	s_waitcnt lgkmcnt(0)
	ds_bpermute_b32 v4, v4, v3
	s_waitcnt lgkmcnt(0)
	v_add_nc_u32_e32 v3, v4, v3
	ds_bpermute_b32 v1, v1, v3
	s_waitcnt lgkmcnt(0)
	v_add_nc_u32_e32 v1, v1, v3
.LBB252_530:
	s_or_b32 exec_lo, exec_lo, s3
	s_mov_b32 s3, 0
	s_branch .LBB252_599
.LBB252_531:
                                        ; implicit-def: $vgpr1
	s_branch .LBB252_597
.LBB252_532:
                                        ; implicit-def: $vgpr1
	s_branch .LBB252_623
.LBB252_533:
	s_mov_b32 s3, -1
                                        ; implicit-def: $vgpr1
.LBB252_534:
	s_delay_alu instid0(SALU_CYCLE_1)
	s_and_b32 vcc_lo, exec_lo, s3
	s_cbranch_vccz .LBB252_572
; %bb.535:
	s_sub_i32 s18, s20, s2
	s_mov_b32 s2, exec_lo
                                        ; implicit-def: $vgpr1_vgpr2_vgpr3_vgpr4_vgpr5_vgpr6_vgpr7_vgpr8_vgpr9_vgpr10_vgpr11_vgpr12_vgpr13_vgpr14_vgpr15_vgpr16
	v_cmpx_gt_u32_e64 s18, v0
	s_cbranch_execz .LBB252_537
; %bb.536:
	v_lshlrev_b32_e32 v1, 3, v0
	global_load_b64 v[1:2], v1, s[16:17]
	s_waitcnt vmcnt(0)
	v_cmp_ne_u64_e32 vcc_lo, 0, v[1:2]
	v_cndmask_b32_e64 v1, 0, 1, vcc_lo
.LBB252_537:
	s_or_b32 exec_lo, exec_lo, s2
	v_or_b32_e32 v17, 0x80, v0
	s_delay_alu instid0(VALU_DEP_1)
	v_cmp_gt_u32_e32 vcc_lo, s18, v17
	s_and_saveexec_b32 s3, vcc_lo
	s_cbranch_execz .LBB252_539
; %bb.538:
	v_lshlrev_b32_e32 v2, 3, v0
	global_load_b64 v[17:18], v2, s[16:17] offset:1024
	s_waitcnt vmcnt(0)
	v_cmp_ne_u64_e64 s2, 0, v[17:18]
	s_delay_alu instid0(VALU_DEP_1)
	v_cndmask_b32_e64 v2, 0, 1, s2
.LBB252_539:
	s_or_b32 exec_lo, exec_lo, s3
	v_or_b32_e32 v17, 0x100, v0
	s_delay_alu instid0(VALU_DEP_1) | instskip(NEXT) | instid1(VALU_DEP_1)
	v_cmp_gt_u32_e64 s2, s18, v17
	s_and_saveexec_b32 s4, s2
	s_cbranch_execz .LBB252_541
; %bb.540:
	v_lshlrev_b32_e32 v3, 3, v0
	global_load_b64 v[17:18], v3, s[16:17] offset:2048
	s_waitcnt vmcnt(0)
	v_cmp_ne_u64_e64 s3, 0, v[17:18]
	s_delay_alu instid0(VALU_DEP_1)
	v_cndmask_b32_e64 v3, 0, 1, s3
.LBB252_541:
	s_or_b32 exec_lo, exec_lo, s4
	v_or_b32_e32 v17, 0x180, v0
	s_delay_alu instid0(VALU_DEP_1) | instskip(NEXT) | instid1(VALU_DEP_1)
	v_cmp_gt_u32_e64 s3, s18, v17
	s_and_saveexec_b32 s5, s3
	;; [unrolled: 14-line block ×3, first 2 shown]
	s_cbranch_execz .LBB252_545
; %bb.544:
	v_lshlrev_b32_e32 v5, 3, v17
	global_load_b64 v[17:18], v5, s[16:17]
	s_waitcnt vmcnt(0)
	v_cmp_ne_u64_e64 s5, 0, v[17:18]
	s_delay_alu instid0(VALU_DEP_1)
	v_cndmask_b32_e64 v5, 0, 1, s5
.LBB252_545:
	s_or_b32 exec_lo, exec_lo, s6
	v_or_b32_e32 v17, 0x280, v0
	s_delay_alu instid0(VALU_DEP_1) | instskip(NEXT) | instid1(VALU_DEP_1)
	v_cmp_gt_u32_e64 s5, s18, v17
	s_and_saveexec_b32 s7, s5
	s_cbranch_execz .LBB252_547
; %bb.546:
	v_lshlrev_b32_e32 v6, 3, v17
	global_load_b64 v[17:18], v6, s[16:17]
	s_waitcnt vmcnt(0)
	v_cmp_ne_u64_e64 s6, 0, v[17:18]
	s_delay_alu instid0(VALU_DEP_1)
	v_cndmask_b32_e64 v6, 0, 1, s6
.LBB252_547:
	s_or_b32 exec_lo, exec_lo, s7
	v_or_b32_e32 v17, 0x300, v0
	s_delay_alu instid0(VALU_DEP_1) | instskip(NEXT) | instid1(VALU_DEP_1)
	v_cmp_gt_u32_e64 s6, s18, v17
	s_and_saveexec_b32 s8, s6
	;; [unrolled: 14-line block ×11, first 2 shown]
	s_cbranch_execz .LBB252_567
; %bb.566:
	v_lshlrev_b32_e32 v16, 3, v17
	global_load_b64 v[16:17], v16, s[16:17]
	s_waitcnt vmcnt(0)
	v_cmp_ne_u64_e64 s16, 0, v[16:17]
	s_delay_alu instid0(VALU_DEP_1)
	v_cndmask_b32_e64 v16, 0, 1, s16
.LBB252_567:
	s_or_b32 exec_lo, exec_lo, s28
	v_cndmask_b32_e32 v2, 0, v2, vcc_lo
	v_cndmask_b32_e64 v3, 0, v3, s2
	v_cndmask_b32_e64 v4, 0, v4, s3
	s_min_u32 s2, s18, 0x80
	s_mov_b32 s3, exec_lo
	v_add_nc_u32_e32 v1, v2, v1
	v_cndmask_b32_e64 v2, 0, v5, s4
	v_cndmask_b32_e64 v5, 0, v6, s5
	v_cndmask_b32_e64 v6, 0, v14, s13
	s_delay_alu instid0(VALU_DEP_4) | instskip(SKIP_3) | instid1(VALU_DEP_4)
	v_add3_u32 v1, v1, v3, v4
	v_cndmask_b32_e64 v3, 0, v7, s6
	v_cndmask_b32_e64 v4, 0, v8, s7
	;; [unrolled: 1-line block ×3, first 2 shown]
	v_add3_u32 v1, v1, v2, v5
	v_cndmask_b32_e64 v2, 0, v9, s8
	v_cndmask_b32_e64 v5, 0, v10, s9
	s_delay_alu instid0(VALU_DEP_3) | instskip(SKIP_2) | instid1(VALU_DEP_3)
	v_add3_u32 v1, v1, v3, v4
	v_cndmask_b32_e64 v3, 0, v11, s10
	v_cndmask_b32_e64 v4, 0, v12, s11
	v_add3_u32 v1, v1, v2, v5
	v_mbcnt_lo_u32_b32 v2, -1, 0
	v_cndmask_b32_e64 v5, 0, v13, s12
	s_delay_alu instid0(VALU_DEP_3) | instskip(NEXT) | instid1(VALU_DEP_3)
	v_add3_u32 v1, v1, v3, v4
	v_cmp_ne_u32_e32 vcc_lo, 31, v2
	v_cndmask_b32_e64 v3, 0, v16, s15
	s_delay_alu instid0(VALU_DEP_3) | instskip(SKIP_3) | instid1(VALU_DEP_4)
	v_add3_u32 v1, v1, v5, v6
	v_add_co_ci_u32_e32 v4, vcc_lo, 0, v2, vcc_lo
	v_cmp_gt_u32_e32 vcc_lo, 30, v2
	v_add_nc_u32_e32 v6, 1, v2
	v_add3_u32 v1, v1, v7, v3
	s_delay_alu instid0(VALU_DEP_4) | instskip(SKIP_4) | instid1(VALU_DEP_2)
	v_lshlrev_b32_e32 v4, 2, v4
	v_cndmask_b32_e64 v5, 0, 1, vcc_lo
	ds_bpermute_b32 v3, v4, v1
	v_and_b32_e32 v4, 0x60, v0
	v_lshlrev_b32_e32 v5, 1, v5
	v_sub_nc_u32_e64 v4, s2, v4 clamp
	s_delay_alu instid0(VALU_DEP_2) | instskip(NEXT) | instid1(VALU_DEP_2)
	v_add_lshl_u32 v5, v5, v2, 2
	v_cmp_lt_u32_e32 vcc_lo, v6, v4
	s_waitcnt lgkmcnt(0)
	v_dual_cndmask_b32 v3, 0, v3 :: v_dual_add_nc_u32 v6, 2, v2
	v_cmp_gt_u32_e32 vcc_lo, 28, v2
	s_delay_alu instid0(VALU_DEP_2) | instskip(SKIP_4) | instid1(VALU_DEP_3)
	v_add_nc_u32_e32 v1, v1, v3
	ds_bpermute_b32 v3, v5, v1
	v_cndmask_b32_e64 v5, 0, 1, vcc_lo
	v_cmp_lt_u32_e32 vcc_lo, v6, v4
	v_add_nc_u32_e32 v6, 4, v2
	v_lshlrev_b32_e32 v5, 2, v5
	s_delay_alu instid0(VALU_DEP_1) | instskip(SKIP_3) | instid1(VALU_DEP_2)
	v_add_lshl_u32 v5, v5, v2, 2
	s_waitcnt lgkmcnt(0)
	v_cndmask_b32_e32 v3, 0, v3, vcc_lo
	v_cmp_gt_u32_e32 vcc_lo, 24, v2
	v_add_nc_u32_e32 v1, v1, v3
	ds_bpermute_b32 v3, v5, v1
	v_cndmask_b32_e64 v5, 0, 1, vcc_lo
	v_cmp_lt_u32_e32 vcc_lo, v6, v4
	v_add_nc_u32_e32 v6, 8, v2
	s_delay_alu instid0(VALU_DEP_3) | instskip(NEXT) | instid1(VALU_DEP_1)
	v_lshlrev_b32_e32 v5, 3, v5
	v_add_lshl_u32 v5, v5, v2, 2
	s_waitcnt lgkmcnt(0)
	v_cndmask_b32_e32 v3, 0, v3, vcc_lo
	v_cmp_gt_u32_e32 vcc_lo, 16, v2
	s_delay_alu instid0(VALU_DEP_2) | instskip(SKIP_3) | instid1(VALU_DEP_2)
	v_add_nc_u32_e32 v1, v1, v3
	ds_bpermute_b32 v3, v5, v1
	v_cndmask_b32_e64 v5, 0, 1, vcc_lo
	v_cmp_lt_u32_e32 vcc_lo, v6, v4
	v_lshlrev_b32_e32 v5, 4, v5
	s_delay_alu instid0(VALU_DEP_1) | instskip(SKIP_2) | instid1(VALU_DEP_1)
	v_add_lshl_u32 v5, v5, v2, 2
	s_waitcnt lgkmcnt(0)
	v_cndmask_b32_e32 v3, 0, v3, vcc_lo
	v_add_nc_u32_e32 v1, v1, v3
	ds_bpermute_b32 v3, v5, v1
	v_add_nc_u32_e32 v5, 16, v2
	s_delay_alu instid0(VALU_DEP_1) | instskip(SKIP_2) | instid1(VALU_DEP_1)
	v_cmp_lt_u32_e32 vcc_lo, v5, v4
	s_waitcnt lgkmcnt(0)
	v_cndmask_b32_e32 v3, 0, v3, vcc_lo
	v_add_nc_u32_e32 v1, v1, v3
	v_cmpx_eq_u32_e32 0, v2
	s_cbranch_execz .LBB252_569
; %bb.568:
	v_lshrrev_b32_e32 v3, 3, v0
	s_delay_alu instid0(VALU_DEP_1)
	v_and_b32_e32 v3, 12, v3
	ds_store_b32 v3, v1 offset:128
.LBB252_569:
	s_or_b32 exec_lo, exec_lo, s3
	s_delay_alu instid0(SALU_CYCLE_1)
	s_mov_b32 s3, exec_lo
	s_waitcnt lgkmcnt(0)
	s_barrier
	buffer_gl0_inv
	v_cmpx_gt_u32_e32 4, v0
	s_cbranch_execz .LBB252_571
; %bb.570:
	v_and_b32_e32 v3, 3, v2
	s_add_i32 s2, s2, 31
	s_delay_alu instid0(SALU_CYCLE_1) | instskip(NEXT) | instid1(VALU_DEP_1)
	s_lshr_b32 s2, s2, 5
	v_cmp_ne_u32_e32 vcc_lo, 3, v3
	v_add_nc_u32_e32 v5, 1, v3
	v_add_co_ci_u32_e32 v4, vcc_lo, 0, v2, vcc_lo
	v_cmp_gt_u32_e32 vcc_lo, 2, v3
	v_add_nc_u32_e32 v3, 2, v3
	s_delay_alu instid0(VALU_DEP_3) | instskip(SKIP_3) | instid1(VALU_DEP_3)
	v_lshlrev_b32_e32 v4, 2, v4
	v_cndmask_b32_e64 v6, 0, 1, vcc_lo
	v_cmp_gt_u32_e32 vcc_lo, s2, v5
	v_lshlrev_b32_e32 v1, 2, v2
	v_lshlrev_b32_e32 v5, 1, v6
	ds_load_b32 v1, v1 offset:128
	v_add_lshl_u32 v2, v5, v2, 2
	s_waitcnt lgkmcnt(0)
	ds_bpermute_b32 v4, v4, v1
	s_waitcnt lgkmcnt(0)
	v_cndmask_b32_e32 v4, 0, v4, vcc_lo
	v_cmp_gt_u32_e32 vcc_lo, s2, v3
	s_delay_alu instid0(VALU_DEP_2) | instskip(SKIP_3) | instid1(VALU_DEP_1)
	v_add_nc_u32_e32 v1, v4, v1
	ds_bpermute_b32 v2, v2, v1
	s_waitcnt lgkmcnt(0)
	v_cndmask_b32_e32 v2, 0, v2, vcc_lo
	v_add_nc_u32_e32 v1, v1, v2
.LBB252_571:
	s_or_b32 exec_lo, exec_lo, s3
.LBB252_572:
	v_cmp_eq_u32_e64 s2, 0, v0
	s_branch .LBB252_623
.LBB252_573:
	s_mov_b32 s3, -1
                                        ; implicit-def: $vgpr1
.LBB252_574:
	s_delay_alu instid0(SALU_CYCLE_1)
	s_and_b32 vcc_lo, exec_lo, s3
	s_cbranch_vccz .LBB252_596
; %bb.575:
	s_sub_i32 s10, s20, s2
	s_mov_b32 s2, exec_lo
                                        ; implicit-def: $vgpr1_vgpr2_vgpr3_vgpr4_vgpr5_vgpr6_vgpr7_vgpr8
	v_cmpx_gt_u32_e64 s10, v0
	s_cbranch_execz .LBB252_577
; %bb.576:
	v_lshlrev_b32_e32 v1, 3, v0
	global_load_b64 v[1:2], v1, s[8:9]
	s_waitcnt vmcnt(0)
	v_cmp_ne_u64_e32 vcc_lo, 0, v[1:2]
	v_cndmask_b32_e64 v1, 0, 1, vcc_lo
.LBB252_577:
	s_or_b32 exec_lo, exec_lo, s2
	v_or_b32_e32 v9, 0x80, v0
	s_delay_alu instid0(VALU_DEP_1)
	v_cmp_gt_u32_e32 vcc_lo, s10, v9
	s_and_saveexec_b32 s3, vcc_lo
	s_cbranch_execz .LBB252_579
; %bb.578:
	v_lshlrev_b32_e32 v2, 3, v0
	global_load_b64 v[9:10], v2, s[8:9] offset:1024
	s_waitcnt vmcnt(0)
	v_cmp_ne_u64_e64 s2, 0, v[9:10]
	s_delay_alu instid0(VALU_DEP_1)
	v_cndmask_b32_e64 v2, 0, 1, s2
.LBB252_579:
	s_or_b32 exec_lo, exec_lo, s3
	v_or_b32_e32 v9, 0x100, v0
	s_delay_alu instid0(VALU_DEP_1) | instskip(NEXT) | instid1(VALU_DEP_1)
	v_cmp_gt_u32_e64 s2, s10, v9
	s_and_saveexec_b32 s4, s2
	s_cbranch_execz .LBB252_581
; %bb.580:
	v_lshlrev_b32_e32 v3, 3, v0
	global_load_b64 v[9:10], v3, s[8:9] offset:2048
	s_waitcnt vmcnt(0)
	v_cmp_ne_u64_e64 s3, 0, v[9:10]
	s_delay_alu instid0(VALU_DEP_1)
	v_cndmask_b32_e64 v3, 0, 1, s3
.LBB252_581:
	s_or_b32 exec_lo, exec_lo, s4
	v_or_b32_e32 v9, 0x180, v0
	s_delay_alu instid0(VALU_DEP_1) | instskip(NEXT) | instid1(VALU_DEP_1)
	v_cmp_gt_u32_e64 s3, s10, v9
	s_and_saveexec_b32 s5, s3
	;; [unrolled: 14-line block ×3, first 2 shown]
	s_cbranch_execz .LBB252_585
; %bb.584:
	v_lshlrev_b32_e32 v5, 3, v9
	global_load_b64 v[9:10], v5, s[8:9]
	s_waitcnt vmcnt(0)
	v_cmp_ne_u64_e64 s5, 0, v[9:10]
	s_delay_alu instid0(VALU_DEP_1)
	v_cndmask_b32_e64 v5, 0, 1, s5
.LBB252_585:
	s_or_b32 exec_lo, exec_lo, s6
	v_or_b32_e32 v9, 0x280, v0
	s_delay_alu instid0(VALU_DEP_1) | instskip(NEXT) | instid1(VALU_DEP_1)
	v_cmp_gt_u32_e64 s5, s10, v9
	s_and_saveexec_b32 s7, s5
	s_cbranch_execz .LBB252_587
; %bb.586:
	v_lshlrev_b32_e32 v6, 3, v9
	global_load_b64 v[9:10], v6, s[8:9]
	s_waitcnt vmcnt(0)
	v_cmp_ne_u64_e64 s6, 0, v[9:10]
	s_delay_alu instid0(VALU_DEP_1)
	v_cndmask_b32_e64 v6, 0, 1, s6
.LBB252_587:
	s_or_b32 exec_lo, exec_lo, s7
	v_or_b32_e32 v9, 0x300, v0
	s_delay_alu instid0(VALU_DEP_1) | instskip(NEXT) | instid1(VALU_DEP_1)
	v_cmp_gt_u32_e64 s6, s10, v9
	s_and_saveexec_b32 s11, s6
	;; [unrolled: 14-line block ×3, first 2 shown]
	s_cbranch_execz .LBB252_591
; %bb.590:
	v_lshlrev_b32_e32 v8, 3, v9
	global_load_b64 v[8:9], v8, s[8:9]
	s_waitcnt vmcnt(0)
	v_cmp_ne_u64_e64 s8, 0, v[8:9]
	s_delay_alu instid0(VALU_DEP_1)
	v_cndmask_b32_e64 v8, 0, 1, s8
.LBB252_591:
	s_or_b32 exec_lo, exec_lo, s11
	v_cndmask_b32_e32 v2, 0, v2, vcc_lo
	v_cndmask_b32_e64 v3, 0, v3, s2
	v_cndmask_b32_e64 v4, 0, v4, s3
	;; [unrolled: 1-line block ×4, first 2 shown]
	v_add_nc_u32_e32 v1, v2, v1
	v_mbcnt_lo_u32_b32 v2, -1, 0
	v_cndmask_b32_e64 v7, 0, v7, s6
	s_min_u32 s2, s10, 0x80
	s_mov_b32 s3, exec_lo
	v_add3_u32 v1, v1, v3, v4
	v_cmp_ne_u32_e32 vcc_lo, 31, v2
	v_cndmask_b32_e64 v3, 0, v8, s7
	s_delay_alu instid0(VALU_DEP_3) | instskip(SKIP_3) | instid1(VALU_DEP_4)
	v_add3_u32 v1, v1, v5, v6
	v_add_co_ci_u32_e32 v4, vcc_lo, 0, v2, vcc_lo
	v_cmp_gt_u32_e32 vcc_lo, 30, v2
	v_add_nc_u32_e32 v6, 1, v2
	v_add3_u32 v1, v1, v7, v3
	s_delay_alu instid0(VALU_DEP_4) | instskip(SKIP_4) | instid1(VALU_DEP_2)
	v_lshlrev_b32_e32 v4, 2, v4
	v_cndmask_b32_e64 v5, 0, 1, vcc_lo
	ds_bpermute_b32 v3, v4, v1
	v_and_b32_e32 v4, 0x60, v0
	v_lshlrev_b32_e32 v5, 1, v5
	v_sub_nc_u32_e64 v4, s2, v4 clamp
	s_delay_alu instid0(VALU_DEP_2) | instskip(NEXT) | instid1(VALU_DEP_2)
	v_add_lshl_u32 v5, v5, v2, 2
	v_cmp_lt_u32_e32 vcc_lo, v6, v4
	s_waitcnt lgkmcnt(0)
	v_dual_cndmask_b32 v3, 0, v3 :: v_dual_add_nc_u32 v6, 2, v2
	v_cmp_gt_u32_e32 vcc_lo, 28, v2
	s_delay_alu instid0(VALU_DEP_2) | instskip(SKIP_4) | instid1(VALU_DEP_3)
	v_add_nc_u32_e32 v1, v1, v3
	ds_bpermute_b32 v3, v5, v1
	v_cndmask_b32_e64 v5, 0, 1, vcc_lo
	v_cmp_lt_u32_e32 vcc_lo, v6, v4
	v_add_nc_u32_e32 v6, 4, v2
	v_lshlrev_b32_e32 v5, 2, v5
	s_delay_alu instid0(VALU_DEP_1) | instskip(SKIP_3) | instid1(VALU_DEP_2)
	v_add_lshl_u32 v5, v5, v2, 2
	s_waitcnt lgkmcnt(0)
	v_cndmask_b32_e32 v3, 0, v3, vcc_lo
	v_cmp_gt_u32_e32 vcc_lo, 24, v2
	v_add_nc_u32_e32 v1, v1, v3
	ds_bpermute_b32 v3, v5, v1
	v_cndmask_b32_e64 v5, 0, 1, vcc_lo
	v_cmp_lt_u32_e32 vcc_lo, v6, v4
	v_add_nc_u32_e32 v6, 8, v2
	s_delay_alu instid0(VALU_DEP_3) | instskip(NEXT) | instid1(VALU_DEP_1)
	v_lshlrev_b32_e32 v5, 3, v5
	v_add_lshl_u32 v5, v5, v2, 2
	s_waitcnt lgkmcnt(0)
	v_cndmask_b32_e32 v3, 0, v3, vcc_lo
	v_cmp_gt_u32_e32 vcc_lo, 16, v2
	s_delay_alu instid0(VALU_DEP_2) | instskip(SKIP_3) | instid1(VALU_DEP_2)
	v_add_nc_u32_e32 v1, v1, v3
	ds_bpermute_b32 v3, v5, v1
	v_cndmask_b32_e64 v5, 0, 1, vcc_lo
	v_cmp_lt_u32_e32 vcc_lo, v6, v4
	v_lshlrev_b32_e32 v5, 4, v5
	s_delay_alu instid0(VALU_DEP_1) | instskip(SKIP_2) | instid1(VALU_DEP_1)
	v_add_lshl_u32 v5, v5, v2, 2
	s_waitcnt lgkmcnt(0)
	v_cndmask_b32_e32 v3, 0, v3, vcc_lo
	v_add_nc_u32_e32 v1, v1, v3
	ds_bpermute_b32 v3, v5, v1
	v_add_nc_u32_e32 v5, 16, v2
	s_delay_alu instid0(VALU_DEP_1) | instskip(SKIP_2) | instid1(VALU_DEP_1)
	v_cmp_lt_u32_e32 vcc_lo, v5, v4
	s_waitcnt lgkmcnt(0)
	v_cndmask_b32_e32 v3, 0, v3, vcc_lo
	v_add_nc_u32_e32 v1, v1, v3
	v_cmpx_eq_u32_e32 0, v2
	s_cbranch_execz .LBB252_593
; %bb.592:
	v_lshrrev_b32_e32 v3, 3, v0
	s_delay_alu instid0(VALU_DEP_1)
	v_and_b32_e32 v3, 12, v3
	ds_store_b32 v3, v1 offset:128
.LBB252_593:
	s_or_b32 exec_lo, exec_lo, s3
	s_delay_alu instid0(SALU_CYCLE_1)
	s_mov_b32 s3, exec_lo
	s_waitcnt lgkmcnt(0)
	s_barrier
	buffer_gl0_inv
	v_cmpx_gt_u32_e32 4, v0
	s_cbranch_execz .LBB252_595
; %bb.594:
	v_and_b32_e32 v3, 3, v2
	s_add_i32 s2, s2, 31
	s_delay_alu instid0(SALU_CYCLE_1) | instskip(NEXT) | instid1(VALU_DEP_1)
	s_lshr_b32 s2, s2, 5
	v_cmp_ne_u32_e32 vcc_lo, 3, v3
	v_add_nc_u32_e32 v5, 1, v3
	v_add_co_ci_u32_e32 v4, vcc_lo, 0, v2, vcc_lo
	v_cmp_gt_u32_e32 vcc_lo, 2, v3
	v_add_nc_u32_e32 v3, 2, v3
	s_delay_alu instid0(VALU_DEP_3) | instskip(SKIP_3) | instid1(VALU_DEP_3)
	v_lshlrev_b32_e32 v4, 2, v4
	v_cndmask_b32_e64 v6, 0, 1, vcc_lo
	v_cmp_gt_u32_e32 vcc_lo, s2, v5
	v_lshlrev_b32_e32 v1, 2, v2
	v_lshlrev_b32_e32 v5, 1, v6
	ds_load_b32 v1, v1 offset:128
	v_add_lshl_u32 v2, v5, v2, 2
	s_waitcnt lgkmcnt(0)
	ds_bpermute_b32 v4, v4, v1
	s_waitcnt lgkmcnt(0)
	v_cndmask_b32_e32 v4, 0, v4, vcc_lo
	v_cmp_gt_u32_e32 vcc_lo, s2, v3
	s_delay_alu instid0(VALU_DEP_2) | instskip(SKIP_3) | instid1(VALU_DEP_1)
	v_add_nc_u32_e32 v1, v4, v1
	ds_bpermute_b32 v2, v2, v1
	s_waitcnt lgkmcnt(0)
	v_cndmask_b32_e32 v2, 0, v2, vcc_lo
	v_add_nc_u32_e32 v1, v1, v2
.LBB252_595:
	s_or_b32 exec_lo, exec_lo, s3
.LBB252_596:
	v_cmp_eq_u32_e64 s2, 0, v0
.LBB252_597:
	s_branch .LBB252_623
.LBB252_598:
	s_mov_b32 s3, -1
                                        ; implicit-def: $vgpr1
.LBB252_599:
	s_delay_alu instid0(SALU_CYCLE_1)
	s_and_b32 vcc_lo, exec_lo, s3
	s_cbranch_vccz .LBB252_613
; %bb.600:
	s_sub_i32 s6, s20, s2
	s_mov_b32 s2, exec_lo
                                        ; implicit-def: $vgpr1_vgpr2_vgpr3_vgpr4
	v_cmpx_gt_u32_e64 s6, v0
	s_cbranch_execz .LBB252_602
; %bb.601:
	v_lshlrev_b32_e32 v1, 3, v0
	global_load_b64 v[1:2], v1, s[4:5]
	s_waitcnt vmcnt(0)
	v_cmp_ne_u64_e32 vcc_lo, 0, v[1:2]
	v_cndmask_b32_e64 v1, 0, 1, vcc_lo
.LBB252_602:
	s_or_b32 exec_lo, exec_lo, s2
	v_or_b32_e32 v5, 0x80, v0
	s_delay_alu instid0(VALU_DEP_1)
	v_cmp_gt_u32_e32 vcc_lo, s6, v5
	s_and_saveexec_b32 s3, vcc_lo
	s_cbranch_execz .LBB252_604
; %bb.603:
	v_lshlrev_b32_e32 v2, 3, v0
	global_load_b64 v[5:6], v2, s[4:5] offset:1024
	s_waitcnt vmcnt(0)
	v_cmp_ne_u64_e64 s2, 0, v[5:6]
	s_delay_alu instid0(VALU_DEP_1)
	v_cndmask_b32_e64 v2, 0, 1, s2
.LBB252_604:
	s_or_b32 exec_lo, exec_lo, s3
	v_or_b32_e32 v5, 0x100, v0
	s_delay_alu instid0(VALU_DEP_1) | instskip(NEXT) | instid1(VALU_DEP_1)
	v_cmp_gt_u32_e64 s2, s6, v5
	s_and_saveexec_b32 s7, s2
	s_cbranch_execz .LBB252_606
; %bb.605:
	v_lshlrev_b32_e32 v3, 3, v0
	global_load_b64 v[5:6], v3, s[4:5] offset:2048
	s_waitcnt vmcnt(0)
	v_cmp_ne_u64_e64 s3, 0, v[5:6]
	s_delay_alu instid0(VALU_DEP_1)
	v_cndmask_b32_e64 v3, 0, 1, s3
.LBB252_606:
	s_or_b32 exec_lo, exec_lo, s7
	v_or_b32_e32 v5, 0x180, v0
	s_delay_alu instid0(VALU_DEP_1) | instskip(NEXT) | instid1(VALU_DEP_1)
	v_cmp_gt_u32_e64 s3, s6, v5
	s_and_saveexec_b32 s7, s3
	s_cbranch_execz .LBB252_608
; %bb.607:
	v_lshlrev_b32_e32 v4, 3, v0
	global_load_b64 v[4:5], v4, s[4:5] offset:3072
	s_waitcnt vmcnt(0)
	v_cmp_ne_u64_e64 s4, 0, v[4:5]
	s_delay_alu instid0(VALU_DEP_1)
	v_cndmask_b32_e64 v4, 0, 1, s4
.LBB252_608:
	s_or_b32 exec_lo, exec_lo, s7
	v_cndmask_b32_e32 v5, 0, v2, vcc_lo
	v_mbcnt_lo_u32_b32 v2, -1, 0
	v_cndmask_b32_e64 v3, 0, v3, s2
	v_cndmask_b32_e64 v4, 0, v4, s3
	s_min_u32 s2, s6, 0x80
	v_add_nc_u32_e32 v1, v5, v1
	v_cmp_ne_u32_e32 vcc_lo, 31, v2
	s_mov_b32 s3, exec_lo
	s_delay_alu instid0(VALU_DEP_2) | instskip(SKIP_3) | instid1(VALU_DEP_3)
	v_add3_u32 v1, v1, v3, v4
	v_and_b32_e32 v4, 0x60, v0
	v_add_co_ci_u32_e32 v5, vcc_lo, 0, v2, vcc_lo
	v_cmp_gt_u32_e32 vcc_lo, 30, v2
	v_sub_nc_u32_e64 v4, s2, v4 clamp
	s_delay_alu instid0(VALU_DEP_3) | instskip(SKIP_4) | instid1(VALU_DEP_2)
	v_lshlrev_b32_e32 v3, 2, v5
	v_cndmask_b32_e64 v5, 0, 1, vcc_lo
	ds_bpermute_b32 v3, v3, v1
	v_add_nc_u32_e32 v6, 1, v2
	v_lshlrev_b32_e32 v5, 1, v5
	v_cmp_lt_u32_e32 vcc_lo, v6, v4
	s_delay_alu instid0(VALU_DEP_2) | instskip(SKIP_3) | instid1(VALU_DEP_2)
	v_add_lshl_u32 v5, v5, v2, 2
	s_waitcnt lgkmcnt(0)
	v_cndmask_b32_e32 v3, 0, v3, vcc_lo
	v_cmp_gt_u32_e32 vcc_lo, 28, v2
	v_add_nc_u32_e32 v1, v3, v1
	ds_bpermute_b32 v3, v5, v1
	v_add_nc_u32_e32 v6, 2, v2
	v_cndmask_b32_e64 v5, 0, 1, vcc_lo
	s_delay_alu instid0(VALU_DEP_2) | instskip(NEXT) | instid1(VALU_DEP_2)
	v_cmp_lt_u32_e32 vcc_lo, v6, v4
	v_lshlrev_b32_e32 v5, 2, v5
	s_delay_alu instid0(VALU_DEP_1) | instskip(SKIP_3) | instid1(VALU_DEP_2)
	v_add_lshl_u32 v5, v5, v2, 2
	s_waitcnt lgkmcnt(0)
	v_cndmask_b32_e32 v3, 0, v3, vcc_lo
	v_cmp_gt_u32_e32 vcc_lo, 24, v2
	v_add_nc_u32_e32 v1, v1, v3
	ds_bpermute_b32 v3, v5, v1
	v_add_nc_u32_e32 v6, 4, v2
	v_cndmask_b32_e64 v5, 0, 1, vcc_lo
	s_delay_alu instid0(VALU_DEP_2) | instskip(NEXT) | instid1(VALU_DEP_2)
	v_cmp_lt_u32_e32 vcc_lo, v6, v4
	v_lshlrev_b32_e32 v5, 3, v5
	s_delay_alu instid0(VALU_DEP_1) | instskip(SKIP_3) | instid1(VALU_DEP_2)
	v_add_lshl_u32 v5, v5, v2, 2
	s_waitcnt lgkmcnt(0)
	v_cndmask_b32_e32 v3, 0, v3, vcc_lo
	v_cmp_gt_u32_e32 vcc_lo, 16, v2
	v_add_nc_u32_e32 v1, v1, v3
	ds_bpermute_b32 v3, v5, v1
	v_add_nc_u32_e32 v6, 8, v2
	v_cndmask_b32_e64 v5, 0, 1, vcc_lo
	s_delay_alu instid0(VALU_DEP_2) | instskip(NEXT) | instid1(VALU_DEP_2)
	v_cmp_lt_u32_e32 vcc_lo, v6, v4
	v_lshlrev_b32_e32 v5, 4, v5
	s_delay_alu instid0(VALU_DEP_1) | instskip(SKIP_2) | instid1(VALU_DEP_1)
	v_add_lshl_u32 v5, v5, v2, 2
	s_waitcnt lgkmcnt(0)
	v_cndmask_b32_e32 v3, 0, v3, vcc_lo
	v_add_nc_u32_e32 v1, v1, v3
	ds_bpermute_b32 v3, v5, v1
	v_add_nc_u32_e32 v5, 16, v2
	s_delay_alu instid0(VALU_DEP_1) | instskip(SKIP_2) | instid1(VALU_DEP_1)
	v_cmp_lt_u32_e32 vcc_lo, v5, v4
	s_waitcnt lgkmcnt(0)
	v_cndmask_b32_e32 v3, 0, v3, vcc_lo
	v_add_nc_u32_e32 v1, v1, v3
	v_cmpx_eq_u32_e32 0, v2
	s_cbranch_execz .LBB252_610
; %bb.609:
	v_lshrrev_b32_e32 v3, 3, v0
	s_delay_alu instid0(VALU_DEP_1)
	v_and_b32_e32 v3, 12, v3
	ds_store_b32 v3, v1 offset:128
.LBB252_610:
	s_or_b32 exec_lo, exec_lo, s3
	s_delay_alu instid0(SALU_CYCLE_1)
	s_mov_b32 s3, exec_lo
	s_waitcnt lgkmcnt(0)
	s_barrier
	buffer_gl0_inv
	v_cmpx_gt_u32_e32 4, v0
	s_cbranch_execz .LBB252_612
; %bb.611:
	v_and_b32_e32 v3, 3, v2
	s_add_i32 s2, s2, 31
	s_delay_alu instid0(SALU_CYCLE_1) | instskip(NEXT) | instid1(VALU_DEP_1)
	s_lshr_b32 s2, s2, 5
	v_cmp_ne_u32_e32 vcc_lo, 3, v3
	v_add_nc_u32_e32 v5, 1, v3
	v_add_co_ci_u32_e32 v4, vcc_lo, 0, v2, vcc_lo
	v_cmp_gt_u32_e32 vcc_lo, 2, v3
	v_add_nc_u32_e32 v3, 2, v3
	s_delay_alu instid0(VALU_DEP_3) | instskip(SKIP_3) | instid1(VALU_DEP_3)
	v_lshlrev_b32_e32 v4, 2, v4
	v_cndmask_b32_e64 v6, 0, 1, vcc_lo
	v_cmp_gt_u32_e32 vcc_lo, s2, v5
	v_lshlrev_b32_e32 v1, 2, v2
	v_lshlrev_b32_e32 v5, 1, v6
	ds_load_b32 v1, v1 offset:128
	v_add_lshl_u32 v2, v5, v2, 2
	s_waitcnt lgkmcnt(0)
	ds_bpermute_b32 v4, v4, v1
	s_waitcnt lgkmcnt(0)
	v_cndmask_b32_e32 v4, 0, v4, vcc_lo
	v_cmp_gt_u32_e32 vcc_lo, s2, v3
	s_delay_alu instid0(VALU_DEP_2) | instskip(SKIP_3) | instid1(VALU_DEP_1)
	v_add_nc_u32_e32 v1, v4, v1
	ds_bpermute_b32 v2, v2, v1
	s_waitcnt lgkmcnt(0)
	v_cndmask_b32_e32 v2, 0, v2, vcc_lo
	v_add_nc_u32_e32 v1, v1, v2
.LBB252_612:
	s_or_b32 exec_lo, exec_lo, s3
.LBB252_613:
	v_cmp_eq_u32_e64 s2, 0, v0
	s_branch .LBB252_623
.LBB252_614:
	s_cmp_gt_i32 s19, 1
	s_cbranch_scc0 .LBB252_622
; %bb.615:
	s_cmp_eq_u32 s19, 2
	s_cbranch_scc0 .LBB252_626
; %bb.616:
	s_mov_b32 s25, 0
	s_lshl_b32 s6, s24, 8
	s_mov_b32 s7, s25
	s_lshr_b64 s[8:9], s[20:21], 8
	s_lshl_b64 s[2:3], s[6:7], 3
	s_delay_alu instid0(SALU_CYCLE_1)
	s_add_u32 s4, s26, s2
	s_addc_u32 s5, s27, s3
	s_cmp_lg_u64 s[8:9], s[24:25]
	s_cbranch_scc0 .LBB252_627
; %bb.617:
	v_lshlrev_b32_e32 v3, 3, v0
	s_clause 0x1
	global_load_b64 v[1:2], v3, s[4:5]
	global_load_b64 v[3:4], v3, s[4:5] offset:1024
	s_waitcnt vmcnt(1)
	v_cmp_ne_u64_e32 vcc_lo, 0, v[1:2]
	v_cndmask_b32_e64 v1, 0, 1, vcc_lo
	s_waitcnt vmcnt(0)
	v_cmp_ne_u64_e32 vcc_lo, 0, v[3:4]
	s_delay_alu instid0(VALU_DEP_2) | instskip(SKIP_1) | instid1(VALU_DEP_1)
	v_add_co_ci_u32_e64 v2, s2, 0, v1, vcc_lo
	s_mov_b32 s2, exec_lo
	v_mov_b32_dpp v2, v2 quad_perm:[1,0,3,2] row_mask:0xf bank_mask:0xf
	s_delay_alu instid0(VALU_DEP_1) | instskip(NEXT) | instid1(VALU_DEP_1)
	v_add_co_ci_u32_e32 v1, vcc_lo, v2, v1, vcc_lo
	v_mov_b32_dpp v2, v1 quad_perm:[2,3,0,1] row_mask:0xf bank_mask:0xf
	s_delay_alu instid0(VALU_DEP_1) | instskip(NEXT) | instid1(VALU_DEP_1)
	v_add_nc_u32_e32 v1, v1, v2
	v_mov_b32_dpp v2, v1 row_ror:4 row_mask:0xf bank_mask:0xf
	s_delay_alu instid0(VALU_DEP_1) | instskip(NEXT) | instid1(VALU_DEP_1)
	v_add_nc_u32_e32 v1, v1, v2
	v_mov_b32_dpp v2, v1 row_ror:8 row_mask:0xf bank_mask:0xf
	s_delay_alu instid0(VALU_DEP_1)
	v_add_nc_u32_e32 v1, v1, v2
	ds_swizzle_b32 v2, v1 offset:swizzle(BROADCAST,32,15)
	s_waitcnt lgkmcnt(0)
	v_dual_mov_b32 v2, 0 :: v_dual_add_nc_u32 v1, v1, v2
	ds_bpermute_b32 v1, v2, v1 offset:124
	v_mbcnt_lo_u32_b32 v2, -1, 0
	s_delay_alu instid0(VALU_DEP_1)
	v_cmpx_eq_u32_e32 0, v2
	s_cbranch_execz .LBB252_619
; %bb.618:
	v_lshrrev_b32_e32 v3, 3, v0
	s_delay_alu instid0(VALU_DEP_1)
	v_and_b32_e32 v3, 12, v3
	s_waitcnt lgkmcnt(0)
	ds_store_b32 v3, v1 offset:48
.LBB252_619:
	s_or_b32 exec_lo, exec_lo, s2
	s_delay_alu instid0(SALU_CYCLE_1)
	s_mov_b32 s2, exec_lo
	s_waitcnt lgkmcnt(0)
	s_barrier
	buffer_gl0_inv
	v_cmpx_gt_u32_e32 32, v0
	s_cbranch_execz .LBB252_621
; %bb.620:
	v_and_b32_e32 v1, 3, v2
	s_delay_alu instid0(VALU_DEP_1) | instskip(SKIP_4) | instid1(VALU_DEP_2)
	v_lshlrev_b32_e32 v3, 2, v1
	v_cmp_ne_u32_e32 vcc_lo, 3, v1
	ds_load_b32 v3, v3 offset:48
	v_add_co_ci_u32_e32 v4, vcc_lo, 0, v2, vcc_lo
	v_cmp_gt_u32_e32 vcc_lo, 2, v1
	v_lshlrev_b32_e32 v4, 2, v4
	v_cndmask_b32_e64 v1, 0, 1, vcc_lo
	s_delay_alu instid0(VALU_DEP_1) | instskip(NEXT) | instid1(VALU_DEP_1)
	v_lshlrev_b32_e32 v1, 1, v1
	v_add_lshl_u32 v1, v1, v2, 2
	s_waitcnt lgkmcnt(0)
	ds_bpermute_b32 v4, v4, v3
	s_waitcnt lgkmcnt(0)
	v_add_nc_u32_e32 v3, v4, v3
	ds_bpermute_b32 v1, v1, v3
	s_waitcnt lgkmcnt(0)
	v_add_nc_u32_e32 v1, v1, v3
.LBB252_621:
	s_or_b32 exec_lo, exec_lo, s2
	s_mov_b32 s2, 0
	s_branch .LBB252_628
.LBB252_622:
                                        ; implicit-def: $vgpr1
	s_cbranch_execnz .LBB252_639
.LBB252_623:
	s_delay_alu instid0(VALU_DEP_1)
	s_and_saveexec_b32 s3, s2
	s_cbranch_execz .LBB252_625
.LBB252_624:
	s_load_b32 s2, s[0:1], 0x28
	s_cmp_lg_u64 s[20:21], 0
	s_cselect_b32 vcc_lo, -1, 0
	s_lshl_b64 s[0:1], s[24:25], 2
	v_dual_cndmask_b32 v0, 0, v1 :: v_dual_mov_b32 v1, 0
	s_add_u32 s0, s22, s0
	s_addc_u32 s1, s23, s1
	s_waitcnt lgkmcnt(0)
	s_delay_alu instid0(VALU_DEP_1)
	v_add_nc_u32_e32 v0, s2, v0
	global_store_b32 v1, v0, s[0:1]
.LBB252_625:
	s_nop 0
	s_sendmsg sendmsg(MSG_DEALLOC_VGPRS)
	s_endpgm
.LBB252_626:
                                        ; implicit-def: $vgpr1
	s_branch .LBB252_623
.LBB252_627:
	s_mov_b32 s2, -1
                                        ; implicit-def: $vgpr1
.LBB252_628:
	s_delay_alu instid0(SALU_CYCLE_1)
	s_and_b32 vcc_lo, exec_lo, s2
	s_cbranch_vccz .LBB252_638
; %bb.629:
	s_sub_i32 s3, s20, s6
	s_mov_b32 s2, exec_lo
                                        ; implicit-def: $vgpr1_vgpr2
	v_cmpx_gt_u32_e64 s3, v0
	s_cbranch_execz .LBB252_631
; %bb.630:
	v_lshlrev_b32_e32 v1, 3, v0
	global_load_b64 v[1:2], v1, s[4:5]
	s_waitcnt vmcnt(0)
	v_cmp_ne_u64_e32 vcc_lo, 0, v[1:2]
	v_cndmask_b32_e64 v1, 0, 1, vcc_lo
.LBB252_631:
	s_or_b32 exec_lo, exec_lo, s2
	v_or_b32_e32 v3, 0x80, v0
	s_delay_alu instid0(VALU_DEP_1)
	v_cmp_gt_u32_e32 vcc_lo, s3, v3
	s_and_saveexec_b32 s6, vcc_lo
	s_cbranch_execz .LBB252_633
; %bb.632:
	v_lshlrev_b32_e32 v2, 3, v0
	global_load_b64 v[2:3], v2, s[4:5] offset:1024
	s_waitcnt vmcnt(0)
	v_cmp_ne_u64_e64 s2, 0, v[2:3]
	s_delay_alu instid0(VALU_DEP_1)
	v_cndmask_b32_e64 v2, 0, 1, s2
.LBB252_633:
	s_or_b32 exec_lo, exec_lo, s6
	v_mbcnt_lo_u32_b32 v3, -1, 0
	s_delay_alu instid0(VALU_DEP_2) | instskip(SKIP_2) | instid1(VALU_DEP_2)
	v_cndmask_b32_e32 v2, 0, v2, vcc_lo
	s_min_u32 s2, s3, 0x80
	s_mov_b32 s3, exec_lo
	v_cmp_ne_u32_e32 vcc_lo, 31, v3
	v_add_nc_u32_e32 v6, 1, v3
	v_add_co_ci_u32_e32 v4, vcc_lo, 0, v3, vcc_lo
	v_cmp_gt_u32_e32 vcc_lo, 30, v3
	v_cndmask_b32_e64 v5, 0, 1, vcc_lo
	s_delay_alu instid0(VALU_DEP_1) | instskip(SKIP_3) | instid1(VALU_DEP_4)
	v_lshlrev_b32_e32 v5, 1, v5
	v_add_nc_u32_e32 v1, v2, v1
	v_lshlrev_b32_e32 v2, 2, v4
	v_and_b32_e32 v4, 0x60, v0
	v_add_lshl_u32 v5, v5, v3, 2
	ds_bpermute_b32 v2, v2, v1
	v_sub_nc_u32_e64 v4, s2, v4 clamp
	s_delay_alu instid0(VALU_DEP_1) | instskip(SKIP_4) | instid1(VALU_DEP_2)
	v_cmp_lt_u32_e32 vcc_lo, v6, v4
	v_add_nc_u32_e32 v6, 2, v3
	s_waitcnt lgkmcnt(0)
	v_cndmask_b32_e32 v2, 0, v2, vcc_lo
	v_cmp_gt_u32_e32 vcc_lo, 28, v3
	v_add_nc_u32_e32 v1, v2, v1
	ds_bpermute_b32 v2, v5, v1
	v_cndmask_b32_e64 v5, 0, 1, vcc_lo
	v_cmp_lt_u32_e32 vcc_lo, v6, v4
	v_add_nc_u32_e32 v6, 4, v3
	s_delay_alu instid0(VALU_DEP_3) | instskip(NEXT) | instid1(VALU_DEP_1)
	v_lshlrev_b32_e32 v5, 2, v5
	v_add_lshl_u32 v5, v5, v3, 2
	s_waitcnt lgkmcnt(0)
	v_cndmask_b32_e32 v2, 0, v2, vcc_lo
	v_cmp_gt_u32_e32 vcc_lo, 24, v3
	s_delay_alu instid0(VALU_DEP_2) | instskip(SKIP_4) | instid1(VALU_DEP_3)
	v_add_nc_u32_e32 v1, v1, v2
	ds_bpermute_b32 v2, v5, v1
	v_cndmask_b32_e64 v5, 0, 1, vcc_lo
	v_cmp_lt_u32_e32 vcc_lo, v6, v4
	v_add_nc_u32_e32 v6, 8, v3
	v_lshlrev_b32_e32 v5, 3, v5
	s_delay_alu instid0(VALU_DEP_1) | instskip(SKIP_3) | instid1(VALU_DEP_2)
	v_add_lshl_u32 v5, v5, v3, 2
	s_waitcnt lgkmcnt(0)
	v_cndmask_b32_e32 v2, 0, v2, vcc_lo
	v_cmp_gt_u32_e32 vcc_lo, 16, v3
	v_add_nc_u32_e32 v1, v1, v2
	ds_bpermute_b32 v2, v5, v1
	v_cndmask_b32_e64 v5, 0, 1, vcc_lo
	v_cmp_lt_u32_e32 vcc_lo, v6, v4
	s_delay_alu instid0(VALU_DEP_2) | instskip(NEXT) | instid1(VALU_DEP_1)
	v_lshlrev_b32_e32 v5, 4, v5
	v_add_lshl_u32 v5, v5, v3, 2
	s_waitcnt lgkmcnt(0)
	v_cndmask_b32_e32 v2, 0, v2, vcc_lo
	s_delay_alu instid0(VALU_DEP_1) | instskip(SKIP_2) | instid1(VALU_DEP_1)
	v_add_nc_u32_e32 v1, v1, v2
	ds_bpermute_b32 v2, v5, v1
	v_add_nc_u32_e32 v5, 16, v3
	v_cmp_lt_u32_e32 vcc_lo, v5, v4
	s_waitcnt lgkmcnt(0)
	v_cndmask_b32_e32 v2, 0, v2, vcc_lo
	s_delay_alu instid0(VALU_DEP_1)
	v_add_nc_u32_e32 v1, v1, v2
	v_cmpx_eq_u32_e32 0, v3
	s_cbranch_execz .LBB252_635
; %bb.634:
	v_lshrrev_b32_e32 v2, 3, v0
	s_delay_alu instid0(VALU_DEP_1)
	v_and_b32_e32 v2, 12, v2
	ds_store_b32 v2, v1 offset:128
.LBB252_635:
	s_or_b32 exec_lo, exec_lo, s3
	s_delay_alu instid0(SALU_CYCLE_1)
	s_mov_b32 s3, exec_lo
	s_waitcnt lgkmcnt(0)
	s_barrier
	buffer_gl0_inv
	v_cmpx_gt_u32_e32 4, v0
	s_cbranch_execz .LBB252_637
; %bb.636:
	v_and_b32_e32 v2, 3, v3
	s_add_i32 s2, s2, 31
	s_delay_alu instid0(SALU_CYCLE_1) | instskip(NEXT) | instid1(VALU_DEP_1)
	s_lshr_b32 s2, s2, 5
	v_cmp_ne_u32_e32 vcc_lo, 3, v2
	v_add_nc_u32_e32 v5, 1, v2
	v_add_co_ci_u32_e32 v4, vcc_lo, 0, v3, vcc_lo
	v_cmp_gt_u32_e32 vcc_lo, 2, v2
	v_add_nc_u32_e32 v2, 2, v2
	s_delay_alu instid0(VALU_DEP_3) | instskip(SKIP_3) | instid1(VALU_DEP_3)
	v_lshlrev_b32_e32 v4, 2, v4
	v_cndmask_b32_e64 v6, 0, 1, vcc_lo
	v_cmp_gt_u32_e32 vcc_lo, s2, v5
	v_lshlrev_b32_e32 v1, 2, v3
	v_lshlrev_b32_e32 v5, 1, v6
	ds_load_b32 v1, v1 offset:128
	v_add_lshl_u32 v3, v5, v3, 2
	s_waitcnt lgkmcnt(0)
	ds_bpermute_b32 v4, v4, v1
	s_waitcnt lgkmcnt(0)
	v_cndmask_b32_e32 v4, 0, v4, vcc_lo
	v_cmp_gt_u32_e32 vcc_lo, s2, v2
	s_delay_alu instid0(VALU_DEP_2) | instskip(SKIP_3) | instid1(VALU_DEP_1)
	v_add_nc_u32_e32 v1, v4, v1
	ds_bpermute_b32 v3, v3, v1
	s_waitcnt lgkmcnt(0)
	v_cndmask_b32_e32 v2, 0, v3, vcc_lo
	v_add_nc_u32_e32 v1, v1, v2
.LBB252_637:
	s_or_b32 exec_lo, exec_lo, s3
.LBB252_638:
	v_cmp_eq_u32_e64 s2, 0, v0
	s_branch .LBB252_623
.LBB252_639:
	s_cmp_eq_u32 s19, 1
	s_cbranch_scc0 .LBB252_647
; %bb.640:
	s_mov_b32 s5, 0
	v_mbcnt_lo_u32_b32 v2, -1, 0
	s_lshr_b64 s[2:3], s[20:21], 7
	s_mov_b32 s25, s5
	s_lshl_b32 s4, s24, 7
	s_cmp_lg_u64 s[2:3], s[24:25]
	s_cbranch_scc0 .LBB252_648
; %bb.641:
	s_lshl_b64 s[2:3], s[4:5], 3
	v_lshlrev_b32_e32 v1, 3, v0
	s_add_u32 s2, s26, s2
	s_addc_u32 s3, s27, s3
	global_load_b64 v[3:4], v1, s[2:3]
	s_waitcnt vmcnt(0)
	v_cmp_ne_u64_e32 vcc_lo, 0, v[3:4]
	v_cndmask_b32_e64 v1, 0, 1, vcc_lo
	s_delay_alu instid0(VALU_DEP_1) | instskip(NEXT) | instid1(VALU_DEP_1)
	v_mov_b32_dpp v1, v1 quad_perm:[1,0,3,2] row_mask:0xf bank_mask:0xf
	v_add_co_ci_u32_e64 v3, s2, 0, v1, vcc_lo
	s_mov_b32 s2, exec_lo
	s_delay_alu instid0(VALU_DEP_1) | instskip(NEXT) | instid1(VALU_DEP_1)
	v_mov_b32_dpp v3, v3 quad_perm:[2,3,0,1] row_mask:0xf bank_mask:0xf
	v_add_co_ci_u32_e32 v1, vcc_lo, v3, v1, vcc_lo
	s_delay_alu instid0(VALU_DEP_1) | instskip(NEXT) | instid1(VALU_DEP_1)
	v_mov_b32_dpp v3, v1 row_ror:4 row_mask:0xf bank_mask:0xf
	v_add_nc_u32_e32 v1, v1, v3
	s_delay_alu instid0(VALU_DEP_1) | instskip(NEXT) | instid1(VALU_DEP_1)
	v_mov_b32_dpp v3, v1 row_ror:8 row_mask:0xf bank_mask:0xf
	v_add_nc_u32_e32 v1, v1, v3
	ds_swizzle_b32 v3, v1 offset:swizzle(BROADCAST,32,15)
	s_waitcnt lgkmcnt(0)
	v_add_nc_u32_e32 v1, v1, v3
	v_mov_b32_e32 v3, 0
	ds_bpermute_b32 v1, v3, v1 offset:124
	v_cmpx_eq_u32_e32 0, v2
	s_cbranch_execz .LBB252_643
; %bb.642:
	v_lshrrev_b32_e32 v3, 3, v0
	s_delay_alu instid0(VALU_DEP_1)
	v_and_b32_e32 v3, 12, v3
	s_waitcnt lgkmcnt(0)
	ds_store_b32 v3, v1 offset:32
.LBB252_643:
	s_or_b32 exec_lo, exec_lo, s2
	s_delay_alu instid0(SALU_CYCLE_1)
	s_mov_b32 s2, exec_lo
	s_waitcnt lgkmcnt(0)
	s_barrier
	buffer_gl0_inv
	v_cmpx_gt_u32_e32 32, v0
	s_cbranch_execz .LBB252_645
; %bb.644:
	v_and_b32_e32 v1, 3, v2
	s_delay_alu instid0(VALU_DEP_1) | instskip(SKIP_4) | instid1(VALU_DEP_2)
	v_lshlrev_b32_e32 v3, 2, v1
	v_cmp_ne_u32_e32 vcc_lo, 3, v1
	ds_load_b32 v3, v3 offset:32
	v_add_co_ci_u32_e32 v4, vcc_lo, 0, v2, vcc_lo
	v_cmp_gt_u32_e32 vcc_lo, 2, v1
	v_lshlrev_b32_e32 v4, 2, v4
	v_cndmask_b32_e64 v1, 0, 1, vcc_lo
	s_delay_alu instid0(VALU_DEP_1) | instskip(NEXT) | instid1(VALU_DEP_1)
	v_lshlrev_b32_e32 v1, 1, v1
	v_add_lshl_u32 v1, v1, v2, 2
	s_waitcnt lgkmcnt(0)
	ds_bpermute_b32 v4, v4, v3
	s_waitcnt lgkmcnt(0)
	v_add_nc_u32_e32 v3, v4, v3
	ds_bpermute_b32 v1, v1, v3
	s_waitcnt lgkmcnt(0)
	v_add_nc_u32_e32 v1, v1, v3
.LBB252_645:
	s_or_b32 exec_lo, exec_lo, s2
.LBB252_646:
	v_cmp_eq_u32_e64 s2, 0, v0
	s_delay_alu instid0(VALU_DEP_1)
	s_and_saveexec_b32 s3, s2
	s_cbranch_execnz .LBB252_624
	s_branch .LBB252_625
.LBB252_647:
                                        ; implicit-def: $sgpr24_sgpr25
                                        ; implicit-def: $vgpr1
	s_and_saveexec_b32 s3, s2
	s_cbranch_execz .LBB252_625
	s_branch .LBB252_624
.LBB252_648:
                                        ; implicit-def: $vgpr1
	s_cbranch_execz .LBB252_646
; %bb.649:
	s_sub_i32 s2, s20, s4
	s_mov_b32 s3, exec_lo
                                        ; implicit-def: $vgpr1
	v_cmpx_gt_u32_e64 s2, v0
	s_cbranch_execz .LBB252_651
; %bb.650:
	s_lshl_b64 s[4:5], s[4:5], 3
	v_lshlrev_b32_e32 v1, 3, v0
	s_add_u32 s4, s26, s4
	s_addc_u32 s5, s27, s5
	global_load_b64 v[3:4], v1, s[4:5]
	s_waitcnt vmcnt(0)
	v_cmp_ne_u64_e32 vcc_lo, 0, v[3:4]
	v_cndmask_b32_e64 v1, 0, 1, vcc_lo
.LBB252_651:
	s_or_b32 exec_lo, exec_lo, s3
	v_cmp_ne_u32_e32 vcc_lo, 31, v2
	s_min_u32 s2, s2, 0x80
	v_add_nc_u32_e32 v5, 1, v2
	s_mov_b32 s3, exec_lo
	v_add_co_ci_u32_e32 v3, vcc_lo, 0, v2, vcc_lo
	v_cmp_gt_u32_e32 vcc_lo, 30, v2
	s_delay_alu instid0(VALU_DEP_2) | instskip(SKIP_4) | instid1(VALU_DEP_2)
	v_lshlrev_b32_e32 v3, 2, v3
	v_cndmask_b32_e64 v6, 0, 1, vcc_lo
	ds_bpermute_b32 v3, v3, v1
	v_and_b32_e32 v4, 0x60, v0
	v_lshlrev_b32_e32 v6, 1, v6
	v_sub_nc_u32_e64 v4, s2, v4 clamp
	s_delay_alu instid0(VALU_DEP_1) | instskip(NEXT) | instid1(VALU_DEP_3)
	v_cmp_lt_u32_e32 vcc_lo, v5, v4
	v_add_lshl_u32 v5, v6, v2, 2
	s_waitcnt lgkmcnt(0)
	v_dual_cndmask_b32 v3, 0, v3 :: v_dual_add_nc_u32 v6, 2, v2
	v_cmp_gt_u32_e32 vcc_lo, 28, v2
	s_delay_alu instid0(VALU_DEP_2) | instskip(SKIP_4) | instid1(VALU_DEP_3)
	v_add_nc_u32_e32 v1, v3, v1
	ds_bpermute_b32 v3, v5, v1
	v_cndmask_b32_e64 v5, 0, 1, vcc_lo
	v_cmp_lt_u32_e32 vcc_lo, v6, v4
	v_add_nc_u32_e32 v6, 4, v2
	v_lshlrev_b32_e32 v5, 2, v5
	s_delay_alu instid0(VALU_DEP_1) | instskip(SKIP_3) | instid1(VALU_DEP_2)
	v_add_lshl_u32 v5, v5, v2, 2
	s_waitcnt lgkmcnt(0)
	v_cndmask_b32_e32 v3, 0, v3, vcc_lo
	v_cmp_gt_u32_e32 vcc_lo, 24, v2
	v_add_nc_u32_e32 v1, v1, v3
	ds_bpermute_b32 v3, v5, v1
	v_cndmask_b32_e64 v5, 0, 1, vcc_lo
	v_cmp_lt_u32_e32 vcc_lo, v6, v4
	v_add_nc_u32_e32 v6, 8, v2
	s_delay_alu instid0(VALU_DEP_3) | instskip(NEXT) | instid1(VALU_DEP_1)
	v_lshlrev_b32_e32 v5, 3, v5
	v_add_lshl_u32 v5, v5, v2, 2
	s_waitcnt lgkmcnt(0)
	v_cndmask_b32_e32 v3, 0, v3, vcc_lo
	v_cmp_gt_u32_e32 vcc_lo, 16, v2
	s_delay_alu instid0(VALU_DEP_2) | instskip(SKIP_3) | instid1(VALU_DEP_2)
	v_add_nc_u32_e32 v1, v1, v3
	ds_bpermute_b32 v3, v5, v1
	v_cndmask_b32_e64 v5, 0, 1, vcc_lo
	v_cmp_lt_u32_e32 vcc_lo, v6, v4
	v_lshlrev_b32_e32 v5, 4, v5
	s_delay_alu instid0(VALU_DEP_1) | instskip(SKIP_2) | instid1(VALU_DEP_1)
	v_add_lshl_u32 v5, v5, v2, 2
	s_waitcnt lgkmcnt(0)
	v_cndmask_b32_e32 v3, 0, v3, vcc_lo
	v_add_nc_u32_e32 v1, v1, v3
	ds_bpermute_b32 v3, v5, v1
	v_add_nc_u32_e32 v5, 16, v2
	s_delay_alu instid0(VALU_DEP_1) | instskip(SKIP_2) | instid1(VALU_DEP_1)
	v_cmp_lt_u32_e32 vcc_lo, v5, v4
	s_waitcnt lgkmcnt(0)
	v_cndmask_b32_e32 v3, 0, v3, vcc_lo
	v_add_nc_u32_e32 v1, v1, v3
	v_cmpx_eq_u32_e32 0, v2
	s_cbranch_execz .LBB252_653
; %bb.652:
	v_lshrrev_b32_e32 v3, 3, v0
	s_delay_alu instid0(VALU_DEP_1)
	v_and_b32_e32 v3, 12, v3
	ds_store_b32 v3, v1 offset:128
.LBB252_653:
	s_or_b32 exec_lo, exec_lo, s3
	s_delay_alu instid0(SALU_CYCLE_1)
	s_mov_b32 s3, exec_lo
	s_waitcnt lgkmcnt(0)
	s_barrier
	buffer_gl0_inv
	v_cmpx_gt_u32_e32 4, v0
	s_cbranch_execz .LBB252_655
; %bb.654:
	v_and_b32_e32 v3, 3, v2
	s_add_i32 s2, s2, 31
	s_delay_alu instid0(SALU_CYCLE_1) | instskip(NEXT) | instid1(VALU_DEP_1)
	s_lshr_b32 s2, s2, 5
	v_cmp_ne_u32_e32 vcc_lo, 3, v3
	v_add_nc_u32_e32 v5, 1, v3
	v_add_co_ci_u32_e32 v4, vcc_lo, 0, v2, vcc_lo
	v_cmp_gt_u32_e32 vcc_lo, 2, v3
	v_add_nc_u32_e32 v3, 2, v3
	s_delay_alu instid0(VALU_DEP_3) | instskip(SKIP_3) | instid1(VALU_DEP_3)
	v_lshlrev_b32_e32 v4, 2, v4
	v_cndmask_b32_e64 v6, 0, 1, vcc_lo
	v_cmp_gt_u32_e32 vcc_lo, s2, v5
	v_lshlrev_b32_e32 v1, 2, v2
	v_lshlrev_b32_e32 v5, 1, v6
	ds_load_b32 v1, v1 offset:128
	v_add_lshl_u32 v2, v5, v2, 2
	s_waitcnt lgkmcnt(0)
	ds_bpermute_b32 v4, v4, v1
	s_waitcnt lgkmcnt(0)
	v_cndmask_b32_e32 v4, 0, v4, vcc_lo
	v_cmp_gt_u32_e32 vcc_lo, s2, v3
	s_delay_alu instid0(VALU_DEP_2) | instskip(SKIP_3) | instid1(VALU_DEP_1)
	v_add_nc_u32_e32 v1, v4, v1
	ds_bpermute_b32 v2, v2, v1
	s_waitcnt lgkmcnt(0)
	v_cndmask_b32_e32 v2, 0, v2, vcc_lo
	v_add_nc_u32_e32 v1, v1, v2
.LBB252_655:
	s_or_b32 exec_lo, exec_lo, s3
	v_cmp_eq_u32_e64 s2, 0, v0
	s_delay_alu instid0(VALU_DEP_1)
	s_and_saveexec_b32 s3, s2
	s_cbranch_execnz .LBB252_624
	s_branch .LBB252_625
	.section	.rodata,"a",@progbits
	.p2align	6, 0x0
	.amdhsa_kernel _ZN7rocprim17ROCPRIM_400000_NS6detail17trampoline_kernelINS0_14default_configENS1_22reduce_config_selectorIbEEZNS1_11reduce_implILb1ES3_N6hipcub16HIPCUB_304000_NS22TransformInputIteratorIbN2at6native12_GLOBAL__N_19NonZeroOpIlEEPKllEEPiiNS8_6detail34convert_binary_result_type_wrapperINS8_3SumESH_iEEEE10hipError_tPvRmT1_T2_T3_mT4_P12ihipStream_tbEUlT_E1_NS1_11comp_targetILNS1_3genE9ELNS1_11target_archE1100ELNS1_3gpuE3ELNS1_3repE0EEENS1_30default_config_static_selectorELNS0_4arch9wavefront6targetE0EEEvSQ_
		.amdhsa_group_segment_fixed_size 144
		.amdhsa_private_segment_fixed_size 0
		.amdhsa_kernarg_size 48
		.amdhsa_user_sgpr_count 15
		.amdhsa_user_sgpr_dispatch_ptr 0
		.amdhsa_user_sgpr_queue_ptr 0
		.amdhsa_user_sgpr_kernarg_segment_ptr 1
		.amdhsa_user_sgpr_dispatch_id 0
		.amdhsa_user_sgpr_private_segment_size 0
		.amdhsa_wavefront_size32 1
		.amdhsa_uses_dynamic_stack 0
		.amdhsa_enable_private_segment 0
		.amdhsa_system_sgpr_workgroup_id_x 1
		.amdhsa_system_sgpr_workgroup_id_y 0
		.amdhsa_system_sgpr_workgroup_id_z 0
		.amdhsa_system_sgpr_workgroup_info 0
		.amdhsa_system_vgpr_workitem_id 0
		.amdhsa_next_free_vgpr 142
		.amdhsa_next_free_sgpr 34
		.amdhsa_reserve_vcc 1
		.amdhsa_float_round_mode_32 0
		.amdhsa_float_round_mode_16_64 0
		.amdhsa_float_denorm_mode_32 3
		.amdhsa_float_denorm_mode_16_64 3
		.amdhsa_dx10_clamp 1
		.amdhsa_ieee_mode 1
		.amdhsa_fp16_overflow 0
		.amdhsa_workgroup_processor_mode 1
		.amdhsa_memory_ordered 1
		.amdhsa_forward_progress 0
		.amdhsa_shared_vgpr_count 0
		.amdhsa_exception_fp_ieee_invalid_op 0
		.amdhsa_exception_fp_denorm_src 0
		.amdhsa_exception_fp_ieee_div_zero 0
		.amdhsa_exception_fp_ieee_overflow 0
		.amdhsa_exception_fp_ieee_underflow 0
		.amdhsa_exception_fp_ieee_inexact 0
		.amdhsa_exception_int_div_zero 0
	.end_amdhsa_kernel
	.section	.text._ZN7rocprim17ROCPRIM_400000_NS6detail17trampoline_kernelINS0_14default_configENS1_22reduce_config_selectorIbEEZNS1_11reduce_implILb1ES3_N6hipcub16HIPCUB_304000_NS22TransformInputIteratorIbN2at6native12_GLOBAL__N_19NonZeroOpIlEEPKllEEPiiNS8_6detail34convert_binary_result_type_wrapperINS8_3SumESH_iEEEE10hipError_tPvRmT1_T2_T3_mT4_P12ihipStream_tbEUlT_E1_NS1_11comp_targetILNS1_3genE9ELNS1_11target_archE1100ELNS1_3gpuE3ELNS1_3repE0EEENS1_30default_config_static_selectorELNS0_4arch9wavefront6targetE0EEEvSQ_,"axG",@progbits,_ZN7rocprim17ROCPRIM_400000_NS6detail17trampoline_kernelINS0_14default_configENS1_22reduce_config_selectorIbEEZNS1_11reduce_implILb1ES3_N6hipcub16HIPCUB_304000_NS22TransformInputIteratorIbN2at6native12_GLOBAL__N_19NonZeroOpIlEEPKllEEPiiNS8_6detail34convert_binary_result_type_wrapperINS8_3SumESH_iEEEE10hipError_tPvRmT1_T2_T3_mT4_P12ihipStream_tbEUlT_E1_NS1_11comp_targetILNS1_3genE9ELNS1_11target_archE1100ELNS1_3gpuE3ELNS1_3repE0EEENS1_30default_config_static_selectorELNS0_4arch9wavefront6targetE0EEEvSQ_,comdat
.Lfunc_end252:
	.size	_ZN7rocprim17ROCPRIM_400000_NS6detail17trampoline_kernelINS0_14default_configENS1_22reduce_config_selectorIbEEZNS1_11reduce_implILb1ES3_N6hipcub16HIPCUB_304000_NS22TransformInputIteratorIbN2at6native12_GLOBAL__N_19NonZeroOpIlEEPKllEEPiiNS8_6detail34convert_binary_result_type_wrapperINS8_3SumESH_iEEEE10hipError_tPvRmT1_T2_T3_mT4_P12ihipStream_tbEUlT_E1_NS1_11comp_targetILNS1_3genE9ELNS1_11target_archE1100ELNS1_3gpuE3ELNS1_3repE0EEENS1_30default_config_static_selectorELNS0_4arch9wavefront6targetE0EEEvSQ_, .Lfunc_end252-_ZN7rocprim17ROCPRIM_400000_NS6detail17trampoline_kernelINS0_14default_configENS1_22reduce_config_selectorIbEEZNS1_11reduce_implILb1ES3_N6hipcub16HIPCUB_304000_NS22TransformInputIteratorIbN2at6native12_GLOBAL__N_19NonZeroOpIlEEPKllEEPiiNS8_6detail34convert_binary_result_type_wrapperINS8_3SumESH_iEEEE10hipError_tPvRmT1_T2_T3_mT4_P12ihipStream_tbEUlT_E1_NS1_11comp_targetILNS1_3genE9ELNS1_11target_archE1100ELNS1_3gpuE3ELNS1_3repE0EEENS1_30default_config_static_selectorELNS0_4arch9wavefront6targetE0EEEvSQ_
                                        ; -- End function
	.section	.AMDGPU.csdata,"",@progbits
; Kernel info:
; codeLenInByte = 32520
; NumSgprs: 36
; NumVgprs: 142
; ScratchSize: 0
; MemoryBound: 0
; FloatMode: 240
; IeeeMode: 1
; LDSByteSize: 144 bytes/workgroup (compile time only)
; SGPRBlocks: 4
; VGPRBlocks: 17
; NumSGPRsForWavesPerEU: 36
; NumVGPRsForWavesPerEU: 142
; Occupancy: 10
; WaveLimiterHint : 1
; COMPUTE_PGM_RSRC2:SCRATCH_EN: 0
; COMPUTE_PGM_RSRC2:USER_SGPR: 15
; COMPUTE_PGM_RSRC2:TRAP_HANDLER: 0
; COMPUTE_PGM_RSRC2:TGID_X_EN: 1
; COMPUTE_PGM_RSRC2:TGID_Y_EN: 0
; COMPUTE_PGM_RSRC2:TGID_Z_EN: 0
; COMPUTE_PGM_RSRC2:TIDIG_COMP_CNT: 0
	.section	.text._ZN7rocprim17ROCPRIM_400000_NS6detail17trampoline_kernelINS0_14default_configENS1_22reduce_config_selectorIbEEZNS1_11reduce_implILb1ES3_N6hipcub16HIPCUB_304000_NS22TransformInputIteratorIbN2at6native12_GLOBAL__N_19NonZeroOpIlEEPKllEEPiiNS8_6detail34convert_binary_result_type_wrapperINS8_3SumESH_iEEEE10hipError_tPvRmT1_T2_T3_mT4_P12ihipStream_tbEUlT_E1_NS1_11comp_targetILNS1_3genE8ELNS1_11target_archE1030ELNS1_3gpuE2ELNS1_3repE0EEENS1_30default_config_static_selectorELNS0_4arch9wavefront6targetE0EEEvSQ_,"axG",@progbits,_ZN7rocprim17ROCPRIM_400000_NS6detail17trampoline_kernelINS0_14default_configENS1_22reduce_config_selectorIbEEZNS1_11reduce_implILb1ES3_N6hipcub16HIPCUB_304000_NS22TransformInputIteratorIbN2at6native12_GLOBAL__N_19NonZeroOpIlEEPKllEEPiiNS8_6detail34convert_binary_result_type_wrapperINS8_3SumESH_iEEEE10hipError_tPvRmT1_T2_T3_mT4_P12ihipStream_tbEUlT_E1_NS1_11comp_targetILNS1_3genE8ELNS1_11target_archE1030ELNS1_3gpuE2ELNS1_3repE0EEENS1_30default_config_static_selectorELNS0_4arch9wavefront6targetE0EEEvSQ_,comdat
	.globl	_ZN7rocprim17ROCPRIM_400000_NS6detail17trampoline_kernelINS0_14default_configENS1_22reduce_config_selectorIbEEZNS1_11reduce_implILb1ES3_N6hipcub16HIPCUB_304000_NS22TransformInputIteratorIbN2at6native12_GLOBAL__N_19NonZeroOpIlEEPKllEEPiiNS8_6detail34convert_binary_result_type_wrapperINS8_3SumESH_iEEEE10hipError_tPvRmT1_T2_T3_mT4_P12ihipStream_tbEUlT_E1_NS1_11comp_targetILNS1_3genE8ELNS1_11target_archE1030ELNS1_3gpuE2ELNS1_3repE0EEENS1_30default_config_static_selectorELNS0_4arch9wavefront6targetE0EEEvSQ_ ; -- Begin function _ZN7rocprim17ROCPRIM_400000_NS6detail17trampoline_kernelINS0_14default_configENS1_22reduce_config_selectorIbEEZNS1_11reduce_implILb1ES3_N6hipcub16HIPCUB_304000_NS22TransformInputIteratorIbN2at6native12_GLOBAL__N_19NonZeroOpIlEEPKllEEPiiNS8_6detail34convert_binary_result_type_wrapperINS8_3SumESH_iEEEE10hipError_tPvRmT1_T2_T3_mT4_P12ihipStream_tbEUlT_E1_NS1_11comp_targetILNS1_3genE8ELNS1_11target_archE1030ELNS1_3gpuE2ELNS1_3repE0EEENS1_30default_config_static_selectorELNS0_4arch9wavefront6targetE0EEEvSQ_
	.p2align	8
	.type	_ZN7rocprim17ROCPRIM_400000_NS6detail17trampoline_kernelINS0_14default_configENS1_22reduce_config_selectorIbEEZNS1_11reduce_implILb1ES3_N6hipcub16HIPCUB_304000_NS22TransformInputIteratorIbN2at6native12_GLOBAL__N_19NonZeroOpIlEEPKllEEPiiNS8_6detail34convert_binary_result_type_wrapperINS8_3SumESH_iEEEE10hipError_tPvRmT1_T2_T3_mT4_P12ihipStream_tbEUlT_E1_NS1_11comp_targetILNS1_3genE8ELNS1_11target_archE1030ELNS1_3gpuE2ELNS1_3repE0EEENS1_30default_config_static_selectorELNS0_4arch9wavefront6targetE0EEEvSQ_,@function
_ZN7rocprim17ROCPRIM_400000_NS6detail17trampoline_kernelINS0_14default_configENS1_22reduce_config_selectorIbEEZNS1_11reduce_implILb1ES3_N6hipcub16HIPCUB_304000_NS22TransformInputIteratorIbN2at6native12_GLOBAL__N_19NonZeroOpIlEEPKllEEPiiNS8_6detail34convert_binary_result_type_wrapperINS8_3SumESH_iEEEE10hipError_tPvRmT1_T2_T3_mT4_P12ihipStream_tbEUlT_E1_NS1_11comp_targetILNS1_3genE8ELNS1_11target_archE1030ELNS1_3gpuE2ELNS1_3repE0EEENS1_30default_config_static_selectorELNS0_4arch9wavefront6targetE0EEEvSQ_: ; @_ZN7rocprim17ROCPRIM_400000_NS6detail17trampoline_kernelINS0_14default_configENS1_22reduce_config_selectorIbEEZNS1_11reduce_implILb1ES3_N6hipcub16HIPCUB_304000_NS22TransformInputIteratorIbN2at6native12_GLOBAL__N_19NonZeroOpIlEEPKllEEPiiNS8_6detail34convert_binary_result_type_wrapperINS8_3SumESH_iEEEE10hipError_tPvRmT1_T2_T3_mT4_P12ihipStream_tbEUlT_E1_NS1_11comp_targetILNS1_3genE8ELNS1_11target_archE1030ELNS1_3gpuE2ELNS1_3repE0EEENS1_30default_config_static_selectorELNS0_4arch9wavefront6targetE0EEEvSQ_
; %bb.0:
	.section	.rodata,"a",@progbits
	.p2align	6, 0x0
	.amdhsa_kernel _ZN7rocprim17ROCPRIM_400000_NS6detail17trampoline_kernelINS0_14default_configENS1_22reduce_config_selectorIbEEZNS1_11reduce_implILb1ES3_N6hipcub16HIPCUB_304000_NS22TransformInputIteratorIbN2at6native12_GLOBAL__N_19NonZeroOpIlEEPKllEEPiiNS8_6detail34convert_binary_result_type_wrapperINS8_3SumESH_iEEEE10hipError_tPvRmT1_T2_T3_mT4_P12ihipStream_tbEUlT_E1_NS1_11comp_targetILNS1_3genE8ELNS1_11target_archE1030ELNS1_3gpuE2ELNS1_3repE0EEENS1_30default_config_static_selectorELNS0_4arch9wavefront6targetE0EEEvSQ_
		.amdhsa_group_segment_fixed_size 0
		.amdhsa_private_segment_fixed_size 0
		.amdhsa_kernarg_size 48
		.amdhsa_user_sgpr_count 15
		.amdhsa_user_sgpr_dispatch_ptr 0
		.amdhsa_user_sgpr_queue_ptr 0
		.amdhsa_user_sgpr_kernarg_segment_ptr 1
		.amdhsa_user_sgpr_dispatch_id 0
		.amdhsa_user_sgpr_private_segment_size 0
		.amdhsa_wavefront_size32 1
		.amdhsa_uses_dynamic_stack 0
		.amdhsa_enable_private_segment 0
		.amdhsa_system_sgpr_workgroup_id_x 1
		.amdhsa_system_sgpr_workgroup_id_y 0
		.amdhsa_system_sgpr_workgroup_id_z 0
		.amdhsa_system_sgpr_workgroup_info 0
		.amdhsa_system_vgpr_workitem_id 0
		.amdhsa_next_free_vgpr 1
		.amdhsa_next_free_sgpr 1
		.amdhsa_reserve_vcc 0
		.amdhsa_float_round_mode_32 0
		.amdhsa_float_round_mode_16_64 0
		.amdhsa_float_denorm_mode_32 3
		.amdhsa_float_denorm_mode_16_64 3
		.amdhsa_dx10_clamp 1
		.amdhsa_ieee_mode 1
		.amdhsa_fp16_overflow 0
		.amdhsa_workgroup_processor_mode 1
		.amdhsa_memory_ordered 1
		.amdhsa_forward_progress 0
		.amdhsa_shared_vgpr_count 0
		.amdhsa_exception_fp_ieee_invalid_op 0
		.amdhsa_exception_fp_denorm_src 0
		.amdhsa_exception_fp_ieee_div_zero 0
		.amdhsa_exception_fp_ieee_overflow 0
		.amdhsa_exception_fp_ieee_underflow 0
		.amdhsa_exception_fp_ieee_inexact 0
		.amdhsa_exception_int_div_zero 0
	.end_amdhsa_kernel
	.section	.text._ZN7rocprim17ROCPRIM_400000_NS6detail17trampoline_kernelINS0_14default_configENS1_22reduce_config_selectorIbEEZNS1_11reduce_implILb1ES3_N6hipcub16HIPCUB_304000_NS22TransformInputIteratorIbN2at6native12_GLOBAL__N_19NonZeroOpIlEEPKllEEPiiNS8_6detail34convert_binary_result_type_wrapperINS8_3SumESH_iEEEE10hipError_tPvRmT1_T2_T3_mT4_P12ihipStream_tbEUlT_E1_NS1_11comp_targetILNS1_3genE8ELNS1_11target_archE1030ELNS1_3gpuE2ELNS1_3repE0EEENS1_30default_config_static_selectorELNS0_4arch9wavefront6targetE0EEEvSQ_,"axG",@progbits,_ZN7rocprim17ROCPRIM_400000_NS6detail17trampoline_kernelINS0_14default_configENS1_22reduce_config_selectorIbEEZNS1_11reduce_implILb1ES3_N6hipcub16HIPCUB_304000_NS22TransformInputIteratorIbN2at6native12_GLOBAL__N_19NonZeroOpIlEEPKllEEPiiNS8_6detail34convert_binary_result_type_wrapperINS8_3SumESH_iEEEE10hipError_tPvRmT1_T2_T3_mT4_P12ihipStream_tbEUlT_E1_NS1_11comp_targetILNS1_3genE8ELNS1_11target_archE1030ELNS1_3gpuE2ELNS1_3repE0EEENS1_30default_config_static_selectorELNS0_4arch9wavefront6targetE0EEEvSQ_,comdat
.Lfunc_end253:
	.size	_ZN7rocprim17ROCPRIM_400000_NS6detail17trampoline_kernelINS0_14default_configENS1_22reduce_config_selectorIbEEZNS1_11reduce_implILb1ES3_N6hipcub16HIPCUB_304000_NS22TransformInputIteratorIbN2at6native12_GLOBAL__N_19NonZeroOpIlEEPKllEEPiiNS8_6detail34convert_binary_result_type_wrapperINS8_3SumESH_iEEEE10hipError_tPvRmT1_T2_T3_mT4_P12ihipStream_tbEUlT_E1_NS1_11comp_targetILNS1_3genE8ELNS1_11target_archE1030ELNS1_3gpuE2ELNS1_3repE0EEENS1_30default_config_static_selectorELNS0_4arch9wavefront6targetE0EEEvSQ_, .Lfunc_end253-_ZN7rocprim17ROCPRIM_400000_NS6detail17trampoline_kernelINS0_14default_configENS1_22reduce_config_selectorIbEEZNS1_11reduce_implILb1ES3_N6hipcub16HIPCUB_304000_NS22TransformInputIteratorIbN2at6native12_GLOBAL__N_19NonZeroOpIlEEPKllEEPiiNS8_6detail34convert_binary_result_type_wrapperINS8_3SumESH_iEEEE10hipError_tPvRmT1_T2_T3_mT4_P12ihipStream_tbEUlT_E1_NS1_11comp_targetILNS1_3genE8ELNS1_11target_archE1030ELNS1_3gpuE2ELNS1_3repE0EEENS1_30default_config_static_selectorELNS0_4arch9wavefront6targetE0EEEvSQ_
                                        ; -- End function
	.section	.AMDGPU.csdata,"",@progbits
; Kernel info:
; codeLenInByte = 0
; NumSgprs: 0
; NumVgprs: 0
; ScratchSize: 0
; MemoryBound: 0
; FloatMode: 240
; IeeeMode: 1
; LDSByteSize: 0 bytes/workgroup (compile time only)
; SGPRBlocks: 0
; VGPRBlocks: 0
; NumSGPRsForWavesPerEU: 1
; NumVGPRsForWavesPerEU: 1
; Occupancy: 16
; WaveLimiterHint : 0
; COMPUTE_PGM_RSRC2:SCRATCH_EN: 0
; COMPUTE_PGM_RSRC2:USER_SGPR: 15
; COMPUTE_PGM_RSRC2:TRAP_HANDLER: 0
; COMPUTE_PGM_RSRC2:TGID_X_EN: 1
; COMPUTE_PGM_RSRC2:TGID_Y_EN: 0
; COMPUTE_PGM_RSRC2:TGID_Z_EN: 0
; COMPUTE_PGM_RSRC2:TIDIG_COMP_CNT: 0
	.section	.text._ZN7rocprim17ROCPRIM_400000_NS6detail17trampoline_kernelINS0_14default_configENS1_25partition_config_selectorILNS1_17partition_subalgoE5ElNS0_10empty_typeEbEEZZNS1_14partition_implILS5_5ELb0ES3_mN6hipcub16HIPCUB_304000_NS21CountingInputIteratorIllEEPS6_NSA_22TransformInputIteratorIbN2at6native12_GLOBAL__N_19NonZeroOpIlEEPKllEENS0_5tupleIJPlS6_EEENSN_IJSD_SD_EEES6_PiJS6_EEE10hipError_tPvRmT3_T4_T5_T6_T7_T9_mT8_P12ihipStream_tbDpT10_ENKUlT_T0_E_clISt17integral_constantIbLb0EES1B_EEDaS16_S17_EUlS16_E_NS1_11comp_targetILNS1_3genE0ELNS1_11target_archE4294967295ELNS1_3gpuE0ELNS1_3repE0EEENS1_30default_config_static_selectorELNS0_4arch9wavefront6targetE0EEEvT1_,"axG",@progbits,_ZN7rocprim17ROCPRIM_400000_NS6detail17trampoline_kernelINS0_14default_configENS1_25partition_config_selectorILNS1_17partition_subalgoE5ElNS0_10empty_typeEbEEZZNS1_14partition_implILS5_5ELb0ES3_mN6hipcub16HIPCUB_304000_NS21CountingInputIteratorIllEEPS6_NSA_22TransformInputIteratorIbN2at6native12_GLOBAL__N_19NonZeroOpIlEEPKllEENS0_5tupleIJPlS6_EEENSN_IJSD_SD_EEES6_PiJS6_EEE10hipError_tPvRmT3_T4_T5_T6_T7_T9_mT8_P12ihipStream_tbDpT10_ENKUlT_T0_E_clISt17integral_constantIbLb0EES1B_EEDaS16_S17_EUlS16_E_NS1_11comp_targetILNS1_3genE0ELNS1_11target_archE4294967295ELNS1_3gpuE0ELNS1_3repE0EEENS1_30default_config_static_selectorELNS0_4arch9wavefront6targetE0EEEvT1_,comdat
	.globl	_ZN7rocprim17ROCPRIM_400000_NS6detail17trampoline_kernelINS0_14default_configENS1_25partition_config_selectorILNS1_17partition_subalgoE5ElNS0_10empty_typeEbEEZZNS1_14partition_implILS5_5ELb0ES3_mN6hipcub16HIPCUB_304000_NS21CountingInputIteratorIllEEPS6_NSA_22TransformInputIteratorIbN2at6native12_GLOBAL__N_19NonZeroOpIlEEPKllEENS0_5tupleIJPlS6_EEENSN_IJSD_SD_EEES6_PiJS6_EEE10hipError_tPvRmT3_T4_T5_T6_T7_T9_mT8_P12ihipStream_tbDpT10_ENKUlT_T0_E_clISt17integral_constantIbLb0EES1B_EEDaS16_S17_EUlS16_E_NS1_11comp_targetILNS1_3genE0ELNS1_11target_archE4294967295ELNS1_3gpuE0ELNS1_3repE0EEENS1_30default_config_static_selectorELNS0_4arch9wavefront6targetE0EEEvT1_ ; -- Begin function _ZN7rocprim17ROCPRIM_400000_NS6detail17trampoline_kernelINS0_14default_configENS1_25partition_config_selectorILNS1_17partition_subalgoE5ElNS0_10empty_typeEbEEZZNS1_14partition_implILS5_5ELb0ES3_mN6hipcub16HIPCUB_304000_NS21CountingInputIteratorIllEEPS6_NSA_22TransformInputIteratorIbN2at6native12_GLOBAL__N_19NonZeroOpIlEEPKllEENS0_5tupleIJPlS6_EEENSN_IJSD_SD_EEES6_PiJS6_EEE10hipError_tPvRmT3_T4_T5_T6_T7_T9_mT8_P12ihipStream_tbDpT10_ENKUlT_T0_E_clISt17integral_constantIbLb0EES1B_EEDaS16_S17_EUlS16_E_NS1_11comp_targetILNS1_3genE0ELNS1_11target_archE4294967295ELNS1_3gpuE0ELNS1_3repE0EEENS1_30default_config_static_selectorELNS0_4arch9wavefront6targetE0EEEvT1_
	.p2align	8
	.type	_ZN7rocprim17ROCPRIM_400000_NS6detail17trampoline_kernelINS0_14default_configENS1_25partition_config_selectorILNS1_17partition_subalgoE5ElNS0_10empty_typeEbEEZZNS1_14partition_implILS5_5ELb0ES3_mN6hipcub16HIPCUB_304000_NS21CountingInputIteratorIllEEPS6_NSA_22TransformInputIteratorIbN2at6native12_GLOBAL__N_19NonZeroOpIlEEPKllEENS0_5tupleIJPlS6_EEENSN_IJSD_SD_EEES6_PiJS6_EEE10hipError_tPvRmT3_T4_T5_T6_T7_T9_mT8_P12ihipStream_tbDpT10_ENKUlT_T0_E_clISt17integral_constantIbLb0EES1B_EEDaS16_S17_EUlS16_E_NS1_11comp_targetILNS1_3genE0ELNS1_11target_archE4294967295ELNS1_3gpuE0ELNS1_3repE0EEENS1_30default_config_static_selectorELNS0_4arch9wavefront6targetE0EEEvT1_,@function
_ZN7rocprim17ROCPRIM_400000_NS6detail17trampoline_kernelINS0_14default_configENS1_25partition_config_selectorILNS1_17partition_subalgoE5ElNS0_10empty_typeEbEEZZNS1_14partition_implILS5_5ELb0ES3_mN6hipcub16HIPCUB_304000_NS21CountingInputIteratorIllEEPS6_NSA_22TransformInputIteratorIbN2at6native12_GLOBAL__N_19NonZeroOpIlEEPKllEENS0_5tupleIJPlS6_EEENSN_IJSD_SD_EEES6_PiJS6_EEE10hipError_tPvRmT3_T4_T5_T6_T7_T9_mT8_P12ihipStream_tbDpT10_ENKUlT_T0_E_clISt17integral_constantIbLb0EES1B_EEDaS16_S17_EUlS16_E_NS1_11comp_targetILNS1_3genE0ELNS1_11target_archE4294967295ELNS1_3gpuE0ELNS1_3repE0EEENS1_30default_config_static_selectorELNS0_4arch9wavefront6targetE0EEEvT1_: ; @_ZN7rocprim17ROCPRIM_400000_NS6detail17trampoline_kernelINS0_14default_configENS1_25partition_config_selectorILNS1_17partition_subalgoE5ElNS0_10empty_typeEbEEZZNS1_14partition_implILS5_5ELb0ES3_mN6hipcub16HIPCUB_304000_NS21CountingInputIteratorIllEEPS6_NSA_22TransformInputIteratorIbN2at6native12_GLOBAL__N_19NonZeroOpIlEEPKllEENS0_5tupleIJPlS6_EEENSN_IJSD_SD_EEES6_PiJS6_EEE10hipError_tPvRmT3_T4_T5_T6_T7_T9_mT8_P12ihipStream_tbDpT10_ENKUlT_T0_E_clISt17integral_constantIbLb0EES1B_EEDaS16_S17_EUlS16_E_NS1_11comp_targetILNS1_3genE0ELNS1_11target_archE4294967295ELNS1_3gpuE0ELNS1_3repE0EEENS1_30default_config_static_selectorELNS0_4arch9wavefront6targetE0EEEvT1_
; %bb.0:
	.section	.rodata,"a",@progbits
	.p2align	6, 0x0
	.amdhsa_kernel _ZN7rocprim17ROCPRIM_400000_NS6detail17trampoline_kernelINS0_14default_configENS1_25partition_config_selectorILNS1_17partition_subalgoE5ElNS0_10empty_typeEbEEZZNS1_14partition_implILS5_5ELb0ES3_mN6hipcub16HIPCUB_304000_NS21CountingInputIteratorIllEEPS6_NSA_22TransformInputIteratorIbN2at6native12_GLOBAL__N_19NonZeroOpIlEEPKllEENS0_5tupleIJPlS6_EEENSN_IJSD_SD_EEES6_PiJS6_EEE10hipError_tPvRmT3_T4_T5_T6_T7_T9_mT8_P12ihipStream_tbDpT10_ENKUlT_T0_E_clISt17integral_constantIbLb0EES1B_EEDaS16_S17_EUlS16_E_NS1_11comp_targetILNS1_3genE0ELNS1_11target_archE4294967295ELNS1_3gpuE0ELNS1_3repE0EEENS1_30default_config_static_selectorELNS0_4arch9wavefront6targetE0EEEvT1_
		.amdhsa_group_segment_fixed_size 0
		.amdhsa_private_segment_fixed_size 0
		.amdhsa_kernarg_size 120
		.amdhsa_user_sgpr_count 15
		.amdhsa_user_sgpr_dispatch_ptr 0
		.amdhsa_user_sgpr_queue_ptr 0
		.amdhsa_user_sgpr_kernarg_segment_ptr 1
		.amdhsa_user_sgpr_dispatch_id 0
		.amdhsa_user_sgpr_private_segment_size 0
		.amdhsa_wavefront_size32 1
		.amdhsa_uses_dynamic_stack 0
		.amdhsa_enable_private_segment 0
		.amdhsa_system_sgpr_workgroup_id_x 1
		.amdhsa_system_sgpr_workgroup_id_y 0
		.amdhsa_system_sgpr_workgroup_id_z 0
		.amdhsa_system_sgpr_workgroup_info 0
		.amdhsa_system_vgpr_workitem_id 0
		.amdhsa_next_free_vgpr 1
		.amdhsa_next_free_sgpr 1
		.amdhsa_reserve_vcc 0
		.amdhsa_float_round_mode_32 0
		.amdhsa_float_round_mode_16_64 0
		.amdhsa_float_denorm_mode_32 3
		.amdhsa_float_denorm_mode_16_64 3
		.amdhsa_dx10_clamp 1
		.amdhsa_ieee_mode 1
		.amdhsa_fp16_overflow 0
		.amdhsa_workgroup_processor_mode 1
		.amdhsa_memory_ordered 1
		.amdhsa_forward_progress 0
		.amdhsa_shared_vgpr_count 0
		.amdhsa_exception_fp_ieee_invalid_op 0
		.amdhsa_exception_fp_denorm_src 0
		.amdhsa_exception_fp_ieee_div_zero 0
		.amdhsa_exception_fp_ieee_overflow 0
		.amdhsa_exception_fp_ieee_underflow 0
		.amdhsa_exception_fp_ieee_inexact 0
		.amdhsa_exception_int_div_zero 0
	.end_amdhsa_kernel
	.section	.text._ZN7rocprim17ROCPRIM_400000_NS6detail17trampoline_kernelINS0_14default_configENS1_25partition_config_selectorILNS1_17partition_subalgoE5ElNS0_10empty_typeEbEEZZNS1_14partition_implILS5_5ELb0ES3_mN6hipcub16HIPCUB_304000_NS21CountingInputIteratorIllEEPS6_NSA_22TransformInputIteratorIbN2at6native12_GLOBAL__N_19NonZeroOpIlEEPKllEENS0_5tupleIJPlS6_EEENSN_IJSD_SD_EEES6_PiJS6_EEE10hipError_tPvRmT3_T4_T5_T6_T7_T9_mT8_P12ihipStream_tbDpT10_ENKUlT_T0_E_clISt17integral_constantIbLb0EES1B_EEDaS16_S17_EUlS16_E_NS1_11comp_targetILNS1_3genE0ELNS1_11target_archE4294967295ELNS1_3gpuE0ELNS1_3repE0EEENS1_30default_config_static_selectorELNS0_4arch9wavefront6targetE0EEEvT1_,"axG",@progbits,_ZN7rocprim17ROCPRIM_400000_NS6detail17trampoline_kernelINS0_14default_configENS1_25partition_config_selectorILNS1_17partition_subalgoE5ElNS0_10empty_typeEbEEZZNS1_14partition_implILS5_5ELb0ES3_mN6hipcub16HIPCUB_304000_NS21CountingInputIteratorIllEEPS6_NSA_22TransformInputIteratorIbN2at6native12_GLOBAL__N_19NonZeroOpIlEEPKllEENS0_5tupleIJPlS6_EEENSN_IJSD_SD_EEES6_PiJS6_EEE10hipError_tPvRmT3_T4_T5_T6_T7_T9_mT8_P12ihipStream_tbDpT10_ENKUlT_T0_E_clISt17integral_constantIbLb0EES1B_EEDaS16_S17_EUlS16_E_NS1_11comp_targetILNS1_3genE0ELNS1_11target_archE4294967295ELNS1_3gpuE0ELNS1_3repE0EEENS1_30default_config_static_selectorELNS0_4arch9wavefront6targetE0EEEvT1_,comdat
.Lfunc_end254:
	.size	_ZN7rocprim17ROCPRIM_400000_NS6detail17trampoline_kernelINS0_14default_configENS1_25partition_config_selectorILNS1_17partition_subalgoE5ElNS0_10empty_typeEbEEZZNS1_14partition_implILS5_5ELb0ES3_mN6hipcub16HIPCUB_304000_NS21CountingInputIteratorIllEEPS6_NSA_22TransformInputIteratorIbN2at6native12_GLOBAL__N_19NonZeroOpIlEEPKllEENS0_5tupleIJPlS6_EEENSN_IJSD_SD_EEES6_PiJS6_EEE10hipError_tPvRmT3_T4_T5_T6_T7_T9_mT8_P12ihipStream_tbDpT10_ENKUlT_T0_E_clISt17integral_constantIbLb0EES1B_EEDaS16_S17_EUlS16_E_NS1_11comp_targetILNS1_3genE0ELNS1_11target_archE4294967295ELNS1_3gpuE0ELNS1_3repE0EEENS1_30default_config_static_selectorELNS0_4arch9wavefront6targetE0EEEvT1_, .Lfunc_end254-_ZN7rocprim17ROCPRIM_400000_NS6detail17trampoline_kernelINS0_14default_configENS1_25partition_config_selectorILNS1_17partition_subalgoE5ElNS0_10empty_typeEbEEZZNS1_14partition_implILS5_5ELb0ES3_mN6hipcub16HIPCUB_304000_NS21CountingInputIteratorIllEEPS6_NSA_22TransformInputIteratorIbN2at6native12_GLOBAL__N_19NonZeroOpIlEEPKllEENS0_5tupleIJPlS6_EEENSN_IJSD_SD_EEES6_PiJS6_EEE10hipError_tPvRmT3_T4_T5_T6_T7_T9_mT8_P12ihipStream_tbDpT10_ENKUlT_T0_E_clISt17integral_constantIbLb0EES1B_EEDaS16_S17_EUlS16_E_NS1_11comp_targetILNS1_3genE0ELNS1_11target_archE4294967295ELNS1_3gpuE0ELNS1_3repE0EEENS1_30default_config_static_selectorELNS0_4arch9wavefront6targetE0EEEvT1_
                                        ; -- End function
	.section	.AMDGPU.csdata,"",@progbits
; Kernel info:
; codeLenInByte = 0
; NumSgprs: 0
; NumVgprs: 0
; ScratchSize: 0
; MemoryBound: 0
; FloatMode: 240
; IeeeMode: 1
; LDSByteSize: 0 bytes/workgroup (compile time only)
; SGPRBlocks: 0
; VGPRBlocks: 0
; NumSGPRsForWavesPerEU: 1
; NumVGPRsForWavesPerEU: 1
; Occupancy: 16
; WaveLimiterHint : 0
; COMPUTE_PGM_RSRC2:SCRATCH_EN: 0
; COMPUTE_PGM_RSRC2:USER_SGPR: 15
; COMPUTE_PGM_RSRC2:TRAP_HANDLER: 0
; COMPUTE_PGM_RSRC2:TGID_X_EN: 1
; COMPUTE_PGM_RSRC2:TGID_Y_EN: 0
; COMPUTE_PGM_RSRC2:TGID_Z_EN: 0
; COMPUTE_PGM_RSRC2:TIDIG_COMP_CNT: 0
	.section	.text._ZN7rocprim17ROCPRIM_400000_NS6detail17trampoline_kernelINS0_14default_configENS1_25partition_config_selectorILNS1_17partition_subalgoE5ElNS0_10empty_typeEbEEZZNS1_14partition_implILS5_5ELb0ES3_mN6hipcub16HIPCUB_304000_NS21CountingInputIteratorIllEEPS6_NSA_22TransformInputIteratorIbN2at6native12_GLOBAL__N_19NonZeroOpIlEEPKllEENS0_5tupleIJPlS6_EEENSN_IJSD_SD_EEES6_PiJS6_EEE10hipError_tPvRmT3_T4_T5_T6_T7_T9_mT8_P12ihipStream_tbDpT10_ENKUlT_T0_E_clISt17integral_constantIbLb0EES1B_EEDaS16_S17_EUlS16_E_NS1_11comp_targetILNS1_3genE5ELNS1_11target_archE942ELNS1_3gpuE9ELNS1_3repE0EEENS1_30default_config_static_selectorELNS0_4arch9wavefront6targetE0EEEvT1_,"axG",@progbits,_ZN7rocprim17ROCPRIM_400000_NS6detail17trampoline_kernelINS0_14default_configENS1_25partition_config_selectorILNS1_17partition_subalgoE5ElNS0_10empty_typeEbEEZZNS1_14partition_implILS5_5ELb0ES3_mN6hipcub16HIPCUB_304000_NS21CountingInputIteratorIllEEPS6_NSA_22TransformInputIteratorIbN2at6native12_GLOBAL__N_19NonZeroOpIlEEPKllEENS0_5tupleIJPlS6_EEENSN_IJSD_SD_EEES6_PiJS6_EEE10hipError_tPvRmT3_T4_T5_T6_T7_T9_mT8_P12ihipStream_tbDpT10_ENKUlT_T0_E_clISt17integral_constantIbLb0EES1B_EEDaS16_S17_EUlS16_E_NS1_11comp_targetILNS1_3genE5ELNS1_11target_archE942ELNS1_3gpuE9ELNS1_3repE0EEENS1_30default_config_static_selectorELNS0_4arch9wavefront6targetE0EEEvT1_,comdat
	.globl	_ZN7rocprim17ROCPRIM_400000_NS6detail17trampoline_kernelINS0_14default_configENS1_25partition_config_selectorILNS1_17partition_subalgoE5ElNS0_10empty_typeEbEEZZNS1_14partition_implILS5_5ELb0ES3_mN6hipcub16HIPCUB_304000_NS21CountingInputIteratorIllEEPS6_NSA_22TransformInputIteratorIbN2at6native12_GLOBAL__N_19NonZeroOpIlEEPKllEENS0_5tupleIJPlS6_EEENSN_IJSD_SD_EEES6_PiJS6_EEE10hipError_tPvRmT3_T4_T5_T6_T7_T9_mT8_P12ihipStream_tbDpT10_ENKUlT_T0_E_clISt17integral_constantIbLb0EES1B_EEDaS16_S17_EUlS16_E_NS1_11comp_targetILNS1_3genE5ELNS1_11target_archE942ELNS1_3gpuE9ELNS1_3repE0EEENS1_30default_config_static_selectorELNS0_4arch9wavefront6targetE0EEEvT1_ ; -- Begin function _ZN7rocprim17ROCPRIM_400000_NS6detail17trampoline_kernelINS0_14default_configENS1_25partition_config_selectorILNS1_17partition_subalgoE5ElNS0_10empty_typeEbEEZZNS1_14partition_implILS5_5ELb0ES3_mN6hipcub16HIPCUB_304000_NS21CountingInputIteratorIllEEPS6_NSA_22TransformInputIteratorIbN2at6native12_GLOBAL__N_19NonZeroOpIlEEPKllEENS0_5tupleIJPlS6_EEENSN_IJSD_SD_EEES6_PiJS6_EEE10hipError_tPvRmT3_T4_T5_T6_T7_T9_mT8_P12ihipStream_tbDpT10_ENKUlT_T0_E_clISt17integral_constantIbLb0EES1B_EEDaS16_S17_EUlS16_E_NS1_11comp_targetILNS1_3genE5ELNS1_11target_archE942ELNS1_3gpuE9ELNS1_3repE0EEENS1_30default_config_static_selectorELNS0_4arch9wavefront6targetE0EEEvT1_
	.p2align	8
	.type	_ZN7rocprim17ROCPRIM_400000_NS6detail17trampoline_kernelINS0_14default_configENS1_25partition_config_selectorILNS1_17partition_subalgoE5ElNS0_10empty_typeEbEEZZNS1_14partition_implILS5_5ELb0ES3_mN6hipcub16HIPCUB_304000_NS21CountingInputIteratorIllEEPS6_NSA_22TransformInputIteratorIbN2at6native12_GLOBAL__N_19NonZeroOpIlEEPKllEENS0_5tupleIJPlS6_EEENSN_IJSD_SD_EEES6_PiJS6_EEE10hipError_tPvRmT3_T4_T5_T6_T7_T9_mT8_P12ihipStream_tbDpT10_ENKUlT_T0_E_clISt17integral_constantIbLb0EES1B_EEDaS16_S17_EUlS16_E_NS1_11comp_targetILNS1_3genE5ELNS1_11target_archE942ELNS1_3gpuE9ELNS1_3repE0EEENS1_30default_config_static_selectorELNS0_4arch9wavefront6targetE0EEEvT1_,@function
_ZN7rocprim17ROCPRIM_400000_NS6detail17trampoline_kernelINS0_14default_configENS1_25partition_config_selectorILNS1_17partition_subalgoE5ElNS0_10empty_typeEbEEZZNS1_14partition_implILS5_5ELb0ES3_mN6hipcub16HIPCUB_304000_NS21CountingInputIteratorIllEEPS6_NSA_22TransformInputIteratorIbN2at6native12_GLOBAL__N_19NonZeroOpIlEEPKllEENS0_5tupleIJPlS6_EEENSN_IJSD_SD_EEES6_PiJS6_EEE10hipError_tPvRmT3_T4_T5_T6_T7_T9_mT8_P12ihipStream_tbDpT10_ENKUlT_T0_E_clISt17integral_constantIbLb0EES1B_EEDaS16_S17_EUlS16_E_NS1_11comp_targetILNS1_3genE5ELNS1_11target_archE942ELNS1_3gpuE9ELNS1_3repE0EEENS1_30default_config_static_selectorELNS0_4arch9wavefront6targetE0EEEvT1_: ; @_ZN7rocprim17ROCPRIM_400000_NS6detail17trampoline_kernelINS0_14default_configENS1_25partition_config_selectorILNS1_17partition_subalgoE5ElNS0_10empty_typeEbEEZZNS1_14partition_implILS5_5ELb0ES3_mN6hipcub16HIPCUB_304000_NS21CountingInputIteratorIllEEPS6_NSA_22TransformInputIteratorIbN2at6native12_GLOBAL__N_19NonZeroOpIlEEPKllEENS0_5tupleIJPlS6_EEENSN_IJSD_SD_EEES6_PiJS6_EEE10hipError_tPvRmT3_T4_T5_T6_T7_T9_mT8_P12ihipStream_tbDpT10_ENKUlT_T0_E_clISt17integral_constantIbLb0EES1B_EEDaS16_S17_EUlS16_E_NS1_11comp_targetILNS1_3genE5ELNS1_11target_archE942ELNS1_3gpuE9ELNS1_3repE0EEENS1_30default_config_static_selectorELNS0_4arch9wavefront6targetE0EEEvT1_
; %bb.0:
	.section	.rodata,"a",@progbits
	.p2align	6, 0x0
	.amdhsa_kernel _ZN7rocprim17ROCPRIM_400000_NS6detail17trampoline_kernelINS0_14default_configENS1_25partition_config_selectorILNS1_17partition_subalgoE5ElNS0_10empty_typeEbEEZZNS1_14partition_implILS5_5ELb0ES3_mN6hipcub16HIPCUB_304000_NS21CountingInputIteratorIllEEPS6_NSA_22TransformInputIteratorIbN2at6native12_GLOBAL__N_19NonZeroOpIlEEPKllEENS0_5tupleIJPlS6_EEENSN_IJSD_SD_EEES6_PiJS6_EEE10hipError_tPvRmT3_T4_T5_T6_T7_T9_mT8_P12ihipStream_tbDpT10_ENKUlT_T0_E_clISt17integral_constantIbLb0EES1B_EEDaS16_S17_EUlS16_E_NS1_11comp_targetILNS1_3genE5ELNS1_11target_archE942ELNS1_3gpuE9ELNS1_3repE0EEENS1_30default_config_static_selectorELNS0_4arch9wavefront6targetE0EEEvT1_
		.amdhsa_group_segment_fixed_size 0
		.amdhsa_private_segment_fixed_size 0
		.amdhsa_kernarg_size 120
		.amdhsa_user_sgpr_count 15
		.amdhsa_user_sgpr_dispatch_ptr 0
		.amdhsa_user_sgpr_queue_ptr 0
		.amdhsa_user_sgpr_kernarg_segment_ptr 1
		.amdhsa_user_sgpr_dispatch_id 0
		.amdhsa_user_sgpr_private_segment_size 0
		.amdhsa_wavefront_size32 1
		.amdhsa_uses_dynamic_stack 0
		.amdhsa_enable_private_segment 0
		.amdhsa_system_sgpr_workgroup_id_x 1
		.amdhsa_system_sgpr_workgroup_id_y 0
		.amdhsa_system_sgpr_workgroup_id_z 0
		.amdhsa_system_sgpr_workgroup_info 0
		.amdhsa_system_vgpr_workitem_id 0
		.amdhsa_next_free_vgpr 1
		.amdhsa_next_free_sgpr 1
		.amdhsa_reserve_vcc 0
		.amdhsa_float_round_mode_32 0
		.amdhsa_float_round_mode_16_64 0
		.amdhsa_float_denorm_mode_32 3
		.amdhsa_float_denorm_mode_16_64 3
		.amdhsa_dx10_clamp 1
		.amdhsa_ieee_mode 1
		.amdhsa_fp16_overflow 0
		.amdhsa_workgroup_processor_mode 1
		.amdhsa_memory_ordered 1
		.amdhsa_forward_progress 0
		.amdhsa_shared_vgpr_count 0
		.amdhsa_exception_fp_ieee_invalid_op 0
		.amdhsa_exception_fp_denorm_src 0
		.amdhsa_exception_fp_ieee_div_zero 0
		.amdhsa_exception_fp_ieee_overflow 0
		.amdhsa_exception_fp_ieee_underflow 0
		.amdhsa_exception_fp_ieee_inexact 0
		.amdhsa_exception_int_div_zero 0
	.end_amdhsa_kernel
	.section	.text._ZN7rocprim17ROCPRIM_400000_NS6detail17trampoline_kernelINS0_14default_configENS1_25partition_config_selectorILNS1_17partition_subalgoE5ElNS0_10empty_typeEbEEZZNS1_14partition_implILS5_5ELb0ES3_mN6hipcub16HIPCUB_304000_NS21CountingInputIteratorIllEEPS6_NSA_22TransformInputIteratorIbN2at6native12_GLOBAL__N_19NonZeroOpIlEEPKllEENS0_5tupleIJPlS6_EEENSN_IJSD_SD_EEES6_PiJS6_EEE10hipError_tPvRmT3_T4_T5_T6_T7_T9_mT8_P12ihipStream_tbDpT10_ENKUlT_T0_E_clISt17integral_constantIbLb0EES1B_EEDaS16_S17_EUlS16_E_NS1_11comp_targetILNS1_3genE5ELNS1_11target_archE942ELNS1_3gpuE9ELNS1_3repE0EEENS1_30default_config_static_selectorELNS0_4arch9wavefront6targetE0EEEvT1_,"axG",@progbits,_ZN7rocprim17ROCPRIM_400000_NS6detail17trampoline_kernelINS0_14default_configENS1_25partition_config_selectorILNS1_17partition_subalgoE5ElNS0_10empty_typeEbEEZZNS1_14partition_implILS5_5ELb0ES3_mN6hipcub16HIPCUB_304000_NS21CountingInputIteratorIllEEPS6_NSA_22TransformInputIteratorIbN2at6native12_GLOBAL__N_19NonZeroOpIlEEPKllEENS0_5tupleIJPlS6_EEENSN_IJSD_SD_EEES6_PiJS6_EEE10hipError_tPvRmT3_T4_T5_T6_T7_T9_mT8_P12ihipStream_tbDpT10_ENKUlT_T0_E_clISt17integral_constantIbLb0EES1B_EEDaS16_S17_EUlS16_E_NS1_11comp_targetILNS1_3genE5ELNS1_11target_archE942ELNS1_3gpuE9ELNS1_3repE0EEENS1_30default_config_static_selectorELNS0_4arch9wavefront6targetE0EEEvT1_,comdat
.Lfunc_end255:
	.size	_ZN7rocprim17ROCPRIM_400000_NS6detail17trampoline_kernelINS0_14default_configENS1_25partition_config_selectorILNS1_17partition_subalgoE5ElNS0_10empty_typeEbEEZZNS1_14partition_implILS5_5ELb0ES3_mN6hipcub16HIPCUB_304000_NS21CountingInputIteratorIllEEPS6_NSA_22TransformInputIteratorIbN2at6native12_GLOBAL__N_19NonZeroOpIlEEPKllEENS0_5tupleIJPlS6_EEENSN_IJSD_SD_EEES6_PiJS6_EEE10hipError_tPvRmT3_T4_T5_T6_T7_T9_mT8_P12ihipStream_tbDpT10_ENKUlT_T0_E_clISt17integral_constantIbLb0EES1B_EEDaS16_S17_EUlS16_E_NS1_11comp_targetILNS1_3genE5ELNS1_11target_archE942ELNS1_3gpuE9ELNS1_3repE0EEENS1_30default_config_static_selectorELNS0_4arch9wavefront6targetE0EEEvT1_, .Lfunc_end255-_ZN7rocprim17ROCPRIM_400000_NS6detail17trampoline_kernelINS0_14default_configENS1_25partition_config_selectorILNS1_17partition_subalgoE5ElNS0_10empty_typeEbEEZZNS1_14partition_implILS5_5ELb0ES3_mN6hipcub16HIPCUB_304000_NS21CountingInputIteratorIllEEPS6_NSA_22TransformInputIteratorIbN2at6native12_GLOBAL__N_19NonZeroOpIlEEPKllEENS0_5tupleIJPlS6_EEENSN_IJSD_SD_EEES6_PiJS6_EEE10hipError_tPvRmT3_T4_T5_T6_T7_T9_mT8_P12ihipStream_tbDpT10_ENKUlT_T0_E_clISt17integral_constantIbLb0EES1B_EEDaS16_S17_EUlS16_E_NS1_11comp_targetILNS1_3genE5ELNS1_11target_archE942ELNS1_3gpuE9ELNS1_3repE0EEENS1_30default_config_static_selectorELNS0_4arch9wavefront6targetE0EEEvT1_
                                        ; -- End function
	.section	.AMDGPU.csdata,"",@progbits
; Kernel info:
; codeLenInByte = 0
; NumSgprs: 0
; NumVgprs: 0
; ScratchSize: 0
; MemoryBound: 0
; FloatMode: 240
; IeeeMode: 1
; LDSByteSize: 0 bytes/workgroup (compile time only)
; SGPRBlocks: 0
; VGPRBlocks: 0
; NumSGPRsForWavesPerEU: 1
; NumVGPRsForWavesPerEU: 1
; Occupancy: 16
; WaveLimiterHint : 0
; COMPUTE_PGM_RSRC2:SCRATCH_EN: 0
; COMPUTE_PGM_RSRC2:USER_SGPR: 15
; COMPUTE_PGM_RSRC2:TRAP_HANDLER: 0
; COMPUTE_PGM_RSRC2:TGID_X_EN: 1
; COMPUTE_PGM_RSRC2:TGID_Y_EN: 0
; COMPUTE_PGM_RSRC2:TGID_Z_EN: 0
; COMPUTE_PGM_RSRC2:TIDIG_COMP_CNT: 0
	.section	.text._ZN7rocprim17ROCPRIM_400000_NS6detail17trampoline_kernelINS0_14default_configENS1_25partition_config_selectorILNS1_17partition_subalgoE5ElNS0_10empty_typeEbEEZZNS1_14partition_implILS5_5ELb0ES3_mN6hipcub16HIPCUB_304000_NS21CountingInputIteratorIllEEPS6_NSA_22TransformInputIteratorIbN2at6native12_GLOBAL__N_19NonZeroOpIlEEPKllEENS0_5tupleIJPlS6_EEENSN_IJSD_SD_EEES6_PiJS6_EEE10hipError_tPvRmT3_T4_T5_T6_T7_T9_mT8_P12ihipStream_tbDpT10_ENKUlT_T0_E_clISt17integral_constantIbLb0EES1B_EEDaS16_S17_EUlS16_E_NS1_11comp_targetILNS1_3genE4ELNS1_11target_archE910ELNS1_3gpuE8ELNS1_3repE0EEENS1_30default_config_static_selectorELNS0_4arch9wavefront6targetE0EEEvT1_,"axG",@progbits,_ZN7rocprim17ROCPRIM_400000_NS6detail17trampoline_kernelINS0_14default_configENS1_25partition_config_selectorILNS1_17partition_subalgoE5ElNS0_10empty_typeEbEEZZNS1_14partition_implILS5_5ELb0ES3_mN6hipcub16HIPCUB_304000_NS21CountingInputIteratorIllEEPS6_NSA_22TransformInputIteratorIbN2at6native12_GLOBAL__N_19NonZeroOpIlEEPKllEENS0_5tupleIJPlS6_EEENSN_IJSD_SD_EEES6_PiJS6_EEE10hipError_tPvRmT3_T4_T5_T6_T7_T9_mT8_P12ihipStream_tbDpT10_ENKUlT_T0_E_clISt17integral_constantIbLb0EES1B_EEDaS16_S17_EUlS16_E_NS1_11comp_targetILNS1_3genE4ELNS1_11target_archE910ELNS1_3gpuE8ELNS1_3repE0EEENS1_30default_config_static_selectorELNS0_4arch9wavefront6targetE0EEEvT1_,comdat
	.globl	_ZN7rocprim17ROCPRIM_400000_NS6detail17trampoline_kernelINS0_14default_configENS1_25partition_config_selectorILNS1_17partition_subalgoE5ElNS0_10empty_typeEbEEZZNS1_14partition_implILS5_5ELb0ES3_mN6hipcub16HIPCUB_304000_NS21CountingInputIteratorIllEEPS6_NSA_22TransformInputIteratorIbN2at6native12_GLOBAL__N_19NonZeroOpIlEEPKllEENS0_5tupleIJPlS6_EEENSN_IJSD_SD_EEES6_PiJS6_EEE10hipError_tPvRmT3_T4_T5_T6_T7_T9_mT8_P12ihipStream_tbDpT10_ENKUlT_T0_E_clISt17integral_constantIbLb0EES1B_EEDaS16_S17_EUlS16_E_NS1_11comp_targetILNS1_3genE4ELNS1_11target_archE910ELNS1_3gpuE8ELNS1_3repE0EEENS1_30default_config_static_selectorELNS0_4arch9wavefront6targetE0EEEvT1_ ; -- Begin function _ZN7rocprim17ROCPRIM_400000_NS6detail17trampoline_kernelINS0_14default_configENS1_25partition_config_selectorILNS1_17partition_subalgoE5ElNS0_10empty_typeEbEEZZNS1_14partition_implILS5_5ELb0ES3_mN6hipcub16HIPCUB_304000_NS21CountingInputIteratorIllEEPS6_NSA_22TransformInputIteratorIbN2at6native12_GLOBAL__N_19NonZeroOpIlEEPKllEENS0_5tupleIJPlS6_EEENSN_IJSD_SD_EEES6_PiJS6_EEE10hipError_tPvRmT3_T4_T5_T6_T7_T9_mT8_P12ihipStream_tbDpT10_ENKUlT_T0_E_clISt17integral_constantIbLb0EES1B_EEDaS16_S17_EUlS16_E_NS1_11comp_targetILNS1_3genE4ELNS1_11target_archE910ELNS1_3gpuE8ELNS1_3repE0EEENS1_30default_config_static_selectorELNS0_4arch9wavefront6targetE0EEEvT1_
	.p2align	8
	.type	_ZN7rocprim17ROCPRIM_400000_NS6detail17trampoline_kernelINS0_14default_configENS1_25partition_config_selectorILNS1_17partition_subalgoE5ElNS0_10empty_typeEbEEZZNS1_14partition_implILS5_5ELb0ES3_mN6hipcub16HIPCUB_304000_NS21CountingInputIteratorIllEEPS6_NSA_22TransformInputIteratorIbN2at6native12_GLOBAL__N_19NonZeroOpIlEEPKllEENS0_5tupleIJPlS6_EEENSN_IJSD_SD_EEES6_PiJS6_EEE10hipError_tPvRmT3_T4_T5_T6_T7_T9_mT8_P12ihipStream_tbDpT10_ENKUlT_T0_E_clISt17integral_constantIbLb0EES1B_EEDaS16_S17_EUlS16_E_NS1_11comp_targetILNS1_3genE4ELNS1_11target_archE910ELNS1_3gpuE8ELNS1_3repE0EEENS1_30default_config_static_selectorELNS0_4arch9wavefront6targetE0EEEvT1_,@function
_ZN7rocprim17ROCPRIM_400000_NS6detail17trampoline_kernelINS0_14default_configENS1_25partition_config_selectorILNS1_17partition_subalgoE5ElNS0_10empty_typeEbEEZZNS1_14partition_implILS5_5ELb0ES3_mN6hipcub16HIPCUB_304000_NS21CountingInputIteratorIllEEPS6_NSA_22TransformInputIteratorIbN2at6native12_GLOBAL__N_19NonZeroOpIlEEPKllEENS0_5tupleIJPlS6_EEENSN_IJSD_SD_EEES6_PiJS6_EEE10hipError_tPvRmT3_T4_T5_T6_T7_T9_mT8_P12ihipStream_tbDpT10_ENKUlT_T0_E_clISt17integral_constantIbLb0EES1B_EEDaS16_S17_EUlS16_E_NS1_11comp_targetILNS1_3genE4ELNS1_11target_archE910ELNS1_3gpuE8ELNS1_3repE0EEENS1_30default_config_static_selectorELNS0_4arch9wavefront6targetE0EEEvT1_: ; @_ZN7rocprim17ROCPRIM_400000_NS6detail17trampoline_kernelINS0_14default_configENS1_25partition_config_selectorILNS1_17partition_subalgoE5ElNS0_10empty_typeEbEEZZNS1_14partition_implILS5_5ELb0ES3_mN6hipcub16HIPCUB_304000_NS21CountingInputIteratorIllEEPS6_NSA_22TransformInputIteratorIbN2at6native12_GLOBAL__N_19NonZeroOpIlEEPKllEENS0_5tupleIJPlS6_EEENSN_IJSD_SD_EEES6_PiJS6_EEE10hipError_tPvRmT3_T4_T5_T6_T7_T9_mT8_P12ihipStream_tbDpT10_ENKUlT_T0_E_clISt17integral_constantIbLb0EES1B_EEDaS16_S17_EUlS16_E_NS1_11comp_targetILNS1_3genE4ELNS1_11target_archE910ELNS1_3gpuE8ELNS1_3repE0EEENS1_30default_config_static_selectorELNS0_4arch9wavefront6targetE0EEEvT1_
; %bb.0:
	.section	.rodata,"a",@progbits
	.p2align	6, 0x0
	.amdhsa_kernel _ZN7rocprim17ROCPRIM_400000_NS6detail17trampoline_kernelINS0_14default_configENS1_25partition_config_selectorILNS1_17partition_subalgoE5ElNS0_10empty_typeEbEEZZNS1_14partition_implILS5_5ELb0ES3_mN6hipcub16HIPCUB_304000_NS21CountingInputIteratorIllEEPS6_NSA_22TransformInputIteratorIbN2at6native12_GLOBAL__N_19NonZeroOpIlEEPKllEENS0_5tupleIJPlS6_EEENSN_IJSD_SD_EEES6_PiJS6_EEE10hipError_tPvRmT3_T4_T5_T6_T7_T9_mT8_P12ihipStream_tbDpT10_ENKUlT_T0_E_clISt17integral_constantIbLb0EES1B_EEDaS16_S17_EUlS16_E_NS1_11comp_targetILNS1_3genE4ELNS1_11target_archE910ELNS1_3gpuE8ELNS1_3repE0EEENS1_30default_config_static_selectorELNS0_4arch9wavefront6targetE0EEEvT1_
		.amdhsa_group_segment_fixed_size 0
		.amdhsa_private_segment_fixed_size 0
		.amdhsa_kernarg_size 120
		.amdhsa_user_sgpr_count 15
		.amdhsa_user_sgpr_dispatch_ptr 0
		.amdhsa_user_sgpr_queue_ptr 0
		.amdhsa_user_sgpr_kernarg_segment_ptr 1
		.amdhsa_user_sgpr_dispatch_id 0
		.amdhsa_user_sgpr_private_segment_size 0
		.amdhsa_wavefront_size32 1
		.amdhsa_uses_dynamic_stack 0
		.amdhsa_enable_private_segment 0
		.amdhsa_system_sgpr_workgroup_id_x 1
		.amdhsa_system_sgpr_workgroup_id_y 0
		.amdhsa_system_sgpr_workgroup_id_z 0
		.amdhsa_system_sgpr_workgroup_info 0
		.amdhsa_system_vgpr_workitem_id 0
		.amdhsa_next_free_vgpr 1
		.amdhsa_next_free_sgpr 1
		.amdhsa_reserve_vcc 0
		.amdhsa_float_round_mode_32 0
		.amdhsa_float_round_mode_16_64 0
		.amdhsa_float_denorm_mode_32 3
		.amdhsa_float_denorm_mode_16_64 3
		.amdhsa_dx10_clamp 1
		.amdhsa_ieee_mode 1
		.amdhsa_fp16_overflow 0
		.amdhsa_workgroup_processor_mode 1
		.amdhsa_memory_ordered 1
		.amdhsa_forward_progress 0
		.amdhsa_shared_vgpr_count 0
		.amdhsa_exception_fp_ieee_invalid_op 0
		.amdhsa_exception_fp_denorm_src 0
		.amdhsa_exception_fp_ieee_div_zero 0
		.amdhsa_exception_fp_ieee_overflow 0
		.amdhsa_exception_fp_ieee_underflow 0
		.amdhsa_exception_fp_ieee_inexact 0
		.amdhsa_exception_int_div_zero 0
	.end_amdhsa_kernel
	.section	.text._ZN7rocprim17ROCPRIM_400000_NS6detail17trampoline_kernelINS0_14default_configENS1_25partition_config_selectorILNS1_17partition_subalgoE5ElNS0_10empty_typeEbEEZZNS1_14partition_implILS5_5ELb0ES3_mN6hipcub16HIPCUB_304000_NS21CountingInputIteratorIllEEPS6_NSA_22TransformInputIteratorIbN2at6native12_GLOBAL__N_19NonZeroOpIlEEPKllEENS0_5tupleIJPlS6_EEENSN_IJSD_SD_EEES6_PiJS6_EEE10hipError_tPvRmT3_T4_T5_T6_T7_T9_mT8_P12ihipStream_tbDpT10_ENKUlT_T0_E_clISt17integral_constantIbLb0EES1B_EEDaS16_S17_EUlS16_E_NS1_11comp_targetILNS1_3genE4ELNS1_11target_archE910ELNS1_3gpuE8ELNS1_3repE0EEENS1_30default_config_static_selectorELNS0_4arch9wavefront6targetE0EEEvT1_,"axG",@progbits,_ZN7rocprim17ROCPRIM_400000_NS6detail17trampoline_kernelINS0_14default_configENS1_25partition_config_selectorILNS1_17partition_subalgoE5ElNS0_10empty_typeEbEEZZNS1_14partition_implILS5_5ELb0ES3_mN6hipcub16HIPCUB_304000_NS21CountingInputIteratorIllEEPS6_NSA_22TransformInputIteratorIbN2at6native12_GLOBAL__N_19NonZeroOpIlEEPKllEENS0_5tupleIJPlS6_EEENSN_IJSD_SD_EEES6_PiJS6_EEE10hipError_tPvRmT3_T4_T5_T6_T7_T9_mT8_P12ihipStream_tbDpT10_ENKUlT_T0_E_clISt17integral_constantIbLb0EES1B_EEDaS16_S17_EUlS16_E_NS1_11comp_targetILNS1_3genE4ELNS1_11target_archE910ELNS1_3gpuE8ELNS1_3repE0EEENS1_30default_config_static_selectorELNS0_4arch9wavefront6targetE0EEEvT1_,comdat
.Lfunc_end256:
	.size	_ZN7rocprim17ROCPRIM_400000_NS6detail17trampoline_kernelINS0_14default_configENS1_25partition_config_selectorILNS1_17partition_subalgoE5ElNS0_10empty_typeEbEEZZNS1_14partition_implILS5_5ELb0ES3_mN6hipcub16HIPCUB_304000_NS21CountingInputIteratorIllEEPS6_NSA_22TransformInputIteratorIbN2at6native12_GLOBAL__N_19NonZeroOpIlEEPKllEENS0_5tupleIJPlS6_EEENSN_IJSD_SD_EEES6_PiJS6_EEE10hipError_tPvRmT3_T4_T5_T6_T7_T9_mT8_P12ihipStream_tbDpT10_ENKUlT_T0_E_clISt17integral_constantIbLb0EES1B_EEDaS16_S17_EUlS16_E_NS1_11comp_targetILNS1_3genE4ELNS1_11target_archE910ELNS1_3gpuE8ELNS1_3repE0EEENS1_30default_config_static_selectorELNS0_4arch9wavefront6targetE0EEEvT1_, .Lfunc_end256-_ZN7rocprim17ROCPRIM_400000_NS6detail17trampoline_kernelINS0_14default_configENS1_25partition_config_selectorILNS1_17partition_subalgoE5ElNS0_10empty_typeEbEEZZNS1_14partition_implILS5_5ELb0ES3_mN6hipcub16HIPCUB_304000_NS21CountingInputIteratorIllEEPS6_NSA_22TransformInputIteratorIbN2at6native12_GLOBAL__N_19NonZeroOpIlEEPKllEENS0_5tupleIJPlS6_EEENSN_IJSD_SD_EEES6_PiJS6_EEE10hipError_tPvRmT3_T4_T5_T6_T7_T9_mT8_P12ihipStream_tbDpT10_ENKUlT_T0_E_clISt17integral_constantIbLb0EES1B_EEDaS16_S17_EUlS16_E_NS1_11comp_targetILNS1_3genE4ELNS1_11target_archE910ELNS1_3gpuE8ELNS1_3repE0EEENS1_30default_config_static_selectorELNS0_4arch9wavefront6targetE0EEEvT1_
                                        ; -- End function
	.section	.AMDGPU.csdata,"",@progbits
; Kernel info:
; codeLenInByte = 0
; NumSgprs: 0
; NumVgprs: 0
; ScratchSize: 0
; MemoryBound: 0
; FloatMode: 240
; IeeeMode: 1
; LDSByteSize: 0 bytes/workgroup (compile time only)
; SGPRBlocks: 0
; VGPRBlocks: 0
; NumSGPRsForWavesPerEU: 1
; NumVGPRsForWavesPerEU: 1
; Occupancy: 15
; WaveLimiterHint : 0
; COMPUTE_PGM_RSRC2:SCRATCH_EN: 0
; COMPUTE_PGM_RSRC2:USER_SGPR: 15
; COMPUTE_PGM_RSRC2:TRAP_HANDLER: 0
; COMPUTE_PGM_RSRC2:TGID_X_EN: 1
; COMPUTE_PGM_RSRC2:TGID_Y_EN: 0
; COMPUTE_PGM_RSRC2:TGID_Z_EN: 0
; COMPUTE_PGM_RSRC2:TIDIG_COMP_CNT: 0
	.section	.text._ZN7rocprim17ROCPRIM_400000_NS6detail17trampoline_kernelINS0_14default_configENS1_25partition_config_selectorILNS1_17partition_subalgoE5ElNS0_10empty_typeEbEEZZNS1_14partition_implILS5_5ELb0ES3_mN6hipcub16HIPCUB_304000_NS21CountingInputIteratorIllEEPS6_NSA_22TransformInputIteratorIbN2at6native12_GLOBAL__N_19NonZeroOpIlEEPKllEENS0_5tupleIJPlS6_EEENSN_IJSD_SD_EEES6_PiJS6_EEE10hipError_tPvRmT3_T4_T5_T6_T7_T9_mT8_P12ihipStream_tbDpT10_ENKUlT_T0_E_clISt17integral_constantIbLb0EES1B_EEDaS16_S17_EUlS16_E_NS1_11comp_targetILNS1_3genE3ELNS1_11target_archE908ELNS1_3gpuE7ELNS1_3repE0EEENS1_30default_config_static_selectorELNS0_4arch9wavefront6targetE0EEEvT1_,"axG",@progbits,_ZN7rocprim17ROCPRIM_400000_NS6detail17trampoline_kernelINS0_14default_configENS1_25partition_config_selectorILNS1_17partition_subalgoE5ElNS0_10empty_typeEbEEZZNS1_14partition_implILS5_5ELb0ES3_mN6hipcub16HIPCUB_304000_NS21CountingInputIteratorIllEEPS6_NSA_22TransformInputIteratorIbN2at6native12_GLOBAL__N_19NonZeroOpIlEEPKllEENS0_5tupleIJPlS6_EEENSN_IJSD_SD_EEES6_PiJS6_EEE10hipError_tPvRmT3_T4_T5_T6_T7_T9_mT8_P12ihipStream_tbDpT10_ENKUlT_T0_E_clISt17integral_constantIbLb0EES1B_EEDaS16_S17_EUlS16_E_NS1_11comp_targetILNS1_3genE3ELNS1_11target_archE908ELNS1_3gpuE7ELNS1_3repE0EEENS1_30default_config_static_selectorELNS0_4arch9wavefront6targetE0EEEvT1_,comdat
	.globl	_ZN7rocprim17ROCPRIM_400000_NS6detail17trampoline_kernelINS0_14default_configENS1_25partition_config_selectorILNS1_17partition_subalgoE5ElNS0_10empty_typeEbEEZZNS1_14partition_implILS5_5ELb0ES3_mN6hipcub16HIPCUB_304000_NS21CountingInputIteratorIllEEPS6_NSA_22TransformInputIteratorIbN2at6native12_GLOBAL__N_19NonZeroOpIlEEPKllEENS0_5tupleIJPlS6_EEENSN_IJSD_SD_EEES6_PiJS6_EEE10hipError_tPvRmT3_T4_T5_T6_T7_T9_mT8_P12ihipStream_tbDpT10_ENKUlT_T0_E_clISt17integral_constantIbLb0EES1B_EEDaS16_S17_EUlS16_E_NS1_11comp_targetILNS1_3genE3ELNS1_11target_archE908ELNS1_3gpuE7ELNS1_3repE0EEENS1_30default_config_static_selectorELNS0_4arch9wavefront6targetE0EEEvT1_ ; -- Begin function _ZN7rocprim17ROCPRIM_400000_NS6detail17trampoline_kernelINS0_14default_configENS1_25partition_config_selectorILNS1_17partition_subalgoE5ElNS0_10empty_typeEbEEZZNS1_14partition_implILS5_5ELb0ES3_mN6hipcub16HIPCUB_304000_NS21CountingInputIteratorIllEEPS6_NSA_22TransformInputIteratorIbN2at6native12_GLOBAL__N_19NonZeroOpIlEEPKllEENS0_5tupleIJPlS6_EEENSN_IJSD_SD_EEES6_PiJS6_EEE10hipError_tPvRmT3_T4_T5_T6_T7_T9_mT8_P12ihipStream_tbDpT10_ENKUlT_T0_E_clISt17integral_constantIbLb0EES1B_EEDaS16_S17_EUlS16_E_NS1_11comp_targetILNS1_3genE3ELNS1_11target_archE908ELNS1_3gpuE7ELNS1_3repE0EEENS1_30default_config_static_selectorELNS0_4arch9wavefront6targetE0EEEvT1_
	.p2align	8
	.type	_ZN7rocprim17ROCPRIM_400000_NS6detail17trampoline_kernelINS0_14default_configENS1_25partition_config_selectorILNS1_17partition_subalgoE5ElNS0_10empty_typeEbEEZZNS1_14partition_implILS5_5ELb0ES3_mN6hipcub16HIPCUB_304000_NS21CountingInputIteratorIllEEPS6_NSA_22TransformInputIteratorIbN2at6native12_GLOBAL__N_19NonZeroOpIlEEPKllEENS0_5tupleIJPlS6_EEENSN_IJSD_SD_EEES6_PiJS6_EEE10hipError_tPvRmT3_T4_T5_T6_T7_T9_mT8_P12ihipStream_tbDpT10_ENKUlT_T0_E_clISt17integral_constantIbLb0EES1B_EEDaS16_S17_EUlS16_E_NS1_11comp_targetILNS1_3genE3ELNS1_11target_archE908ELNS1_3gpuE7ELNS1_3repE0EEENS1_30default_config_static_selectorELNS0_4arch9wavefront6targetE0EEEvT1_,@function
_ZN7rocprim17ROCPRIM_400000_NS6detail17trampoline_kernelINS0_14default_configENS1_25partition_config_selectorILNS1_17partition_subalgoE5ElNS0_10empty_typeEbEEZZNS1_14partition_implILS5_5ELb0ES3_mN6hipcub16HIPCUB_304000_NS21CountingInputIteratorIllEEPS6_NSA_22TransformInputIteratorIbN2at6native12_GLOBAL__N_19NonZeroOpIlEEPKllEENS0_5tupleIJPlS6_EEENSN_IJSD_SD_EEES6_PiJS6_EEE10hipError_tPvRmT3_T4_T5_T6_T7_T9_mT8_P12ihipStream_tbDpT10_ENKUlT_T0_E_clISt17integral_constantIbLb0EES1B_EEDaS16_S17_EUlS16_E_NS1_11comp_targetILNS1_3genE3ELNS1_11target_archE908ELNS1_3gpuE7ELNS1_3repE0EEENS1_30default_config_static_selectorELNS0_4arch9wavefront6targetE0EEEvT1_: ; @_ZN7rocprim17ROCPRIM_400000_NS6detail17trampoline_kernelINS0_14default_configENS1_25partition_config_selectorILNS1_17partition_subalgoE5ElNS0_10empty_typeEbEEZZNS1_14partition_implILS5_5ELb0ES3_mN6hipcub16HIPCUB_304000_NS21CountingInputIteratorIllEEPS6_NSA_22TransformInputIteratorIbN2at6native12_GLOBAL__N_19NonZeroOpIlEEPKllEENS0_5tupleIJPlS6_EEENSN_IJSD_SD_EEES6_PiJS6_EEE10hipError_tPvRmT3_T4_T5_T6_T7_T9_mT8_P12ihipStream_tbDpT10_ENKUlT_T0_E_clISt17integral_constantIbLb0EES1B_EEDaS16_S17_EUlS16_E_NS1_11comp_targetILNS1_3genE3ELNS1_11target_archE908ELNS1_3gpuE7ELNS1_3repE0EEENS1_30default_config_static_selectorELNS0_4arch9wavefront6targetE0EEEvT1_
; %bb.0:
	.section	.rodata,"a",@progbits
	.p2align	6, 0x0
	.amdhsa_kernel _ZN7rocprim17ROCPRIM_400000_NS6detail17trampoline_kernelINS0_14default_configENS1_25partition_config_selectorILNS1_17partition_subalgoE5ElNS0_10empty_typeEbEEZZNS1_14partition_implILS5_5ELb0ES3_mN6hipcub16HIPCUB_304000_NS21CountingInputIteratorIllEEPS6_NSA_22TransformInputIteratorIbN2at6native12_GLOBAL__N_19NonZeroOpIlEEPKllEENS0_5tupleIJPlS6_EEENSN_IJSD_SD_EEES6_PiJS6_EEE10hipError_tPvRmT3_T4_T5_T6_T7_T9_mT8_P12ihipStream_tbDpT10_ENKUlT_T0_E_clISt17integral_constantIbLb0EES1B_EEDaS16_S17_EUlS16_E_NS1_11comp_targetILNS1_3genE3ELNS1_11target_archE908ELNS1_3gpuE7ELNS1_3repE0EEENS1_30default_config_static_selectorELNS0_4arch9wavefront6targetE0EEEvT1_
		.amdhsa_group_segment_fixed_size 0
		.amdhsa_private_segment_fixed_size 0
		.amdhsa_kernarg_size 120
		.amdhsa_user_sgpr_count 15
		.amdhsa_user_sgpr_dispatch_ptr 0
		.amdhsa_user_sgpr_queue_ptr 0
		.amdhsa_user_sgpr_kernarg_segment_ptr 1
		.amdhsa_user_sgpr_dispatch_id 0
		.amdhsa_user_sgpr_private_segment_size 0
		.amdhsa_wavefront_size32 1
		.amdhsa_uses_dynamic_stack 0
		.amdhsa_enable_private_segment 0
		.amdhsa_system_sgpr_workgroup_id_x 1
		.amdhsa_system_sgpr_workgroup_id_y 0
		.amdhsa_system_sgpr_workgroup_id_z 0
		.amdhsa_system_sgpr_workgroup_info 0
		.amdhsa_system_vgpr_workitem_id 0
		.amdhsa_next_free_vgpr 1
		.amdhsa_next_free_sgpr 1
		.amdhsa_reserve_vcc 0
		.amdhsa_float_round_mode_32 0
		.amdhsa_float_round_mode_16_64 0
		.amdhsa_float_denorm_mode_32 3
		.amdhsa_float_denorm_mode_16_64 3
		.amdhsa_dx10_clamp 1
		.amdhsa_ieee_mode 1
		.amdhsa_fp16_overflow 0
		.amdhsa_workgroup_processor_mode 1
		.amdhsa_memory_ordered 1
		.amdhsa_forward_progress 0
		.amdhsa_shared_vgpr_count 0
		.amdhsa_exception_fp_ieee_invalid_op 0
		.amdhsa_exception_fp_denorm_src 0
		.amdhsa_exception_fp_ieee_div_zero 0
		.amdhsa_exception_fp_ieee_overflow 0
		.amdhsa_exception_fp_ieee_underflow 0
		.amdhsa_exception_fp_ieee_inexact 0
		.amdhsa_exception_int_div_zero 0
	.end_amdhsa_kernel
	.section	.text._ZN7rocprim17ROCPRIM_400000_NS6detail17trampoline_kernelINS0_14default_configENS1_25partition_config_selectorILNS1_17partition_subalgoE5ElNS0_10empty_typeEbEEZZNS1_14partition_implILS5_5ELb0ES3_mN6hipcub16HIPCUB_304000_NS21CountingInputIteratorIllEEPS6_NSA_22TransformInputIteratorIbN2at6native12_GLOBAL__N_19NonZeroOpIlEEPKllEENS0_5tupleIJPlS6_EEENSN_IJSD_SD_EEES6_PiJS6_EEE10hipError_tPvRmT3_T4_T5_T6_T7_T9_mT8_P12ihipStream_tbDpT10_ENKUlT_T0_E_clISt17integral_constantIbLb0EES1B_EEDaS16_S17_EUlS16_E_NS1_11comp_targetILNS1_3genE3ELNS1_11target_archE908ELNS1_3gpuE7ELNS1_3repE0EEENS1_30default_config_static_selectorELNS0_4arch9wavefront6targetE0EEEvT1_,"axG",@progbits,_ZN7rocprim17ROCPRIM_400000_NS6detail17trampoline_kernelINS0_14default_configENS1_25partition_config_selectorILNS1_17partition_subalgoE5ElNS0_10empty_typeEbEEZZNS1_14partition_implILS5_5ELb0ES3_mN6hipcub16HIPCUB_304000_NS21CountingInputIteratorIllEEPS6_NSA_22TransformInputIteratorIbN2at6native12_GLOBAL__N_19NonZeroOpIlEEPKllEENS0_5tupleIJPlS6_EEENSN_IJSD_SD_EEES6_PiJS6_EEE10hipError_tPvRmT3_T4_T5_T6_T7_T9_mT8_P12ihipStream_tbDpT10_ENKUlT_T0_E_clISt17integral_constantIbLb0EES1B_EEDaS16_S17_EUlS16_E_NS1_11comp_targetILNS1_3genE3ELNS1_11target_archE908ELNS1_3gpuE7ELNS1_3repE0EEENS1_30default_config_static_selectorELNS0_4arch9wavefront6targetE0EEEvT1_,comdat
.Lfunc_end257:
	.size	_ZN7rocprim17ROCPRIM_400000_NS6detail17trampoline_kernelINS0_14default_configENS1_25partition_config_selectorILNS1_17partition_subalgoE5ElNS0_10empty_typeEbEEZZNS1_14partition_implILS5_5ELb0ES3_mN6hipcub16HIPCUB_304000_NS21CountingInputIteratorIllEEPS6_NSA_22TransformInputIteratorIbN2at6native12_GLOBAL__N_19NonZeroOpIlEEPKllEENS0_5tupleIJPlS6_EEENSN_IJSD_SD_EEES6_PiJS6_EEE10hipError_tPvRmT3_T4_T5_T6_T7_T9_mT8_P12ihipStream_tbDpT10_ENKUlT_T0_E_clISt17integral_constantIbLb0EES1B_EEDaS16_S17_EUlS16_E_NS1_11comp_targetILNS1_3genE3ELNS1_11target_archE908ELNS1_3gpuE7ELNS1_3repE0EEENS1_30default_config_static_selectorELNS0_4arch9wavefront6targetE0EEEvT1_, .Lfunc_end257-_ZN7rocprim17ROCPRIM_400000_NS6detail17trampoline_kernelINS0_14default_configENS1_25partition_config_selectorILNS1_17partition_subalgoE5ElNS0_10empty_typeEbEEZZNS1_14partition_implILS5_5ELb0ES3_mN6hipcub16HIPCUB_304000_NS21CountingInputIteratorIllEEPS6_NSA_22TransformInputIteratorIbN2at6native12_GLOBAL__N_19NonZeroOpIlEEPKllEENS0_5tupleIJPlS6_EEENSN_IJSD_SD_EEES6_PiJS6_EEE10hipError_tPvRmT3_T4_T5_T6_T7_T9_mT8_P12ihipStream_tbDpT10_ENKUlT_T0_E_clISt17integral_constantIbLb0EES1B_EEDaS16_S17_EUlS16_E_NS1_11comp_targetILNS1_3genE3ELNS1_11target_archE908ELNS1_3gpuE7ELNS1_3repE0EEENS1_30default_config_static_selectorELNS0_4arch9wavefront6targetE0EEEvT1_
                                        ; -- End function
	.section	.AMDGPU.csdata,"",@progbits
; Kernel info:
; codeLenInByte = 0
; NumSgprs: 0
; NumVgprs: 0
; ScratchSize: 0
; MemoryBound: 0
; FloatMode: 240
; IeeeMode: 1
; LDSByteSize: 0 bytes/workgroup (compile time only)
; SGPRBlocks: 0
; VGPRBlocks: 0
; NumSGPRsForWavesPerEU: 1
; NumVGPRsForWavesPerEU: 1
; Occupancy: 16
; WaveLimiterHint : 0
; COMPUTE_PGM_RSRC2:SCRATCH_EN: 0
; COMPUTE_PGM_RSRC2:USER_SGPR: 15
; COMPUTE_PGM_RSRC2:TRAP_HANDLER: 0
; COMPUTE_PGM_RSRC2:TGID_X_EN: 1
; COMPUTE_PGM_RSRC2:TGID_Y_EN: 0
; COMPUTE_PGM_RSRC2:TGID_Z_EN: 0
; COMPUTE_PGM_RSRC2:TIDIG_COMP_CNT: 0
	.section	.text._ZN7rocprim17ROCPRIM_400000_NS6detail17trampoline_kernelINS0_14default_configENS1_25partition_config_selectorILNS1_17partition_subalgoE5ElNS0_10empty_typeEbEEZZNS1_14partition_implILS5_5ELb0ES3_mN6hipcub16HIPCUB_304000_NS21CountingInputIteratorIllEEPS6_NSA_22TransformInputIteratorIbN2at6native12_GLOBAL__N_19NonZeroOpIlEEPKllEENS0_5tupleIJPlS6_EEENSN_IJSD_SD_EEES6_PiJS6_EEE10hipError_tPvRmT3_T4_T5_T6_T7_T9_mT8_P12ihipStream_tbDpT10_ENKUlT_T0_E_clISt17integral_constantIbLb0EES1B_EEDaS16_S17_EUlS16_E_NS1_11comp_targetILNS1_3genE2ELNS1_11target_archE906ELNS1_3gpuE6ELNS1_3repE0EEENS1_30default_config_static_selectorELNS0_4arch9wavefront6targetE0EEEvT1_,"axG",@progbits,_ZN7rocprim17ROCPRIM_400000_NS6detail17trampoline_kernelINS0_14default_configENS1_25partition_config_selectorILNS1_17partition_subalgoE5ElNS0_10empty_typeEbEEZZNS1_14partition_implILS5_5ELb0ES3_mN6hipcub16HIPCUB_304000_NS21CountingInputIteratorIllEEPS6_NSA_22TransformInputIteratorIbN2at6native12_GLOBAL__N_19NonZeroOpIlEEPKllEENS0_5tupleIJPlS6_EEENSN_IJSD_SD_EEES6_PiJS6_EEE10hipError_tPvRmT3_T4_T5_T6_T7_T9_mT8_P12ihipStream_tbDpT10_ENKUlT_T0_E_clISt17integral_constantIbLb0EES1B_EEDaS16_S17_EUlS16_E_NS1_11comp_targetILNS1_3genE2ELNS1_11target_archE906ELNS1_3gpuE6ELNS1_3repE0EEENS1_30default_config_static_selectorELNS0_4arch9wavefront6targetE0EEEvT1_,comdat
	.globl	_ZN7rocprim17ROCPRIM_400000_NS6detail17trampoline_kernelINS0_14default_configENS1_25partition_config_selectorILNS1_17partition_subalgoE5ElNS0_10empty_typeEbEEZZNS1_14partition_implILS5_5ELb0ES3_mN6hipcub16HIPCUB_304000_NS21CountingInputIteratorIllEEPS6_NSA_22TransformInputIteratorIbN2at6native12_GLOBAL__N_19NonZeroOpIlEEPKllEENS0_5tupleIJPlS6_EEENSN_IJSD_SD_EEES6_PiJS6_EEE10hipError_tPvRmT3_T4_T5_T6_T7_T9_mT8_P12ihipStream_tbDpT10_ENKUlT_T0_E_clISt17integral_constantIbLb0EES1B_EEDaS16_S17_EUlS16_E_NS1_11comp_targetILNS1_3genE2ELNS1_11target_archE906ELNS1_3gpuE6ELNS1_3repE0EEENS1_30default_config_static_selectorELNS0_4arch9wavefront6targetE0EEEvT1_ ; -- Begin function _ZN7rocprim17ROCPRIM_400000_NS6detail17trampoline_kernelINS0_14default_configENS1_25partition_config_selectorILNS1_17partition_subalgoE5ElNS0_10empty_typeEbEEZZNS1_14partition_implILS5_5ELb0ES3_mN6hipcub16HIPCUB_304000_NS21CountingInputIteratorIllEEPS6_NSA_22TransformInputIteratorIbN2at6native12_GLOBAL__N_19NonZeroOpIlEEPKllEENS0_5tupleIJPlS6_EEENSN_IJSD_SD_EEES6_PiJS6_EEE10hipError_tPvRmT3_T4_T5_T6_T7_T9_mT8_P12ihipStream_tbDpT10_ENKUlT_T0_E_clISt17integral_constantIbLb0EES1B_EEDaS16_S17_EUlS16_E_NS1_11comp_targetILNS1_3genE2ELNS1_11target_archE906ELNS1_3gpuE6ELNS1_3repE0EEENS1_30default_config_static_selectorELNS0_4arch9wavefront6targetE0EEEvT1_
	.p2align	8
	.type	_ZN7rocprim17ROCPRIM_400000_NS6detail17trampoline_kernelINS0_14default_configENS1_25partition_config_selectorILNS1_17partition_subalgoE5ElNS0_10empty_typeEbEEZZNS1_14partition_implILS5_5ELb0ES3_mN6hipcub16HIPCUB_304000_NS21CountingInputIteratorIllEEPS6_NSA_22TransformInputIteratorIbN2at6native12_GLOBAL__N_19NonZeroOpIlEEPKllEENS0_5tupleIJPlS6_EEENSN_IJSD_SD_EEES6_PiJS6_EEE10hipError_tPvRmT3_T4_T5_T6_T7_T9_mT8_P12ihipStream_tbDpT10_ENKUlT_T0_E_clISt17integral_constantIbLb0EES1B_EEDaS16_S17_EUlS16_E_NS1_11comp_targetILNS1_3genE2ELNS1_11target_archE906ELNS1_3gpuE6ELNS1_3repE0EEENS1_30default_config_static_selectorELNS0_4arch9wavefront6targetE0EEEvT1_,@function
_ZN7rocprim17ROCPRIM_400000_NS6detail17trampoline_kernelINS0_14default_configENS1_25partition_config_selectorILNS1_17partition_subalgoE5ElNS0_10empty_typeEbEEZZNS1_14partition_implILS5_5ELb0ES3_mN6hipcub16HIPCUB_304000_NS21CountingInputIteratorIllEEPS6_NSA_22TransformInputIteratorIbN2at6native12_GLOBAL__N_19NonZeroOpIlEEPKllEENS0_5tupleIJPlS6_EEENSN_IJSD_SD_EEES6_PiJS6_EEE10hipError_tPvRmT3_T4_T5_T6_T7_T9_mT8_P12ihipStream_tbDpT10_ENKUlT_T0_E_clISt17integral_constantIbLb0EES1B_EEDaS16_S17_EUlS16_E_NS1_11comp_targetILNS1_3genE2ELNS1_11target_archE906ELNS1_3gpuE6ELNS1_3repE0EEENS1_30default_config_static_selectorELNS0_4arch9wavefront6targetE0EEEvT1_: ; @_ZN7rocprim17ROCPRIM_400000_NS6detail17trampoline_kernelINS0_14default_configENS1_25partition_config_selectorILNS1_17partition_subalgoE5ElNS0_10empty_typeEbEEZZNS1_14partition_implILS5_5ELb0ES3_mN6hipcub16HIPCUB_304000_NS21CountingInputIteratorIllEEPS6_NSA_22TransformInputIteratorIbN2at6native12_GLOBAL__N_19NonZeroOpIlEEPKllEENS0_5tupleIJPlS6_EEENSN_IJSD_SD_EEES6_PiJS6_EEE10hipError_tPvRmT3_T4_T5_T6_T7_T9_mT8_P12ihipStream_tbDpT10_ENKUlT_T0_E_clISt17integral_constantIbLb0EES1B_EEDaS16_S17_EUlS16_E_NS1_11comp_targetILNS1_3genE2ELNS1_11target_archE906ELNS1_3gpuE6ELNS1_3repE0EEENS1_30default_config_static_selectorELNS0_4arch9wavefront6targetE0EEEvT1_
; %bb.0:
	.section	.rodata,"a",@progbits
	.p2align	6, 0x0
	.amdhsa_kernel _ZN7rocprim17ROCPRIM_400000_NS6detail17trampoline_kernelINS0_14default_configENS1_25partition_config_selectorILNS1_17partition_subalgoE5ElNS0_10empty_typeEbEEZZNS1_14partition_implILS5_5ELb0ES3_mN6hipcub16HIPCUB_304000_NS21CountingInputIteratorIllEEPS6_NSA_22TransformInputIteratorIbN2at6native12_GLOBAL__N_19NonZeroOpIlEEPKllEENS0_5tupleIJPlS6_EEENSN_IJSD_SD_EEES6_PiJS6_EEE10hipError_tPvRmT3_T4_T5_T6_T7_T9_mT8_P12ihipStream_tbDpT10_ENKUlT_T0_E_clISt17integral_constantIbLb0EES1B_EEDaS16_S17_EUlS16_E_NS1_11comp_targetILNS1_3genE2ELNS1_11target_archE906ELNS1_3gpuE6ELNS1_3repE0EEENS1_30default_config_static_selectorELNS0_4arch9wavefront6targetE0EEEvT1_
		.amdhsa_group_segment_fixed_size 0
		.amdhsa_private_segment_fixed_size 0
		.amdhsa_kernarg_size 120
		.amdhsa_user_sgpr_count 15
		.amdhsa_user_sgpr_dispatch_ptr 0
		.amdhsa_user_sgpr_queue_ptr 0
		.amdhsa_user_sgpr_kernarg_segment_ptr 1
		.amdhsa_user_sgpr_dispatch_id 0
		.amdhsa_user_sgpr_private_segment_size 0
		.amdhsa_wavefront_size32 1
		.amdhsa_uses_dynamic_stack 0
		.amdhsa_enable_private_segment 0
		.amdhsa_system_sgpr_workgroup_id_x 1
		.amdhsa_system_sgpr_workgroup_id_y 0
		.amdhsa_system_sgpr_workgroup_id_z 0
		.amdhsa_system_sgpr_workgroup_info 0
		.amdhsa_system_vgpr_workitem_id 0
		.amdhsa_next_free_vgpr 1
		.amdhsa_next_free_sgpr 1
		.amdhsa_reserve_vcc 0
		.amdhsa_float_round_mode_32 0
		.amdhsa_float_round_mode_16_64 0
		.amdhsa_float_denorm_mode_32 3
		.amdhsa_float_denorm_mode_16_64 3
		.amdhsa_dx10_clamp 1
		.amdhsa_ieee_mode 1
		.amdhsa_fp16_overflow 0
		.amdhsa_workgroup_processor_mode 1
		.amdhsa_memory_ordered 1
		.amdhsa_forward_progress 0
		.amdhsa_shared_vgpr_count 0
		.amdhsa_exception_fp_ieee_invalid_op 0
		.amdhsa_exception_fp_denorm_src 0
		.amdhsa_exception_fp_ieee_div_zero 0
		.amdhsa_exception_fp_ieee_overflow 0
		.amdhsa_exception_fp_ieee_underflow 0
		.amdhsa_exception_fp_ieee_inexact 0
		.amdhsa_exception_int_div_zero 0
	.end_amdhsa_kernel
	.section	.text._ZN7rocprim17ROCPRIM_400000_NS6detail17trampoline_kernelINS0_14default_configENS1_25partition_config_selectorILNS1_17partition_subalgoE5ElNS0_10empty_typeEbEEZZNS1_14partition_implILS5_5ELb0ES3_mN6hipcub16HIPCUB_304000_NS21CountingInputIteratorIllEEPS6_NSA_22TransformInputIteratorIbN2at6native12_GLOBAL__N_19NonZeroOpIlEEPKllEENS0_5tupleIJPlS6_EEENSN_IJSD_SD_EEES6_PiJS6_EEE10hipError_tPvRmT3_T4_T5_T6_T7_T9_mT8_P12ihipStream_tbDpT10_ENKUlT_T0_E_clISt17integral_constantIbLb0EES1B_EEDaS16_S17_EUlS16_E_NS1_11comp_targetILNS1_3genE2ELNS1_11target_archE906ELNS1_3gpuE6ELNS1_3repE0EEENS1_30default_config_static_selectorELNS0_4arch9wavefront6targetE0EEEvT1_,"axG",@progbits,_ZN7rocprim17ROCPRIM_400000_NS6detail17trampoline_kernelINS0_14default_configENS1_25partition_config_selectorILNS1_17partition_subalgoE5ElNS0_10empty_typeEbEEZZNS1_14partition_implILS5_5ELb0ES3_mN6hipcub16HIPCUB_304000_NS21CountingInputIteratorIllEEPS6_NSA_22TransformInputIteratorIbN2at6native12_GLOBAL__N_19NonZeroOpIlEEPKllEENS0_5tupleIJPlS6_EEENSN_IJSD_SD_EEES6_PiJS6_EEE10hipError_tPvRmT3_T4_T5_T6_T7_T9_mT8_P12ihipStream_tbDpT10_ENKUlT_T0_E_clISt17integral_constantIbLb0EES1B_EEDaS16_S17_EUlS16_E_NS1_11comp_targetILNS1_3genE2ELNS1_11target_archE906ELNS1_3gpuE6ELNS1_3repE0EEENS1_30default_config_static_selectorELNS0_4arch9wavefront6targetE0EEEvT1_,comdat
.Lfunc_end258:
	.size	_ZN7rocprim17ROCPRIM_400000_NS6detail17trampoline_kernelINS0_14default_configENS1_25partition_config_selectorILNS1_17partition_subalgoE5ElNS0_10empty_typeEbEEZZNS1_14partition_implILS5_5ELb0ES3_mN6hipcub16HIPCUB_304000_NS21CountingInputIteratorIllEEPS6_NSA_22TransformInputIteratorIbN2at6native12_GLOBAL__N_19NonZeroOpIlEEPKllEENS0_5tupleIJPlS6_EEENSN_IJSD_SD_EEES6_PiJS6_EEE10hipError_tPvRmT3_T4_T5_T6_T7_T9_mT8_P12ihipStream_tbDpT10_ENKUlT_T0_E_clISt17integral_constantIbLb0EES1B_EEDaS16_S17_EUlS16_E_NS1_11comp_targetILNS1_3genE2ELNS1_11target_archE906ELNS1_3gpuE6ELNS1_3repE0EEENS1_30default_config_static_selectorELNS0_4arch9wavefront6targetE0EEEvT1_, .Lfunc_end258-_ZN7rocprim17ROCPRIM_400000_NS6detail17trampoline_kernelINS0_14default_configENS1_25partition_config_selectorILNS1_17partition_subalgoE5ElNS0_10empty_typeEbEEZZNS1_14partition_implILS5_5ELb0ES3_mN6hipcub16HIPCUB_304000_NS21CountingInputIteratorIllEEPS6_NSA_22TransformInputIteratorIbN2at6native12_GLOBAL__N_19NonZeroOpIlEEPKllEENS0_5tupleIJPlS6_EEENSN_IJSD_SD_EEES6_PiJS6_EEE10hipError_tPvRmT3_T4_T5_T6_T7_T9_mT8_P12ihipStream_tbDpT10_ENKUlT_T0_E_clISt17integral_constantIbLb0EES1B_EEDaS16_S17_EUlS16_E_NS1_11comp_targetILNS1_3genE2ELNS1_11target_archE906ELNS1_3gpuE6ELNS1_3repE0EEENS1_30default_config_static_selectorELNS0_4arch9wavefront6targetE0EEEvT1_
                                        ; -- End function
	.section	.AMDGPU.csdata,"",@progbits
; Kernel info:
; codeLenInByte = 0
; NumSgprs: 0
; NumVgprs: 0
; ScratchSize: 0
; MemoryBound: 0
; FloatMode: 240
; IeeeMode: 1
; LDSByteSize: 0 bytes/workgroup (compile time only)
; SGPRBlocks: 0
; VGPRBlocks: 0
; NumSGPRsForWavesPerEU: 1
; NumVGPRsForWavesPerEU: 1
; Occupancy: 16
; WaveLimiterHint : 0
; COMPUTE_PGM_RSRC2:SCRATCH_EN: 0
; COMPUTE_PGM_RSRC2:USER_SGPR: 15
; COMPUTE_PGM_RSRC2:TRAP_HANDLER: 0
; COMPUTE_PGM_RSRC2:TGID_X_EN: 1
; COMPUTE_PGM_RSRC2:TGID_Y_EN: 0
; COMPUTE_PGM_RSRC2:TGID_Z_EN: 0
; COMPUTE_PGM_RSRC2:TIDIG_COMP_CNT: 0
	.section	.text._ZN7rocprim17ROCPRIM_400000_NS6detail17trampoline_kernelINS0_14default_configENS1_25partition_config_selectorILNS1_17partition_subalgoE5ElNS0_10empty_typeEbEEZZNS1_14partition_implILS5_5ELb0ES3_mN6hipcub16HIPCUB_304000_NS21CountingInputIteratorIllEEPS6_NSA_22TransformInputIteratorIbN2at6native12_GLOBAL__N_19NonZeroOpIlEEPKllEENS0_5tupleIJPlS6_EEENSN_IJSD_SD_EEES6_PiJS6_EEE10hipError_tPvRmT3_T4_T5_T6_T7_T9_mT8_P12ihipStream_tbDpT10_ENKUlT_T0_E_clISt17integral_constantIbLb0EES1B_EEDaS16_S17_EUlS16_E_NS1_11comp_targetILNS1_3genE10ELNS1_11target_archE1200ELNS1_3gpuE4ELNS1_3repE0EEENS1_30default_config_static_selectorELNS0_4arch9wavefront6targetE0EEEvT1_,"axG",@progbits,_ZN7rocprim17ROCPRIM_400000_NS6detail17trampoline_kernelINS0_14default_configENS1_25partition_config_selectorILNS1_17partition_subalgoE5ElNS0_10empty_typeEbEEZZNS1_14partition_implILS5_5ELb0ES3_mN6hipcub16HIPCUB_304000_NS21CountingInputIteratorIllEEPS6_NSA_22TransformInputIteratorIbN2at6native12_GLOBAL__N_19NonZeroOpIlEEPKllEENS0_5tupleIJPlS6_EEENSN_IJSD_SD_EEES6_PiJS6_EEE10hipError_tPvRmT3_T4_T5_T6_T7_T9_mT8_P12ihipStream_tbDpT10_ENKUlT_T0_E_clISt17integral_constantIbLb0EES1B_EEDaS16_S17_EUlS16_E_NS1_11comp_targetILNS1_3genE10ELNS1_11target_archE1200ELNS1_3gpuE4ELNS1_3repE0EEENS1_30default_config_static_selectorELNS0_4arch9wavefront6targetE0EEEvT1_,comdat
	.globl	_ZN7rocprim17ROCPRIM_400000_NS6detail17trampoline_kernelINS0_14default_configENS1_25partition_config_selectorILNS1_17partition_subalgoE5ElNS0_10empty_typeEbEEZZNS1_14partition_implILS5_5ELb0ES3_mN6hipcub16HIPCUB_304000_NS21CountingInputIteratorIllEEPS6_NSA_22TransformInputIteratorIbN2at6native12_GLOBAL__N_19NonZeroOpIlEEPKllEENS0_5tupleIJPlS6_EEENSN_IJSD_SD_EEES6_PiJS6_EEE10hipError_tPvRmT3_T4_T5_T6_T7_T9_mT8_P12ihipStream_tbDpT10_ENKUlT_T0_E_clISt17integral_constantIbLb0EES1B_EEDaS16_S17_EUlS16_E_NS1_11comp_targetILNS1_3genE10ELNS1_11target_archE1200ELNS1_3gpuE4ELNS1_3repE0EEENS1_30default_config_static_selectorELNS0_4arch9wavefront6targetE0EEEvT1_ ; -- Begin function _ZN7rocprim17ROCPRIM_400000_NS6detail17trampoline_kernelINS0_14default_configENS1_25partition_config_selectorILNS1_17partition_subalgoE5ElNS0_10empty_typeEbEEZZNS1_14partition_implILS5_5ELb0ES3_mN6hipcub16HIPCUB_304000_NS21CountingInputIteratorIllEEPS6_NSA_22TransformInputIteratorIbN2at6native12_GLOBAL__N_19NonZeroOpIlEEPKllEENS0_5tupleIJPlS6_EEENSN_IJSD_SD_EEES6_PiJS6_EEE10hipError_tPvRmT3_T4_T5_T6_T7_T9_mT8_P12ihipStream_tbDpT10_ENKUlT_T0_E_clISt17integral_constantIbLb0EES1B_EEDaS16_S17_EUlS16_E_NS1_11comp_targetILNS1_3genE10ELNS1_11target_archE1200ELNS1_3gpuE4ELNS1_3repE0EEENS1_30default_config_static_selectorELNS0_4arch9wavefront6targetE0EEEvT1_
	.p2align	8
	.type	_ZN7rocprim17ROCPRIM_400000_NS6detail17trampoline_kernelINS0_14default_configENS1_25partition_config_selectorILNS1_17partition_subalgoE5ElNS0_10empty_typeEbEEZZNS1_14partition_implILS5_5ELb0ES3_mN6hipcub16HIPCUB_304000_NS21CountingInputIteratorIllEEPS6_NSA_22TransformInputIteratorIbN2at6native12_GLOBAL__N_19NonZeroOpIlEEPKllEENS0_5tupleIJPlS6_EEENSN_IJSD_SD_EEES6_PiJS6_EEE10hipError_tPvRmT3_T4_T5_T6_T7_T9_mT8_P12ihipStream_tbDpT10_ENKUlT_T0_E_clISt17integral_constantIbLb0EES1B_EEDaS16_S17_EUlS16_E_NS1_11comp_targetILNS1_3genE10ELNS1_11target_archE1200ELNS1_3gpuE4ELNS1_3repE0EEENS1_30default_config_static_selectorELNS0_4arch9wavefront6targetE0EEEvT1_,@function
_ZN7rocprim17ROCPRIM_400000_NS6detail17trampoline_kernelINS0_14default_configENS1_25partition_config_selectorILNS1_17partition_subalgoE5ElNS0_10empty_typeEbEEZZNS1_14partition_implILS5_5ELb0ES3_mN6hipcub16HIPCUB_304000_NS21CountingInputIteratorIllEEPS6_NSA_22TransformInputIteratorIbN2at6native12_GLOBAL__N_19NonZeroOpIlEEPKllEENS0_5tupleIJPlS6_EEENSN_IJSD_SD_EEES6_PiJS6_EEE10hipError_tPvRmT3_T4_T5_T6_T7_T9_mT8_P12ihipStream_tbDpT10_ENKUlT_T0_E_clISt17integral_constantIbLb0EES1B_EEDaS16_S17_EUlS16_E_NS1_11comp_targetILNS1_3genE10ELNS1_11target_archE1200ELNS1_3gpuE4ELNS1_3repE0EEENS1_30default_config_static_selectorELNS0_4arch9wavefront6targetE0EEEvT1_: ; @_ZN7rocprim17ROCPRIM_400000_NS6detail17trampoline_kernelINS0_14default_configENS1_25partition_config_selectorILNS1_17partition_subalgoE5ElNS0_10empty_typeEbEEZZNS1_14partition_implILS5_5ELb0ES3_mN6hipcub16HIPCUB_304000_NS21CountingInputIteratorIllEEPS6_NSA_22TransformInputIteratorIbN2at6native12_GLOBAL__N_19NonZeroOpIlEEPKllEENS0_5tupleIJPlS6_EEENSN_IJSD_SD_EEES6_PiJS6_EEE10hipError_tPvRmT3_T4_T5_T6_T7_T9_mT8_P12ihipStream_tbDpT10_ENKUlT_T0_E_clISt17integral_constantIbLb0EES1B_EEDaS16_S17_EUlS16_E_NS1_11comp_targetILNS1_3genE10ELNS1_11target_archE1200ELNS1_3gpuE4ELNS1_3repE0EEENS1_30default_config_static_selectorELNS0_4arch9wavefront6targetE0EEEvT1_
; %bb.0:
	.section	.rodata,"a",@progbits
	.p2align	6, 0x0
	.amdhsa_kernel _ZN7rocprim17ROCPRIM_400000_NS6detail17trampoline_kernelINS0_14default_configENS1_25partition_config_selectorILNS1_17partition_subalgoE5ElNS0_10empty_typeEbEEZZNS1_14partition_implILS5_5ELb0ES3_mN6hipcub16HIPCUB_304000_NS21CountingInputIteratorIllEEPS6_NSA_22TransformInputIteratorIbN2at6native12_GLOBAL__N_19NonZeroOpIlEEPKllEENS0_5tupleIJPlS6_EEENSN_IJSD_SD_EEES6_PiJS6_EEE10hipError_tPvRmT3_T4_T5_T6_T7_T9_mT8_P12ihipStream_tbDpT10_ENKUlT_T0_E_clISt17integral_constantIbLb0EES1B_EEDaS16_S17_EUlS16_E_NS1_11comp_targetILNS1_3genE10ELNS1_11target_archE1200ELNS1_3gpuE4ELNS1_3repE0EEENS1_30default_config_static_selectorELNS0_4arch9wavefront6targetE0EEEvT1_
		.amdhsa_group_segment_fixed_size 0
		.amdhsa_private_segment_fixed_size 0
		.amdhsa_kernarg_size 120
		.amdhsa_user_sgpr_count 15
		.amdhsa_user_sgpr_dispatch_ptr 0
		.amdhsa_user_sgpr_queue_ptr 0
		.amdhsa_user_sgpr_kernarg_segment_ptr 1
		.amdhsa_user_sgpr_dispatch_id 0
		.amdhsa_user_sgpr_private_segment_size 0
		.amdhsa_wavefront_size32 1
		.amdhsa_uses_dynamic_stack 0
		.amdhsa_enable_private_segment 0
		.amdhsa_system_sgpr_workgroup_id_x 1
		.amdhsa_system_sgpr_workgroup_id_y 0
		.amdhsa_system_sgpr_workgroup_id_z 0
		.amdhsa_system_sgpr_workgroup_info 0
		.amdhsa_system_vgpr_workitem_id 0
		.amdhsa_next_free_vgpr 1
		.amdhsa_next_free_sgpr 1
		.amdhsa_reserve_vcc 0
		.amdhsa_float_round_mode_32 0
		.amdhsa_float_round_mode_16_64 0
		.amdhsa_float_denorm_mode_32 3
		.amdhsa_float_denorm_mode_16_64 3
		.amdhsa_dx10_clamp 1
		.amdhsa_ieee_mode 1
		.amdhsa_fp16_overflow 0
		.amdhsa_workgroup_processor_mode 1
		.amdhsa_memory_ordered 1
		.amdhsa_forward_progress 0
		.amdhsa_shared_vgpr_count 0
		.amdhsa_exception_fp_ieee_invalid_op 0
		.amdhsa_exception_fp_denorm_src 0
		.amdhsa_exception_fp_ieee_div_zero 0
		.amdhsa_exception_fp_ieee_overflow 0
		.amdhsa_exception_fp_ieee_underflow 0
		.amdhsa_exception_fp_ieee_inexact 0
		.amdhsa_exception_int_div_zero 0
	.end_amdhsa_kernel
	.section	.text._ZN7rocprim17ROCPRIM_400000_NS6detail17trampoline_kernelINS0_14default_configENS1_25partition_config_selectorILNS1_17partition_subalgoE5ElNS0_10empty_typeEbEEZZNS1_14partition_implILS5_5ELb0ES3_mN6hipcub16HIPCUB_304000_NS21CountingInputIteratorIllEEPS6_NSA_22TransformInputIteratorIbN2at6native12_GLOBAL__N_19NonZeroOpIlEEPKllEENS0_5tupleIJPlS6_EEENSN_IJSD_SD_EEES6_PiJS6_EEE10hipError_tPvRmT3_T4_T5_T6_T7_T9_mT8_P12ihipStream_tbDpT10_ENKUlT_T0_E_clISt17integral_constantIbLb0EES1B_EEDaS16_S17_EUlS16_E_NS1_11comp_targetILNS1_3genE10ELNS1_11target_archE1200ELNS1_3gpuE4ELNS1_3repE0EEENS1_30default_config_static_selectorELNS0_4arch9wavefront6targetE0EEEvT1_,"axG",@progbits,_ZN7rocprim17ROCPRIM_400000_NS6detail17trampoline_kernelINS0_14default_configENS1_25partition_config_selectorILNS1_17partition_subalgoE5ElNS0_10empty_typeEbEEZZNS1_14partition_implILS5_5ELb0ES3_mN6hipcub16HIPCUB_304000_NS21CountingInputIteratorIllEEPS6_NSA_22TransformInputIteratorIbN2at6native12_GLOBAL__N_19NonZeroOpIlEEPKllEENS0_5tupleIJPlS6_EEENSN_IJSD_SD_EEES6_PiJS6_EEE10hipError_tPvRmT3_T4_T5_T6_T7_T9_mT8_P12ihipStream_tbDpT10_ENKUlT_T0_E_clISt17integral_constantIbLb0EES1B_EEDaS16_S17_EUlS16_E_NS1_11comp_targetILNS1_3genE10ELNS1_11target_archE1200ELNS1_3gpuE4ELNS1_3repE0EEENS1_30default_config_static_selectorELNS0_4arch9wavefront6targetE0EEEvT1_,comdat
.Lfunc_end259:
	.size	_ZN7rocprim17ROCPRIM_400000_NS6detail17trampoline_kernelINS0_14default_configENS1_25partition_config_selectorILNS1_17partition_subalgoE5ElNS0_10empty_typeEbEEZZNS1_14partition_implILS5_5ELb0ES3_mN6hipcub16HIPCUB_304000_NS21CountingInputIteratorIllEEPS6_NSA_22TransformInputIteratorIbN2at6native12_GLOBAL__N_19NonZeroOpIlEEPKllEENS0_5tupleIJPlS6_EEENSN_IJSD_SD_EEES6_PiJS6_EEE10hipError_tPvRmT3_T4_T5_T6_T7_T9_mT8_P12ihipStream_tbDpT10_ENKUlT_T0_E_clISt17integral_constantIbLb0EES1B_EEDaS16_S17_EUlS16_E_NS1_11comp_targetILNS1_3genE10ELNS1_11target_archE1200ELNS1_3gpuE4ELNS1_3repE0EEENS1_30default_config_static_selectorELNS0_4arch9wavefront6targetE0EEEvT1_, .Lfunc_end259-_ZN7rocprim17ROCPRIM_400000_NS6detail17trampoline_kernelINS0_14default_configENS1_25partition_config_selectorILNS1_17partition_subalgoE5ElNS0_10empty_typeEbEEZZNS1_14partition_implILS5_5ELb0ES3_mN6hipcub16HIPCUB_304000_NS21CountingInputIteratorIllEEPS6_NSA_22TransformInputIteratorIbN2at6native12_GLOBAL__N_19NonZeroOpIlEEPKllEENS0_5tupleIJPlS6_EEENSN_IJSD_SD_EEES6_PiJS6_EEE10hipError_tPvRmT3_T4_T5_T6_T7_T9_mT8_P12ihipStream_tbDpT10_ENKUlT_T0_E_clISt17integral_constantIbLb0EES1B_EEDaS16_S17_EUlS16_E_NS1_11comp_targetILNS1_3genE10ELNS1_11target_archE1200ELNS1_3gpuE4ELNS1_3repE0EEENS1_30default_config_static_selectorELNS0_4arch9wavefront6targetE0EEEvT1_
                                        ; -- End function
	.section	.AMDGPU.csdata,"",@progbits
; Kernel info:
; codeLenInByte = 0
; NumSgprs: 0
; NumVgprs: 0
; ScratchSize: 0
; MemoryBound: 0
; FloatMode: 240
; IeeeMode: 1
; LDSByteSize: 0 bytes/workgroup (compile time only)
; SGPRBlocks: 0
; VGPRBlocks: 0
; NumSGPRsForWavesPerEU: 1
; NumVGPRsForWavesPerEU: 1
; Occupancy: 16
; WaveLimiterHint : 0
; COMPUTE_PGM_RSRC2:SCRATCH_EN: 0
; COMPUTE_PGM_RSRC2:USER_SGPR: 15
; COMPUTE_PGM_RSRC2:TRAP_HANDLER: 0
; COMPUTE_PGM_RSRC2:TGID_X_EN: 1
; COMPUTE_PGM_RSRC2:TGID_Y_EN: 0
; COMPUTE_PGM_RSRC2:TGID_Z_EN: 0
; COMPUTE_PGM_RSRC2:TIDIG_COMP_CNT: 0
	.section	.text._ZN7rocprim17ROCPRIM_400000_NS6detail17trampoline_kernelINS0_14default_configENS1_25partition_config_selectorILNS1_17partition_subalgoE5ElNS0_10empty_typeEbEEZZNS1_14partition_implILS5_5ELb0ES3_mN6hipcub16HIPCUB_304000_NS21CountingInputIteratorIllEEPS6_NSA_22TransformInputIteratorIbN2at6native12_GLOBAL__N_19NonZeroOpIlEEPKllEENS0_5tupleIJPlS6_EEENSN_IJSD_SD_EEES6_PiJS6_EEE10hipError_tPvRmT3_T4_T5_T6_T7_T9_mT8_P12ihipStream_tbDpT10_ENKUlT_T0_E_clISt17integral_constantIbLb0EES1B_EEDaS16_S17_EUlS16_E_NS1_11comp_targetILNS1_3genE9ELNS1_11target_archE1100ELNS1_3gpuE3ELNS1_3repE0EEENS1_30default_config_static_selectorELNS0_4arch9wavefront6targetE0EEEvT1_,"axG",@progbits,_ZN7rocprim17ROCPRIM_400000_NS6detail17trampoline_kernelINS0_14default_configENS1_25partition_config_selectorILNS1_17partition_subalgoE5ElNS0_10empty_typeEbEEZZNS1_14partition_implILS5_5ELb0ES3_mN6hipcub16HIPCUB_304000_NS21CountingInputIteratorIllEEPS6_NSA_22TransformInputIteratorIbN2at6native12_GLOBAL__N_19NonZeroOpIlEEPKllEENS0_5tupleIJPlS6_EEENSN_IJSD_SD_EEES6_PiJS6_EEE10hipError_tPvRmT3_T4_T5_T6_T7_T9_mT8_P12ihipStream_tbDpT10_ENKUlT_T0_E_clISt17integral_constantIbLb0EES1B_EEDaS16_S17_EUlS16_E_NS1_11comp_targetILNS1_3genE9ELNS1_11target_archE1100ELNS1_3gpuE3ELNS1_3repE0EEENS1_30default_config_static_selectorELNS0_4arch9wavefront6targetE0EEEvT1_,comdat
	.globl	_ZN7rocprim17ROCPRIM_400000_NS6detail17trampoline_kernelINS0_14default_configENS1_25partition_config_selectorILNS1_17partition_subalgoE5ElNS0_10empty_typeEbEEZZNS1_14partition_implILS5_5ELb0ES3_mN6hipcub16HIPCUB_304000_NS21CountingInputIteratorIllEEPS6_NSA_22TransformInputIteratorIbN2at6native12_GLOBAL__N_19NonZeroOpIlEEPKllEENS0_5tupleIJPlS6_EEENSN_IJSD_SD_EEES6_PiJS6_EEE10hipError_tPvRmT3_T4_T5_T6_T7_T9_mT8_P12ihipStream_tbDpT10_ENKUlT_T0_E_clISt17integral_constantIbLb0EES1B_EEDaS16_S17_EUlS16_E_NS1_11comp_targetILNS1_3genE9ELNS1_11target_archE1100ELNS1_3gpuE3ELNS1_3repE0EEENS1_30default_config_static_selectorELNS0_4arch9wavefront6targetE0EEEvT1_ ; -- Begin function _ZN7rocprim17ROCPRIM_400000_NS6detail17trampoline_kernelINS0_14default_configENS1_25partition_config_selectorILNS1_17partition_subalgoE5ElNS0_10empty_typeEbEEZZNS1_14partition_implILS5_5ELb0ES3_mN6hipcub16HIPCUB_304000_NS21CountingInputIteratorIllEEPS6_NSA_22TransformInputIteratorIbN2at6native12_GLOBAL__N_19NonZeroOpIlEEPKllEENS0_5tupleIJPlS6_EEENSN_IJSD_SD_EEES6_PiJS6_EEE10hipError_tPvRmT3_T4_T5_T6_T7_T9_mT8_P12ihipStream_tbDpT10_ENKUlT_T0_E_clISt17integral_constantIbLb0EES1B_EEDaS16_S17_EUlS16_E_NS1_11comp_targetILNS1_3genE9ELNS1_11target_archE1100ELNS1_3gpuE3ELNS1_3repE0EEENS1_30default_config_static_selectorELNS0_4arch9wavefront6targetE0EEEvT1_
	.p2align	8
	.type	_ZN7rocprim17ROCPRIM_400000_NS6detail17trampoline_kernelINS0_14default_configENS1_25partition_config_selectorILNS1_17partition_subalgoE5ElNS0_10empty_typeEbEEZZNS1_14partition_implILS5_5ELb0ES3_mN6hipcub16HIPCUB_304000_NS21CountingInputIteratorIllEEPS6_NSA_22TransformInputIteratorIbN2at6native12_GLOBAL__N_19NonZeroOpIlEEPKllEENS0_5tupleIJPlS6_EEENSN_IJSD_SD_EEES6_PiJS6_EEE10hipError_tPvRmT3_T4_T5_T6_T7_T9_mT8_P12ihipStream_tbDpT10_ENKUlT_T0_E_clISt17integral_constantIbLb0EES1B_EEDaS16_S17_EUlS16_E_NS1_11comp_targetILNS1_3genE9ELNS1_11target_archE1100ELNS1_3gpuE3ELNS1_3repE0EEENS1_30default_config_static_selectorELNS0_4arch9wavefront6targetE0EEEvT1_,@function
_ZN7rocprim17ROCPRIM_400000_NS6detail17trampoline_kernelINS0_14default_configENS1_25partition_config_selectorILNS1_17partition_subalgoE5ElNS0_10empty_typeEbEEZZNS1_14partition_implILS5_5ELb0ES3_mN6hipcub16HIPCUB_304000_NS21CountingInputIteratorIllEEPS6_NSA_22TransformInputIteratorIbN2at6native12_GLOBAL__N_19NonZeroOpIlEEPKllEENS0_5tupleIJPlS6_EEENSN_IJSD_SD_EEES6_PiJS6_EEE10hipError_tPvRmT3_T4_T5_T6_T7_T9_mT8_P12ihipStream_tbDpT10_ENKUlT_T0_E_clISt17integral_constantIbLb0EES1B_EEDaS16_S17_EUlS16_E_NS1_11comp_targetILNS1_3genE9ELNS1_11target_archE1100ELNS1_3gpuE3ELNS1_3repE0EEENS1_30default_config_static_selectorELNS0_4arch9wavefront6targetE0EEEvT1_: ; @_ZN7rocprim17ROCPRIM_400000_NS6detail17trampoline_kernelINS0_14default_configENS1_25partition_config_selectorILNS1_17partition_subalgoE5ElNS0_10empty_typeEbEEZZNS1_14partition_implILS5_5ELb0ES3_mN6hipcub16HIPCUB_304000_NS21CountingInputIteratorIllEEPS6_NSA_22TransformInputIteratorIbN2at6native12_GLOBAL__N_19NonZeroOpIlEEPKllEENS0_5tupleIJPlS6_EEENSN_IJSD_SD_EEES6_PiJS6_EEE10hipError_tPvRmT3_T4_T5_T6_T7_T9_mT8_P12ihipStream_tbDpT10_ENKUlT_T0_E_clISt17integral_constantIbLb0EES1B_EEDaS16_S17_EUlS16_E_NS1_11comp_targetILNS1_3genE9ELNS1_11target_archE1100ELNS1_3gpuE3ELNS1_3repE0EEENS1_30default_config_static_selectorELNS0_4arch9wavefront6targetE0EEEvT1_
; %bb.0:
	s_clause 0x4
	s_load_b128 s[8:11], s[0:1], 0x8
	s_load_b128 s[4:7], s[0:1], 0x48
	s_load_b32 s14, s[0:1], 0x70
	s_load_b64 s[2:3], s[0:1], 0x58
	s_load_b64 s[12:13], s[0:1], 0x20
	s_waitcnt lgkmcnt(0)
	s_add_u32 s18, s10, s8
	s_load_b64 s[6:7], s[6:7], 0x0
	s_mul_i32 s17, s14, 0x300
	s_addc_u32 s19, s11, s9
	s_add_i32 s14, s14, -1
	s_add_u32 s8, s10, s17
	s_addc_u32 s9, s11, 0
	s_cmp_eq_u32 s15, s14
	v_cmp_ge_u64_e64 s3, s[8:9], s[2:3]
	s_cselect_b32 s14, -1, 0
	s_mul_i32 s8, s15, 0x300
	s_mov_b32 s9, 0
	s_delay_alu instid0(VALU_DEP_1) | instskip(NEXT) | instid1(SALU_CYCLE_1)
	s_and_b32 s3, s14, s3
	s_xor_b32 s16, s3, -1
	s_mov_b32 s3, -1
	s_and_b32 vcc_lo, exec_lo, s16
	s_cbranch_vccz .LBB260_2
; %bb.1:
	s_add_u32 s3, s18, s8
	s_addc_u32 s20, s19, 0
	v_add_co_u32 v1, s3, s3, v0
	s_delay_alu instid0(VALU_DEP_1) | instskip(SKIP_1) | instid1(VALU_DEP_3)
	v_add_co_ci_u32_e64 v2, null, s20, 0, s3
	v_lshlrev_b32_e32 v13, 3, v0
	v_add_co_u32 v3, vcc_lo, 0x80, v1
	s_delay_alu instid0(VALU_DEP_3)
	v_add_co_ci_u32_e32 v4, vcc_lo, 0, v2, vcc_lo
	v_add_co_u32 v5, vcc_lo, 0x100, v1
	v_add_co_ci_u32_e32 v6, vcc_lo, 0, v2, vcc_lo
	v_add_co_u32 v7, vcc_lo, 0x180, v1
	;; [unrolled: 2-line block ×4, first 2 shown]
	v_add_co_ci_u32_e32 v12, vcc_lo, 0, v2, vcc_lo
	ds_store_2addr_stride64_b64 v13, v[1:2], v[3:4] offset1:2
	ds_store_2addr_stride64_b64 v13, v[5:6], v[7:8] offset0:4 offset1:6
	ds_store_2addr_stride64_b64 v13, v[9:10], v[11:12] offset0:8 offset1:10
	s_waitcnt lgkmcnt(0)
	s_mov_b32 s3, s9
	s_barrier
.LBB260_2:
	v_or_b32_e32 v17, 0x100, v0
	v_or_b32_e32 v16, 0x180, v0
	;; [unrolled: 1-line block ×4, first 2 shown]
	s_and_not1_b32 vcc_lo, exec_lo, s3
	s_cbranch_vccnz .LBB260_4
; %bb.3:
	v_or_b32_e32 v3, 0x80, v0
	s_add_u32 s3, s18, s8
	s_addc_u32 s18, s19, 0
	v_add_co_u32 v1, s19, s3, v0
	s_delay_alu instid0(VALU_DEP_1) | instskip(SKIP_1) | instid1(VALU_DEP_1)
	v_add_co_ci_u32_e64 v2, null, s18, 0, s19
	v_add_co_u32 v3, s19, s3, v3
	v_add_co_ci_u32_e64 v4, null, s18, 0, s19
	v_add_co_u32 v5, s19, s3, v17
	s_delay_alu instid0(VALU_DEP_1) | instskip(SKIP_1) | instid1(VALU_DEP_1)
	v_add_co_ci_u32_e64 v6, null, s18, 0, s19
	v_add_co_u32 v7, s19, s3, v16
	v_add_co_ci_u32_e64 v8, null, s18, 0, s19
	v_add_co_u32 v9, s19, s3, v14
	v_lshlrev_b32_e32 v15, 3, v0
	v_add_co_u32 v11, s3, s3, v13
	v_add_co_ci_u32_e64 v10, null, s18, 0, s19
	v_add_co_ci_u32_e64 v12, null, s18, 0, s3
	ds_store_2addr_stride64_b64 v15, v[1:2], v[3:4] offset1:2
	ds_store_2addr_stride64_b64 v15, v[5:6], v[7:8] offset0:4 offset1:6
	ds_store_2addr_stride64_b64 v15, v[9:10], v[11:12] offset0:8 offset1:10
	s_waitcnt lgkmcnt(0)
	s_barrier
.LBB260_4:
	v_mul_u32_u24_e32 v1, 6, v0
	s_waitcnt lgkmcnt(0)
	buffer_gl0_inv
	s_lshl_b64 s[18:19], s[10:11], 3
	s_delay_alu instid0(SALU_CYCLE_1)
	s_add_u32 s3, s12, s18
	v_lshlrev_b32_e32 v15, 3, v1
	s_addc_u32 s11, s13, s19
	s_lshl_b64 s[8:9], s[8:9], 3
	ds_load_b128 v[9:12], v15
	ds_load_b128 v[5:8], v15 offset:16
	ds_load_b128 v[1:4], v15 offset:32
	s_add_u32 s12, s3, s8
	s_addc_u32 s13, s11, s9
	s_and_b32 vcc_lo, exec_lo, s16
	s_mov_b32 s3, -1
	s_waitcnt lgkmcnt(0)
	s_barrier
	buffer_gl0_inv
	s_cbranch_vccz .LBB260_6
; %bb.5:
	v_lshlrev_b32_e32 v26, 3, v0
	s_clause 0x1
	global_load_b64 v[18:19], v26, s[12:13]
	global_load_b64 v[20:21], v26, s[12:13] offset:1024
	v_add_co_u32 v22, s3, s12, v26
	s_delay_alu instid0(VALU_DEP_1) | instskip(SKIP_1) | instid1(VALU_DEP_2)
	v_add_co_ci_u32_e64 v23, null, s13, 0, s3
	s_mov_b32 s3, 0
	v_add_co_u32 v22, vcc_lo, 0x1000, v22
	s_delay_alu instid0(VALU_DEP_2)
	v_add_co_ci_u32_e32 v23, vcc_lo, 0, v23, vcc_lo
	s_clause 0x3
	global_load_b64 v[24:25], v26, s[12:13] offset:2048
	global_load_b64 v[26:27], v26, s[12:13] offset:3072
	global_load_b64 v[28:29], v[22:23], off
	global_load_b64 v[22:23], v[22:23], off offset:1024
	s_waitcnt vmcnt(5)
	v_cmp_ne_u64_e32 vcc_lo, 0, v[18:19]
	v_cndmask_b32_e64 v18, 0, 1, vcc_lo
	s_waitcnt vmcnt(4)
	v_cmp_ne_u64_e32 vcc_lo, 0, v[20:21]
	v_cndmask_b32_e64 v19, 0, 1, vcc_lo
	;; [unrolled: 3-line block ×6, first 2 shown]
	ds_store_b8 v0, v18
	ds_store_b8 v0, v19 offset:128
	ds_store_b8 v0, v20 offset:256
	;; [unrolled: 1-line block ×5, first 2 shown]
	s_waitcnt lgkmcnt(0)
	s_barrier
.LBB260_6:
	s_load_b64 s[8:9], s[0:1], 0x68
	s_and_not1_b32 vcc_lo, exec_lo, s3
	s_cbranch_vccnz .LBB260_20
; %bb.7:
	s_add_i32 s17, s17, s10
	v_dual_mov_b32 v18, 0 :: v_dual_mov_b32 v19, 0
	s_sub_i32 s2, s2, s17
	s_mov_b32 s3, exec_lo
	s_addk_i32 s2, 0x300
	s_delay_alu instid0(SALU_CYCLE_1)
	v_cmpx_gt_u32_e64 s2, v0
	s_cbranch_execz .LBB260_9
; %bb.8:
	v_lshlrev_b32_e32 v19, 3, v0
	global_load_b64 v[19:20], v19, s[12:13]
	s_waitcnt vmcnt(0)
	v_cmp_ne_u64_e32 vcc_lo, 0, v[19:20]
	v_cndmask_b32_e64 v19, 0, 1, vcc_lo
.LBB260_9:
	s_or_b32 exec_lo, exec_lo, s3
	v_or_b32_e32 v20, 0x80, v0
	s_mov_b32 s3, exec_lo
	s_delay_alu instid0(VALU_DEP_1)
	v_cmpx_gt_u32_e64 s2, v20
	s_cbranch_execz .LBB260_11
; %bb.10:
	v_lshlrev_b32_e32 v18, 3, v0
	global_load_b64 v[20:21], v18, s[12:13] offset:1024
	s_waitcnt vmcnt(0)
	v_cmp_ne_u64_e32 vcc_lo, 0, v[20:21]
	v_cndmask_b32_e64 v18, 0, 1, vcc_lo
.LBB260_11:
	s_or_b32 exec_lo, exec_lo, s3
	v_cmp_gt_u32_e32 vcc_lo, s2, v17
	v_dual_mov_b32 v17, 0 :: v_dual_mov_b32 v20, 0
	s_and_saveexec_b32 s3, vcc_lo
	s_cbranch_execz .LBB260_13
; %bb.12:
	v_lshlrev_b32_e32 v20, 3, v0
	global_load_b64 v[20:21], v20, s[12:13] offset:2048
	s_waitcnt vmcnt(0)
	v_cmp_ne_u64_e32 vcc_lo, 0, v[20:21]
	v_cndmask_b32_e64 v20, 0, 1, vcc_lo
.LBB260_13:
	s_or_b32 exec_lo, exec_lo, s3
	s_delay_alu instid0(SALU_CYCLE_1)
	s_mov_b32 s3, exec_lo
	v_cmpx_gt_u32_e64 s2, v16
	s_cbranch_execz .LBB260_15
; %bb.14:
	v_lshlrev_b32_e32 v16, 3, v0
	global_load_b64 v[16:17], v16, s[12:13] offset:3072
	s_waitcnt vmcnt(0)
	v_cmp_ne_u64_e32 vcc_lo, 0, v[16:17]
	v_cndmask_b32_e64 v17, 0, 1, vcc_lo
.LBB260_15:
	s_or_b32 exec_lo, exec_lo, s3
	v_dual_mov_b32 v16, 0 :: v_dual_mov_b32 v21, 0
	s_mov_b32 s3, exec_lo
	v_cmpx_gt_u32_e64 s2, v14
	s_cbranch_execz .LBB260_17
; %bb.16:
	v_lshlrev_b32_e32 v14, 3, v14
	global_load_b64 v[21:22], v14, s[12:13]
	s_waitcnt vmcnt(0)
	v_cmp_ne_u64_e32 vcc_lo, 0, v[21:22]
	v_cndmask_b32_e64 v21, 0, 1, vcc_lo
.LBB260_17:
	s_or_b32 exec_lo, exec_lo, s3
	v_cmp_gt_u32_e32 vcc_lo, s2, v13
	s_and_saveexec_b32 s2, vcc_lo
	s_cbranch_execz .LBB260_19
; %bb.18:
	v_lshlrev_b32_e32 v13, 3, v13
	global_load_b64 v[13:14], v13, s[12:13]
	s_waitcnt vmcnt(0)
	v_cmp_ne_u64_e32 vcc_lo, 0, v[13:14]
	v_cndmask_b32_e64 v16, 0, 1, vcc_lo
.LBB260_19:
	s_or_b32 exec_lo, exec_lo, s2
	ds_store_b8 v0, v19
	ds_store_b8 v0, v18 offset:128
	ds_store_b8 v0, v20 offset:256
	;; [unrolled: 1-line block ×5, first 2 shown]
	s_waitcnt lgkmcnt(0)
	s_barrier
.LBB260_20:
	v_mad_i32_i24 v43, 0xffffffd6, v0, v15
	s_waitcnt lgkmcnt(0)
	buffer_gl0_inv
	v_mbcnt_lo_u32_b32 v42, -1, 0
	s_cmp_lg_u32 s15, 0
	s_mov_b32 s3, -1
	ds_load_u16 v36, v43
	ds_load_u16 v33, v43 offset:2
	ds_load_u16 v31, v43 offset:4
	v_mov_b32_e32 v14, 0
	v_and_b32_e32 v44, 15, v42
	s_waitcnt lgkmcnt(0)
	s_barrier
	buffer_gl0_inv
	v_and_b32_e32 v41, 0xff, v36
	v_lshrrev_b16 v34, 8, v36
	v_lshrrev_b16 v35, 8, v33
	v_and_b32_e32 v39, 0xff, v33
	v_lshrrev_b16 v32, 8, v31
	v_and_b32_e32 v37, 0xff, v31
	v_and_b32_e32 v40, 0xffff, v34
	;; [unrolled: 1-line block ×3, first 2 shown]
	s_delay_alu instid0(VALU_DEP_4) | instskip(NEXT) | instid1(VALU_DEP_3)
	v_and_b32_e32 v16, 0xffff, v32
	v_add_co_u32 v13, s2, v40, v41
	s_delay_alu instid0(VALU_DEP_1) | instskip(SKIP_1) | instid1(VALU_DEP_3)
	v_add_co_ci_u32_e64 v15, null, 0, 0, s2
	v_cmp_ne_u32_e64 s2, 0, v44
	v_add_co_u32 v13, vcc_lo, v13, v39
	s_delay_alu instid0(VALU_DEP_3) | instskip(NEXT) | instid1(VALU_DEP_2)
	v_add_co_ci_u32_e32 v15, vcc_lo, 0, v15, vcc_lo
	v_add_co_u32 v13, vcc_lo, v13, v38
	s_delay_alu instid0(VALU_DEP_2) | instskip(NEXT) | instid1(VALU_DEP_2)
	v_add_co_ci_u32_e32 v15, vcc_lo, 0, v15, vcc_lo
	v_add_co_u32 v13, vcc_lo, v13, v37
	s_delay_alu instid0(VALU_DEP_2) | instskip(NEXT) | instid1(VALU_DEP_2)
	v_add_co_ci_u32_e32 v15, vcc_lo, 0, v15, vcc_lo
	v_add_co_u32 v21, vcc_lo, v13, v16
	s_delay_alu instid0(VALU_DEP_2)
	v_add_co_ci_u32_e32 v22, vcc_lo, 0, v15, vcc_lo
	s_cbranch_scc0 .LBB260_84
; %bb.21:
	s_delay_alu instid0(VALU_DEP_2)
	v_mov_b32_e32 v15, v21
	v_mov_b32_dpp v13, v21 row_shr:1 row_mask:0xf bank_mask:0xf
	v_mov_b32_dpp v18, v14 row_shr:1 row_mask:0xf bank_mask:0xf
	v_dual_mov_b32 v17, v21 :: v_dual_mov_b32 v16, v22
	s_and_saveexec_b32 s3, s2
; %bb.22:
	s_delay_alu instid0(VALU_DEP_3) | instskip(SKIP_1) | instid1(VALU_DEP_2)
	v_add_co_u32 v17, vcc_lo, v21, v13
	v_add_co_ci_u32_e32 v14, vcc_lo, 0, v22, vcc_lo
	v_add_co_u32 v13, vcc_lo, 0, v17
	s_delay_alu instid0(VALU_DEP_2) | instskip(NEXT) | instid1(VALU_DEP_1)
	v_add_co_ci_u32_e32 v14, vcc_lo, v18, v14, vcc_lo
	v_dual_mov_b32 v16, v14 :: v_dual_mov_b32 v15, v13
; %bb.23:
	s_or_b32 exec_lo, exec_lo, s3
	v_mov_b32_dpp v13, v17 row_shr:2 row_mask:0xf bank_mask:0xf
	v_mov_b32_dpp v18, v14 row_shr:2 row_mask:0xf bank_mask:0xf
	s_mov_b32 s3, exec_lo
	v_cmpx_lt_u32_e32 1, v44
; %bb.24:
	s_delay_alu instid0(VALU_DEP_3) | instskip(SKIP_1) | instid1(VALU_DEP_2)
	v_add_co_u32 v17, vcc_lo, v15, v13
	v_add_co_ci_u32_e32 v14, vcc_lo, 0, v16, vcc_lo
	v_add_co_u32 v13, vcc_lo, 0, v17
	s_delay_alu instid0(VALU_DEP_2) | instskip(NEXT) | instid1(VALU_DEP_1)
	v_add_co_ci_u32_e32 v14, vcc_lo, v18, v14, vcc_lo
	v_dual_mov_b32 v16, v14 :: v_dual_mov_b32 v15, v13
; %bb.25:
	s_or_b32 exec_lo, exec_lo, s3
	v_mov_b32_dpp v13, v17 row_shr:4 row_mask:0xf bank_mask:0xf
	v_mov_b32_dpp v18, v14 row_shr:4 row_mask:0xf bank_mask:0xf
	s_mov_b32 s3, exec_lo
	v_cmpx_lt_u32_e32 3, v44
; %bb.26:
	s_delay_alu instid0(VALU_DEP_3) | instskip(SKIP_1) | instid1(VALU_DEP_2)
	v_add_co_u32 v17, vcc_lo, v15, v13
	v_add_co_ci_u32_e32 v14, vcc_lo, 0, v16, vcc_lo
	v_add_co_u32 v13, vcc_lo, 0, v17
	s_delay_alu instid0(VALU_DEP_2) | instskip(NEXT) | instid1(VALU_DEP_1)
	v_add_co_ci_u32_e32 v14, vcc_lo, v18, v14, vcc_lo
	v_dual_mov_b32 v16, v14 :: v_dual_mov_b32 v15, v13
; %bb.27:
	s_or_b32 exec_lo, exec_lo, s3
	v_mov_b32_dpp v18, v17 row_shr:8 row_mask:0xf bank_mask:0xf
	v_mov_b32_dpp v13, v14 row_shr:8 row_mask:0xf bank_mask:0xf
	s_mov_b32 s3, exec_lo
	v_cmpx_lt_u32_e32 7, v44
; %bb.28:
	s_delay_alu instid0(VALU_DEP_3) | instskip(SKIP_1) | instid1(VALU_DEP_2)
	v_add_co_u32 v17, vcc_lo, v15, v18
	v_add_co_ci_u32_e32 v14, vcc_lo, 0, v16, vcc_lo
	v_add_co_u32 v15, vcc_lo, 0, v17
	s_delay_alu instid0(VALU_DEP_2) | instskip(NEXT) | instid1(VALU_DEP_1)
	v_add_co_ci_u32_e32 v16, vcc_lo, v13, v14, vcc_lo
	v_mov_b32_e32 v14, v16
; %bb.29:
	s_or_b32 exec_lo, exec_lo, s3
	ds_swizzle_b32 v13, v17 offset:swizzle(BROADCAST,32,15)
	ds_swizzle_b32 v18, v14 offset:swizzle(BROADCAST,32,15)
	v_and_b32_e32 v19, 16, v42
	s_mov_b32 s3, exec_lo
	s_delay_alu instid0(VALU_DEP_1)
	v_cmpx_ne_u32_e32 0, v19
	s_cbranch_execz .LBB260_31
; %bb.30:
	s_waitcnt lgkmcnt(1)
	v_add_co_u32 v17, vcc_lo, v15, v13
	v_add_co_ci_u32_e32 v14, vcc_lo, 0, v16, vcc_lo
	s_delay_alu instid0(VALU_DEP_2) | instskip(SKIP_1) | instid1(VALU_DEP_2)
	v_add_co_u32 v13, vcc_lo, 0, v17
	s_waitcnt lgkmcnt(0)
	v_add_co_ci_u32_e32 v14, vcc_lo, v18, v14, vcc_lo
	s_delay_alu instid0(VALU_DEP_1)
	v_dual_mov_b32 v16, v14 :: v_dual_mov_b32 v15, v13
.LBB260_31:
	s_or_b32 exec_lo, exec_lo, s3
	s_waitcnt lgkmcnt(0)
	v_or_b32_e32 v18, 31, v0
	v_lshrrev_b32_e32 v13, 5, v0
	s_mov_b32 s3, exec_lo
	s_delay_alu instid0(VALU_DEP_2)
	v_cmpx_eq_u32_e64 v18, v0
	s_cbranch_execz .LBB260_33
; %bb.32:
	s_delay_alu instid0(VALU_DEP_2)
	v_lshlrev_b32_e32 v18, 3, v13
	ds_store_b64 v18, v[15:16]
.LBB260_33:
	s_or_b32 exec_lo, exec_lo, s3
	s_delay_alu instid0(SALU_CYCLE_1)
	s_mov_b32 s3, exec_lo
	s_waitcnt lgkmcnt(0)
	s_barrier
	buffer_gl0_inv
	v_cmpx_gt_u32_e32 4, v0
	s_cbranch_execz .LBB260_39
; %bb.34:
	v_lshlrev_b32_e32 v18, 3, v0
	s_mov_b32 s10, exec_lo
	ds_load_b64 v[15:16], v18
	s_waitcnt lgkmcnt(0)
	v_dual_mov_b32 v20, v15 :: v_dual_and_b32 v19, 3, v42
	v_mov_b32_dpp v24, v15 row_shr:1 row_mask:0xf bank_mask:0xf
	v_mov_b32_dpp v23, v16 row_shr:1 row_mask:0xf bank_mask:0xf
	s_delay_alu instid0(VALU_DEP_3)
	v_cmpx_ne_u32_e32 0, v19
; %bb.35:
	s_delay_alu instid0(VALU_DEP_3) | instskip(SKIP_1) | instid1(VALU_DEP_2)
	v_add_co_u32 v20, vcc_lo, v15, v24
	v_add_co_ci_u32_e32 v16, vcc_lo, 0, v16, vcc_lo
	v_add_co_u32 v15, vcc_lo, 0, v20
	s_delay_alu instid0(VALU_DEP_2)
	v_add_co_ci_u32_e32 v16, vcc_lo, v23, v16, vcc_lo
; %bb.36:
	s_or_b32 exec_lo, exec_lo, s10
	v_mov_b32_dpp v23, v20 row_shr:2 row_mask:0xf bank_mask:0xf
	s_delay_alu instid0(VALU_DEP_2)
	v_mov_b32_dpp v20, v16 row_shr:2 row_mask:0xf bank_mask:0xf
	s_mov_b32 s10, exec_lo
	v_cmpx_lt_u32_e32 1, v19
; %bb.37:
	s_delay_alu instid0(VALU_DEP_3) | instskip(SKIP_1) | instid1(VALU_DEP_2)
	v_add_co_u32 v15, vcc_lo, v15, v23
	v_add_co_ci_u32_e32 v16, vcc_lo, 0, v16, vcc_lo
	v_add_co_u32 v15, vcc_lo, v15, 0
	s_delay_alu instid0(VALU_DEP_2)
	v_add_co_ci_u32_e32 v16, vcc_lo, v16, v20, vcc_lo
; %bb.38:
	s_or_b32 exec_lo, exec_lo, s10
	ds_store_b64 v18, v[15:16]
.LBB260_39:
	s_or_b32 exec_lo, exec_lo, s3
	v_cmp_gt_u32_e32 vcc_lo, 32, v0
	s_mov_b32 s10, exec_lo
	s_waitcnt lgkmcnt(0)
	s_barrier
	buffer_gl0_inv
                                        ; implicit-def: $vgpr23_vgpr24
	v_cmpx_lt_u32_e32 31, v0
	s_cbranch_execz .LBB260_41
; %bb.40:
	v_lshl_add_u32 v13, v13, 3, -8
	ds_load_b64 v[23:24], v13
	s_waitcnt lgkmcnt(0)
	v_add_co_u32 v17, s3, v17, v23
	s_delay_alu instid0(VALU_DEP_1)
	v_add_co_ci_u32_e64 v14, s3, v14, v24, s3
.LBB260_41:
	s_or_b32 exec_lo, exec_lo, s10
	v_add_nc_u32_e32 v13, -1, v42
	s_delay_alu instid0(VALU_DEP_1) | instskip(NEXT) | instid1(VALU_DEP_1)
	v_cmp_gt_i32_e64 s3, 0, v13
	v_cndmask_b32_e64 v13, v13, v42, s3
	v_cmp_eq_u32_e64 s3, 0, v42
	s_delay_alu instid0(VALU_DEP_2)
	v_lshlrev_b32_e32 v13, 2, v13
	ds_bpermute_b32 v29, v13, v17
	ds_bpermute_b32 v30, v13, v14
	s_and_saveexec_b32 s10, vcc_lo
	s_cbranch_execz .LBB260_79
; %bb.42:
	v_mov_b32_e32 v16, 0
	ds_load_b64 v[13:14], v16 offset:24
	s_and_saveexec_b32 s11, s3
	s_cbranch_execz .LBB260_44
; %bb.43:
	s_add_i32 s12, s15, 32
	s_mov_b32 s13, 0
	s_delay_alu instid0(SALU_CYCLE_1) | instskip(NEXT) | instid1(SALU_CYCLE_1)
	s_lshl_b64 s[12:13], s[12:13], 4
	s_add_u32 s12, s8, s12
	s_addc_u32 s13, s9, s13
	s_delay_alu instid0(SALU_CYCLE_1)
	v_dual_mov_b32 v15, 1 :: v_dual_mov_b32 v18, s13
	v_mov_b32_e32 v17, s12
	s_waitcnt lgkmcnt(0)
	;;#ASMSTART
	global_store_dwordx4 v[17:18], v[13:16] off	
s_waitcnt vmcnt(0)
	;;#ASMEND
.LBB260_44:
	s_or_b32 exec_lo, exec_lo, s11
	v_xad_u32 v25, v42, -1, s15
	s_mov_b32 s12, 0
	s_mov_b32 s11, exec_lo
	s_delay_alu instid0(VALU_DEP_1) | instskip(NEXT) | instid1(VALU_DEP_1)
	v_add_nc_u32_e32 v15, 32, v25
	v_lshlrev_b64 v[15:16], 4, v[15:16]
	s_delay_alu instid0(VALU_DEP_1) | instskip(NEXT) | instid1(VALU_DEP_2)
	v_add_co_u32 v15, vcc_lo, s8, v15
	v_add_co_ci_u32_e32 v16, vcc_lo, s9, v16, vcc_lo
	;;#ASMSTART
	global_load_dwordx4 v[17:20], v[15:16] off glc	
s_waitcnt vmcnt(0)
	;;#ASMEND
	v_and_b32_e32 v20, 0xff, v18
	v_and_b32_e32 v26, 0xff00, v18
	v_or3_b32 v17, v17, 0, 0
	v_and_b32_e32 v27, 0xff000000, v18
	v_and_b32_e32 v18, 0xff0000, v18
	s_delay_alu instid0(VALU_DEP_4) | instskip(SKIP_2) | instid1(VALU_DEP_3)
	v_or3_b32 v20, 0, v20, v26
	v_and_b32_e32 v26, 0xff, v19
	v_or3_b32 v17, v17, 0, 0
	v_or3_b32 v18, v20, v18, v27
	s_delay_alu instid0(VALU_DEP_3)
	v_cmpx_eq_u16_e32 0, v26
	s_cbranch_execz .LBB260_47
.LBB260_45:                             ; =>This Inner Loop Header: Depth=1
	;;#ASMSTART
	global_load_dwordx4 v[17:20], v[15:16] off glc	
s_waitcnt vmcnt(0)
	;;#ASMEND
	v_and_b32_e32 v20, 0xff, v19
	s_delay_alu instid0(VALU_DEP_1) | instskip(SKIP_1) | instid1(SALU_CYCLE_1)
	v_cmp_ne_u16_e32 vcc_lo, 0, v20
	s_or_b32 s12, vcc_lo, s12
	s_and_not1_b32 exec_lo, exec_lo, s12
	s_cbranch_execnz .LBB260_45
; %bb.46:
	s_or_b32 exec_lo, exec_lo, s12
.LBB260_47:
	s_delay_alu instid0(SALU_CYCLE_1)
	s_or_b32 exec_lo, exec_lo, s11
	v_cmp_ne_u32_e32 vcc_lo, 31, v42
	v_and_b32_e32 v16, 0xff, v19
	v_lshlrev_b32_e64 v46, v42, -1
	s_mov_b32 s11, exec_lo
	v_add_co_ci_u32_e32 v15, vcc_lo, 0, v42, vcc_lo
	s_delay_alu instid0(VALU_DEP_3) | instskip(NEXT) | instid1(VALU_DEP_2)
	v_cmp_eq_u16_e32 vcc_lo, 2, v16
	v_dual_mov_b32 v16, v17 :: v_dual_lshlrev_b32 v45, 2, v15
	v_and_or_b32 v15, vcc_lo, v46, 0x80000000
	ds_bpermute_b32 v26, v45, v17
	ds_bpermute_b32 v20, v45, v18
	v_ctz_i32_b32_e32 v15, v15
	s_delay_alu instid0(VALU_DEP_1)
	v_cmpx_lt_u32_e64 v42, v15
	s_cbranch_execz .LBB260_49
; %bb.48:
	s_waitcnt lgkmcnt(1)
	v_add_co_u32 v16, vcc_lo, v17, v26
	v_add_co_ci_u32_e32 v18, vcc_lo, 0, v18, vcc_lo
	s_delay_alu instid0(VALU_DEP_2) | instskip(SKIP_1) | instid1(VALU_DEP_2)
	v_add_co_u32 v17, vcc_lo, 0, v16
	s_waitcnt lgkmcnt(0)
	v_add_co_ci_u32_e32 v18, vcc_lo, v20, v18, vcc_lo
.LBB260_49:
	s_or_b32 exec_lo, exec_lo, s11
	v_cmp_gt_u32_e32 vcc_lo, 30, v42
	v_add_nc_u32_e32 v48, 2, v42
	s_mov_b32 s11, exec_lo
	s_waitcnt lgkmcnt(0)
	v_cndmask_b32_e64 v20, 0, 1, vcc_lo
	s_delay_alu instid0(VALU_DEP_1) | instskip(NEXT) | instid1(VALU_DEP_1)
	v_lshlrev_b32_e32 v20, 1, v20
	v_add_lshl_u32 v47, v20, v42, 2
	ds_bpermute_b32 v26, v47, v16
	ds_bpermute_b32 v20, v47, v18
	v_cmpx_le_u32_e64 v48, v15
	s_cbranch_execz .LBB260_51
; %bb.50:
	s_waitcnt lgkmcnt(1)
	v_add_co_u32 v16, vcc_lo, v17, v26
	v_add_co_ci_u32_e32 v18, vcc_lo, 0, v18, vcc_lo
	s_delay_alu instid0(VALU_DEP_2) | instskip(SKIP_1) | instid1(VALU_DEP_2)
	v_add_co_u32 v17, vcc_lo, 0, v16
	s_waitcnt lgkmcnt(0)
	v_add_co_ci_u32_e32 v18, vcc_lo, v20, v18, vcc_lo
.LBB260_51:
	s_or_b32 exec_lo, exec_lo, s11
	v_cmp_gt_u32_e32 vcc_lo, 28, v42
	v_add_nc_u32_e32 v50, 4, v42
	s_mov_b32 s11, exec_lo
	s_waitcnt lgkmcnt(0)
	v_cndmask_b32_e64 v20, 0, 1, vcc_lo
	s_delay_alu instid0(VALU_DEP_1) | instskip(NEXT) | instid1(VALU_DEP_1)
	v_lshlrev_b32_e32 v20, 2, v20
	v_add_lshl_u32 v49, v20, v42, 2
	ds_bpermute_b32 v26, v49, v16
	ds_bpermute_b32 v20, v49, v18
	v_cmpx_le_u32_e64 v50, v15
	;; [unrolled: 22-line block ×4, first 2 shown]
	s_cbranch_execz .LBB260_57
; %bb.56:
	s_waitcnt lgkmcnt(1)
	v_add_co_u32 v15, vcc_lo, v17, v20
	v_add_co_ci_u32_e32 v18, vcc_lo, 0, v18, vcc_lo
	s_delay_alu instid0(VALU_DEP_2) | instskip(SKIP_1) | instid1(VALU_DEP_2)
	v_add_co_u32 v17, vcc_lo, v15, 0
	s_waitcnt lgkmcnt(0)
	v_add_co_ci_u32_e32 v18, vcc_lo, v18, v16, vcc_lo
.LBB260_57:
	s_or_b32 exec_lo, exec_lo, s11
	v_mov_b32_e32 v26, 0
	s_branch .LBB260_59
.LBB260_58:                             ;   in Loop: Header=BB260_59 Depth=1
	s_or_b32 exec_lo, exec_lo, s11
	v_add_co_u32 v17, vcc_lo, v17, v15
	v_subrev_nc_u32_e32 v25, 32, v25
	v_add_co_ci_u32_e32 v18, vcc_lo, v18, v16, vcc_lo
.LBB260_59:                             ; =>This Loop Header: Depth=1
                                        ;     Child Loop BB260_62 Depth 2
	v_and_b32_e32 v15, 0xff, v19
	s_delay_alu instid0(VALU_DEP_1) | instskip(SKIP_2) | instid1(VALU_DEP_1)
	v_cmp_ne_u16_e32 vcc_lo, 2, v15
	v_cndmask_b32_e64 v15, 0, 1, vcc_lo
	;;#ASMSTART
	;;#ASMEND
	v_cmp_ne_u32_e32 vcc_lo, 0, v15
	s_waitcnt lgkmcnt(0)
	v_dual_mov_b32 v15, v17 :: v_dual_mov_b32 v16, v18
	s_cmp_lg_u32 vcc_lo, exec_lo
	s_cbranch_scc1 .LBB260_74
; %bb.60:                               ;   in Loop: Header=BB260_59 Depth=1
	v_lshlrev_b64 v[17:18], 4, v[25:26]
	s_mov_b32 s11, exec_lo
	s_delay_alu instid0(VALU_DEP_1) | instskip(NEXT) | instid1(VALU_DEP_2)
	v_add_co_u32 v27, vcc_lo, s8, v17
	v_add_co_ci_u32_e32 v28, vcc_lo, s9, v18, vcc_lo
	;;#ASMSTART
	global_load_dwordx4 v[17:20], v[27:28] off glc	
s_waitcnt vmcnt(0)
	;;#ASMEND
	v_and_b32_e32 v20, 0xff, v18
	v_and_b32_e32 v55, 0xff00, v18
	v_or3_b32 v17, v17, 0, 0
	v_and_b32_e32 v56, 0xff000000, v18
	v_and_b32_e32 v18, 0xff0000, v18
	s_delay_alu instid0(VALU_DEP_4) | instskip(SKIP_2) | instid1(VALU_DEP_3)
	v_or3_b32 v20, 0, v20, v55
	v_and_b32_e32 v55, 0xff, v19
	v_or3_b32 v17, v17, 0, 0
	v_or3_b32 v18, v20, v18, v56
	s_delay_alu instid0(VALU_DEP_3)
	v_cmpx_eq_u16_e32 0, v55
	s_cbranch_execz .LBB260_64
; %bb.61:                               ;   in Loop: Header=BB260_59 Depth=1
	s_mov_b32 s12, 0
.LBB260_62:                             ;   Parent Loop BB260_59 Depth=1
                                        ; =>  This Inner Loop Header: Depth=2
	;;#ASMSTART
	global_load_dwordx4 v[17:20], v[27:28] off glc	
s_waitcnt vmcnt(0)
	;;#ASMEND
	v_and_b32_e32 v20, 0xff, v19
	s_delay_alu instid0(VALU_DEP_1) | instskip(SKIP_1) | instid1(SALU_CYCLE_1)
	v_cmp_ne_u16_e32 vcc_lo, 0, v20
	s_or_b32 s12, vcc_lo, s12
	s_and_not1_b32 exec_lo, exec_lo, s12
	s_cbranch_execnz .LBB260_62
; %bb.63:                               ;   in Loop: Header=BB260_59 Depth=1
	s_or_b32 exec_lo, exec_lo, s12
.LBB260_64:                             ;   in Loop: Header=BB260_59 Depth=1
	s_delay_alu instid0(SALU_CYCLE_1)
	s_or_b32 exec_lo, exec_lo, s11
	v_dual_mov_b32 v27, v17 :: v_dual_and_b32 v20, 0xff, v19
	ds_bpermute_b32 v55, v45, v17
	ds_bpermute_b32 v28, v45, v18
	s_mov_b32 s11, exec_lo
	v_cmp_eq_u16_e32 vcc_lo, 2, v20
	v_and_or_b32 v20, vcc_lo, v46, 0x80000000
	s_delay_alu instid0(VALU_DEP_1) | instskip(NEXT) | instid1(VALU_DEP_1)
	v_ctz_i32_b32_e32 v20, v20
	v_cmpx_lt_u32_e64 v42, v20
	s_cbranch_execz .LBB260_66
; %bb.65:                               ;   in Loop: Header=BB260_59 Depth=1
	s_waitcnt lgkmcnt(1)
	v_add_co_u32 v27, vcc_lo, v17, v55
	v_add_co_ci_u32_e32 v18, vcc_lo, 0, v18, vcc_lo
	s_delay_alu instid0(VALU_DEP_2) | instskip(SKIP_1) | instid1(VALU_DEP_2)
	v_add_co_u32 v17, vcc_lo, 0, v27
	s_waitcnt lgkmcnt(0)
	v_add_co_ci_u32_e32 v18, vcc_lo, v28, v18, vcc_lo
.LBB260_66:                             ;   in Loop: Header=BB260_59 Depth=1
	s_or_b32 exec_lo, exec_lo, s11
	s_waitcnt lgkmcnt(1)
	ds_bpermute_b32 v55, v47, v27
	s_waitcnt lgkmcnt(1)
	ds_bpermute_b32 v28, v47, v18
	s_mov_b32 s11, exec_lo
	v_cmpx_le_u32_e64 v48, v20
	s_cbranch_execz .LBB260_68
; %bb.67:                               ;   in Loop: Header=BB260_59 Depth=1
	s_waitcnt lgkmcnt(1)
	v_add_co_u32 v27, vcc_lo, v17, v55
	v_add_co_ci_u32_e32 v18, vcc_lo, 0, v18, vcc_lo
	s_delay_alu instid0(VALU_DEP_2) | instskip(SKIP_1) | instid1(VALU_DEP_2)
	v_add_co_u32 v17, vcc_lo, 0, v27
	s_waitcnt lgkmcnt(0)
	v_add_co_ci_u32_e32 v18, vcc_lo, v28, v18, vcc_lo
.LBB260_68:                             ;   in Loop: Header=BB260_59 Depth=1
	s_or_b32 exec_lo, exec_lo, s11
	s_waitcnt lgkmcnt(1)
	ds_bpermute_b32 v55, v49, v27
	s_waitcnt lgkmcnt(1)
	ds_bpermute_b32 v28, v49, v18
	s_mov_b32 s11, exec_lo
	v_cmpx_le_u32_e64 v50, v20
	;; [unrolled: 17-line block ×3, first 2 shown]
	s_cbranch_execz .LBB260_72
; %bb.71:                               ;   in Loop: Header=BB260_59 Depth=1
	s_waitcnt lgkmcnt(1)
	v_add_co_u32 v27, vcc_lo, v17, v55
	v_add_co_ci_u32_e32 v18, vcc_lo, 0, v18, vcc_lo
	s_delay_alu instid0(VALU_DEP_2) | instskip(SKIP_1) | instid1(VALU_DEP_2)
	v_add_co_u32 v17, vcc_lo, 0, v27
	s_waitcnt lgkmcnt(0)
	v_add_co_ci_u32_e32 v18, vcc_lo, v28, v18, vcc_lo
.LBB260_72:                             ;   in Loop: Header=BB260_59 Depth=1
	s_or_b32 exec_lo, exec_lo, s11
	s_waitcnt lgkmcnt(0)
	ds_bpermute_b32 v28, v53, v27
	ds_bpermute_b32 v27, v53, v18
	s_mov_b32 s11, exec_lo
	v_cmpx_le_u32_e64 v54, v20
	s_cbranch_execz .LBB260_58
; %bb.73:                               ;   in Loop: Header=BB260_59 Depth=1
	s_waitcnt lgkmcnt(1)
	v_add_co_u32 v17, vcc_lo, v17, v28
	v_add_co_ci_u32_e32 v18, vcc_lo, 0, v18, vcc_lo
	s_delay_alu instid0(VALU_DEP_2) | instskip(SKIP_1) | instid1(VALU_DEP_2)
	v_add_co_u32 v17, vcc_lo, v17, 0
	s_waitcnt lgkmcnt(0)
	v_add_co_ci_u32_e32 v18, vcc_lo, v18, v27, vcc_lo
	s_branch .LBB260_58
.LBB260_74:                             ;   in Loop: Header=BB260_59 Depth=1
                                        ; implicit-def: $vgpr17_vgpr18
	s_cbranch_execz .LBB260_59
; %bb.75:
	s_and_saveexec_b32 s11, s3
	s_cbranch_execz .LBB260_77
; %bb.76:
	s_add_i32 s12, s15, 32
	s_mov_b32 s13, 0
	v_add_co_u32 v17, vcc_lo, v15, v13
	s_lshl_b64 s[12:13], s[12:13], 4
	v_dual_mov_b32 v19, 2 :: v_dual_mov_b32 v20, 0
	s_add_u32 s12, s8, s12
	s_addc_u32 s13, s9, s13
	v_add_co_ci_u32_e32 v18, vcc_lo, v16, v14, vcc_lo
	v_dual_mov_b32 v26, s13 :: v_dual_mov_b32 v25, s12
	;;#ASMSTART
	global_store_dwordx4 v[25:26], v[17:20] off	
s_waitcnt vmcnt(0)
	;;#ASMEND
	ds_store_b128 v20, v[13:16] offset:6144
.LBB260_77:
	s_or_b32 exec_lo, exec_lo, s11
	v_cmp_eq_u32_e32 vcc_lo, 0, v0
	s_and_b32 exec_lo, exec_lo, vcc_lo
	s_cbranch_execz .LBB260_79
; %bb.78:
	v_mov_b32_e32 v13, 0
	ds_store_b64 v13, v[15:16] offset:24
.LBB260_79:
	s_or_b32 exec_lo, exec_lo, s10
	s_waitcnt lgkmcnt(1)
	v_cndmask_b32_e64 v16, v29, v23, s3
	v_cmp_ne_u32_e32 vcc_lo, 0, v0
	v_mov_b32_e32 v15, 0
	s_waitcnt lgkmcnt(0)
	s_barrier
	buffer_gl0_inv
	v_cndmask_b32_e32 v16, 0, v16, vcc_lo
	ds_load_b64 v[13:14], v15 offset:24
	v_cndmask_b32_e64 v17, v30, v24, s3
	s_waitcnt lgkmcnt(0)
	s_barrier
	buffer_gl0_inv
	v_cndmask_b32_e32 v17, 0, v17, vcc_lo
	v_add_co_u32 v29, vcc_lo, v13, v16
	s_delay_alu instid0(VALU_DEP_2) | instskip(SKIP_3) | instid1(VALU_DEP_2)
	v_add_co_ci_u32_e32 v30, vcc_lo, v14, v17, vcc_lo
	ds_load_b128 v[13:16], v15 offset:6144
	v_add_co_u32 v27, vcc_lo, v29, v41
	v_add_co_ci_u32_e32 v28, vcc_lo, 0, v30, vcc_lo
	v_add_co_u32 v25, vcc_lo, v27, v40
	s_delay_alu instid0(VALU_DEP_2) | instskip(NEXT) | instid1(VALU_DEP_2)
	v_add_co_ci_u32_e32 v26, vcc_lo, 0, v28, vcc_lo
	v_add_co_u32 v23, vcc_lo, v25, v39
	s_delay_alu instid0(VALU_DEP_2) | instskip(NEXT) | instid1(VALU_DEP_2)
	;; [unrolled: 3-line block ×3, first 2 shown]
	v_add_co_ci_u32_e32 v20, vcc_lo, 0, v24, vcc_lo
	v_add_co_u32 v17, vcc_lo, v19, v37
	s_delay_alu instid0(VALU_DEP_2)
	v_add_co_ci_u32_e32 v18, vcc_lo, 0, v20, vcc_lo
	s_load_b64 s[10:11], s[0:1], 0x30
.LBB260_80:
	s_waitcnt lgkmcnt(0)
	v_cmp_gt_u64_e32 vcc_lo, 0x81, v[13:14]
	s_mov_b32 s0, -1
	s_cbranch_vccnz .LBB260_108
.LBB260_81:
	s_and_b32 vcc_lo, exec_lo, s0
	s_cbranch_vccnz .LBB260_127
.LBB260_82:
	v_cmp_eq_u32_e32 vcc_lo, 0, v0
	s_and_b32 s0, vcc_lo, s14
	s_delay_alu instid0(SALU_CYCLE_1)
	s_and_saveexec_b32 s1, s0
	s_cbranch_execnz .LBB260_143
.LBB260_83:
	s_nop 0
	s_sendmsg sendmsg(MSG_DEALLOC_VGPRS)
	s_endpgm
.LBB260_84:
                                        ; kill: def $vgpr13_vgpr14 killed $sgpr0_sgpr1 killed $exec
                                        ; implicit-def: $vgpr17_vgpr18
                                        ; implicit-def: $vgpr19_vgpr20
                                        ; implicit-def: $vgpr23_vgpr24
                                        ; implicit-def: $vgpr25_vgpr26
                                        ; implicit-def: $vgpr27_vgpr28
                                        ; implicit-def: $vgpr29_vgpr30
                                        ; implicit-def: $vgpr15_vgpr16
	s_load_b64 s[10:11], s[0:1], 0x30
	s_and_b32 vcc_lo, exec_lo, s3
	s_cbranch_vccz .LBB260_80
; %bb.85:
	s_waitcnt lgkmcnt(0)
	v_dual_mov_b32 v14, 0 :: v_dual_mov_b32 v15, v21
	v_mov_b32_dpp v16, v21 row_shr:1 row_mask:0xf bank_mask:0xf
	s_delay_alu instid0(VALU_DEP_2)
	v_mov_b32_dpp v13, v14 row_shr:1 row_mask:0xf bank_mask:0xf
	s_and_saveexec_b32 s0, s2
; %bb.86:
	s_delay_alu instid0(VALU_DEP_2) | instskip(SKIP_1) | instid1(VALU_DEP_2)
	v_add_co_u32 v15, vcc_lo, v21, v16
	v_add_co_ci_u32_e32 v14, vcc_lo, 0, v22, vcc_lo
	v_add_co_u32 v21, vcc_lo, 0, v15
	s_delay_alu instid0(VALU_DEP_2) | instskip(NEXT) | instid1(VALU_DEP_1)
	v_add_co_ci_u32_e32 v22, vcc_lo, v13, v14, vcc_lo
	v_mov_b32_e32 v14, v22
; %bb.87:
	s_or_b32 exec_lo, exec_lo, s0
	v_mov_b32_dpp v13, v15 row_shr:2 row_mask:0xf bank_mask:0xf
	s_delay_alu instid0(VALU_DEP_2)
	v_mov_b32_dpp v16, v14 row_shr:2 row_mask:0xf bank_mask:0xf
	s_mov_b32 s0, exec_lo
	v_cmpx_lt_u32_e32 1, v44
; %bb.88:
	s_delay_alu instid0(VALU_DEP_3) | instskip(SKIP_1) | instid1(VALU_DEP_2)
	v_add_co_u32 v15, vcc_lo, v21, v13
	v_add_co_ci_u32_e32 v14, vcc_lo, 0, v22, vcc_lo
	v_add_co_u32 v13, vcc_lo, 0, v15
	s_delay_alu instid0(VALU_DEP_2) | instskip(NEXT) | instid1(VALU_DEP_1)
	v_add_co_ci_u32_e32 v14, vcc_lo, v16, v14, vcc_lo
	v_dual_mov_b32 v22, v14 :: v_dual_mov_b32 v21, v13
; %bb.89:
	s_or_b32 exec_lo, exec_lo, s0
	v_mov_b32_dpp v13, v15 row_shr:4 row_mask:0xf bank_mask:0xf
	v_mov_b32_dpp v16, v14 row_shr:4 row_mask:0xf bank_mask:0xf
	s_mov_b32 s0, exec_lo
	v_cmpx_lt_u32_e32 3, v44
; %bb.90:
	s_delay_alu instid0(VALU_DEP_3) | instskip(SKIP_1) | instid1(VALU_DEP_2)
	v_add_co_u32 v15, vcc_lo, v21, v13
	v_add_co_ci_u32_e32 v14, vcc_lo, 0, v22, vcc_lo
	v_add_co_u32 v13, vcc_lo, 0, v15
	s_delay_alu instid0(VALU_DEP_2) | instskip(NEXT) | instid1(VALU_DEP_1)
	v_add_co_ci_u32_e32 v14, vcc_lo, v16, v14, vcc_lo
	v_dual_mov_b32 v22, v14 :: v_dual_mov_b32 v21, v13
; %bb.91:
	s_or_b32 exec_lo, exec_lo, s0
	v_mov_b32_dpp v16, v15 row_shr:8 row_mask:0xf bank_mask:0xf
	v_mov_b32_dpp v13, v14 row_shr:8 row_mask:0xf bank_mask:0xf
	s_mov_b32 s0, exec_lo
	v_cmpx_lt_u32_e32 7, v44
; %bb.92:
	s_delay_alu instid0(VALU_DEP_3) | instskip(SKIP_1) | instid1(VALU_DEP_2)
	v_add_co_u32 v15, vcc_lo, v21, v16
	v_add_co_ci_u32_e32 v14, vcc_lo, 0, v22, vcc_lo
	v_add_co_u32 v21, vcc_lo, 0, v15
	s_delay_alu instid0(VALU_DEP_2) | instskip(NEXT) | instid1(VALU_DEP_1)
	v_add_co_ci_u32_e32 v22, vcc_lo, v13, v14, vcc_lo
	v_mov_b32_e32 v14, v22
; %bb.93:
	s_or_b32 exec_lo, exec_lo, s0
	ds_swizzle_b32 v15, v15 offset:swizzle(BROADCAST,32,15)
	ds_swizzle_b32 v13, v14 offset:swizzle(BROADCAST,32,15)
	v_and_b32_e32 v14, 16, v42
	s_mov_b32 s0, exec_lo
	s_delay_alu instid0(VALU_DEP_1)
	v_cmpx_ne_u32_e32 0, v14
	s_cbranch_execz .LBB260_95
; %bb.94:
	s_waitcnt lgkmcnt(1)
	v_add_co_u32 v14, vcc_lo, v21, v15
	v_add_co_ci_u32_e32 v15, vcc_lo, 0, v22, vcc_lo
	s_delay_alu instid0(VALU_DEP_2) | instskip(SKIP_1) | instid1(VALU_DEP_2)
	v_add_co_u32 v21, vcc_lo, v14, 0
	s_waitcnt lgkmcnt(0)
	v_add_co_ci_u32_e32 v22, vcc_lo, v15, v13, vcc_lo
.LBB260_95:
	s_or_b32 exec_lo, exec_lo, s0
	s_waitcnt lgkmcnt(0)
	v_or_b32_e32 v13, 31, v0
	v_lshrrev_b32_e32 v15, 5, v0
	s_mov_b32 s0, exec_lo
	s_delay_alu instid0(VALU_DEP_2)
	v_cmpx_eq_u32_e64 v13, v0
	s_cbranch_execz .LBB260_97
; %bb.96:
	s_delay_alu instid0(VALU_DEP_2)
	v_lshlrev_b32_e32 v13, 3, v15
	ds_store_b64 v13, v[21:22]
.LBB260_97:
	s_or_b32 exec_lo, exec_lo, s0
	s_delay_alu instid0(SALU_CYCLE_1)
	s_mov_b32 s0, exec_lo
	s_waitcnt lgkmcnt(0)
	s_barrier
	buffer_gl0_inv
	v_cmpx_gt_u32_e32 4, v0
	s_cbranch_execz .LBB260_103
; %bb.98:
	v_lshlrev_b32_e32 v13, 1, v0
	s_mov_b32 s1, exec_lo
	s_delay_alu instid0(VALU_DEP_1)
	v_add_nc_u32_e32 v16, v43, v13
	ds_load_b64 v[13:14], v16
	s_waitcnt lgkmcnt(0)
	v_dual_mov_b32 v18, v13 :: v_dual_and_b32 v17, 3, v42
	v_mov_b32_dpp v20, v13 row_shr:1 row_mask:0xf bank_mask:0xf
	v_mov_b32_dpp v19, v14 row_shr:1 row_mask:0xf bank_mask:0xf
	s_delay_alu instid0(VALU_DEP_3)
	v_cmpx_ne_u32_e32 0, v17
; %bb.99:
	s_delay_alu instid0(VALU_DEP_3) | instskip(SKIP_1) | instid1(VALU_DEP_2)
	v_add_co_u32 v18, vcc_lo, v13, v20
	v_add_co_ci_u32_e32 v14, vcc_lo, 0, v14, vcc_lo
	v_add_co_u32 v13, vcc_lo, 0, v18
	s_delay_alu instid0(VALU_DEP_2)
	v_add_co_ci_u32_e32 v14, vcc_lo, v19, v14, vcc_lo
; %bb.100:
	s_or_b32 exec_lo, exec_lo, s1
	v_mov_b32_dpp v19, v18 row_shr:2 row_mask:0xf bank_mask:0xf
	s_delay_alu instid0(VALU_DEP_2)
	v_mov_b32_dpp v18, v14 row_shr:2 row_mask:0xf bank_mask:0xf
	s_mov_b32 s1, exec_lo
	v_cmpx_lt_u32_e32 1, v17
; %bb.101:
	s_delay_alu instid0(VALU_DEP_3) | instskip(SKIP_1) | instid1(VALU_DEP_2)
	v_add_co_u32 v13, vcc_lo, v13, v19
	v_add_co_ci_u32_e32 v14, vcc_lo, 0, v14, vcc_lo
	v_add_co_u32 v13, vcc_lo, v13, 0
	s_delay_alu instid0(VALU_DEP_2)
	v_add_co_ci_u32_e32 v14, vcc_lo, v14, v18, vcc_lo
; %bb.102:
	s_or_b32 exec_lo, exec_lo, s1
	ds_store_b64 v16, v[13:14]
.LBB260_103:
	s_or_b32 exec_lo, exec_lo, s0
	v_mov_b32_e32 v17, 0
	v_mov_b32_e32 v18, 0
	s_mov_b32 s0, exec_lo
	s_waitcnt lgkmcnt(0)
	s_barrier
	buffer_gl0_inv
	v_cmpx_lt_u32_e32 31, v0
	s_cbranch_execz .LBB260_105
; %bb.104:
	v_lshl_add_u32 v13, v15, 3, -8
	ds_load_b64 v[17:18], v13
.LBB260_105:
	s_or_b32 exec_lo, exec_lo, s0
	v_dual_mov_b32 v16, 0 :: v_dual_add_nc_u32 v13, -1, v42
	s_delay_alu instid0(VALU_DEP_1) | instskip(SKIP_4) | instid1(VALU_DEP_3)
	v_cmp_gt_i32_e32 vcc_lo, 0, v13
	v_cndmask_b32_e32 v13, v13, v42, vcc_lo
	s_waitcnt lgkmcnt(0)
	v_add_co_u32 v14, vcc_lo, v17, v21
	v_add_co_ci_u32_e32 v15, vcc_lo, v18, v22, vcc_lo
	v_lshlrev_b32_e32 v13, 2, v13
	v_cmp_eq_u32_e32 vcc_lo, 0, v0
	ds_bpermute_b32 v19, v13, v14
	ds_bpermute_b32 v20, v13, v15
	ds_load_b64 v[13:14], v16 offset:24
	s_and_saveexec_b32 s0, vcc_lo
	s_cbranch_execz .LBB260_107
; %bb.106:
	s_add_u32 s2, s8, 0x200
	s_addc_u32 s3, s9, 0
	s_delay_alu instid0(SALU_CYCLE_1)
	v_dual_mov_b32 v15, 2 :: v_dual_mov_b32 v22, s3
	v_mov_b32_e32 v21, s2
	s_waitcnt lgkmcnt(0)
	;;#ASMSTART
	global_store_dwordx4 v[21:22], v[13:16] off	
s_waitcnt vmcnt(0)
	;;#ASMEND
.LBB260_107:
	s_or_b32 exec_lo, exec_lo, s0
	v_cmp_eq_u32_e64 s0, 0, v42
	s_waitcnt lgkmcnt(0)
	s_barrier
	buffer_gl0_inv
	v_cndmask_b32_e64 v15, v19, v17, s0
	v_cndmask_b32_e64 v16, v20, v18, s0
	s_delay_alu instid0(VALU_DEP_2) | instskip(NEXT) | instid1(VALU_DEP_2)
	v_cndmask_b32_e64 v29, v15, 0, vcc_lo
	v_cndmask_b32_e64 v30, v16, 0, vcc_lo
	v_mov_b32_e32 v15, 0
	v_mov_b32_e32 v16, 0
	s_delay_alu instid0(VALU_DEP_4) | instskip(NEXT) | instid1(VALU_DEP_4)
	v_add_co_u32 v27, vcc_lo, v29, v41
	v_add_co_ci_u32_e32 v28, vcc_lo, 0, v30, vcc_lo
	s_delay_alu instid0(VALU_DEP_2) | instskip(NEXT) | instid1(VALU_DEP_2)
	v_add_co_u32 v25, vcc_lo, v27, v40
	v_add_co_ci_u32_e32 v26, vcc_lo, 0, v28, vcc_lo
	s_delay_alu instid0(VALU_DEP_2) | instskip(NEXT) | instid1(VALU_DEP_2)
	;; [unrolled: 3-line block ×4, first 2 shown]
	v_add_co_u32 v17, vcc_lo, v19, v37
	v_add_co_ci_u32_e32 v18, vcc_lo, 0, v20, vcc_lo
	v_cmp_gt_u64_e32 vcc_lo, 0x81, v[13:14]
	s_mov_b32 s0, -1
	s_cbranch_vccz .LBB260_81
.LBB260_108:
	v_add_co_u32 v21, vcc_lo, v15, v13
	v_add_co_ci_u32_e32 v22, vcc_lo, v16, v14, vcc_lo
	s_delay_alu instid0(VALU_DEP_1) | instskip(SKIP_1) | instid1(SALU_CYCLE_1)
	v_cmp_lt_u64_e32 vcc_lo, v[29:30], v[21:22]
	s_or_b32 s1, s16, vcc_lo
	s_and_saveexec_b32 s0, s1
	s_cbranch_execz .LBB260_111
; %bb.109:
	v_and_b32_e32 v37, 1, v36
	s_delay_alu instid0(VALU_DEP_1)
	v_cmp_eq_u32_e32 vcc_lo, 1, v37
	s_and_b32 exec_lo, exec_lo, vcc_lo
	s_cbranch_execz .LBB260_111
; %bb.110:
	v_lshlrev_b64 v[37:38], 3, v[29:30]
	s_lshl_b64 s[2:3], s[6:7], 3
	s_delay_alu instid0(SALU_CYCLE_1) | instskip(SKIP_1) | instid1(VALU_DEP_1)
	s_add_u32 s1, s10, s2
	s_addc_u32 s2, s11, s3
	v_add_co_u32 v37, vcc_lo, s1, v37
	s_delay_alu instid0(VALU_DEP_2)
	v_add_co_ci_u32_e32 v38, vcc_lo, s2, v38, vcc_lo
	global_store_b64 v[37:38], v[9:10], off
.LBB260_111:
	s_or_b32 exec_lo, exec_lo, s0
	v_cmp_lt_u64_e32 vcc_lo, v[27:28], v[21:22]
	s_or_b32 s1, s16, vcc_lo
	s_delay_alu instid0(SALU_CYCLE_1)
	s_and_saveexec_b32 s0, s1
	s_cbranch_execz .LBB260_114
; %bb.112:
	v_and_b32_e32 v30, 1, v34
	s_delay_alu instid0(VALU_DEP_1)
	v_cmp_eq_u32_e32 vcc_lo, 1, v30
	s_and_b32 exec_lo, exec_lo, vcc_lo
	s_cbranch_execz .LBB260_114
; %bb.113:
	v_lshlrev_b64 v[37:38], 3, v[27:28]
	s_lshl_b64 s[2:3], s[6:7], 3
	s_delay_alu instid0(SALU_CYCLE_1) | instskip(SKIP_1) | instid1(VALU_DEP_1)
	s_add_u32 s1, s10, s2
	s_addc_u32 s2, s11, s3
	v_add_co_u32 v37, vcc_lo, s1, v37
	s_delay_alu instid0(VALU_DEP_2)
	v_add_co_ci_u32_e32 v38, vcc_lo, s2, v38, vcc_lo
	global_store_b64 v[37:38], v[11:12], off
.LBB260_114:
	s_or_b32 exec_lo, exec_lo, s0
	v_cmp_lt_u64_e32 vcc_lo, v[25:26], v[21:22]
	s_or_b32 s1, s16, vcc_lo
	s_delay_alu instid0(SALU_CYCLE_1)
	;; [unrolled: 23-line block ×5, first 2 shown]
	s_and_saveexec_b32 s0, s1
	s_cbranch_execz .LBB260_126
; %bb.124:
	v_and_b32_e32 v20, 1, v32
	s_delay_alu instid0(VALU_DEP_1)
	v_cmp_eq_u32_e32 vcc_lo, 1, v20
	s_and_b32 exec_lo, exec_lo, vcc_lo
	s_cbranch_execz .LBB260_126
; %bb.125:
	v_lshlrev_b64 v[20:21], 3, v[17:18]
	s_lshl_b64 s[2:3], s[6:7], 3
	s_delay_alu instid0(SALU_CYCLE_1) | instskip(SKIP_1) | instid1(VALU_DEP_1)
	s_add_u32 s1, s10, s2
	s_addc_u32 s2, s11, s3
	v_add_co_u32 v20, vcc_lo, s1, v20
	s_delay_alu instid0(VALU_DEP_2)
	v_add_co_ci_u32_e32 v21, vcc_lo, s2, v21, vcc_lo
	global_store_b64 v[20:21], v[3:4], off
.LBB260_126:
	s_or_b32 exec_lo, exec_lo, s0
	s_branch .LBB260_82
.LBB260_127:
	v_and_b32_e32 v18, 1, v36
	s_mov_b32 s0, exec_lo
	s_delay_alu instid0(VALU_DEP_1)
	v_cmpx_eq_u32_e32 1, v18
	s_cbranch_execz .LBB260_129
; %bb.128:
	v_sub_nc_u32_e32 v18, v29, v15
	s_delay_alu instid0(VALU_DEP_1)
	v_lshlrev_b32_e32 v18, 3, v18
	ds_store_b64 v18, v[9:10]
.LBB260_129:
	s_or_b32 exec_lo, exec_lo, s0
	v_and_b32_e32 v9, 1, v34
	s_mov_b32 s0, exec_lo
	s_delay_alu instid0(VALU_DEP_1)
	v_cmpx_eq_u32_e32 1, v9
	s_cbranch_execz .LBB260_131
; %bb.130:
	v_sub_nc_u32_e32 v9, v27, v15
	s_delay_alu instid0(VALU_DEP_1)
	v_lshlrev_b32_e32 v9, 3, v9
	ds_store_b64 v9, v[11:12]
.LBB260_131:
	s_or_b32 exec_lo, exec_lo, s0
	;; [unrolled: 12-line block ×6, first 2 shown]
	v_mov_b32_e32 v3, 0
	s_mov_b32 s1, exec_lo
	s_waitcnt lgkmcnt(0)
	s_waitcnt_vscnt null, 0x0
	s_barrier
	buffer_gl0_inv
	v_mov_b32_e32 v1, v3
	s_delay_alu instid0(VALU_DEP_1)
	v_cmpx_gt_u64_e64 v[13:14], v[0:1]
	s_cbranch_execz .LBB260_142
; %bb.140:
	v_lshlrev_b64 v[4:5], 3, v[15:16]
	s_lshl_b64 s[2:3], s[6:7], 3
	v_or_b32_e32 v2, 0x80, v0
	s_delay_alu instid0(VALU_DEP_2) | instskip(NEXT) | instid1(VALU_DEP_3)
	v_add_co_u32 v4, vcc_lo, s10, v4
	v_add_co_ci_u32_e32 v5, vcc_lo, s11, v5, vcc_lo
	s_delay_alu instid0(VALU_DEP_2) | instskip(NEXT) | instid1(VALU_DEP_2)
	v_add_co_u32 v6, vcc_lo, v4, s2
	v_add_co_ci_u32_e32 v7, vcc_lo, s3, v5, vcc_lo
	v_dual_mov_b32 v5, v1 :: v_dual_mov_b32 v4, v0
	s_mov_b32 s2, 0
	.p2align	6
.LBB260_141:                            ; =>This Inner Loop Header: Depth=1
	s_delay_alu instid0(VALU_DEP_1) | instskip(NEXT) | instid1(VALU_DEP_2)
	v_lshlrev_b32_e32 v1, 3, v4
	v_lshlrev_b64 v[10:11], 3, v[4:5]
	v_dual_mov_b32 v5, v3 :: v_dual_mov_b32 v4, v2
	v_cmp_le_u64_e32 vcc_lo, v[13:14], v[2:3]
	v_add_nc_u32_e32 v2, 0x80, v2
	ds_load_b64 v[8:9], v1
	v_add_co_u32 v10, s0, v6, v10
	s_delay_alu instid0(VALU_DEP_1)
	v_add_co_ci_u32_e64 v11, s0, v7, v11, s0
	s_or_b32 s2, vcc_lo, s2
	s_waitcnt lgkmcnt(0)
	global_store_b64 v[10:11], v[8:9], off
	s_and_not1_b32 exec_lo, exec_lo, s2
	s_cbranch_execnz .LBB260_141
.LBB260_142:
	s_or_b32 exec_lo, exec_lo, s1
	v_cmp_eq_u32_e32 vcc_lo, 0, v0
	s_and_b32 s0, vcc_lo, s14
	s_delay_alu instid0(SALU_CYCLE_1)
	s_and_saveexec_b32 s1, s0
	s_cbranch_execz .LBB260_83
.LBB260_143:
	v_add_co_u32 v0, vcc_lo, v15, v13
	v_add_co_ci_u32_e32 v1, vcc_lo, v16, v14, vcc_lo
	v_mov_b32_e32 v2, 0
	s_delay_alu instid0(VALU_DEP_3) | instskip(NEXT) | instid1(VALU_DEP_3)
	v_add_co_u32 v0, vcc_lo, v0, s6
	v_add_co_ci_u32_e32 v1, vcc_lo, s7, v1, vcc_lo
	global_store_b64 v2, v[0:1], s[4:5]
	s_nop 0
	s_sendmsg sendmsg(MSG_DEALLOC_VGPRS)
	s_endpgm
	.section	.rodata,"a",@progbits
	.p2align	6, 0x0
	.amdhsa_kernel _ZN7rocprim17ROCPRIM_400000_NS6detail17trampoline_kernelINS0_14default_configENS1_25partition_config_selectorILNS1_17partition_subalgoE5ElNS0_10empty_typeEbEEZZNS1_14partition_implILS5_5ELb0ES3_mN6hipcub16HIPCUB_304000_NS21CountingInputIteratorIllEEPS6_NSA_22TransformInputIteratorIbN2at6native12_GLOBAL__N_19NonZeroOpIlEEPKllEENS0_5tupleIJPlS6_EEENSN_IJSD_SD_EEES6_PiJS6_EEE10hipError_tPvRmT3_T4_T5_T6_T7_T9_mT8_P12ihipStream_tbDpT10_ENKUlT_T0_E_clISt17integral_constantIbLb0EES1B_EEDaS16_S17_EUlS16_E_NS1_11comp_targetILNS1_3genE9ELNS1_11target_archE1100ELNS1_3gpuE3ELNS1_3repE0EEENS1_30default_config_static_selectorELNS0_4arch9wavefront6targetE0EEEvT1_
		.amdhsa_group_segment_fixed_size 6160
		.amdhsa_private_segment_fixed_size 0
		.amdhsa_kernarg_size 120
		.amdhsa_user_sgpr_count 15
		.amdhsa_user_sgpr_dispatch_ptr 0
		.amdhsa_user_sgpr_queue_ptr 0
		.amdhsa_user_sgpr_kernarg_segment_ptr 1
		.amdhsa_user_sgpr_dispatch_id 0
		.amdhsa_user_sgpr_private_segment_size 0
		.amdhsa_wavefront_size32 1
		.amdhsa_uses_dynamic_stack 0
		.amdhsa_enable_private_segment 0
		.amdhsa_system_sgpr_workgroup_id_x 1
		.amdhsa_system_sgpr_workgroup_id_y 0
		.amdhsa_system_sgpr_workgroup_id_z 0
		.amdhsa_system_sgpr_workgroup_info 0
		.amdhsa_system_vgpr_workitem_id 0
		.amdhsa_next_free_vgpr 57
		.amdhsa_next_free_sgpr 21
		.amdhsa_reserve_vcc 1
		.amdhsa_float_round_mode_32 0
		.amdhsa_float_round_mode_16_64 0
		.amdhsa_float_denorm_mode_32 3
		.amdhsa_float_denorm_mode_16_64 3
		.amdhsa_dx10_clamp 1
		.amdhsa_ieee_mode 1
		.amdhsa_fp16_overflow 0
		.amdhsa_workgroup_processor_mode 1
		.amdhsa_memory_ordered 1
		.amdhsa_forward_progress 0
		.amdhsa_shared_vgpr_count 0
		.amdhsa_exception_fp_ieee_invalid_op 0
		.amdhsa_exception_fp_denorm_src 0
		.amdhsa_exception_fp_ieee_div_zero 0
		.amdhsa_exception_fp_ieee_overflow 0
		.amdhsa_exception_fp_ieee_underflow 0
		.amdhsa_exception_fp_ieee_inexact 0
		.amdhsa_exception_int_div_zero 0
	.end_amdhsa_kernel
	.section	.text._ZN7rocprim17ROCPRIM_400000_NS6detail17trampoline_kernelINS0_14default_configENS1_25partition_config_selectorILNS1_17partition_subalgoE5ElNS0_10empty_typeEbEEZZNS1_14partition_implILS5_5ELb0ES3_mN6hipcub16HIPCUB_304000_NS21CountingInputIteratorIllEEPS6_NSA_22TransformInputIteratorIbN2at6native12_GLOBAL__N_19NonZeroOpIlEEPKllEENS0_5tupleIJPlS6_EEENSN_IJSD_SD_EEES6_PiJS6_EEE10hipError_tPvRmT3_T4_T5_T6_T7_T9_mT8_P12ihipStream_tbDpT10_ENKUlT_T0_E_clISt17integral_constantIbLb0EES1B_EEDaS16_S17_EUlS16_E_NS1_11comp_targetILNS1_3genE9ELNS1_11target_archE1100ELNS1_3gpuE3ELNS1_3repE0EEENS1_30default_config_static_selectorELNS0_4arch9wavefront6targetE0EEEvT1_,"axG",@progbits,_ZN7rocprim17ROCPRIM_400000_NS6detail17trampoline_kernelINS0_14default_configENS1_25partition_config_selectorILNS1_17partition_subalgoE5ElNS0_10empty_typeEbEEZZNS1_14partition_implILS5_5ELb0ES3_mN6hipcub16HIPCUB_304000_NS21CountingInputIteratorIllEEPS6_NSA_22TransformInputIteratorIbN2at6native12_GLOBAL__N_19NonZeroOpIlEEPKllEENS0_5tupleIJPlS6_EEENSN_IJSD_SD_EEES6_PiJS6_EEE10hipError_tPvRmT3_T4_T5_T6_T7_T9_mT8_P12ihipStream_tbDpT10_ENKUlT_T0_E_clISt17integral_constantIbLb0EES1B_EEDaS16_S17_EUlS16_E_NS1_11comp_targetILNS1_3genE9ELNS1_11target_archE1100ELNS1_3gpuE3ELNS1_3repE0EEENS1_30default_config_static_selectorELNS0_4arch9wavefront6targetE0EEEvT1_,comdat
.Lfunc_end260:
	.size	_ZN7rocprim17ROCPRIM_400000_NS6detail17trampoline_kernelINS0_14default_configENS1_25partition_config_selectorILNS1_17partition_subalgoE5ElNS0_10empty_typeEbEEZZNS1_14partition_implILS5_5ELb0ES3_mN6hipcub16HIPCUB_304000_NS21CountingInputIteratorIllEEPS6_NSA_22TransformInputIteratorIbN2at6native12_GLOBAL__N_19NonZeroOpIlEEPKllEENS0_5tupleIJPlS6_EEENSN_IJSD_SD_EEES6_PiJS6_EEE10hipError_tPvRmT3_T4_T5_T6_T7_T9_mT8_P12ihipStream_tbDpT10_ENKUlT_T0_E_clISt17integral_constantIbLb0EES1B_EEDaS16_S17_EUlS16_E_NS1_11comp_targetILNS1_3genE9ELNS1_11target_archE1100ELNS1_3gpuE3ELNS1_3repE0EEENS1_30default_config_static_selectorELNS0_4arch9wavefront6targetE0EEEvT1_, .Lfunc_end260-_ZN7rocprim17ROCPRIM_400000_NS6detail17trampoline_kernelINS0_14default_configENS1_25partition_config_selectorILNS1_17partition_subalgoE5ElNS0_10empty_typeEbEEZZNS1_14partition_implILS5_5ELb0ES3_mN6hipcub16HIPCUB_304000_NS21CountingInputIteratorIllEEPS6_NSA_22TransformInputIteratorIbN2at6native12_GLOBAL__N_19NonZeroOpIlEEPKllEENS0_5tupleIJPlS6_EEENSN_IJSD_SD_EEES6_PiJS6_EEE10hipError_tPvRmT3_T4_T5_T6_T7_T9_mT8_P12ihipStream_tbDpT10_ENKUlT_T0_E_clISt17integral_constantIbLb0EES1B_EEDaS16_S17_EUlS16_E_NS1_11comp_targetILNS1_3genE9ELNS1_11target_archE1100ELNS1_3gpuE3ELNS1_3repE0EEENS1_30default_config_static_selectorELNS0_4arch9wavefront6targetE0EEEvT1_
                                        ; -- End function
	.section	.AMDGPU.csdata,"",@progbits
; Kernel info:
; codeLenInByte = 6424
; NumSgprs: 23
; NumVgprs: 57
; ScratchSize: 0
; MemoryBound: 0
; FloatMode: 240
; IeeeMode: 1
; LDSByteSize: 6160 bytes/workgroup (compile time only)
; SGPRBlocks: 2
; VGPRBlocks: 7
; NumSGPRsForWavesPerEU: 23
; NumVGPRsForWavesPerEU: 57
; Occupancy: 16
; WaveLimiterHint : 1
; COMPUTE_PGM_RSRC2:SCRATCH_EN: 0
; COMPUTE_PGM_RSRC2:USER_SGPR: 15
; COMPUTE_PGM_RSRC2:TRAP_HANDLER: 0
; COMPUTE_PGM_RSRC2:TGID_X_EN: 1
; COMPUTE_PGM_RSRC2:TGID_Y_EN: 0
; COMPUTE_PGM_RSRC2:TGID_Z_EN: 0
; COMPUTE_PGM_RSRC2:TIDIG_COMP_CNT: 0
	.section	.text._ZN7rocprim17ROCPRIM_400000_NS6detail17trampoline_kernelINS0_14default_configENS1_25partition_config_selectorILNS1_17partition_subalgoE5ElNS0_10empty_typeEbEEZZNS1_14partition_implILS5_5ELb0ES3_mN6hipcub16HIPCUB_304000_NS21CountingInputIteratorIllEEPS6_NSA_22TransformInputIteratorIbN2at6native12_GLOBAL__N_19NonZeroOpIlEEPKllEENS0_5tupleIJPlS6_EEENSN_IJSD_SD_EEES6_PiJS6_EEE10hipError_tPvRmT3_T4_T5_T6_T7_T9_mT8_P12ihipStream_tbDpT10_ENKUlT_T0_E_clISt17integral_constantIbLb0EES1B_EEDaS16_S17_EUlS16_E_NS1_11comp_targetILNS1_3genE8ELNS1_11target_archE1030ELNS1_3gpuE2ELNS1_3repE0EEENS1_30default_config_static_selectorELNS0_4arch9wavefront6targetE0EEEvT1_,"axG",@progbits,_ZN7rocprim17ROCPRIM_400000_NS6detail17trampoline_kernelINS0_14default_configENS1_25partition_config_selectorILNS1_17partition_subalgoE5ElNS0_10empty_typeEbEEZZNS1_14partition_implILS5_5ELb0ES3_mN6hipcub16HIPCUB_304000_NS21CountingInputIteratorIllEEPS6_NSA_22TransformInputIteratorIbN2at6native12_GLOBAL__N_19NonZeroOpIlEEPKllEENS0_5tupleIJPlS6_EEENSN_IJSD_SD_EEES6_PiJS6_EEE10hipError_tPvRmT3_T4_T5_T6_T7_T9_mT8_P12ihipStream_tbDpT10_ENKUlT_T0_E_clISt17integral_constantIbLb0EES1B_EEDaS16_S17_EUlS16_E_NS1_11comp_targetILNS1_3genE8ELNS1_11target_archE1030ELNS1_3gpuE2ELNS1_3repE0EEENS1_30default_config_static_selectorELNS0_4arch9wavefront6targetE0EEEvT1_,comdat
	.globl	_ZN7rocprim17ROCPRIM_400000_NS6detail17trampoline_kernelINS0_14default_configENS1_25partition_config_selectorILNS1_17partition_subalgoE5ElNS0_10empty_typeEbEEZZNS1_14partition_implILS5_5ELb0ES3_mN6hipcub16HIPCUB_304000_NS21CountingInputIteratorIllEEPS6_NSA_22TransformInputIteratorIbN2at6native12_GLOBAL__N_19NonZeroOpIlEEPKllEENS0_5tupleIJPlS6_EEENSN_IJSD_SD_EEES6_PiJS6_EEE10hipError_tPvRmT3_T4_T5_T6_T7_T9_mT8_P12ihipStream_tbDpT10_ENKUlT_T0_E_clISt17integral_constantIbLb0EES1B_EEDaS16_S17_EUlS16_E_NS1_11comp_targetILNS1_3genE8ELNS1_11target_archE1030ELNS1_3gpuE2ELNS1_3repE0EEENS1_30default_config_static_selectorELNS0_4arch9wavefront6targetE0EEEvT1_ ; -- Begin function _ZN7rocprim17ROCPRIM_400000_NS6detail17trampoline_kernelINS0_14default_configENS1_25partition_config_selectorILNS1_17partition_subalgoE5ElNS0_10empty_typeEbEEZZNS1_14partition_implILS5_5ELb0ES3_mN6hipcub16HIPCUB_304000_NS21CountingInputIteratorIllEEPS6_NSA_22TransformInputIteratorIbN2at6native12_GLOBAL__N_19NonZeroOpIlEEPKllEENS0_5tupleIJPlS6_EEENSN_IJSD_SD_EEES6_PiJS6_EEE10hipError_tPvRmT3_T4_T5_T6_T7_T9_mT8_P12ihipStream_tbDpT10_ENKUlT_T0_E_clISt17integral_constantIbLb0EES1B_EEDaS16_S17_EUlS16_E_NS1_11comp_targetILNS1_3genE8ELNS1_11target_archE1030ELNS1_3gpuE2ELNS1_3repE0EEENS1_30default_config_static_selectorELNS0_4arch9wavefront6targetE0EEEvT1_
	.p2align	8
	.type	_ZN7rocprim17ROCPRIM_400000_NS6detail17trampoline_kernelINS0_14default_configENS1_25partition_config_selectorILNS1_17partition_subalgoE5ElNS0_10empty_typeEbEEZZNS1_14partition_implILS5_5ELb0ES3_mN6hipcub16HIPCUB_304000_NS21CountingInputIteratorIllEEPS6_NSA_22TransformInputIteratorIbN2at6native12_GLOBAL__N_19NonZeroOpIlEEPKllEENS0_5tupleIJPlS6_EEENSN_IJSD_SD_EEES6_PiJS6_EEE10hipError_tPvRmT3_T4_T5_T6_T7_T9_mT8_P12ihipStream_tbDpT10_ENKUlT_T0_E_clISt17integral_constantIbLb0EES1B_EEDaS16_S17_EUlS16_E_NS1_11comp_targetILNS1_3genE8ELNS1_11target_archE1030ELNS1_3gpuE2ELNS1_3repE0EEENS1_30default_config_static_selectorELNS0_4arch9wavefront6targetE0EEEvT1_,@function
_ZN7rocprim17ROCPRIM_400000_NS6detail17trampoline_kernelINS0_14default_configENS1_25partition_config_selectorILNS1_17partition_subalgoE5ElNS0_10empty_typeEbEEZZNS1_14partition_implILS5_5ELb0ES3_mN6hipcub16HIPCUB_304000_NS21CountingInputIteratorIllEEPS6_NSA_22TransformInputIteratorIbN2at6native12_GLOBAL__N_19NonZeroOpIlEEPKllEENS0_5tupleIJPlS6_EEENSN_IJSD_SD_EEES6_PiJS6_EEE10hipError_tPvRmT3_T4_T5_T6_T7_T9_mT8_P12ihipStream_tbDpT10_ENKUlT_T0_E_clISt17integral_constantIbLb0EES1B_EEDaS16_S17_EUlS16_E_NS1_11comp_targetILNS1_3genE8ELNS1_11target_archE1030ELNS1_3gpuE2ELNS1_3repE0EEENS1_30default_config_static_selectorELNS0_4arch9wavefront6targetE0EEEvT1_: ; @_ZN7rocprim17ROCPRIM_400000_NS6detail17trampoline_kernelINS0_14default_configENS1_25partition_config_selectorILNS1_17partition_subalgoE5ElNS0_10empty_typeEbEEZZNS1_14partition_implILS5_5ELb0ES3_mN6hipcub16HIPCUB_304000_NS21CountingInputIteratorIllEEPS6_NSA_22TransformInputIteratorIbN2at6native12_GLOBAL__N_19NonZeroOpIlEEPKllEENS0_5tupleIJPlS6_EEENSN_IJSD_SD_EEES6_PiJS6_EEE10hipError_tPvRmT3_T4_T5_T6_T7_T9_mT8_P12ihipStream_tbDpT10_ENKUlT_T0_E_clISt17integral_constantIbLb0EES1B_EEDaS16_S17_EUlS16_E_NS1_11comp_targetILNS1_3genE8ELNS1_11target_archE1030ELNS1_3gpuE2ELNS1_3repE0EEENS1_30default_config_static_selectorELNS0_4arch9wavefront6targetE0EEEvT1_
; %bb.0:
	.section	.rodata,"a",@progbits
	.p2align	6, 0x0
	.amdhsa_kernel _ZN7rocprim17ROCPRIM_400000_NS6detail17trampoline_kernelINS0_14default_configENS1_25partition_config_selectorILNS1_17partition_subalgoE5ElNS0_10empty_typeEbEEZZNS1_14partition_implILS5_5ELb0ES3_mN6hipcub16HIPCUB_304000_NS21CountingInputIteratorIllEEPS6_NSA_22TransformInputIteratorIbN2at6native12_GLOBAL__N_19NonZeroOpIlEEPKllEENS0_5tupleIJPlS6_EEENSN_IJSD_SD_EEES6_PiJS6_EEE10hipError_tPvRmT3_T4_T5_T6_T7_T9_mT8_P12ihipStream_tbDpT10_ENKUlT_T0_E_clISt17integral_constantIbLb0EES1B_EEDaS16_S17_EUlS16_E_NS1_11comp_targetILNS1_3genE8ELNS1_11target_archE1030ELNS1_3gpuE2ELNS1_3repE0EEENS1_30default_config_static_selectorELNS0_4arch9wavefront6targetE0EEEvT1_
		.amdhsa_group_segment_fixed_size 0
		.amdhsa_private_segment_fixed_size 0
		.amdhsa_kernarg_size 120
		.amdhsa_user_sgpr_count 15
		.amdhsa_user_sgpr_dispatch_ptr 0
		.amdhsa_user_sgpr_queue_ptr 0
		.amdhsa_user_sgpr_kernarg_segment_ptr 1
		.amdhsa_user_sgpr_dispatch_id 0
		.amdhsa_user_sgpr_private_segment_size 0
		.amdhsa_wavefront_size32 1
		.amdhsa_uses_dynamic_stack 0
		.amdhsa_enable_private_segment 0
		.amdhsa_system_sgpr_workgroup_id_x 1
		.amdhsa_system_sgpr_workgroup_id_y 0
		.amdhsa_system_sgpr_workgroup_id_z 0
		.amdhsa_system_sgpr_workgroup_info 0
		.amdhsa_system_vgpr_workitem_id 0
		.amdhsa_next_free_vgpr 1
		.amdhsa_next_free_sgpr 1
		.amdhsa_reserve_vcc 0
		.amdhsa_float_round_mode_32 0
		.amdhsa_float_round_mode_16_64 0
		.amdhsa_float_denorm_mode_32 3
		.amdhsa_float_denorm_mode_16_64 3
		.amdhsa_dx10_clamp 1
		.amdhsa_ieee_mode 1
		.amdhsa_fp16_overflow 0
		.amdhsa_workgroup_processor_mode 1
		.amdhsa_memory_ordered 1
		.amdhsa_forward_progress 0
		.amdhsa_shared_vgpr_count 0
		.amdhsa_exception_fp_ieee_invalid_op 0
		.amdhsa_exception_fp_denorm_src 0
		.amdhsa_exception_fp_ieee_div_zero 0
		.amdhsa_exception_fp_ieee_overflow 0
		.amdhsa_exception_fp_ieee_underflow 0
		.amdhsa_exception_fp_ieee_inexact 0
		.amdhsa_exception_int_div_zero 0
	.end_amdhsa_kernel
	.section	.text._ZN7rocprim17ROCPRIM_400000_NS6detail17trampoline_kernelINS0_14default_configENS1_25partition_config_selectorILNS1_17partition_subalgoE5ElNS0_10empty_typeEbEEZZNS1_14partition_implILS5_5ELb0ES3_mN6hipcub16HIPCUB_304000_NS21CountingInputIteratorIllEEPS6_NSA_22TransformInputIteratorIbN2at6native12_GLOBAL__N_19NonZeroOpIlEEPKllEENS0_5tupleIJPlS6_EEENSN_IJSD_SD_EEES6_PiJS6_EEE10hipError_tPvRmT3_T4_T5_T6_T7_T9_mT8_P12ihipStream_tbDpT10_ENKUlT_T0_E_clISt17integral_constantIbLb0EES1B_EEDaS16_S17_EUlS16_E_NS1_11comp_targetILNS1_3genE8ELNS1_11target_archE1030ELNS1_3gpuE2ELNS1_3repE0EEENS1_30default_config_static_selectorELNS0_4arch9wavefront6targetE0EEEvT1_,"axG",@progbits,_ZN7rocprim17ROCPRIM_400000_NS6detail17trampoline_kernelINS0_14default_configENS1_25partition_config_selectorILNS1_17partition_subalgoE5ElNS0_10empty_typeEbEEZZNS1_14partition_implILS5_5ELb0ES3_mN6hipcub16HIPCUB_304000_NS21CountingInputIteratorIllEEPS6_NSA_22TransformInputIteratorIbN2at6native12_GLOBAL__N_19NonZeroOpIlEEPKllEENS0_5tupleIJPlS6_EEENSN_IJSD_SD_EEES6_PiJS6_EEE10hipError_tPvRmT3_T4_T5_T6_T7_T9_mT8_P12ihipStream_tbDpT10_ENKUlT_T0_E_clISt17integral_constantIbLb0EES1B_EEDaS16_S17_EUlS16_E_NS1_11comp_targetILNS1_3genE8ELNS1_11target_archE1030ELNS1_3gpuE2ELNS1_3repE0EEENS1_30default_config_static_selectorELNS0_4arch9wavefront6targetE0EEEvT1_,comdat
.Lfunc_end261:
	.size	_ZN7rocprim17ROCPRIM_400000_NS6detail17trampoline_kernelINS0_14default_configENS1_25partition_config_selectorILNS1_17partition_subalgoE5ElNS0_10empty_typeEbEEZZNS1_14partition_implILS5_5ELb0ES3_mN6hipcub16HIPCUB_304000_NS21CountingInputIteratorIllEEPS6_NSA_22TransformInputIteratorIbN2at6native12_GLOBAL__N_19NonZeroOpIlEEPKllEENS0_5tupleIJPlS6_EEENSN_IJSD_SD_EEES6_PiJS6_EEE10hipError_tPvRmT3_T4_T5_T6_T7_T9_mT8_P12ihipStream_tbDpT10_ENKUlT_T0_E_clISt17integral_constantIbLb0EES1B_EEDaS16_S17_EUlS16_E_NS1_11comp_targetILNS1_3genE8ELNS1_11target_archE1030ELNS1_3gpuE2ELNS1_3repE0EEENS1_30default_config_static_selectorELNS0_4arch9wavefront6targetE0EEEvT1_, .Lfunc_end261-_ZN7rocprim17ROCPRIM_400000_NS6detail17trampoline_kernelINS0_14default_configENS1_25partition_config_selectorILNS1_17partition_subalgoE5ElNS0_10empty_typeEbEEZZNS1_14partition_implILS5_5ELb0ES3_mN6hipcub16HIPCUB_304000_NS21CountingInputIteratorIllEEPS6_NSA_22TransformInputIteratorIbN2at6native12_GLOBAL__N_19NonZeroOpIlEEPKllEENS0_5tupleIJPlS6_EEENSN_IJSD_SD_EEES6_PiJS6_EEE10hipError_tPvRmT3_T4_T5_T6_T7_T9_mT8_P12ihipStream_tbDpT10_ENKUlT_T0_E_clISt17integral_constantIbLb0EES1B_EEDaS16_S17_EUlS16_E_NS1_11comp_targetILNS1_3genE8ELNS1_11target_archE1030ELNS1_3gpuE2ELNS1_3repE0EEENS1_30default_config_static_selectorELNS0_4arch9wavefront6targetE0EEEvT1_
                                        ; -- End function
	.section	.AMDGPU.csdata,"",@progbits
; Kernel info:
; codeLenInByte = 0
; NumSgprs: 0
; NumVgprs: 0
; ScratchSize: 0
; MemoryBound: 0
; FloatMode: 240
; IeeeMode: 1
; LDSByteSize: 0 bytes/workgroup (compile time only)
; SGPRBlocks: 0
; VGPRBlocks: 0
; NumSGPRsForWavesPerEU: 1
; NumVGPRsForWavesPerEU: 1
; Occupancy: 16
; WaveLimiterHint : 0
; COMPUTE_PGM_RSRC2:SCRATCH_EN: 0
; COMPUTE_PGM_RSRC2:USER_SGPR: 15
; COMPUTE_PGM_RSRC2:TRAP_HANDLER: 0
; COMPUTE_PGM_RSRC2:TGID_X_EN: 1
; COMPUTE_PGM_RSRC2:TGID_Y_EN: 0
; COMPUTE_PGM_RSRC2:TGID_Z_EN: 0
; COMPUTE_PGM_RSRC2:TIDIG_COMP_CNT: 0
	.section	.text._ZN7rocprim17ROCPRIM_400000_NS6detail17trampoline_kernelINS0_14default_configENS1_25partition_config_selectorILNS1_17partition_subalgoE5ElNS0_10empty_typeEbEEZZNS1_14partition_implILS5_5ELb0ES3_mN6hipcub16HIPCUB_304000_NS21CountingInputIteratorIllEEPS6_NSA_22TransformInputIteratorIbN2at6native12_GLOBAL__N_19NonZeroOpIlEEPKllEENS0_5tupleIJPlS6_EEENSN_IJSD_SD_EEES6_PiJS6_EEE10hipError_tPvRmT3_T4_T5_T6_T7_T9_mT8_P12ihipStream_tbDpT10_ENKUlT_T0_E_clISt17integral_constantIbLb1EES1B_EEDaS16_S17_EUlS16_E_NS1_11comp_targetILNS1_3genE0ELNS1_11target_archE4294967295ELNS1_3gpuE0ELNS1_3repE0EEENS1_30default_config_static_selectorELNS0_4arch9wavefront6targetE0EEEvT1_,"axG",@progbits,_ZN7rocprim17ROCPRIM_400000_NS6detail17trampoline_kernelINS0_14default_configENS1_25partition_config_selectorILNS1_17partition_subalgoE5ElNS0_10empty_typeEbEEZZNS1_14partition_implILS5_5ELb0ES3_mN6hipcub16HIPCUB_304000_NS21CountingInputIteratorIllEEPS6_NSA_22TransformInputIteratorIbN2at6native12_GLOBAL__N_19NonZeroOpIlEEPKllEENS0_5tupleIJPlS6_EEENSN_IJSD_SD_EEES6_PiJS6_EEE10hipError_tPvRmT3_T4_T5_T6_T7_T9_mT8_P12ihipStream_tbDpT10_ENKUlT_T0_E_clISt17integral_constantIbLb1EES1B_EEDaS16_S17_EUlS16_E_NS1_11comp_targetILNS1_3genE0ELNS1_11target_archE4294967295ELNS1_3gpuE0ELNS1_3repE0EEENS1_30default_config_static_selectorELNS0_4arch9wavefront6targetE0EEEvT1_,comdat
	.globl	_ZN7rocprim17ROCPRIM_400000_NS6detail17trampoline_kernelINS0_14default_configENS1_25partition_config_selectorILNS1_17partition_subalgoE5ElNS0_10empty_typeEbEEZZNS1_14partition_implILS5_5ELb0ES3_mN6hipcub16HIPCUB_304000_NS21CountingInputIteratorIllEEPS6_NSA_22TransformInputIteratorIbN2at6native12_GLOBAL__N_19NonZeroOpIlEEPKllEENS0_5tupleIJPlS6_EEENSN_IJSD_SD_EEES6_PiJS6_EEE10hipError_tPvRmT3_T4_T5_T6_T7_T9_mT8_P12ihipStream_tbDpT10_ENKUlT_T0_E_clISt17integral_constantIbLb1EES1B_EEDaS16_S17_EUlS16_E_NS1_11comp_targetILNS1_3genE0ELNS1_11target_archE4294967295ELNS1_3gpuE0ELNS1_3repE0EEENS1_30default_config_static_selectorELNS0_4arch9wavefront6targetE0EEEvT1_ ; -- Begin function _ZN7rocprim17ROCPRIM_400000_NS6detail17trampoline_kernelINS0_14default_configENS1_25partition_config_selectorILNS1_17partition_subalgoE5ElNS0_10empty_typeEbEEZZNS1_14partition_implILS5_5ELb0ES3_mN6hipcub16HIPCUB_304000_NS21CountingInputIteratorIllEEPS6_NSA_22TransformInputIteratorIbN2at6native12_GLOBAL__N_19NonZeroOpIlEEPKllEENS0_5tupleIJPlS6_EEENSN_IJSD_SD_EEES6_PiJS6_EEE10hipError_tPvRmT3_T4_T5_T6_T7_T9_mT8_P12ihipStream_tbDpT10_ENKUlT_T0_E_clISt17integral_constantIbLb1EES1B_EEDaS16_S17_EUlS16_E_NS1_11comp_targetILNS1_3genE0ELNS1_11target_archE4294967295ELNS1_3gpuE0ELNS1_3repE0EEENS1_30default_config_static_selectorELNS0_4arch9wavefront6targetE0EEEvT1_
	.p2align	8
	.type	_ZN7rocprim17ROCPRIM_400000_NS6detail17trampoline_kernelINS0_14default_configENS1_25partition_config_selectorILNS1_17partition_subalgoE5ElNS0_10empty_typeEbEEZZNS1_14partition_implILS5_5ELb0ES3_mN6hipcub16HIPCUB_304000_NS21CountingInputIteratorIllEEPS6_NSA_22TransformInputIteratorIbN2at6native12_GLOBAL__N_19NonZeroOpIlEEPKllEENS0_5tupleIJPlS6_EEENSN_IJSD_SD_EEES6_PiJS6_EEE10hipError_tPvRmT3_T4_T5_T6_T7_T9_mT8_P12ihipStream_tbDpT10_ENKUlT_T0_E_clISt17integral_constantIbLb1EES1B_EEDaS16_S17_EUlS16_E_NS1_11comp_targetILNS1_3genE0ELNS1_11target_archE4294967295ELNS1_3gpuE0ELNS1_3repE0EEENS1_30default_config_static_selectorELNS0_4arch9wavefront6targetE0EEEvT1_,@function
_ZN7rocprim17ROCPRIM_400000_NS6detail17trampoline_kernelINS0_14default_configENS1_25partition_config_selectorILNS1_17partition_subalgoE5ElNS0_10empty_typeEbEEZZNS1_14partition_implILS5_5ELb0ES3_mN6hipcub16HIPCUB_304000_NS21CountingInputIteratorIllEEPS6_NSA_22TransformInputIteratorIbN2at6native12_GLOBAL__N_19NonZeroOpIlEEPKllEENS0_5tupleIJPlS6_EEENSN_IJSD_SD_EEES6_PiJS6_EEE10hipError_tPvRmT3_T4_T5_T6_T7_T9_mT8_P12ihipStream_tbDpT10_ENKUlT_T0_E_clISt17integral_constantIbLb1EES1B_EEDaS16_S17_EUlS16_E_NS1_11comp_targetILNS1_3genE0ELNS1_11target_archE4294967295ELNS1_3gpuE0ELNS1_3repE0EEENS1_30default_config_static_selectorELNS0_4arch9wavefront6targetE0EEEvT1_: ; @_ZN7rocprim17ROCPRIM_400000_NS6detail17trampoline_kernelINS0_14default_configENS1_25partition_config_selectorILNS1_17partition_subalgoE5ElNS0_10empty_typeEbEEZZNS1_14partition_implILS5_5ELb0ES3_mN6hipcub16HIPCUB_304000_NS21CountingInputIteratorIllEEPS6_NSA_22TransformInputIteratorIbN2at6native12_GLOBAL__N_19NonZeroOpIlEEPKllEENS0_5tupleIJPlS6_EEENSN_IJSD_SD_EEES6_PiJS6_EEE10hipError_tPvRmT3_T4_T5_T6_T7_T9_mT8_P12ihipStream_tbDpT10_ENKUlT_T0_E_clISt17integral_constantIbLb1EES1B_EEDaS16_S17_EUlS16_E_NS1_11comp_targetILNS1_3genE0ELNS1_11target_archE4294967295ELNS1_3gpuE0ELNS1_3repE0EEENS1_30default_config_static_selectorELNS0_4arch9wavefront6targetE0EEEvT1_
; %bb.0:
	.section	.rodata,"a",@progbits
	.p2align	6, 0x0
	.amdhsa_kernel _ZN7rocprim17ROCPRIM_400000_NS6detail17trampoline_kernelINS0_14default_configENS1_25partition_config_selectorILNS1_17partition_subalgoE5ElNS0_10empty_typeEbEEZZNS1_14partition_implILS5_5ELb0ES3_mN6hipcub16HIPCUB_304000_NS21CountingInputIteratorIllEEPS6_NSA_22TransformInputIteratorIbN2at6native12_GLOBAL__N_19NonZeroOpIlEEPKllEENS0_5tupleIJPlS6_EEENSN_IJSD_SD_EEES6_PiJS6_EEE10hipError_tPvRmT3_T4_T5_T6_T7_T9_mT8_P12ihipStream_tbDpT10_ENKUlT_T0_E_clISt17integral_constantIbLb1EES1B_EEDaS16_S17_EUlS16_E_NS1_11comp_targetILNS1_3genE0ELNS1_11target_archE4294967295ELNS1_3gpuE0ELNS1_3repE0EEENS1_30default_config_static_selectorELNS0_4arch9wavefront6targetE0EEEvT1_
		.amdhsa_group_segment_fixed_size 0
		.amdhsa_private_segment_fixed_size 0
		.amdhsa_kernarg_size 136
		.amdhsa_user_sgpr_count 15
		.amdhsa_user_sgpr_dispatch_ptr 0
		.amdhsa_user_sgpr_queue_ptr 0
		.amdhsa_user_sgpr_kernarg_segment_ptr 1
		.amdhsa_user_sgpr_dispatch_id 0
		.amdhsa_user_sgpr_private_segment_size 0
		.amdhsa_wavefront_size32 1
		.amdhsa_uses_dynamic_stack 0
		.amdhsa_enable_private_segment 0
		.amdhsa_system_sgpr_workgroup_id_x 1
		.amdhsa_system_sgpr_workgroup_id_y 0
		.amdhsa_system_sgpr_workgroup_id_z 0
		.amdhsa_system_sgpr_workgroup_info 0
		.amdhsa_system_vgpr_workitem_id 0
		.amdhsa_next_free_vgpr 1
		.amdhsa_next_free_sgpr 1
		.amdhsa_reserve_vcc 0
		.amdhsa_float_round_mode_32 0
		.amdhsa_float_round_mode_16_64 0
		.amdhsa_float_denorm_mode_32 3
		.amdhsa_float_denorm_mode_16_64 3
		.amdhsa_dx10_clamp 1
		.amdhsa_ieee_mode 1
		.amdhsa_fp16_overflow 0
		.amdhsa_workgroup_processor_mode 1
		.amdhsa_memory_ordered 1
		.amdhsa_forward_progress 0
		.amdhsa_shared_vgpr_count 0
		.amdhsa_exception_fp_ieee_invalid_op 0
		.amdhsa_exception_fp_denorm_src 0
		.amdhsa_exception_fp_ieee_div_zero 0
		.amdhsa_exception_fp_ieee_overflow 0
		.amdhsa_exception_fp_ieee_underflow 0
		.amdhsa_exception_fp_ieee_inexact 0
		.amdhsa_exception_int_div_zero 0
	.end_amdhsa_kernel
	.section	.text._ZN7rocprim17ROCPRIM_400000_NS6detail17trampoline_kernelINS0_14default_configENS1_25partition_config_selectorILNS1_17partition_subalgoE5ElNS0_10empty_typeEbEEZZNS1_14partition_implILS5_5ELb0ES3_mN6hipcub16HIPCUB_304000_NS21CountingInputIteratorIllEEPS6_NSA_22TransformInputIteratorIbN2at6native12_GLOBAL__N_19NonZeroOpIlEEPKllEENS0_5tupleIJPlS6_EEENSN_IJSD_SD_EEES6_PiJS6_EEE10hipError_tPvRmT3_T4_T5_T6_T7_T9_mT8_P12ihipStream_tbDpT10_ENKUlT_T0_E_clISt17integral_constantIbLb1EES1B_EEDaS16_S17_EUlS16_E_NS1_11comp_targetILNS1_3genE0ELNS1_11target_archE4294967295ELNS1_3gpuE0ELNS1_3repE0EEENS1_30default_config_static_selectorELNS0_4arch9wavefront6targetE0EEEvT1_,"axG",@progbits,_ZN7rocprim17ROCPRIM_400000_NS6detail17trampoline_kernelINS0_14default_configENS1_25partition_config_selectorILNS1_17partition_subalgoE5ElNS0_10empty_typeEbEEZZNS1_14partition_implILS5_5ELb0ES3_mN6hipcub16HIPCUB_304000_NS21CountingInputIteratorIllEEPS6_NSA_22TransformInputIteratorIbN2at6native12_GLOBAL__N_19NonZeroOpIlEEPKllEENS0_5tupleIJPlS6_EEENSN_IJSD_SD_EEES6_PiJS6_EEE10hipError_tPvRmT3_T4_T5_T6_T7_T9_mT8_P12ihipStream_tbDpT10_ENKUlT_T0_E_clISt17integral_constantIbLb1EES1B_EEDaS16_S17_EUlS16_E_NS1_11comp_targetILNS1_3genE0ELNS1_11target_archE4294967295ELNS1_3gpuE0ELNS1_3repE0EEENS1_30default_config_static_selectorELNS0_4arch9wavefront6targetE0EEEvT1_,comdat
.Lfunc_end262:
	.size	_ZN7rocprim17ROCPRIM_400000_NS6detail17trampoline_kernelINS0_14default_configENS1_25partition_config_selectorILNS1_17partition_subalgoE5ElNS0_10empty_typeEbEEZZNS1_14partition_implILS5_5ELb0ES3_mN6hipcub16HIPCUB_304000_NS21CountingInputIteratorIllEEPS6_NSA_22TransformInputIteratorIbN2at6native12_GLOBAL__N_19NonZeroOpIlEEPKllEENS0_5tupleIJPlS6_EEENSN_IJSD_SD_EEES6_PiJS6_EEE10hipError_tPvRmT3_T4_T5_T6_T7_T9_mT8_P12ihipStream_tbDpT10_ENKUlT_T0_E_clISt17integral_constantIbLb1EES1B_EEDaS16_S17_EUlS16_E_NS1_11comp_targetILNS1_3genE0ELNS1_11target_archE4294967295ELNS1_3gpuE0ELNS1_3repE0EEENS1_30default_config_static_selectorELNS0_4arch9wavefront6targetE0EEEvT1_, .Lfunc_end262-_ZN7rocprim17ROCPRIM_400000_NS6detail17trampoline_kernelINS0_14default_configENS1_25partition_config_selectorILNS1_17partition_subalgoE5ElNS0_10empty_typeEbEEZZNS1_14partition_implILS5_5ELb0ES3_mN6hipcub16HIPCUB_304000_NS21CountingInputIteratorIllEEPS6_NSA_22TransformInputIteratorIbN2at6native12_GLOBAL__N_19NonZeroOpIlEEPKllEENS0_5tupleIJPlS6_EEENSN_IJSD_SD_EEES6_PiJS6_EEE10hipError_tPvRmT3_T4_T5_T6_T7_T9_mT8_P12ihipStream_tbDpT10_ENKUlT_T0_E_clISt17integral_constantIbLb1EES1B_EEDaS16_S17_EUlS16_E_NS1_11comp_targetILNS1_3genE0ELNS1_11target_archE4294967295ELNS1_3gpuE0ELNS1_3repE0EEENS1_30default_config_static_selectorELNS0_4arch9wavefront6targetE0EEEvT1_
                                        ; -- End function
	.section	.AMDGPU.csdata,"",@progbits
; Kernel info:
; codeLenInByte = 0
; NumSgprs: 0
; NumVgprs: 0
; ScratchSize: 0
; MemoryBound: 0
; FloatMode: 240
; IeeeMode: 1
; LDSByteSize: 0 bytes/workgroup (compile time only)
; SGPRBlocks: 0
; VGPRBlocks: 0
; NumSGPRsForWavesPerEU: 1
; NumVGPRsForWavesPerEU: 1
; Occupancy: 16
; WaveLimiterHint : 0
; COMPUTE_PGM_RSRC2:SCRATCH_EN: 0
; COMPUTE_PGM_RSRC2:USER_SGPR: 15
; COMPUTE_PGM_RSRC2:TRAP_HANDLER: 0
; COMPUTE_PGM_RSRC2:TGID_X_EN: 1
; COMPUTE_PGM_RSRC2:TGID_Y_EN: 0
; COMPUTE_PGM_RSRC2:TGID_Z_EN: 0
; COMPUTE_PGM_RSRC2:TIDIG_COMP_CNT: 0
	.section	.text._ZN7rocprim17ROCPRIM_400000_NS6detail17trampoline_kernelINS0_14default_configENS1_25partition_config_selectorILNS1_17partition_subalgoE5ElNS0_10empty_typeEbEEZZNS1_14partition_implILS5_5ELb0ES3_mN6hipcub16HIPCUB_304000_NS21CountingInputIteratorIllEEPS6_NSA_22TransformInputIteratorIbN2at6native12_GLOBAL__N_19NonZeroOpIlEEPKllEENS0_5tupleIJPlS6_EEENSN_IJSD_SD_EEES6_PiJS6_EEE10hipError_tPvRmT3_T4_T5_T6_T7_T9_mT8_P12ihipStream_tbDpT10_ENKUlT_T0_E_clISt17integral_constantIbLb1EES1B_EEDaS16_S17_EUlS16_E_NS1_11comp_targetILNS1_3genE5ELNS1_11target_archE942ELNS1_3gpuE9ELNS1_3repE0EEENS1_30default_config_static_selectorELNS0_4arch9wavefront6targetE0EEEvT1_,"axG",@progbits,_ZN7rocprim17ROCPRIM_400000_NS6detail17trampoline_kernelINS0_14default_configENS1_25partition_config_selectorILNS1_17partition_subalgoE5ElNS0_10empty_typeEbEEZZNS1_14partition_implILS5_5ELb0ES3_mN6hipcub16HIPCUB_304000_NS21CountingInputIteratorIllEEPS6_NSA_22TransformInputIteratorIbN2at6native12_GLOBAL__N_19NonZeroOpIlEEPKllEENS0_5tupleIJPlS6_EEENSN_IJSD_SD_EEES6_PiJS6_EEE10hipError_tPvRmT3_T4_T5_T6_T7_T9_mT8_P12ihipStream_tbDpT10_ENKUlT_T0_E_clISt17integral_constantIbLb1EES1B_EEDaS16_S17_EUlS16_E_NS1_11comp_targetILNS1_3genE5ELNS1_11target_archE942ELNS1_3gpuE9ELNS1_3repE0EEENS1_30default_config_static_selectorELNS0_4arch9wavefront6targetE0EEEvT1_,comdat
	.globl	_ZN7rocprim17ROCPRIM_400000_NS6detail17trampoline_kernelINS0_14default_configENS1_25partition_config_selectorILNS1_17partition_subalgoE5ElNS0_10empty_typeEbEEZZNS1_14partition_implILS5_5ELb0ES3_mN6hipcub16HIPCUB_304000_NS21CountingInputIteratorIllEEPS6_NSA_22TransformInputIteratorIbN2at6native12_GLOBAL__N_19NonZeroOpIlEEPKllEENS0_5tupleIJPlS6_EEENSN_IJSD_SD_EEES6_PiJS6_EEE10hipError_tPvRmT3_T4_T5_T6_T7_T9_mT8_P12ihipStream_tbDpT10_ENKUlT_T0_E_clISt17integral_constantIbLb1EES1B_EEDaS16_S17_EUlS16_E_NS1_11comp_targetILNS1_3genE5ELNS1_11target_archE942ELNS1_3gpuE9ELNS1_3repE0EEENS1_30default_config_static_selectorELNS0_4arch9wavefront6targetE0EEEvT1_ ; -- Begin function _ZN7rocprim17ROCPRIM_400000_NS6detail17trampoline_kernelINS0_14default_configENS1_25partition_config_selectorILNS1_17partition_subalgoE5ElNS0_10empty_typeEbEEZZNS1_14partition_implILS5_5ELb0ES3_mN6hipcub16HIPCUB_304000_NS21CountingInputIteratorIllEEPS6_NSA_22TransformInputIteratorIbN2at6native12_GLOBAL__N_19NonZeroOpIlEEPKllEENS0_5tupleIJPlS6_EEENSN_IJSD_SD_EEES6_PiJS6_EEE10hipError_tPvRmT3_T4_T5_T6_T7_T9_mT8_P12ihipStream_tbDpT10_ENKUlT_T0_E_clISt17integral_constantIbLb1EES1B_EEDaS16_S17_EUlS16_E_NS1_11comp_targetILNS1_3genE5ELNS1_11target_archE942ELNS1_3gpuE9ELNS1_3repE0EEENS1_30default_config_static_selectorELNS0_4arch9wavefront6targetE0EEEvT1_
	.p2align	8
	.type	_ZN7rocprim17ROCPRIM_400000_NS6detail17trampoline_kernelINS0_14default_configENS1_25partition_config_selectorILNS1_17partition_subalgoE5ElNS0_10empty_typeEbEEZZNS1_14partition_implILS5_5ELb0ES3_mN6hipcub16HIPCUB_304000_NS21CountingInputIteratorIllEEPS6_NSA_22TransformInputIteratorIbN2at6native12_GLOBAL__N_19NonZeroOpIlEEPKllEENS0_5tupleIJPlS6_EEENSN_IJSD_SD_EEES6_PiJS6_EEE10hipError_tPvRmT3_T4_T5_T6_T7_T9_mT8_P12ihipStream_tbDpT10_ENKUlT_T0_E_clISt17integral_constantIbLb1EES1B_EEDaS16_S17_EUlS16_E_NS1_11comp_targetILNS1_3genE5ELNS1_11target_archE942ELNS1_3gpuE9ELNS1_3repE0EEENS1_30default_config_static_selectorELNS0_4arch9wavefront6targetE0EEEvT1_,@function
_ZN7rocprim17ROCPRIM_400000_NS6detail17trampoline_kernelINS0_14default_configENS1_25partition_config_selectorILNS1_17partition_subalgoE5ElNS0_10empty_typeEbEEZZNS1_14partition_implILS5_5ELb0ES3_mN6hipcub16HIPCUB_304000_NS21CountingInputIteratorIllEEPS6_NSA_22TransformInputIteratorIbN2at6native12_GLOBAL__N_19NonZeroOpIlEEPKllEENS0_5tupleIJPlS6_EEENSN_IJSD_SD_EEES6_PiJS6_EEE10hipError_tPvRmT3_T4_T5_T6_T7_T9_mT8_P12ihipStream_tbDpT10_ENKUlT_T0_E_clISt17integral_constantIbLb1EES1B_EEDaS16_S17_EUlS16_E_NS1_11comp_targetILNS1_3genE5ELNS1_11target_archE942ELNS1_3gpuE9ELNS1_3repE0EEENS1_30default_config_static_selectorELNS0_4arch9wavefront6targetE0EEEvT1_: ; @_ZN7rocprim17ROCPRIM_400000_NS6detail17trampoline_kernelINS0_14default_configENS1_25partition_config_selectorILNS1_17partition_subalgoE5ElNS0_10empty_typeEbEEZZNS1_14partition_implILS5_5ELb0ES3_mN6hipcub16HIPCUB_304000_NS21CountingInputIteratorIllEEPS6_NSA_22TransformInputIteratorIbN2at6native12_GLOBAL__N_19NonZeroOpIlEEPKllEENS0_5tupleIJPlS6_EEENSN_IJSD_SD_EEES6_PiJS6_EEE10hipError_tPvRmT3_T4_T5_T6_T7_T9_mT8_P12ihipStream_tbDpT10_ENKUlT_T0_E_clISt17integral_constantIbLb1EES1B_EEDaS16_S17_EUlS16_E_NS1_11comp_targetILNS1_3genE5ELNS1_11target_archE942ELNS1_3gpuE9ELNS1_3repE0EEENS1_30default_config_static_selectorELNS0_4arch9wavefront6targetE0EEEvT1_
; %bb.0:
	.section	.rodata,"a",@progbits
	.p2align	6, 0x0
	.amdhsa_kernel _ZN7rocprim17ROCPRIM_400000_NS6detail17trampoline_kernelINS0_14default_configENS1_25partition_config_selectorILNS1_17partition_subalgoE5ElNS0_10empty_typeEbEEZZNS1_14partition_implILS5_5ELb0ES3_mN6hipcub16HIPCUB_304000_NS21CountingInputIteratorIllEEPS6_NSA_22TransformInputIteratorIbN2at6native12_GLOBAL__N_19NonZeroOpIlEEPKllEENS0_5tupleIJPlS6_EEENSN_IJSD_SD_EEES6_PiJS6_EEE10hipError_tPvRmT3_T4_T5_T6_T7_T9_mT8_P12ihipStream_tbDpT10_ENKUlT_T0_E_clISt17integral_constantIbLb1EES1B_EEDaS16_S17_EUlS16_E_NS1_11comp_targetILNS1_3genE5ELNS1_11target_archE942ELNS1_3gpuE9ELNS1_3repE0EEENS1_30default_config_static_selectorELNS0_4arch9wavefront6targetE0EEEvT1_
		.amdhsa_group_segment_fixed_size 0
		.amdhsa_private_segment_fixed_size 0
		.amdhsa_kernarg_size 136
		.amdhsa_user_sgpr_count 15
		.amdhsa_user_sgpr_dispatch_ptr 0
		.amdhsa_user_sgpr_queue_ptr 0
		.amdhsa_user_sgpr_kernarg_segment_ptr 1
		.amdhsa_user_sgpr_dispatch_id 0
		.amdhsa_user_sgpr_private_segment_size 0
		.amdhsa_wavefront_size32 1
		.amdhsa_uses_dynamic_stack 0
		.amdhsa_enable_private_segment 0
		.amdhsa_system_sgpr_workgroup_id_x 1
		.amdhsa_system_sgpr_workgroup_id_y 0
		.amdhsa_system_sgpr_workgroup_id_z 0
		.amdhsa_system_sgpr_workgroup_info 0
		.amdhsa_system_vgpr_workitem_id 0
		.amdhsa_next_free_vgpr 1
		.amdhsa_next_free_sgpr 1
		.amdhsa_reserve_vcc 0
		.amdhsa_float_round_mode_32 0
		.amdhsa_float_round_mode_16_64 0
		.amdhsa_float_denorm_mode_32 3
		.amdhsa_float_denorm_mode_16_64 3
		.amdhsa_dx10_clamp 1
		.amdhsa_ieee_mode 1
		.amdhsa_fp16_overflow 0
		.amdhsa_workgroup_processor_mode 1
		.amdhsa_memory_ordered 1
		.amdhsa_forward_progress 0
		.amdhsa_shared_vgpr_count 0
		.amdhsa_exception_fp_ieee_invalid_op 0
		.amdhsa_exception_fp_denorm_src 0
		.amdhsa_exception_fp_ieee_div_zero 0
		.amdhsa_exception_fp_ieee_overflow 0
		.amdhsa_exception_fp_ieee_underflow 0
		.amdhsa_exception_fp_ieee_inexact 0
		.amdhsa_exception_int_div_zero 0
	.end_amdhsa_kernel
	.section	.text._ZN7rocprim17ROCPRIM_400000_NS6detail17trampoline_kernelINS0_14default_configENS1_25partition_config_selectorILNS1_17partition_subalgoE5ElNS0_10empty_typeEbEEZZNS1_14partition_implILS5_5ELb0ES3_mN6hipcub16HIPCUB_304000_NS21CountingInputIteratorIllEEPS6_NSA_22TransformInputIteratorIbN2at6native12_GLOBAL__N_19NonZeroOpIlEEPKllEENS0_5tupleIJPlS6_EEENSN_IJSD_SD_EEES6_PiJS6_EEE10hipError_tPvRmT3_T4_T5_T6_T7_T9_mT8_P12ihipStream_tbDpT10_ENKUlT_T0_E_clISt17integral_constantIbLb1EES1B_EEDaS16_S17_EUlS16_E_NS1_11comp_targetILNS1_3genE5ELNS1_11target_archE942ELNS1_3gpuE9ELNS1_3repE0EEENS1_30default_config_static_selectorELNS0_4arch9wavefront6targetE0EEEvT1_,"axG",@progbits,_ZN7rocprim17ROCPRIM_400000_NS6detail17trampoline_kernelINS0_14default_configENS1_25partition_config_selectorILNS1_17partition_subalgoE5ElNS0_10empty_typeEbEEZZNS1_14partition_implILS5_5ELb0ES3_mN6hipcub16HIPCUB_304000_NS21CountingInputIteratorIllEEPS6_NSA_22TransformInputIteratorIbN2at6native12_GLOBAL__N_19NonZeroOpIlEEPKllEENS0_5tupleIJPlS6_EEENSN_IJSD_SD_EEES6_PiJS6_EEE10hipError_tPvRmT3_T4_T5_T6_T7_T9_mT8_P12ihipStream_tbDpT10_ENKUlT_T0_E_clISt17integral_constantIbLb1EES1B_EEDaS16_S17_EUlS16_E_NS1_11comp_targetILNS1_3genE5ELNS1_11target_archE942ELNS1_3gpuE9ELNS1_3repE0EEENS1_30default_config_static_selectorELNS0_4arch9wavefront6targetE0EEEvT1_,comdat
.Lfunc_end263:
	.size	_ZN7rocprim17ROCPRIM_400000_NS6detail17trampoline_kernelINS0_14default_configENS1_25partition_config_selectorILNS1_17partition_subalgoE5ElNS0_10empty_typeEbEEZZNS1_14partition_implILS5_5ELb0ES3_mN6hipcub16HIPCUB_304000_NS21CountingInputIteratorIllEEPS6_NSA_22TransformInputIteratorIbN2at6native12_GLOBAL__N_19NonZeroOpIlEEPKllEENS0_5tupleIJPlS6_EEENSN_IJSD_SD_EEES6_PiJS6_EEE10hipError_tPvRmT3_T4_T5_T6_T7_T9_mT8_P12ihipStream_tbDpT10_ENKUlT_T0_E_clISt17integral_constantIbLb1EES1B_EEDaS16_S17_EUlS16_E_NS1_11comp_targetILNS1_3genE5ELNS1_11target_archE942ELNS1_3gpuE9ELNS1_3repE0EEENS1_30default_config_static_selectorELNS0_4arch9wavefront6targetE0EEEvT1_, .Lfunc_end263-_ZN7rocprim17ROCPRIM_400000_NS6detail17trampoline_kernelINS0_14default_configENS1_25partition_config_selectorILNS1_17partition_subalgoE5ElNS0_10empty_typeEbEEZZNS1_14partition_implILS5_5ELb0ES3_mN6hipcub16HIPCUB_304000_NS21CountingInputIteratorIllEEPS6_NSA_22TransformInputIteratorIbN2at6native12_GLOBAL__N_19NonZeroOpIlEEPKllEENS0_5tupleIJPlS6_EEENSN_IJSD_SD_EEES6_PiJS6_EEE10hipError_tPvRmT3_T4_T5_T6_T7_T9_mT8_P12ihipStream_tbDpT10_ENKUlT_T0_E_clISt17integral_constantIbLb1EES1B_EEDaS16_S17_EUlS16_E_NS1_11comp_targetILNS1_3genE5ELNS1_11target_archE942ELNS1_3gpuE9ELNS1_3repE0EEENS1_30default_config_static_selectorELNS0_4arch9wavefront6targetE0EEEvT1_
                                        ; -- End function
	.section	.AMDGPU.csdata,"",@progbits
; Kernel info:
; codeLenInByte = 0
; NumSgprs: 0
; NumVgprs: 0
; ScratchSize: 0
; MemoryBound: 0
; FloatMode: 240
; IeeeMode: 1
; LDSByteSize: 0 bytes/workgroup (compile time only)
; SGPRBlocks: 0
; VGPRBlocks: 0
; NumSGPRsForWavesPerEU: 1
; NumVGPRsForWavesPerEU: 1
; Occupancy: 16
; WaveLimiterHint : 0
; COMPUTE_PGM_RSRC2:SCRATCH_EN: 0
; COMPUTE_PGM_RSRC2:USER_SGPR: 15
; COMPUTE_PGM_RSRC2:TRAP_HANDLER: 0
; COMPUTE_PGM_RSRC2:TGID_X_EN: 1
; COMPUTE_PGM_RSRC2:TGID_Y_EN: 0
; COMPUTE_PGM_RSRC2:TGID_Z_EN: 0
; COMPUTE_PGM_RSRC2:TIDIG_COMP_CNT: 0
	.section	.text._ZN7rocprim17ROCPRIM_400000_NS6detail17trampoline_kernelINS0_14default_configENS1_25partition_config_selectorILNS1_17partition_subalgoE5ElNS0_10empty_typeEbEEZZNS1_14partition_implILS5_5ELb0ES3_mN6hipcub16HIPCUB_304000_NS21CountingInputIteratorIllEEPS6_NSA_22TransformInputIteratorIbN2at6native12_GLOBAL__N_19NonZeroOpIlEEPKllEENS0_5tupleIJPlS6_EEENSN_IJSD_SD_EEES6_PiJS6_EEE10hipError_tPvRmT3_T4_T5_T6_T7_T9_mT8_P12ihipStream_tbDpT10_ENKUlT_T0_E_clISt17integral_constantIbLb1EES1B_EEDaS16_S17_EUlS16_E_NS1_11comp_targetILNS1_3genE4ELNS1_11target_archE910ELNS1_3gpuE8ELNS1_3repE0EEENS1_30default_config_static_selectorELNS0_4arch9wavefront6targetE0EEEvT1_,"axG",@progbits,_ZN7rocprim17ROCPRIM_400000_NS6detail17trampoline_kernelINS0_14default_configENS1_25partition_config_selectorILNS1_17partition_subalgoE5ElNS0_10empty_typeEbEEZZNS1_14partition_implILS5_5ELb0ES3_mN6hipcub16HIPCUB_304000_NS21CountingInputIteratorIllEEPS6_NSA_22TransformInputIteratorIbN2at6native12_GLOBAL__N_19NonZeroOpIlEEPKllEENS0_5tupleIJPlS6_EEENSN_IJSD_SD_EEES6_PiJS6_EEE10hipError_tPvRmT3_T4_T5_T6_T7_T9_mT8_P12ihipStream_tbDpT10_ENKUlT_T0_E_clISt17integral_constantIbLb1EES1B_EEDaS16_S17_EUlS16_E_NS1_11comp_targetILNS1_3genE4ELNS1_11target_archE910ELNS1_3gpuE8ELNS1_3repE0EEENS1_30default_config_static_selectorELNS0_4arch9wavefront6targetE0EEEvT1_,comdat
	.globl	_ZN7rocprim17ROCPRIM_400000_NS6detail17trampoline_kernelINS0_14default_configENS1_25partition_config_selectorILNS1_17partition_subalgoE5ElNS0_10empty_typeEbEEZZNS1_14partition_implILS5_5ELb0ES3_mN6hipcub16HIPCUB_304000_NS21CountingInputIteratorIllEEPS6_NSA_22TransformInputIteratorIbN2at6native12_GLOBAL__N_19NonZeroOpIlEEPKllEENS0_5tupleIJPlS6_EEENSN_IJSD_SD_EEES6_PiJS6_EEE10hipError_tPvRmT3_T4_T5_T6_T7_T9_mT8_P12ihipStream_tbDpT10_ENKUlT_T0_E_clISt17integral_constantIbLb1EES1B_EEDaS16_S17_EUlS16_E_NS1_11comp_targetILNS1_3genE4ELNS1_11target_archE910ELNS1_3gpuE8ELNS1_3repE0EEENS1_30default_config_static_selectorELNS0_4arch9wavefront6targetE0EEEvT1_ ; -- Begin function _ZN7rocprim17ROCPRIM_400000_NS6detail17trampoline_kernelINS0_14default_configENS1_25partition_config_selectorILNS1_17partition_subalgoE5ElNS0_10empty_typeEbEEZZNS1_14partition_implILS5_5ELb0ES3_mN6hipcub16HIPCUB_304000_NS21CountingInputIteratorIllEEPS6_NSA_22TransformInputIteratorIbN2at6native12_GLOBAL__N_19NonZeroOpIlEEPKllEENS0_5tupleIJPlS6_EEENSN_IJSD_SD_EEES6_PiJS6_EEE10hipError_tPvRmT3_T4_T5_T6_T7_T9_mT8_P12ihipStream_tbDpT10_ENKUlT_T0_E_clISt17integral_constantIbLb1EES1B_EEDaS16_S17_EUlS16_E_NS1_11comp_targetILNS1_3genE4ELNS1_11target_archE910ELNS1_3gpuE8ELNS1_3repE0EEENS1_30default_config_static_selectorELNS0_4arch9wavefront6targetE0EEEvT1_
	.p2align	8
	.type	_ZN7rocprim17ROCPRIM_400000_NS6detail17trampoline_kernelINS0_14default_configENS1_25partition_config_selectorILNS1_17partition_subalgoE5ElNS0_10empty_typeEbEEZZNS1_14partition_implILS5_5ELb0ES3_mN6hipcub16HIPCUB_304000_NS21CountingInputIteratorIllEEPS6_NSA_22TransformInputIteratorIbN2at6native12_GLOBAL__N_19NonZeroOpIlEEPKllEENS0_5tupleIJPlS6_EEENSN_IJSD_SD_EEES6_PiJS6_EEE10hipError_tPvRmT3_T4_T5_T6_T7_T9_mT8_P12ihipStream_tbDpT10_ENKUlT_T0_E_clISt17integral_constantIbLb1EES1B_EEDaS16_S17_EUlS16_E_NS1_11comp_targetILNS1_3genE4ELNS1_11target_archE910ELNS1_3gpuE8ELNS1_3repE0EEENS1_30default_config_static_selectorELNS0_4arch9wavefront6targetE0EEEvT1_,@function
_ZN7rocprim17ROCPRIM_400000_NS6detail17trampoline_kernelINS0_14default_configENS1_25partition_config_selectorILNS1_17partition_subalgoE5ElNS0_10empty_typeEbEEZZNS1_14partition_implILS5_5ELb0ES3_mN6hipcub16HIPCUB_304000_NS21CountingInputIteratorIllEEPS6_NSA_22TransformInputIteratorIbN2at6native12_GLOBAL__N_19NonZeroOpIlEEPKllEENS0_5tupleIJPlS6_EEENSN_IJSD_SD_EEES6_PiJS6_EEE10hipError_tPvRmT3_T4_T5_T6_T7_T9_mT8_P12ihipStream_tbDpT10_ENKUlT_T0_E_clISt17integral_constantIbLb1EES1B_EEDaS16_S17_EUlS16_E_NS1_11comp_targetILNS1_3genE4ELNS1_11target_archE910ELNS1_3gpuE8ELNS1_3repE0EEENS1_30default_config_static_selectorELNS0_4arch9wavefront6targetE0EEEvT1_: ; @_ZN7rocprim17ROCPRIM_400000_NS6detail17trampoline_kernelINS0_14default_configENS1_25partition_config_selectorILNS1_17partition_subalgoE5ElNS0_10empty_typeEbEEZZNS1_14partition_implILS5_5ELb0ES3_mN6hipcub16HIPCUB_304000_NS21CountingInputIteratorIllEEPS6_NSA_22TransformInputIteratorIbN2at6native12_GLOBAL__N_19NonZeroOpIlEEPKllEENS0_5tupleIJPlS6_EEENSN_IJSD_SD_EEES6_PiJS6_EEE10hipError_tPvRmT3_T4_T5_T6_T7_T9_mT8_P12ihipStream_tbDpT10_ENKUlT_T0_E_clISt17integral_constantIbLb1EES1B_EEDaS16_S17_EUlS16_E_NS1_11comp_targetILNS1_3genE4ELNS1_11target_archE910ELNS1_3gpuE8ELNS1_3repE0EEENS1_30default_config_static_selectorELNS0_4arch9wavefront6targetE0EEEvT1_
; %bb.0:
	.section	.rodata,"a",@progbits
	.p2align	6, 0x0
	.amdhsa_kernel _ZN7rocprim17ROCPRIM_400000_NS6detail17trampoline_kernelINS0_14default_configENS1_25partition_config_selectorILNS1_17partition_subalgoE5ElNS0_10empty_typeEbEEZZNS1_14partition_implILS5_5ELb0ES3_mN6hipcub16HIPCUB_304000_NS21CountingInputIteratorIllEEPS6_NSA_22TransformInputIteratorIbN2at6native12_GLOBAL__N_19NonZeroOpIlEEPKllEENS0_5tupleIJPlS6_EEENSN_IJSD_SD_EEES6_PiJS6_EEE10hipError_tPvRmT3_T4_T5_T6_T7_T9_mT8_P12ihipStream_tbDpT10_ENKUlT_T0_E_clISt17integral_constantIbLb1EES1B_EEDaS16_S17_EUlS16_E_NS1_11comp_targetILNS1_3genE4ELNS1_11target_archE910ELNS1_3gpuE8ELNS1_3repE0EEENS1_30default_config_static_selectorELNS0_4arch9wavefront6targetE0EEEvT1_
		.amdhsa_group_segment_fixed_size 0
		.amdhsa_private_segment_fixed_size 0
		.amdhsa_kernarg_size 136
		.amdhsa_user_sgpr_count 15
		.amdhsa_user_sgpr_dispatch_ptr 0
		.amdhsa_user_sgpr_queue_ptr 0
		.amdhsa_user_sgpr_kernarg_segment_ptr 1
		.amdhsa_user_sgpr_dispatch_id 0
		.amdhsa_user_sgpr_private_segment_size 0
		.amdhsa_wavefront_size32 1
		.amdhsa_uses_dynamic_stack 0
		.amdhsa_enable_private_segment 0
		.amdhsa_system_sgpr_workgroup_id_x 1
		.amdhsa_system_sgpr_workgroup_id_y 0
		.amdhsa_system_sgpr_workgroup_id_z 0
		.amdhsa_system_sgpr_workgroup_info 0
		.amdhsa_system_vgpr_workitem_id 0
		.amdhsa_next_free_vgpr 1
		.amdhsa_next_free_sgpr 1
		.amdhsa_reserve_vcc 0
		.amdhsa_float_round_mode_32 0
		.amdhsa_float_round_mode_16_64 0
		.amdhsa_float_denorm_mode_32 3
		.amdhsa_float_denorm_mode_16_64 3
		.amdhsa_dx10_clamp 1
		.amdhsa_ieee_mode 1
		.amdhsa_fp16_overflow 0
		.amdhsa_workgroup_processor_mode 1
		.amdhsa_memory_ordered 1
		.amdhsa_forward_progress 0
		.amdhsa_shared_vgpr_count 0
		.amdhsa_exception_fp_ieee_invalid_op 0
		.amdhsa_exception_fp_denorm_src 0
		.amdhsa_exception_fp_ieee_div_zero 0
		.amdhsa_exception_fp_ieee_overflow 0
		.amdhsa_exception_fp_ieee_underflow 0
		.amdhsa_exception_fp_ieee_inexact 0
		.amdhsa_exception_int_div_zero 0
	.end_amdhsa_kernel
	.section	.text._ZN7rocprim17ROCPRIM_400000_NS6detail17trampoline_kernelINS0_14default_configENS1_25partition_config_selectorILNS1_17partition_subalgoE5ElNS0_10empty_typeEbEEZZNS1_14partition_implILS5_5ELb0ES3_mN6hipcub16HIPCUB_304000_NS21CountingInputIteratorIllEEPS6_NSA_22TransformInputIteratorIbN2at6native12_GLOBAL__N_19NonZeroOpIlEEPKllEENS0_5tupleIJPlS6_EEENSN_IJSD_SD_EEES6_PiJS6_EEE10hipError_tPvRmT3_T4_T5_T6_T7_T9_mT8_P12ihipStream_tbDpT10_ENKUlT_T0_E_clISt17integral_constantIbLb1EES1B_EEDaS16_S17_EUlS16_E_NS1_11comp_targetILNS1_3genE4ELNS1_11target_archE910ELNS1_3gpuE8ELNS1_3repE0EEENS1_30default_config_static_selectorELNS0_4arch9wavefront6targetE0EEEvT1_,"axG",@progbits,_ZN7rocprim17ROCPRIM_400000_NS6detail17trampoline_kernelINS0_14default_configENS1_25partition_config_selectorILNS1_17partition_subalgoE5ElNS0_10empty_typeEbEEZZNS1_14partition_implILS5_5ELb0ES3_mN6hipcub16HIPCUB_304000_NS21CountingInputIteratorIllEEPS6_NSA_22TransformInputIteratorIbN2at6native12_GLOBAL__N_19NonZeroOpIlEEPKllEENS0_5tupleIJPlS6_EEENSN_IJSD_SD_EEES6_PiJS6_EEE10hipError_tPvRmT3_T4_T5_T6_T7_T9_mT8_P12ihipStream_tbDpT10_ENKUlT_T0_E_clISt17integral_constantIbLb1EES1B_EEDaS16_S17_EUlS16_E_NS1_11comp_targetILNS1_3genE4ELNS1_11target_archE910ELNS1_3gpuE8ELNS1_3repE0EEENS1_30default_config_static_selectorELNS0_4arch9wavefront6targetE0EEEvT1_,comdat
.Lfunc_end264:
	.size	_ZN7rocprim17ROCPRIM_400000_NS6detail17trampoline_kernelINS0_14default_configENS1_25partition_config_selectorILNS1_17partition_subalgoE5ElNS0_10empty_typeEbEEZZNS1_14partition_implILS5_5ELb0ES3_mN6hipcub16HIPCUB_304000_NS21CountingInputIteratorIllEEPS6_NSA_22TransformInputIteratorIbN2at6native12_GLOBAL__N_19NonZeroOpIlEEPKllEENS0_5tupleIJPlS6_EEENSN_IJSD_SD_EEES6_PiJS6_EEE10hipError_tPvRmT3_T4_T5_T6_T7_T9_mT8_P12ihipStream_tbDpT10_ENKUlT_T0_E_clISt17integral_constantIbLb1EES1B_EEDaS16_S17_EUlS16_E_NS1_11comp_targetILNS1_3genE4ELNS1_11target_archE910ELNS1_3gpuE8ELNS1_3repE0EEENS1_30default_config_static_selectorELNS0_4arch9wavefront6targetE0EEEvT1_, .Lfunc_end264-_ZN7rocprim17ROCPRIM_400000_NS6detail17trampoline_kernelINS0_14default_configENS1_25partition_config_selectorILNS1_17partition_subalgoE5ElNS0_10empty_typeEbEEZZNS1_14partition_implILS5_5ELb0ES3_mN6hipcub16HIPCUB_304000_NS21CountingInputIteratorIllEEPS6_NSA_22TransformInputIteratorIbN2at6native12_GLOBAL__N_19NonZeroOpIlEEPKllEENS0_5tupleIJPlS6_EEENSN_IJSD_SD_EEES6_PiJS6_EEE10hipError_tPvRmT3_T4_T5_T6_T7_T9_mT8_P12ihipStream_tbDpT10_ENKUlT_T0_E_clISt17integral_constantIbLb1EES1B_EEDaS16_S17_EUlS16_E_NS1_11comp_targetILNS1_3genE4ELNS1_11target_archE910ELNS1_3gpuE8ELNS1_3repE0EEENS1_30default_config_static_selectorELNS0_4arch9wavefront6targetE0EEEvT1_
                                        ; -- End function
	.section	.AMDGPU.csdata,"",@progbits
; Kernel info:
; codeLenInByte = 0
; NumSgprs: 0
; NumVgprs: 0
; ScratchSize: 0
; MemoryBound: 0
; FloatMode: 240
; IeeeMode: 1
; LDSByteSize: 0 bytes/workgroup (compile time only)
; SGPRBlocks: 0
; VGPRBlocks: 0
; NumSGPRsForWavesPerEU: 1
; NumVGPRsForWavesPerEU: 1
; Occupancy: 15
; WaveLimiterHint : 0
; COMPUTE_PGM_RSRC2:SCRATCH_EN: 0
; COMPUTE_PGM_RSRC2:USER_SGPR: 15
; COMPUTE_PGM_RSRC2:TRAP_HANDLER: 0
; COMPUTE_PGM_RSRC2:TGID_X_EN: 1
; COMPUTE_PGM_RSRC2:TGID_Y_EN: 0
; COMPUTE_PGM_RSRC2:TGID_Z_EN: 0
; COMPUTE_PGM_RSRC2:TIDIG_COMP_CNT: 0
	.section	.text._ZN7rocprim17ROCPRIM_400000_NS6detail17trampoline_kernelINS0_14default_configENS1_25partition_config_selectorILNS1_17partition_subalgoE5ElNS0_10empty_typeEbEEZZNS1_14partition_implILS5_5ELb0ES3_mN6hipcub16HIPCUB_304000_NS21CountingInputIteratorIllEEPS6_NSA_22TransformInputIteratorIbN2at6native12_GLOBAL__N_19NonZeroOpIlEEPKllEENS0_5tupleIJPlS6_EEENSN_IJSD_SD_EEES6_PiJS6_EEE10hipError_tPvRmT3_T4_T5_T6_T7_T9_mT8_P12ihipStream_tbDpT10_ENKUlT_T0_E_clISt17integral_constantIbLb1EES1B_EEDaS16_S17_EUlS16_E_NS1_11comp_targetILNS1_3genE3ELNS1_11target_archE908ELNS1_3gpuE7ELNS1_3repE0EEENS1_30default_config_static_selectorELNS0_4arch9wavefront6targetE0EEEvT1_,"axG",@progbits,_ZN7rocprim17ROCPRIM_400000_NS6detail17trampoline_kernelINS0_14default_configENS1_25partition_config_selectorILNS1_17partition_subalgoE5ElNS0_10empty_typeEbEEZZNS1_14partition_implILS5_5ELb0ES3_mN6hipcub16HIPCUB_304000_NS21CountingInputIteratorIllEEPS6_NSA_22TransformInputIteratorIbN2at6native12_GLOBAL__N_19NonZeroOpIlEEPKllEENS0_5tupleIJPlS6_EEENSN_IJSD_SD_EEES6_PiJS6_EEE10hipError_tPvRmT3_T4_T5_T6_T7_T9_mT8_P12ihipStream_tbDpT10_ENKUlT_T0_E_clISt17integral_constantIbLb1EES1B_EEDaS16_S17_EUlS16_E_NS1_11comp_targetILNS1_3genE3ELNS1_11target_archE908ELNS1_3gpuE7ELNS1_3repE0EEENS1_30default_config_static_selectorELNS0_4arch9wavefront6targetE0EEEvT1_,comdat
	.globl	_ZN7rocprim17ROCPRIM_400000_NS6detail17trampoline_kernelINS0_14default_configENS1_25partition_config_selectorILNS1_17partition_subalgoE5ElNS0_10empty_typeEbEEZZNS1_14partition_implILS5_5ELb0ES3_mN6hipcub16HIPCUB_304000_NS21CountingInputIteratorIllEEPS6_NSA_22TransformInputIteratorIbN2at6native12_GLOBAL__N_19NonZeroOpIlEEPKllEENS0_5tupleIJPlS6_EEENSN_IJSD_SD_EEES6_PiJS6_EEE10hipError_tPvRmT3_T4_T5_T6_T7_T9_mT8_P12ihipStream_tbDpT10_ENKUlT_T0_E_clISt17integral_constantIbLb1EES1B_EEDaS16_S17_EUlS16_E_NS1_11comp_targetILNS1_3genE3ELNS1_11target_archE908ELNS1_3gpuE7ELNS1_3repE0EEENS1_30default_config_static_selectorELNS0_4arch9wavefront6targetE0EEEvT1_ ; -- Begin function _ZN7rocprim17ROCPRIM_400000_NS6detail17trampoline_kernelINS0_14default_configENS1_25partition_config_selectorILNS1_17partition_subalgoE5ElNS0_10empty_typeEbEEZZNS1_14partition_implILS5_5ELb0ES3_mN6hipcub16HIPCUB_304000_NS21CountingInputIteratorIllEEPS6_NSA_22TransformInputIteratorIbN2at6native12_GLOBAL__N_19NonZeroOpIlEEPKllEENS0_5tupleIJPlS6_EEENSN_IJSD_SD_EEES6_PiJS6_EEE10hipError_tPvRmT3_T4_T5_T6_T7_T9_mT8_P12ihipStream_tbDpT10_ENKUlT_T0_E_clISt17integral_constantIbLb1EES1B_EEDaS16_S17_EUlS16_E_NS1_11comp_targetILNS1_3genE3ELNS1_11target_archE908ELNS1_3gpuE7ELNS1_3repE0EEENS1_30default_config_static_selectorELNS0_4arch9wavefront6targetE0EEEvT1_
	.p2align	8
	.type	_ZN7rocprim17ROCPRIM_400000_NS6detail17trampoline_kernelINS0_14default_configENS1_25partition_config_selectorILNS1_17partition_subalgoE5ElNS0_10empty_typeEbEEZZNS1_14partition_implILS5_5ELb0ES3_mN6hipcub16HIPCUB_304000_NS21CountingInputIteratorIllEEPS6_NSA_22TransformInputIteratorIbN2at6native12_GLOBAL__N_19NonZeroOpIlEEPKllEENS0_5tupleIJPlS6_EEENSN_IJSD_SD_EEES6_PiJS6_EEE10hipError_tPvRmT3_T4_T5_T6_T7_T9_mT8_P12ihipStream_tbDpT10_ENKUlT_T0_E_clISt17integral_constantIbLb1EES1B_EEDaS16_S17_EUlS16_E_NS1_11comp_targetILNS1_3genE3ELNS1_11target_archE908ELNS1_3gpuE7ELNS1_3repE0EEENS1_30default_config_static_selectorELNS0_4arch9wavefront6targetE0EEEvT1_,@function
_ZN7rocprim17ROCPRIM_400000_NS6detail17trampoline_kernelINS0_14default_configENS1_25partition_config_selectorILNS1_17partition_subalgoE5ElNS0_10empty_typeEbEEZZNS1_14partition_implILS5_5ELb0ES3_mN6hipcub16HIPCUB_304000_NS21CountingInputIteratorIllEEPS6_NSA_22TransformInputIteratorIbN2at6native12_GLOBAL__N_19NonZeroOpIlEEPKllEENS0_5tupleIJPlS6_EEENSN_IJSD_SD_EEES6_PiJS6_EEE10hipError_tPvRmT3_T4_T5_T6_T7_T9_mT8_P12ihipStream_tbDpT10_ENKUlT_T0_E_clISt17integral_constantIbLb1EES1B_EEDaS16_S17_EUlS16_E_NS1_11comp_targetILNS1_3genE3ELNS1_11target_archE908ELNS1_3gpuE7ELNS1_3repE0EEENS1_30default_config_static_selectorELNS0_4arch9wavefront6targetE0EEEvT1_: ; @_ZN7rocprim17ROCPRIM_400000_NS6detail17trampoline_kernelINS0_14default_configENS1_25partition_config_selectorILNS1_17partition_subalgoE5ElNS0_10empty_typeEbEEZZNS1_14partition_implILS5_5ELb0ES3_mN6hipcub16HIPCUB_304000_NS21CountingInputIteratorIllEEPS6_NSA_22TransformInputIteratorIbN2at6native12_GLOBAL__N_19NonZeroOpIlEEPKllEENS0_5tupleIJPlS6_EEENSN_IJSD_SD_EEES6_PiJS6_EEE10hipError_tPvRmT3_T4_T5_T6_T7_T9_mT8_P12ihipStream_tbDpT10_ENKUlT_T0_E_clISt17integral_constantIbLb1EES1B_EEDaS16_S17_EUlS16_E_NS1_11comp_targetILNS1_3genE3ELNS1_11target_archE908ELNS1_3gpuE7ELNS1_3repE0EEENS1_30default_config_static_selectorELNS0_4arch9wavefront6targetE0EEEvT1_
; %bb.0:
	.section	.rodata,"a",@progbits
	.p2align	6, 0x0
	.amdhsa_kernel _ZN7rocprim17ROCPRIM_400000_NS6detail17trampoline_kernelINS0_14default_configENS1_25partition_config_selectorILNS1_17partition_subalgoE5ElNS0_10empty_typeEbEEZZNS1_14partition_implILS5_5ELb0ES3_mN6hipcub16HIPCUB_304000_NS21CountingInputIteratorIllEEPS6_NSA_22TransformInputIteratorIbN2at6native12_GLOBAL__N_19NonZeroOpIlEEPKllEENS0_5tupleIJPlS6_EEENSN_IJSD_SD_EEES6_PiJS6_EEE10hipError_tPvRmT3_T4_T5_T6_T7_T9_mT8_P12ihipStream_tbDpT10_ENKUlT_T0_E_clISt17integral_constantIbLb1EES1B_EEDaS16_S17_EUlS16_E_NS1_11comp_targetILNS1_3genE3ELNS1_11target_archE908ELNS1_3gpuE7ELNS1_3repE0EEENS1_30default_config_static_selectorELNS0_4arch9wavefront6targetE0EEEvT1_
		.amdhsa_group_segment_fixed_size 0
		.amdhsa_private_segment_fixed_size 0
		.amdhsa_kernarg_size 136
		.amdhsa_user_sgpr_count 15
		.amdhsa_user_sgpr_dispatch_ptr 0
		.amdhsa_user_sgpr_queue_ptr 0
		.amdhsa_user_sgpr_kernarg_segment_ptr 1
		.amdhsa_user_sgpr_dispatch_id 0
		.amdhsa_user_sgpr_private_segment_size 0
		.amdhsa_wavefront_size32 1
		.amdhsa_uses_dynamic_stack 0
		.amdhsa_enable_private_segment 0
		.amdhsa_system_sgpr_workgroup_id_x 1
		.amdhsa_system_sgpr_workgroup_id_y 0
		.amdhsa_system_sgpr_workgroup_id_z 0
		.amdhsa_system_sgpr_workgroup_info 0
		.amdhsa_system_vgpr_workitem_id 0
		.amdhsa_next_free_vgpr 1
		.amdhsa_next_free_sgpr 1
		.amdhsa_reserve_vcc 0
		.amdhsa_float_round_mode_32 0
		.amdhsa_float_round_mode_16_64 0
		.amdhsa_float_denorm_mode_32 3
		.amdhsa_float_denorm_mode_16_64 3
		.amdhsa_dx10_clamp 1
		.amdhsa_ieee_mode 1
		.amdhsa_fp16_overflow 0
		.amdhsa_workgroup_processor_mode 1
		.amdhsa_memory_ordered 1
		.amdhsa_forward_progress 0
		.amdhsa_shared_vgpr_count 0
		.amdhsa_exception_fp_ieee_invalid_op 0
		.amdhsa_exception_fp_denorm_src 0
		.amdhsa_exception_fp_ieee_div_zero 0
		.amdhsa_exception_fp_ieee_overflow 0
		.amdhsa_exception_fp_ieee_underflow 0
		.amdhsa_exception_fp_ieee_inexact 0
		.amdhsa_exception_int_div_zero 0
	.end_amdhsa_kernel
	.section	.text._ZN7rocprim17ROCPRIM_400000_NS6detail17trampoline_kernelINS0_14default_configENS1_25partition_config_selectorILNS1_17partition_subalgoE5ElNS0_10empty_typeEbEEZZNS1_14partition_implILS5_5ELb0ES3_mN6hipcub16HIPCUB_304000_NS21CountingInputIteratorIllEEPS6_NSA_22TransformInputIteratorIbN2at6native12_GLOBAL__N_19NonZeroOpIlEEPKllEENS0_5tupleIJPlS6_EEENSN_IJSD_SD_EEES6_PiJS6_EEE10hipError_tPvRmT3_T4_T5_T6_T7_T9_mT8_P12ihipStream_tbDpT10_ENKUlT_T0_E_clISt17integral_constantIbLb1EES1B_EEDaS16_S17_EUlS16_E_NS1_11comp_targetILNS1_3genE3ELNS1_11target_archE908ELNS1_3gpuE7ELNS1_3repE0EEENS1_30default_config_static_selectorELNS0_4arch9wavefront6targetE0EEEvT1_,"axG",@progbits,_ZN7rocprim17ROCPRIM_400000_NS6detail17trampoline_kernelINS0_14default_configENS1_25partition_config_selectorILNS1_17partition_subalgoE5ElNS0_10empty_typeEbEEZZNS1_14partition_implILS5_5ELb0ES3_mN6hipcub16HIPCUB_304000_NS21CountingInputIteratorIllEEPS6_NSA_22TransformInputIteratorIbN2at6native12_GLOBAL__N_19NonZeroOpIlEEPKllEENS0_5tupleIJPlS6_EEENSN_IJSD_SD_EEES6_PiJS6_EEE10hipError_tPvRmT3_T4_T5_T6_T7_T9_mT8_P12ihipStream_tbDpT10_ENKUlT_T0_E_clISt17integral_constantIbLb1EES1B_EEDaS16_S17_EUlS16_E_NS1_11comp_targetILNS1_3genE3ELNS1_11target_archE908ELNS1_3gpuE7ELNS1_3repE0EEENS1_30default_config_static_selectorELNS0_4arch9wavefront6targetE0EEEvT1_,comdat
.Lfunc_end265:
	.size	_ZN7rocprim17ROCPRIM_400000_NS6detail17trampoline_kernelINS0_14default_configENS1_25partition_config_selectorILNS1_17partition_subalgoE5ElNS0_10empty_typeEbEEZZNS1_14partition_implILS5_5ELb0ES3_mN6hipcub16HIPCUB_304000_NS21CountingInputIteratorIllEEPS6_NSA_22TransformInputIteratorIbN2at6native12_GLOBAL__N_19NonZeroOpIlEEPKllEENS0_5tupleIJPlS6_EEENSN_IJSD_SD_EEES6_PiJS6_EEE10hipError_tPvRmT3_T4_T5_T6_T7_T9_mT8_P12ihipStream_tbDpT10_ENKUlT_T0_E_clISt17integral_constantIbLb1EES1B_EEDaS16_S17_EUlS16_E_NS1_11comp_targetILNS1_3genE3ELNS1_11target_archE908ELNS1_3gpuE7ELNS1_3repE0EEENS1_30default_config_static_selectorELNS0_4arch9wavefront6targetE0EEEvT1_, .Lfunc_end265-_ZN7rocprim17ROCPRIM_400000_NS6detail17trampoline_kernelINS0_14default_configENS1_25partition_config_selectorILNS1_17partition_subalgoE5ElNS0_10empty_typeEbEEZZNS1_14partition_implILS5_5ELb0ES3_mN6hipcub16HIPCUB_304000_NS21CountingInputIteratorIllEEPS6_NSA_22TransformInputIteratorIbN2at6native12_GLOBAL__N_19NonZeroOpIlEEPKllEENS0_5tupleIJPlS6_EEENSN_IJSD_SD_EEES6_PiJS6_EEE10hipError_tPvRmT3_T4_T5_T6_T7_T9_mT8_P12ihipStream_tbDpT10_ENKUlT_T0_E_clISt17integral_constantIbLb1EES1B_EEDaS16_S17_EUlS16_E_NS1_11comp_targetILNS1_3genE3ELNS1_11target_archE908ELNS1_3gpuE7ELNS1_3repE0EEENS1_30default_config_static_selectorELNS0_4arch9wavefront6targetE0EEEvT1_
                                        ; -- End function
	.section	.AMDGPU.csdata,"",@progbits
; Kernel info:
; codeLenInByte = 0
; NumSgprs: 0
; NumVgprs: 0
; ScratchSize: 0
; MemoryBound: 0
; FloatMode: 240
; IeeeMode: 1
; LDSByteSize: 0 bytes/workgroup (compile time only)
; SGPRBlocks: 0
; VGPRBlocks: 0
; NumSGPRsForWavesPerEU: 1
; NumVGPRsForWavesPerEU: 1
; Occupancy: 16
; WaveLimiterHint : 0
; COMPUTE_PGM_RSRC2:SCRATCH_EN: 0
; COMPUTE_PGM_RSRC2:USER_SGPR: 15
; COMPUTE_PGM_RSRC2:TRAP_HANDLER: 0
; COMPUTE_PGM_RSRC2:TGID_X_EN: 1
; COMPUTE_PGM_RSRC2:TGID_Y_EN: 0
; COMPUTE_PGM_RSRC2:TGID_Z_EN: 0
; COMPUTE_PGM_RSRC2:TIDIG_COMP_CNT: 0
	.section	.text._ZN7rocprim17ROCPRIM_400000_NS6detail17trampoline_kernelINS0_14default_configENS1_25partition_config_selectorILNS1_17partition_subalgoE5ElNS0_10empty_typeEbEEZZNS1_14partition_implILS5_5ELb0ES3_mN6hipcub16HIPCUB_304000_NS21CountingInputIteratorIllEEPS6_NSA_22TransformInputIteratorIbN2at6native12_GLOBAL__N_19NonZeroOpIlEEPKllEENS0_5tupleIJPlS6_EEENSN_IJSD_SD_EEES6_PiJS6_EEE10hipError_tPvRmT3_T4_T5_T6_T7_T9_mT8_P12ihipStream_tbDpT10_ENKUlT_T0_E_clISt17integral_constantIbLb1EES1B_EEDaS16_S17_EUlS16_E_NS1_11comp_targetILNS1_3genE2ELNS1_11target_archE906ELNS1_3gpuE6ELNS1_3repE0EEENS1_30default_config_static_selectorELNS0_4arch9wavefront6targetE0EEEvT1_,"axG",@progbits,_ZN7rocprim17ROCPRIM_400000_NS6detail17trampoline_kernelINS0_14default_configENS1_25partition_config_selectorILNS1_17partition_subalgoE5ElNS0_10empty_typeEbEEZZNS1_14partition_implILS5_5ELb0ES3_mN6hipcub16HIPCUB_304000_NS21CountingInputIteratorIllEEPS6_NSA_22TransformInputIteratorIbN2at6native12_GLOBAL__N_19NonZeroOpIlEEPKllEENS0_5tupleIJPlS6_EEENSN_IJSD_SD_EEES6_PiJS6_EEE10hipError_tPvRmT3_T4_T5_T6_T7_T9_mT8_P12ihipStream_tbDpT10_ENKUlT_T0_E_clISt17integral_constantIbLb1EES1B_EEDaS16_S17_EUlS16_E_NS1_11comp_targetILNS1_3genE2ELNS1_11target_archE906ELNS1_3gpuE6ELNS1_3repE0EEENS1_30default_config_static_selectorELNS0_4arch9wavefront6targetE0EEEvT1_,comdat
	.globl	_ZN7rocprim17ROCPRIM_400000_NS6detail17trampoline_kernelINS0_14default_configENS1_25partition_config_selectorILNS1_17partition_subalgoE5ElNS0_10empty_typeEbEEZZNS1_14partition_implILS5_5ELb0ES3_mN6hipcub16HIPCUB_304000_NS21CountingInputIteratorIllEEPS6_NSA_22TransformInputIteratorIbN2at6native12_GLOBAL__N_19NonZeroOpIlEEPKllEENS0_5tupleIJPlS6_EEENSN_IJSD_SD_EEES6_PiJS6_EEE10hipError_tPvRmT3_T4_T5_T6_T7_T9_mT8_P12ihipStream_tbDpT10_ENKUlT_T0_E_clISt17integral_constantIbLb1EES1B_EEDaS16_S17_EUlS16_E_NS1_11comp_targetILNS1_3genE2ELNS1_11target_archE906ELNS1_3gpuE6ELNS1_3repE0EEENS1_30default_config_static_selectorELNS0_4arch9wavefront6targetE0EEEvT1_ ; -- Begin function _ZN7rocprim17ROCPRIM_400000_NS6detail17trampoline_kernelINS0_14default_configENS1_25partition_config_selectorILNS1_17partition_subalgoE5ElNS0_10empty_typeEbEEZZNS1_14partition_implILS5_5ELb0ES3_mN6hipcub16HIPCUB_304000_NS21CountingInputIteratorIllEEPS6_NSA_22TransformInputIteratorIbN2at6native12_GLOBAL__N_19NonZeroOpIlEEPKllEENS0_5tupleIJPlS6_EEENSN_IJSD_SD_EEES6_PiJS6_EEE10hipError_tPvRmT3_T4_T5_T6_T7_T9_mT8_P12ihipStream_tbDpT10_ENKUlT_T0_E_clISt17integral_constantIbLb1EES1B_EEDaS16_S17_EUlS16_E_NS1_11comp_targetILNS1_3genE2ELNS1_11target_archE906ELNS1_3gpuE6ELNS1_3repE0EEENS1_30default_config_static_selectorELNS0_4arch9wavefront6targetE0EEEvT1_
	.p2align	8
	.type	_ZN7rocprim17ROCPRIM_400000_NS6detail17trampoline_kernelINS0_14default_configENS1_25partition_config_selectorILNS1_17partition_subalgoE5ElNS0_10empty_typeEbEEZZNS1_14partition_implILS5_5ELb0ES3_mN6hipcub16HIPCUB_304000_NS21CountingInputIteratorIllEEPS6_NSA_22TransformInputIteratorIbN2at6native12_GLOBAL__N_19NonZeroOpIlEEPKllEENS0_5tupleIJPlS6_EEENSN_IJSD_SD_EEES6_PiJS6_EEE10hipError_tPvRmT3_T4_T5_T6_T7_T9_mT8_P12ihipStream_tbDpT10_ENKUlT_T0_E_clISt17integral_constantIbLb1EES1B_EEDaS16_S17_EUlS16_E_NS1_11comp_targetILNS1_3genE2ELNS1_11target_archE906ELNS1_3gpuE6ELNS1_3repE0EEENS1_30default_config_static_selectorELNS0_4arch9wavefront6targetE0EEEvT1_,@function
_ZN7rocprim17ROCPRIM_400000_NS6detail17trampoline_kernelINS0_14default_configENS1_25partition_config_selectorILNS1_17partition_subalgoE5ElNS0_10empty_typeEbEEZZNS1_14partition_implILS5_5ELb0ES3_mN6hipcub16HIPCUB_304000_NS21CountingInputIteratorIllEEPS6_NSA_22TransformInputIteratorIbN2at6native12_GLOBAL__N_19NonZeroOpIlEEPKllEENS0_5tupleIJPlS6_EEENSN_IJSD_SD_EEES6_PiJS6_EEE10hipError_tPvRmT3_T4_T5_T6_T7_T9_mT8_P12ihipStream_tbDpT10_ENKUlT_T0_E_clISt17integral_constantIbLb1EES1B_EEDaS16_S17_EUlS16_E_NS1_11comp_targetILNS1_3genE2ELNS1_11target_archE906ELNS1_3gpuE6ELNS1_3repE0EEENS1_30default_config_static_selectorELNS0_4arch9wavefront6targetE0EEEvT1_: ; @_ZN7rocprim17ROCPRIM_400000_NS6detail17trampoline_kernelINS0_14default_configENS1_25partition_config_selectorILNS1_17partition_subalgoE5ElNS0_10empty_typeEbEEZZNS1_14partition_implILS5_5ELb0ES3_mN6hipcub16HIPCUB_304000_NS21CountingInputIteratorIllEEPS6_NSA_22TransformInputIteratorIbN2at6native12_GLOBAL__N_19NonZeroOpIlEEPKllEENS0_5tupleIJPlS6_EEENSN_IJSD_SD_EEES6_PiJS6_EEE10hipError_tPvRmT3_T4_T5_T6_T7_T9_mT8_P12ihipStream_tbDpT10_ENKUlT_T0_E_clISt17integral_constantIbLb1EES1B_EEDaS16_S17_EUlS16_E_NS1_11comp_targetILNS1_3genE2ELNS1_11target_archE906ELNS1_3gpuE6ELNS1_3repE0EEENS1_30default_config_static_selectorELNS0_4arch9wavefront6targetE0EEEvT1_
; %bb.0:
	.section	.rodata,"a",@progbits
	.p2align	6, 0x0
	.amdhsa_kernel _ZN7rocprim17ROCPRIM_400000_NS6detail17trampoline_kernelINS0_14default_configENS1_25partition_config_selectorILNS1_17partition_subalgoE5ElNS0_10empty_typeEbEEZZNS1_14partition_implILS5_5ELb0ES3_mN6hipcub16HIPCUB_304000_NS21CountingInputIteratorIllEEPS6_NSA_22TransformInputIteratorIbN2at6native12_GLOBAL__N_19NonZeroOpIlEEPKllEENS0_5tupleIJPlS6_EEENSN_IJSD_SD_EEES6_PiJS6_EEE10hipError_tPvRmT3_T4_T5_T6_T7_T9_mT8_P12ihipStream_tbDpT10_ENKUlT_T0_E_clISt17integral_constantIbLb1EES1B_EEDaS16_S17_EUlS16_E_NS1_11comp_targetILNS1_3genE2ELNS1_11target_archE906ELNS1_3gpuE6ELNS1_3repE0EEENS1_30default_config_static_selectorELNS0_4arch9wavefront6targetE0EEEvT1_
		.amdhsa_group_segment_fixed_size 0
		.amdhsa_private_segment_fixed_size 0
		.amdhsa_kernarg_size 136
		.amdhsa_user_sgpr_count 15
		.amdhsa_user_sgpr_dispatch_ptr 0
		.amdhsa_user_sgpr_queue_ptr 0
		.amdhsa_user_sgpr_kernarg_segment_ptr 1
		.amdhsa_user_sgpr_dispatch_id 0
		.amdhsa_user_sgpr_private_segment_size 0
		.amdhsa_wavefront_size32 1
		.amdhsa_uses_dynamic_stack 0
		.amdhsa_enable_private_segment 0
		.amdhsa_system_sgpr_workgroup_id_x 1
		.amdhsa_system_sgpr_workgroup_id_y 0
		.amdhsa_system_sgpr_workgroup_id_z 0
		.amdhsa_system_sgpr_workgroup_info 0
		.amdhsa_system_vgpr_workitem_id 0
		.amdhsa_next_free_vgpr 1
		.amdhsa_next_free_sgpr 1
		.amdhsa_reserve_vcc 0
		.amdhsa_float_round_mode_32 0
		.amdhsa_float_round_mode_16_64 0
		.amdhsa_float_denorm_mode_32 3
		.amdhsa_float_denorm_mode_16_64 3
		.amdhsa_dx10_clamp 1
		.amdhsa_ieee_mode 1
		.amdhsa_fp16_overflow 0
		.amdhsa_workgroup_processor_mode 1
		.amdhsa_memory_ordered 1
		.amdhsa_forward_progress 0
		.amdhsa_shared_vgpr_count 0
		.amdhsa_exception_fp_ieee_invalid_op 0
		.amdhsa_exception_fp_denorm_src 0
		.amdhsa_exception_fp_ieee_div_zero 0
		.amdhsa_exception_fp_ieee_overflow 0
		.amdhsa_exception_fp_ieee_underflow 0
		.amdhsa_exception_fp_ieee_inexact 0
		.amdhsa_exception_int_div_zero 0
	.end_amdhsa_kernel
	.section	.text._ZN7rocprim17ROCPRIM_400000_NS6detail17trampoline_kernelINS0_14default_configENS1_25partition_config_selectorILNS1_17partition_subalgoE5ElNS0_10empty_typeEbEEZZNS1_14partition_implILS5_5ELb0ES3_mN6hipcub16HIPCUB_304000_NS21CountingInputIteratorIllEEPS6_NSA_22TransformInputIteratorIbN2at6native12_GLOBAL__N_19NonZeroOpIlEEPKllEENS0_5tupleIJPlS6_EEENSN_IJSD_SD_EEES6_PiJS6_EEE10hipError_tPvRmT3_T4_T5_T6_T7_T9_mT8_P12ihipStream_tbDpT10_ENKUlT_T0_E_clISt17integral_constantIbLb1EES1B_EEDaS16_S17_EUlS16_E_NS1_11comp_targetILNS1_3genE2ELNS1_11target_archE906ELNS1_3gpuE6ELNS1_3repE0EEENS1_30default_config_static_selectorELNS0_4arch9wavefront6targetE0EEEvT1_,"axG",@progbits,_ZN7rocprim17ROCPRIM_400000_NS6detail17trampoline_kernelINS0_14default_configENS1_25partition_config_selectorILNS1_17partition_subalgoE5ElNS0_10empty_typeEbEEZZNS1_14partition_implILS5_5ELb0ES3_mN6hipcub16HIPCUB_304000_NS21CountingInputIteratorIllEEPS6_NSA_22TransformInputIteratorIbN2at6native12_GLOBAL__N_19NonZeroOpIlEEPKllEENS0_5tupleIJPlS6_EEENSN_IJSD_SD_EEES6_PiJS6_EEE10hipError_tPvRmT3_T4_T5_T6_T7_T9_mT8_P12ihipStream_tbDpT10_ENKUlT_T0_E_clISt17integral_constantIbLb1EES1B_EEDaS16_S17_EUlS16_E_NS1_11comp_targetILNS1_3genE2ELNS1_11target_archE906ELNS1_3gpuE6ELNS1_3repE0EEENS1_30default_config_static_selectorELNS0_4arch9wavefront6targetE0EEEvT1_,comdat
.Lfunc_end266:
	.size	_ZN7rocprim17ROCPRIM_400000_NS6detail17trampoline_kernelINS0_14default_configENS1_25partition_config_selectorILNS1_17partition_subalgoE5ElNS0_10empty_typeEbEEZZNS1_14partition_implILS5_5ELb0ES3_mN6hipcub16HIPCUB_304000_NS21CountingInputIteratorIllEEPS6_NSA_22TransformInputIteratorIbN2at6native12_GLOBAL__N_19NonZeroOpIlEEPKllEENS0_5tupleIJPlS6_EEENSN_IJSD_SD_EEES6_PiJS6_EEE10hipError_tPvRmT3_T4_T5_T6_T7_T9_mT8_P12ihipStream_tbDpT10_ENKUlT_T0_E_clISt17integral_constantIbLb1EES1B_EEDaS16_S17_EUlS16_E_NS1_11comp_targetILNS1_3genE2ELNS1_11target_archE906ELNS1_3gpuE6ELNS1_3repE0EEENS1_30default_config_static_selectorELNS0_4arch9wavefront6targetE0EEEvT1_, .Lfunc_end266-_ZN7rocprim17ROCPRIM_400000_NS6detail17trampoline_kernelINS0_14default_configENS1_25partition_config_selectorILNS1_17partition_subalgoE5ElNS0_10empty_typeEbEEZZNS1_14partition_implILS5_5ELb0ES3_mN6hipcub16HIPCUB_304000_NS21CountingInputIteratorIllEEPS6_NSA_22TransformInputIteratorIbN2at6native12_GLOBAL__N_19NonZeroOpIlEEPKllEENS0_5tupleIJPlS6_EEENSN_IJSD_SD_EEES6_PiJS6_EEE10hipError_tPvRmT3_T4_T5_T6_T7_T9_mT8_P12ihipStream_tbDpT10_ENKUlT_T0_E_clISt17integral_constantIbLb1EES1B_EEDaS16_S17_EUlS16_E_NS1_11comp_targetILNS1_3genE2ELNS1_11target_archE906ELNS1_3gpuE6ELNS1_3repE0EEENS1_30default_config_static_selectorELNS0_4arch9wavefront6targetE0EEEvT1_
                                        ; -- End function
	.section	.AMDGPU.csdata,"",@progbits
; Kernel info:
; codeLenInByte = 0
; NumSgprs: 0
; NumVgprs: 0
; ScratchSize: 0
; MemoryBound: 0
; FloatMode: 240
; IeeeMode: 1
; LDSByteSize: 0 bytes/workgroup (compile time only)
; SGPRBlocks: 0
; VGPRBlocks: 0
; NumSGPRsForWavesPerEU: 1
; NumVGPRsForWavesPerEU: 1
; Occupancy: 16
; WaveLimiterHint : 0
; COMPUTE_PGM_RSRC2:SCRATCH_EN: 0
; COMPUTE_PGM_RSRC2:USER_SGPR: 15
; COMPUTE_PGM_RSRC2:TRAP_HANDLER: 0
; COMPUTE_PGM_RSRC2:TGID_X_EN: 1
; COMPUTE_PGM_RSRC2:TGID_Y_EN: 0
; COMPUTE_PGM_RSRC2:TGID_Z_EN: 0
; COMPUTE_PGM_RSRC2:TIDIG_COMP_CNT: 0
	.section	.text._ZN7rocprim17ROCPRIM_400000_NS6detail17trampoline_kernelINS0_14default_configENS1_25partition_config_selectorILNS1_17partition_subalgoE5ElNS0_10empty_typeEbEEZZNS1_14partition_implILS5_5ELb0ES3_mN6hipcub16HIPCUB_304000_NS21CountingInputIteratorIllEEPS6_NSA_22TransformInputIteratorIbN2at6native12_GLOBAL__N_19NonZeroOpIlEEPKllEENS0_5tupleIJPlS6_EEENSN_IJSD_SD_EEES6_PiJS6_EEE10hipError_tPvRmT3_T4_T5_T6_T7_T9_mT8_P12ihipStream_tbDpT10_ENKUlT_T0_E_clISt17integral_constantIbLb1EES1B_EEDaS16_S17_EUlS16_E_NS1_11comp_targetILNS1_3genE10ELNS1_11target_archE1200ELNS1_3gpuE4ELNS1_3repE0EEENS1_30default_config_static_selectorELNS0_4arch9wavefront6targetE0EEEvT1_,"axG",@progbits,_ZN7rocprim17ROCPRIM_400000_NS6detail17trampoline_kernelINS0_14default_configENS1_25partition_config_selectorILNS1_17partition_subalgoE5ElNS0_10empty_typeEbEEZZNS1_14partition_implILS5_5ELb0ES3_mN6hipcub16HIPCUB_304000_NS21CountingInputIteratorIllEEPS6_NSA_22TransformInputIteratorIbN2at6native12_GLOBAL__N_19NonZeroOpIlEEPKllEENS0_5tupleIJPlS6_EEENSN_IJSD_SD_EEES6_PiJS6_EEE10hipError_tPvRmT3_T4_T5_T6_T7_T9_mT8_P12ihipStream_tbDpT10_ENKUlT_T0_E_clISt17integral_constantIbLb1EES1B_EEDaS16_S17_EUlS16_E_NS1_11comp_targetILNS1_3genE10ELNS1_11target_archE1200ELNS1_3gpuE4ELNS1_3repE0EEENS1_30default_config_static_selectorELNS0_4arch9wavefront6targetE0EEEvT1_,comdat
	.globl	_ZN7rocprim17ROCPRIM_400000_NS6detail17trampoline_kernelINS0_14default_configENS1_25partition_config_selectorILNS1_17partition_subalgoE5ElNS0_10empty_typeEbEEZZNS1_14partition_implILS5_5ELb0ES3_mN6hipcub16HIPCUB_304000_NS21CountingInputIteratorIllEEPS6_NSA_22TransformInputIteratorIbN2at6native12_GLOBAL__N_19NonZeroOpIlEEPKllEENS0_5tupleIJPlS6_EEENSN_IJSD_SD_EEES6_PiJS6_EEE10hipError_tPvRmT3_T4_T5_T6_T7_T9_mT8_P12ihipStream_tbDpT10_ENKUlT_T0_E_clISt17integral_constantIbLb1EES1B_EEDaS16_S17_EUlS16_E_NS1_11comp_targetILNS1_3genE10ELNS1_11target_archE1200ELNS1_3gpuE4ELNS1_3repE0EEENS1_30default_config_static_selectorELNS0_4arch9wavefront6targetE0EEEvT1_ ; -- Begin function _ZN7rocprim17ROCPRIM_400000_NS6detail17trampoline_kernelINS0_14default_configENS1_25partition_config_selectorILNS1_17partition_subalgoE5ElNS0_10empty_typeEbEEZZNS1_14partition_implILS5_5ELb0ES3_mN6hipcub16HIPCUB_304000_NS21CountingInputIteratorIllEEPS6_NSA_22TransformInputIteratorIbN2at6native12_GLOBAL__N_19NonZeroOpIlEEPKllEENS0_5tupleIJPlS6_EEENSN_IJSD_SD_EEES6_PiJS6_EEE10hipError_tPvRmT3_T4_T5_T6_T7_T9_mT8_P12ihipStream_tbDpT10_ENKUlT_T0_E_clISt17integral_constantIbLb1EES1B_EEDaS16_S17_EUlS16_E_NS1_11comp_targetILNS1_3genE10ELNS1_11target_archE1200ELNS1_3gpuE4ELNS1_3repE0EEENS1_30default_config_static_selectorELNS0_4arch9wavefront6targetE0EEEvT1_
	.p2align	8
	.type	_ZN7rocprim17ROCPRIM_400000_NS6detail17trampoline_kernelINS0_14default_configENS1_25partition_config_selectorILNS1_17partition_subalgoE5ElNS0_10empty_typeEbEEZZNS1_14partition_implILS5_5ELb0ES3_mN6hipcub16HIPCUB_304000_NS21CountingInputIteratorIllEEPS6_NSA_22TransformInputIteratorIbN2at6native12_GLOBAL__N_19NonZeroOpIlEEPKllEENS0_5tupleIJPlS6_EEENSN_IJSD_SD_EEES6_PiJS6_EEE10hipError_tPvRmT3_T4_T5_T6_T7_T9_mT8_P12ihipStream_tbDpT10_ENKUlT_T0_E_clISt17integral_constantIbLb1EES1B_EEDaS16_S17_EUlS16_E_NS1_11comp_targetILNS1_3genE10ELNS1_11target_archE1200ELNS1_3gpuE4ELNS1_3repE0EEENS1_30default_config_static_selectorELNS0_4arch9wavefront6targetE0EEEvT1_,@function
_ZN7rocprim17ROCPRIM_400000_NS6detail17trampoline_kernelINS0_14default_configENS1_25partition_config_selectorILNS1_17partition_subalgoE5ElNS0_10empty_typeEbEEZZNS1_14partition_implILS5_5ELb0ES3_mN6hipcub16HIPCUB_304000_NS21CountingInputIteratorIllEEPS6_NSA_22TransformInputIteratorIbN2at6native12_GLOBAL__N_19NonZeroOpIlEEPKllEENS0_5tupleIJPlS6_EEENSN_IJSD_SD_EEES6_PiJS6_EEE10hipError_tPvRmT3_T4_T5_T6_T7_T9_mT8_P12ihipStream_tbDpT10_ENKUlT_T0_E_clISt17integral_constantIbLb1EES1B_EEDaS16_S17_EUlS16_E_NS1_11comp_targetILNS1_3genE10ELNS1_11target_archE1200ELNS1_3gpuE4ELNS1_3repE0EEENS1_30default_config_static_selectorELNS0_4arch9wavefront6targetE0EEEvT1_: ; @_ZN7rocprim17ROCPRIM_400000_NS6detail17trampoline_kernelINS0_14default_configENS1_25partition_config_selectorILNS1_17partition_subalgoE5ElNS0_10empty_typeEbEEZZNS1_14partition_implILS5_5ELb0ES3_mN6hipcub16HIPCUB_304000_NS21CountingInputIteratorIllEEPS6_NSA_22TransformInputIteratorIbN2at6native12_GLOBAL__N_19NonZeroOpIlEEPKllEENS0_5tupleIJPlS6_EEENSN_IJSD_SD_EEES6_PiJS6_EEE10hipError_tPvRmT3_T4_T5_T6_T7_T9_mT8_P12ihipStream_tbDpT10_ENKUlT_T0_E_clISt17integral_constantIbLb1EES1B_EEDaS16_S17_EUlS16_E_NS1_11comp_targetILNS1_3genE10ELNS1_11target_archE1200ELNS1_3gpuE4ELNS1_3repE0EEENS1_30default_config_static_selectorELNS0_4arch9wavefront6targetE0EEEvT1_
; %bb.0:
	.section	.rodata,"a",@progbits
	.p2align	6, 0x0
	.amdhsa_kernel _ZN7rocprim17ROCPRIM_400000_NS6detail17trampoline_kernelINS0_14default_configENS1_25partition_config_selectorILNS1_17partition_subalgoE5ElNS0_10empty_typeEbEEZZNS1_14partition_implILS5_5ELb0ES3_mN6hipcub16HIPCUB_304000_NS21CountingInputIteratorIllEEPS6_NSA_22TransformInputIteratorIbN2at6native12_GLOBAL__N_19NonZeroOpIlEEPKllEENS0_5tupleIJPlS6_EEENSN_IJSD_SD_EEES6_PiJS6_EEE10hipError_tPvRmT3_T4_T5_T6_T7_T9_mT8_P12ihipStream_tbDpT10_ENKUlT_T0_E_clISt17integral_constantIbLb1EES1B_EEDaS16_S17_EUlS16_E_NS1_11comp_targetILNS1_3genE10ELNS1_11target_archE1200ELNS1_3gpuE4ELNS1_3repE0EEENS1_30default_config_static_selectorELNS0_4arch9wavefront6targetE0EEEvT1_
		.amdhsa_group_segment_fixed_size 0
		.amdhsa_private_segment_fixed_size 0
		.amdhsa_kernarg_size 136
		.amdhsa_user_sgpr_count 15
		.amdhsa_user_sgpr_dispatch_ptr 0
		.amdhsa_user_sgpr_queue_ptr 0
		.amdhsa_user_sgpr_kernarg_segment_ptr 1
		.amdhsa_user_sgpr_dispatch_id 0
		.amdhsa_user_sgpr_private_segment_size 0
		.amdhsa_wavefront_size32 1
		.amdhsa_uses_dynamic_stack 0
		.amdhsa_enable_private_segment 0
		.amdhsa_system_sgpr_workgroup_id_x 1
		.amdhsa_system_sgpr_workgroup_id_y 0
		.amdhsa_system_sgpr_workgroup_id_z 0
		.amdhsa_system_sgpr_workgroup_info 0
		.amdhsa_system_vgpr_workitem_id 0
		.amdhsa_next_free_vgpr 1
		.amdhsa_next_free_sgpr 1
		.amdhsa_reserve_vcc 0
		.amdhsa_float_round_mode_32 0
		.amdhsa_float_round_mode_16_64 0
		.amdhsa_float_denorm_mode_32 3
		.amdhsa_float_denorm_mode_16_64 3
		.amdhsa_dx10_clamp 1
		.amdhsa_ieee_mode 1
		.amdhsa_fp16_overflow 0
		.amdhsa_workgroup_processor_mode 1
		.amdhsa_memory_ordered 1
		.amdhsa_forward_progress 0
		.amdhsa_shared_vgpr_count 0
		.amdhsa_exception_fp_ieee_invalid_op 0
		.amdhsa_exception_fp_denorm_src 0
		.amdhsa_exception_fp_ieee_div_zero 0
		.amdhsa_exception_fp_ieee_overflow 0
		.amdhsa_exception_fp_ieee_underflow 0
		.amdhsa_exception_fp_ieee_inexact 0
		.amdhsa_exception_int_div_zero 0
	.end_amdhsa_kernel
	.section	.text._ZN7rocprim17ROCPRIM_400000_NS6detail17trampoline_kernelINS0_14default_configENS1_25partition_config_selectorILNS1_17partition_subalgoE5ElNS0_10empty_typeEbEEZZNS1_14partition_implILS5_5ELb0ES3_mN6hipcub16HIPCUB_304000_NS21CountingInputIteratorIllEEPS6_NSA_22TransformInputIteratorIbN2at6native12_GLOBAL__N_19NonZeroOpIlEEPKllEENS0_5tupleIJPlS6_EEENSN_IJSD_SD_EEES6_PiJS6_EEE10hipError_tPvRmT3_T4_T5_T6_T7_T9_mT8_P12ihipStream_tbDpT10_ENKUlT_T0_E_clISt17integral_constantIbLb1EES1B_EEDaS16_S17_EUlS16_E_NS1_11comp_targetILNS1_3genE10ELNS1_11target_archE1200ELNS1_3gpuE4ELNS1_3repE0EEENS1_30default_config_static_selectorELNS0_4arch9wavefront6targetE0EEEvT1_,"axG",@progbits,_ZN7rocprim17ROCPRIM_400000_NS6detail17trampoline_kernelINS0_14default_configENS1_25partition_config_selectorILNS1_17partition_subalgoE5ElNS0_10empty_typeEbEEZZNS1_14partition_implILS5_5ELb0ES3_mN6hipcub16HIPCUB_304000_NS21CountingInputIteratorIllEEPS6_NSA_22TransformInputIteratorIbN2at6native12_GLOBAL__N_19NonZeroOpIlEEPKllEENS0_5tupleIJPlS6_EEENSN_IJSD_SD_EEES6_PiJS6_EEE10hipError_tPvRmT3_T4_T5_T6_T7_T9_mT8_P12ihipStream_tbDpT10_ENKUlT_T0_E_clISt17integral_constantIbLb1EES1B_EEDaS16_S17_EUlS16_E_NS1_11comp_targetILNS1_3genE10ELNS1_11target_archE1200ELNS1_3gpuE4ELNS1_3repE0EEENS1_30default_config_static_selectorELNS0_4arch9wavefront6targetE0EEEvT1_,comdat
.Lfunc_end267:
	.size	_ZN7rocprim17ROCPRIM_400000_NS6detail17trampoline_kernelINS0_14default_configENS1_25partition_config_selectorILNS1_17partition_subalgoE5ElNS0_10empty_typeEbEEZZNS1_14partition_implILS5_5ELb0ES3_mN6hipcub16HIPCUB_304000_NS21CountingInputIteratorIllEEPS6_NSA_22TransformInputIteratorIbN2at6native12_GLOBAL__N_19NonZeroOpIlEEPKllEENS0_5tupleIJPlS6_EEENSN_IJSD_SD_EEES6_PiJS6_EEE10hipError_tPvRmT3_T4_T5_T6_T7_T9_mT8_P12ihipStream_tbDpT10_ENKUlT_T0_E_clISt17integral_constantIbLb1EES1B_EEDaS16_S17_EUlS16_E_NS1_11comp_targetILNS1_3genE10ELNS1_11target_archE1200ELNS1_3gpuE4ELNS1_3repE0EEENS1_30default_config_static_selectorELNS0_4arch9wavefront6targetE0EEEvT1_, .Lfunc_end267-_ZN7rocprim17ROCPRIM_400000_NS6detail17trampoline_kernelINS0_14default_configENS1_25partition_config_selectorILNS1_17partition_subalgoE5ElNS0_10empty_typeEbEEZZNS1_14partition_implILS5_5ELb0ES3_mN6hipcub16HIPCUB_304000_NS21CountingInputIteratorIllEEPS6_NSA_22TransformInputIteratorIbN2at6native12_GLOBAL__N_19NonZeroOpIlEEPKllEENS0_5tupleIJPlS6_EEENSN_IJSD_SD_EEES6_PiJS6_EEE10hipError_tPvRmT3_T4_T5_T6_T7_T9_mT8_P12ihipStream_tbDpT10_ENKUlT_T0_E_clISt17integral_constantIbLb1EES1B_EEDaS16_S17_EUlS16_E_NS1_11comp_targetILNS1_3genE10ELNS1_11target_archE1200ELNS1_3gpuE4ELNS1_3repE0EEENS1_30default_config_static_selectorELNS0_4arch9wavefront6targetE0EEEvT1_
                                        ; -- End function
	.section	.AMDGPU.csdata,"",@progbits
; Kernel info:
; codeLenInByte = 0
; NumSgprs: 0
; NumVgprs: 0
; ScratchSize: 0
; MemoryBound: 0
; FloatMode: 240
; IeeeMode: 1
; LDSByteSize: 0 bytes/workgroup (compile time only)
; SGPRBlocks: 0
; VGPRBlocks: 0
; NumSGPRsForWavesPerEU: 1
; NumVGPRsForWavesPerEU: 1
; Occupancy: 16
; WaveLimiterHint : 0
; COMPUTE_PGM_RSRC2:SCRATCH_EN: 0
; COMPUTE_PGM_RSRC2:USER_SGPR: 15
; COMPUTE_PGM_RSRC2:TRAP_HANDLER: 0
; COMPUTE_PGM_RSRC2:TGID_X_EN: 1
; COMPUTE_PGM_RSRC2:TGID_Y_EN: 0
; COMPUTE_PGM_RSRC2:TGID_Z_EN: 0
; COMPUTE_PGM_RSRC2:TIDIG_COMP_CNT: 0
	.section	.text._ZN7rocprim17ROCPRIM_400000_NS6detail17trampoline_kernelINS0_14default_configENS1_25partition_config_selectorILNS1_17partition_subalgoE5ElNS0_10empty_typeEbEEZZNS1_14partition_implILS5_5ELb0ES3_mN6hipcub16HIPCUB_304000_NS21CountingInputIteratorIllEEPS6_NSA_22TransformInputIteratorIbN2at6native12_GLOBAL__N_19NonZeroOpIlEEPKllEENS0_5tupleIJPlS6_EEENSN_IJSD_SD_EEES6_PiJS6_EEE10hipError_tPvRmT3_T4_T5_T6_T7_T9_mT8_P12ihipStream_tbDpT10_ENKUlT_T0_E_clISt17integral_constantIbLb1EES1B_EEDaS16_S17_EUlS16_E_NS1_11comp_targetILNS1_3genE9ELNS1_11target_archE1100ELNS1_3gpuE3ELNS1_3repE0EEENS1_30default_config_static_selectorELNS0_4arch9wavefront6targetE0EEEvT1_,"axG",@progbits,_ZN7rocprim17ROCPRIM_400000_NS6detail17trampoline_kernelINS0_14default_configENS1_25partition_config_selectorILNS1_17partition_subalgoE5ElNS0_10empty_typeEbEEZZNS1_14partition_implILS5_5ELb0ES3_mN6hipcub16HIPCUB_304000_NS21CountingInputIteratorIllEEPS6_NSA_22TransformInputIteratorIbN2at6native12_GLOBAL__N_19NonZeroOpIlEEPKllEENS0_5tupleIJPlS6_EEENSN_IJSD_SD_EEES6_PiJS6_EEE10hipError_tPvRmT3_T4_T5_T6_T7_T9_mT8_P12ihipStream_tbDpT10_ENKUlT_T0_E_clISt17integral_constantIbLb1EES1B_EEDaS16_S17_EUlS16_E_NS1_11comp_targetILNS1_3genE9ELNS1_11target_archE1100ELNS1_3gpuE3ELNS1_3repE0EEENS1_30default_config_static_selectorELNS0_4arch9wavefront6targetE0EEEvT1_,comdat
	.globl	_ZN7rocprim17ROCPRIM_400000_NS6detail17trampoline_kernelINS0_14default_configENS1_25partition_config_selectorILNS1_17partition_subalgoE5ElNS0_10empty_typeEbEEZZNS1_14partition_implILS5_5ELb0ES3_mN6hipcub16HIPCUB_304000_NS21CountingInputIteratorIllEEPS6_NSA_22TransformInputIteratorIbN2at6native12_GLOBAL__N_19NonZeroOpIlEEPKllEENS0_5tupleIJPlS6_EEENSN_IJSD_SD_EEES6_PiJS6_EEE10hipError_tPvRmT3_T4_T5_T6_T7_T9_mT8_P12ihipStream_tbDpT10_ENKUlT_T0_E_clISt17integral_constantIbLb1EES1B_EEDaS16_S17_EUlS16_E_NS1_11comp_targetILNS1_3genE9ELNS1_11target_archE1100ELNS1_3gpuE3ELNS1_3repE0EEENS1_30default_config_static_selectorELNS0_4arch9wavefront6targetE0EEEvT1_ ; -- Begin function _ZN7rocprim17ROCPRIM_400000_NS6detail17trampoline_kernelINS0_14default_configENS1_25partition_config_selectorILNS1_17partition_subalgoE5ElNS0_10empty_typeEbEEZZNS1_14partition_implILS5_5ELb0ES3_mN6hipcub16HIPCUB_304000_NS21CountingInputIteratorIllEEPS6_NSA_22TransformInputIteratorIbN2at6native12_GLOBAL__N_19NonZeroOpIlEEPKllEENS0_5tupleIJPlS6_EEENSN_IJSD_SD_EEES6_PiJS6_EEE10hipError_tPvRmT3_T4_T5_T6_T7_T9_mT8_P12ihipStream_tbDpT10_ENKUlT_T0_E_clISt17integral_constantIbLb1EES1B_EEDaS16_S17_EUlS16_E_NS1_11comp_targetILNS1_3genE9ELNS1_11target_archE1100ELNS1_3gpuE3ELNS1_3repE0EEENS1_30default_config_static_selectorELNS0_4arch9wavefront6targetE0EEEvT1_
	.p2align	8
	.type	_ZN7rocprim17ROCPRIM_400000_NS6detail17trampoline_kernelINS0_14default_configENS1_25partition_config_selectorILNS1_17partition_subalgoE5ElNS0_10empty_typeEbEEZZNS1_14partition_implILS5_5ELb0ES3_mN6hipcub16HIPCUB_304000_NS21CountingInputIteratorIllEEPS6_NSA_22TransformInputIteratorIbN2at6native12_GLOBAL__N_19NonZeroOpIlEEPKllEENS0_5tupleIJPlS6_EEENSN_IJSD_SD_EEES6_PiJS6_EEE10hipError_tPvRmT3_T4_T5_T6_T7_T9_mT8_P12ihipStream_tbDpT10_ENKUlT_T0_E_clISt17integral_constantIbLb1EES1B_EEDaS16_S17_EUlS16_E_NS1_11comp_targetILNS1_3genE9ELNS1_11target_archE1100ELNS1_3gpuE3ELNS1_3repE0EEENS1_30default_config_static_selectorELNS0_4arch9wavefront6targetE0EEEvT1_,@function
_ZN7rocprim17ROCPRIM_400000_NS6detail17trampoline_kernelINS0_14default_configENS1_25partition_config_selectorILNS1_17partition_subalgoE5ElNS0_10empty_typeEbEEZZNS1_14partition_implILS5_5ELb0ES3_mN6hipcub16HIPCUB_304000_NS21CountingInputIteratorIllEEPS6_NSA_22TransformInputIteratorIbN2at6native12_GLOBAL__N_19NonZeroOpIlEEPKllEENS0_5tupleIJPlS6_EEENSN_IJSD_SD_EEES6_PiJS6_EEE10hipError_tPvRmT3_T4_T5_T6_T7_T9_mT8_P12ihipStream_tbDpT10_ENKUlT_T0_E_clISt17integral_constantIbLb1EES1B_EEDaS16_S17_EUlS16_E_NS1_11comp_targetILNS1_3genE9ELNS1_11target_archE1100ELNS1_3gpuE3ELNS1_3repE0EEENS1_30default_config_static_selectorELNS0_4arch9wavefront6targetE0EEEvT1_: ; @_ZN7rocprim17ROCPRIM_400000_NS6detail17trampoline_kernelINS0_14default_configENS1_25partition_config_selectorILNS1_17partition_subalgoE5ElNS0_10empty_typeEbEEZZNS1_14partition_implILS5_5ELb0ES3_mN6hipcub16HIPCUB_304000_NS21CountingInputIteratorIllEEPS6_NSA_22TransformInputIteratorIbN2at6native12_GLOBAL__N_19NonZeroOpIlEEPKllEENS0_5tupleIJPlS6_EEENSN_IJSD_SD_EEES6_PiJS6_EEE10hipError_tPvRmT3_T4_T5_T6_T7_T9_mT8_P12ihipStream_tbDpT10_ENKUlT_T0_E_clISt17integral_constantIbLb1EES1B_EEDaS16_S17_EUlS16_E_NS1_11comp_targetILNS1_3genE9ELNS1_11target_archE1100ELNS1_3gpuE3ELNS1_3repE0EEENS1_30default_config_static_selectorELNS0_4arch9wavefront6targetE0EEEvT1_
; %bb.0:
	s_clause 0x4
	s_load_b64 s[18:19], s[0:1], 0x20
	s_load_b64 s[12:13], s[0:1], 0x30
	;; [unrolled: 1-line block ×3, first 2 shown]
	s_load_b128 s[4:7], s[0:1], 0x48
	s_load_b64 s[14:15], s[0:1], 0x68
	v_cmp_eq_u32_e64 s2, 0, v0
	s_delay_alu instid0(VALU_DEP_1)
	s_and_saveexec_b32 s3, s2
	s_cbranch_execz .LBB268_4
; %bb.1:
	s_mov_b32 s9, exec_lo
	s_mov_b32 s8, exec_lo
	v_mbcnt_lo_u32_b32 v1, s9, 0
                                        ; implicit-def: $vgpr2
	s_delay_alu instid0(VALU_DEP_1)
	v_cmpx_eq_u32_e32 0, v1
	s_cbranch_execz .LBB268_3
; %bb.2:
	s_load_b64 s[10:11], s[0:1], 0x78
	s_bcnt1_i32_b32 s9, s9
	s_delay_alu instid0(SALU_CYCLE_1)
	v_dual_mov_b32 v2, 0 :: v_dual_mov_b32 v3, s9
	s_waitcnt lgkmcnt(0)
	global_atomic_add_u32 v2, v2, v3, s[10:11] glc
.LBB268_3:
	s_or_b32 exec_lo, exec_lo, s8
	s_waitcnt vmcnt(0)
	v_readfirstlane_b32 s8, v2
	s_delay_alu instid0(VALU_DEP_1)
	v_dual_mov_b32 v2, 0 :: v_dual_add_nc_u32 v1, s8, v1
	ds_store_b32 v2, v1
.LBB268_4:
	s_or_b32 exec_lo, exec_lo, s3
	v_mov_b32_e32 v1, 0
	s_clause 0x1
	s_load_b128 s[8:11], s[0:1], 0x8
	s_load_b32 s0, s[0:1], 0x70
	s_waitcnt lgkmcnt(0)
	s_barrier
	buffer_gl0_inv
	ds_load_b32 v3, v1
	s_waitcnt lgkmcnt(0)
	s_barrier
	buffer_gl0_inv
	global_load_b64 v[1:2], v1, s[6:7]
	s_add_u32 s21, s10, s8
	s_mul_i32 s20, s0, 0x300
	s_addc_u32 s22, s11, s9
	s_add_i32 s3, s0, -1
	s_add_u32 s0, s10, s20
	v_readfirstlane_b32 s9, v3
	s_addc_u32 s1, s11, 0
	s_delay_alu instid0(SALU_CYCLE_1) | instskip(SKIP_1) | instid1(VALU_DEP_2)
	v_cmp_ge_u64_e64 s0, s[0:1], s[16:17]
	s_mov_b32 s17, -1
	s_cmp_eq_u32 s9, s3
	s_cselect_b32 s3, -1, 0
	s_delay_alu instid0(VALU_DEP_1) | instid1(SALU_CYCLE_1)
	s_and_b32 s1, s0, s3
	s_mul_i32 s0, s9, 0x300
	s_xor_b32 s8, s1, -1
	s_mov_b32 s1, 0
	s_and_b32 vcc_lo, exec_lo, s8
	s_waitcnt vmcnt(0)
	v_readfirstlane_b32 s6, v1
	v_readfirstlane_b32 s7, v2
	s_cbranch_vccz .LBB268_6
; %bb.5:
	s_add_u32 s17, s0, s21
	s_addc_u32 s23, 0, s22
	v_add_co_u32 v1, s17, s17, v0
	s_delay_alu instid0(VALU_DEP_1) | instskip(SKIP_1) | instid1(VALU_DEP_3)
	v_add_co_ci_u32_e64 v2, null, s23, 0, s17
	v_lshlrev_b32_e32 v13, 3, v0
	v_add_co_u32 v3, vcc_lo, 0x80, v1
	s_delay_alu instid0(VALU_DEP_3)
	v_add_co_ci_u32_e32 v4, vcc_lo, 0, v2, vcc_lo
	v_add_co_u32 v5, vcc_lo, 0x100, v1
	v_add_co_ci_u32_e32 v6, vcc_lo, 0, v2, vcc_lo
	v_add_co_u32 v7, vcc_lo, 0x180, v1
	;; [unrolled: 2-line block ×4, first 2 shown]
	v_add_co_ci_u32_e32 v12, vcc_lo, 0, v2, vcc_lo
	ds_store_2addr_stride64_b64 v13, v[1:2], v[3:4] offset1:2
	ds_store_2addr_stride64_b64 v13, v[5:6], v[7:8] offset0:4 offset1:6
	ds_store_2addr_stride64_b64 v13, v[9:10], v[11:12] offset0:8 offset1:10
	s_waitcnt lgkmcnt(0)
	s_mov_b32 s17, s1
	s_barrier
.LBB268_6:
	v_or_b32_e32 v17, 0x100, v0
	v_or_b32_e32 v16, 0x180, v0
	;; [unrolled: 1-line block ×4, first 2 shown]
	s_and_not1_b32 vcc_lo, exec_lo, s17
	s_cbranch_vccnz .LBB268_8
; %bb.7:
	v_or_b32_e32 v3, 0x80, v0
	s_add_u32 s17, s21, s0
	s_addc_u32 s21, s22, 0
	v_add_co_u32 v1, s22, s17, v0
	s_delay_alu instid0(VALU_DEP_1) | instskip(SKIP_1) | instid1(VALU_DEP_1)
	v_add_co_ci_u32_e64 v2, null, s21, 0, s22
	v_add_co_u32 v3, s22, s17, v3
	v_add_co_ci_u32_e64 v4, null, s21, 0, s22
	v_add_co_u32 v5, s22, s17, v17
	s_delay_alu instid0(VALU_DEP_1) | instskip(SKIP_1) | instid1(VALU_DEP_1)
	v_add_co_ci_u32_e64 v6, null, s21, 0, s22
	v_add_co_u32 v7, s22, s17, v16
	v_add_co_ci_u32_e64 v8, null, s21, 0, s22
	v_add_co_u32 v9, s22, s17, v14
	v_lshlrev_b32_e32 v15, 3, v0
	v_add_co_u32 v11, s17, s17, v13
	v_add_co_ci_u32_e64 v10, null, s21, 0, s22
	v_add_co_ci_u32_e64 v12, null, s21, 0, s17
	ds_store_2addr_stride64_b64 v15, v[1:2], v[3:4] offset1:2
	ds_store_2addr_stride64_b64 v15, v[5:6], v[7:8] offset0:4 offset1:6
	ds_store_2addr_stride64_b64 v15, v[9:10], v[11:12] offset0:8 offset1:10
	s_waitcnt lgkmcnt(0)
	s_barrier
.LBB268_8:
	v_mul_u32_u24_e32 v1, 6, v0
	buffer_gl0_inv
	s_lshl_b64 s[22:23], s[10:11], 3
	s_delay_alu instid0(SALU_CYCLE_1)
	s_add_u32 s11, s18, s22
	v_lshlrev_b32_e32 v15, 3, v1
	s_addc_u32 s17, s19, s23
	s_lshl_b64 s[0:1], s[0:1], 3
	ds_load_b128 v[9:12], v15
	ds_load_b128 v[5:8], v15 offset:16
	ds_load_b128 v[1:4], v15 offset:32
	s_add_u32 s0, s11, s0
	s_addc_u32 s1, s17, s1
	s_and_b32 vcc_lo, exec_lo, s8
	s_mov_b32 s11, -1
	s_waitcnt lgkmcnt(0)
	s_barrier
	buffer_gl0_inv
	s_cbranch_vccz .LBB268_10
; %bb.9:
	v_lshlrev_b32_e32 v26, 3, v0
	s_clause 0x1
	global_load_b64 v[18:19], v26, s[0:1]
	global_load_b64 v[20:21], v26, s[0:1] offset:1024
	v_add_co_u32 v22, s11, s0, v26
	s_delay_alu instid0(VALU_DEP_1) | instskip(SKIP_1) | instid1(VALU_DEP_2)
	v_add_co_ci_u32_e64 v23, null, s1, 0, s11
	s_mov_b32 s11, 0
	v_add_co_u32 v22, vcc_lo, 0x1000, v22
	s_delay_alu instid0(VALU_DEP_2)
	v_add_co_ci_u32_e32 v23, vcc_lo, 0, v23, vcc_lo
	s_clause 0x3
	global_load_b64 v[24:25], v26, s[0:1] offset:2048
	global_load_b64 v[26:27], v26, s[0:1] offset:3072
	global_load_b64 v[28:29], v[22:23], off
	global_load_b64 v[22:23], v[22:23], off offset:1024
	s_waitcnt vmcnt(5)
	v_cmp_ne_u64_e32 vcc_lo, 0, v[18:19]
	v_cndmask_b32_e64 v18, 0, 1, vcc_lo
	s_waitcnt vmcnt(4)
	v_cmp_ne_u64_e32 vcc_lo, 0, v[20:21]
	v_cndmask_b32_e64 v19, 0, 1, vcc_lo
	;; [unrolled: 3-line block ×6, first 2 shown]
	ds_store_b8 v0, v18
	ds_store_b8 v0, v19 offset:128
	ds_store_b8 v0, v20 offset:256
	;; [unrolled: 1-line block ×5, first 2 shown]
	s_waitcnt lgkmcnt(0)
	s_barrier
.LBB268_10:
	s_and_not1_b32 vcc_lo, exec_lo, s11
	s_cbranch_vccnz .LBB268_24
; %bb.11:
	s_add_i32 s20, s20, s10
	v_dual_mov_b32 v18, 0 :: v_dual_mov_b32 v19, 0
	s_sub_i32 s10, s16, s20
	s_mov_b32 s11, exec_lo
	s_addk_i32 s10, 0x300
	s_delay_alu instid0(SALU_CYCLE_1)
	v_cmpx_gt_u32_e64 s10, v0
	s_cbranch_execz .LBB268_13
; %bb.12:
	v_lshlrev_b32_e32 v19, 3, v0
	global_load_b64 v[19:20], v19, s[0:1]
	s_waitcnt vmcnt(0)
	v_cmp_ne_u64_e32 vcc_lo, 0, v[19:20]
	v_cndmask_b32_e64 v19, 0, 1, vcc_lo
.LBB268_13:
	s_or_b32 exec_lo, exec_lo, s11
	v_or_b32_e32 v20, 0x80, v0
	s_mov_b32 s11, exec_lo
	s_delay_alu instid0(VALU_DEP_1)
	v_cmpx_gt_u32_e64 s10, v20
	s_cbranch_execz .LBB268_15
; %bb.14:
	v_lshlrev_b32_e32 v18, 3, v0
	global_load_b64 v[20:21], v18, s[0:1] offset:1024
	s_waitcnt vmcnt(0)
	v_cmp_ne_u64_e32 vcc_lo, 0, v[20:21]
	v_cndmask_b32_e64 v18, 0, 1, vcc_lo
.LBB268_15:
	s_or_b32 exec_lo, exec_lo, s11
	v_cmp_gt_u32_e32 vcc_lo, s10, v17
	v_dual_mov_b32 v17, 0 :: v_dual_mov_b32 v20, 0
	s_and_saveexec_b32 s11, vcc_lo
	s_cbranch_execz .LBB268_17
; %bb.16:
	v_lshlrev_b32_e32 v20, 3, v0
	global_load_b64 v[20:21], v20, s[0:1] offset:2048
	s_waitcnt vmcnt(0)
	v_cmp_ne_u64_e32 vcc_lo, 0, v[20:21]
	v_cndmask_b32_e64 v20, 0, 1, vcc_lo
.LBB268_17:
	s_or_b32 exec_lo, exec_lo, s11
	s_delay_alu instid0(SALU_CYCLE_1)
	s_mov_b32 s11, exec_lo
	v_cmpx_gt_u32_e64 s10, v16
	s_cbranch_execz .LBB268_19
; %bb.18:
	v_lshlrev_b32_e32 v16, 3, v0
	global_load_b64 v[16:17], v16, s[0:1] offset:3072
	s_waitcnt vmcnt(0)
	v_cmp_ne_u64_e32 vcc_lo, 0, v[16:17]
	v_cndmask_b32_e64 v17, 0, 1, vcc_lo
.LBB268_19:
	s_or_b32 exec_lo, exec_lo, s11
	v_dual_mov_b32 v16, 0 :: v_dual_mov_b32 v21, 0
	s_mov_b32 s11, exec_lo
	v_cmpx_gt_u32_e64 s10, v14
	s_cbranch_execz .LBB268_21
; %bb.20:
	v_lshlrev_b32_e32 v14, 3, v14
	global_load_b64 v[21:22], v14, s[0:1]
	s_waitcnt vmcnt(0)
	v_cmp_ne_u64_e32 vcc_lo, 0, v[21:22]
	v_cndmask_b32_e64 v21, 0, 1, vcc_lo
.LBB268_21:
	s_or_b32 exec_lo, exec_lo, s11
	v_cmp_gt_u32_e32 vcc_lo, s10, v13
	s_and_saveexec_b32 s10, vcc_lo
	s_cbranch_execz .LBB268_23
; %bb.22:
	v_lshlrev_b32_e32 v13, 3, v13
	global_load_b64 v[13:14], v13, s[0:1]
	s_waitcnt vmcnt(0)
	v_cmp_ne_u64_e32 vcc_lo, 0, v[13:14]
	v_cndmask_b32_e64 v16, 0, 1, vcc_lo
.LBB268_23:
	s_or_b32 exec_lo, exec_lo, s10
	ds_store_b8 v0, v19
	ds_store_b8 v0, v18 offset:128
	ds_store_b8 v0, v20 offset:256
	;; [unrolled: 1-line block ×5, first 2 shown]
	s_waitcnt lgkmcnt(0)
	s_barrier
.LBB268_24:
	v_mad_i32_i24 v43, 0xffffffd6, v0, v15
	buffer_gl0_inv
	v_mbcnt_lo_u32_b32 v42, -1, 0
	s_cmp_lg_u32 s9, 0
	s_mov_b32 s1, -1
	ds_load_u16 v36, v43
	ds_load_u16 v33, v43 offset:2
	ds_load_u16 v31, v43 offset:4
	v_mov_b32_e32 v14, 0
	v_and_b32_e32 v44, 15, v42
	s_waitcnt lgkmcnt(0)
	s_barrier
	buffer_gl0_inv
	v_and_b32_e32 v41, 0xff, v36
	v_lshrrev_b16 v34, 8, v36
	v_lshrrev_b16 v35, 8, v33
	v_and_b32_e32 v39, 0xff, v33
	v_lshrrev_b16 v32, 8, v31
	v_and_b32_e32 v37, 0xff, v31
	v_and_b32_e32 v40, 0xffff, v34
	;; [unrolled: 1-line block ×3, first 2 shown]
	s_delay_alu instid0(VALU_DEP_4) | instskip(NEXT) | instid1(VALU_DEP_3)
	v_and_b32_e32 v16, 0xffff, v32
	v_add_co_u32 v13, s0, v40, v41
	s_delay_alu instid0(VALU_DEP_1) | instskip(SKIP_1) | instid1(VALU_DEP_3)
	v_add_co_ci_u32_e64 v15, null, 0, 0, s0
	v_cmp_ne_u32_e64 s0, 0, v44
	v_add_co_u32 v13, vcc_lo, v13, v39
	s_delay_alu instid0(VALU_DEP_3) | instskip(NEXT) | instid1(VALU_DEP_2)
	v_add_co_ci_u32_e32 v15, vcc_lo, 0, v15, vcc_lo
	v_add_co_u32 v13, vcc_lo, v13, v38
	s_delay_alu instid0(VALU_DEP_2) | instskip(NEXT) | instid1(VALU_DEP_2)
	v_add_co_ci_u32_e32 v15, vcc_lo, 0, v15, vcc_lo
	v_add_co_u32 v13, vcc_lo, v13, v37
	s_delay_alu instid0(VALU_DEP_2) | instskip(NEXT) | instid1(VALU_DEP_2)
	v_add_co_ci_u32_e32 v15, vcc_lo, 0, v15, vcc_lo
	v_add_co_u32 v21, vcc_lo, v13, v16
	s_delay_alu instid0(VALU_DEP_2)
	v_add_co_ci_u32_e32 v22, vcc_lo, 0, v15, vcc_lo
	s_cbranch_scc0 .LBB268_93
; %bb.25:
	s_delay_alu instid0(VALU_DEP_2)
	v_mov_b32_e32 v15, v21
	v_mov_b32_dpp v13, v21 row_shr:1 row_mask:0xf bank_mask:0xf
	v_mov_b32_dpp v18, v14 row_shr:1 row_mask:0xf bank_mask:0xf
	v_dual_mov_b32 v17, v21 :: v_dual_mov_b32 v16, v22
	s_and_saveexec_b32 s1, s0
; %bb.26:
	s_delay_alu instid0(VALU_DEP_3) | instskip(SKIP_1) | instid1(VALU_DEP_2)
	v_add_co_u32 v17, vcc_lo, v21, v13
	v_add_co_ci_u32_e32 v14, vcc_lo, 0, v22, vcc_lo
	v_add_co_u32 v13, vcc_lo, 0, v17
	s_delay_alu instid0(VALU_DEP_2) | instskip(NEXT) | instid1(VALU_DEP_1)
	v_add_co_ci_u32_e32 v14, vcc_lo, v18, v14, vcc_lo
	v_dual_mov_b32 v16, v14 :: v_dual_mov_b32 v15, v13
; %bb.27:
	s_or_b32 exec_lo, exec_lo, s1
	v_mov_b32_dpp v13, v17 row_shr:2 row_mask:0xf bank_mask:0xf
	v_mov_b32_dpp v18, v14 row_shr:2 row_mask:0xf bank_mask:0xf
	s_mov_b32 s1, exec_lo
	v_cmpx_lt_u32_e32 1, v44
; %bb.28:
	s_delay_alu instid0(VALU_DEP_3) | instskip(SKIP_1) | instid1(VALU_DEP_2)
	v_add_co_u32 v17, vcc_lo, v15, v13
	v_add_co_ci_u32_e32 v14, vcc_lo, 0, v16, vcc_lo
	v_add_co_u32 v13, vcc_lo, 0, v17
	s_delay_alu instid0(VALU_DEP_2) | instskip(NEXT) | instid1(VALU_DEP_1)
	v_add_co_ci_u32_e32 v14, vcc_lo, v18, v14, vcc_lo
	v_dual_mov_b32 v16, v14 :: v_dual_mov_b32 v15, v13
; %bb.29:
	s_or_b32 exec_lo, exec_lo, s1
	v_mov_b32_dpp v13, v17 row_shr:4 row_mask:0xf bank_mask:0xf
	v_mov_b32_dpp v18, v14 row_shr:4 row_mask:0xf bank_mask:0xf
	s_mov_b32 s1, exec_lo
	v_cmpx_lt_u32_e32 3, v44
	;; [unrolled: 14-line block ×3, first 2 shown]
; %bb.32:
	s_delay_alu instid0(VALU_DEP_3) | instskip(SKIP_1) | instid1(VALU_DEP_2)
	v_add_co_u32 v17, vcc_lo, v15, v18
	v_add_co_ci_u32_e32 v14, vcc_lo, 0, v16, vcc_lo
	v_add_co_u32 v15, vcc_lo, 0, v17
	s_delay_alu instid0(VALU_DEP_2) | instskip(NEXT) | instid1(VALU_DEP_1)
	v_add_co_ci_u32_e32 v16, vcc_lo, v13, v14, vcc_lo
	v_mov_b32_e32 v14, v16
; %bb.33:
	s_or_b32 exec_lo, exec_lo, s1
	ds_swizzle_b32 v13, v17 offset:swizzle(BROADCAST,32,15)
	ds_swizzle_b32 v18, v14 offset:swizzle(BROADCAST,32,15)
	v_and_b32_e32 v19, 16, v42
	s_mov_b32 s1, exec_lo
	s_delay_alu instid0(VALU_DEP_1)
	v_cmpx_ne_u32_e32 0, v19
	s_cbranch_execz .LBB268_35
; %bb.34:
	s_waitcnt lgkmcnt(1)
	v_add_co_u32 v17, vcc_lo, v15, v13
	v_add_co_ci_u32_e32 v14, vcc_lo, 0, v16, vcc_lo
	s_delay_alu instid0(VALU_DEP_2) | instskip(SKIP_1) | instid1(VALU_DEP_2)
	v_add_co_u32 v13, vcc_lo, 0, v17
	s_waitcnt lgkmcnt(0)
	v_add_co_ci_u32_e32 v14, vcc_lo, v18, v14, vcc_lo
	s_delay_alu instid0(VALU_DEP_1)
	v_dual_mov_b32 v16, v14 :: v_dual_mov_b32 v15, v13
.LBB268_35:
	s_or_b32 exec_lo, exec_lo, s1
	s_waitcnt lgkmcnt(0)
	v_or_b32_e32 v18, 31, v0
	v_lshrrev_b32_e32 v13, 5, v0
	s_mov_b32 s1, exec_lo
	s_delay_alu instid0(VALU_DEP_2)
	v_cmpx_eq_u32_e64 v18, v0
	s_cbranch_execz .LBB268_37
; %bb.36:
	s_delay_alu instid0(VALU_DEP_2)
	v_lshlrev_b32_e32 v18, 3, v13
	ds_store_b64 v18, v[15:16]
.LBB268_37:
	s_or_b32 exec_lo, exec_lo, s1
	s_delay_alu instid0(SALU_CYCLE_1)
	s_mov_b32 s1, exec_lo
	s_waitcnt lgkmcnt(0)
	s_barrier
	buffer_gl0_inv
	v_cmpx_gt_u32_e32 4, v0
	s_cbranch_execz .LBB268_43
; %bb.38:
	v_lshlrev_b32_e32 v18, 3, v0
	s_mov_b32 s10, exec_lo
	ds_load_b64 v[15:16], v18
	s_waitcnt lgkmcnt(0)
	v_dual_mov_b32 v20, v15 :: v_dual_and_b32 v19, 3, v42
	v_mov_b32_dpp v24, v15 row_shr:1 row_mask:0xf bank_mask:0xf
	v_mov_b32_dpp v23, v16 row_shr:1 row_mask:0xf bank_mask:0xf
	s_delay_alu instid0(VALU_DEP_3)
	v_cmpx_ne_u32_e32 0, v19
; %bb.39:
	s_delay_alu instid0(VALU_DEP_3) | instskip(SKIP_1) | instid1(VALU_DEP_2)
	v_add_co_u32 v20, vcc_lo, v15, v24
	v_add_co_ci_u32_e32 v16, vcc_lo, 0, v16, vcc_lo
	v_add_co_u32 v15, vcc_lo, 0, v20
	s_delay_alu instid0(VALU_DEP_2)
	v_add_co_ci_u32_e32 v16, vcc_lo, v23, v16, vcc_lo
; %bb.40:
	s_or_b32 exec_lo, exec_lo, s10
	v_mov_b32_dpp v23, v20 row_shr:2 row_mask:0xf bank_mask:0xf
	s_delay_alu instid0(VALU_DEP_2)
	v_mov_b32_dpp v20, v16 row_shr:2 row_mask:0xf bank_mask:0xf
	s_mov_b32 s10, exec_lo
	v_cmpx_lt_u32_e32 1, v19
; %bb.41:
	s_delay_alu instid0(VALU_DEP_3) | instskip(SKIP_1) | instid1(VALU_DEP_2)
	v_add_co_u32 v15, vcc_lo, v15, v23
	v_add_co_ci_u32_e32 v16, vcc_lo, 0, v16, vcc_lo
	v_add_co_u32 v15, vcc_lo, v15, 0
	s_delay_alu instid0(VALU_DEP_2)
	v_add_co_ci_u32_e32 v16, vcc_lo, v16, v20, vcc_lo
; %bb.42:
	s_or_b32 exec_lo, exec_lo, s10
	ds_store_b64 v18, v[15:16]
.LBB268_43:
	s_or_b32 exec_lo, exec_lo, s1
	v_cmp_gt_u32_e32 vcc_lo, 32, v0
	s_mov_b32 s10, exec_lo
	s_waitcnt lgkmcnt(0)
	s_barrier
	buffer_gl0_inv
                                        ; implicit-def: $vgpr23_vgpr24
	v_cmpx_lt_u32_e32 31, v0
	s_cbranch_execz .LBB268_45
; %bb.44:
	v_lshl_add_u32 v13, v13, 3, -8
	ds_load_b64 v[23:24], v13
	s_waitcnt lgkmcnt(0)
	v_add_co_u32 v17, s1, v17, v23
	s_delay_alu instid0(VALU_DEP_1)
	v_add_co_ci_u32_e64 v14, s1, v14, v24, s1
.LBB268_45:
	s_or_b32 exec_lo, exec_lo, s10
	v_add_nc_u32_e32 v13, -1, v42
	s_delay_alu instid0(VALU_DEP_1) | instskip(NEXT) | instid1(VALU_DEP_1)
	v_cmp_gt_i32_e64 s1, 0, v13
	v_cndmask_b32_e64 v13, v13, v42, s1
	v_cmp_eq_u32_e64 s1, 0, v42
	s_delay_alu instid0(VALU_DEP_2)
	v_lshlrev_b32_e32 v13, 2, v13
	ds_bpermute_b32 v29, v13, v17
	ds_bpermute_b32 v30, v13, v14
	s_and_saveexec_b32 s10, vcc_lo
	s_cbranch_execz .LBB268_88
; %bb.46:
	v_mov_b32_e32 v16, 0
	ds_load_b64 v[13:14], v16 offset:24
	s_and_saveexec_b32 s11, s1
	s_cbranch_execz .LBB268_48
; %bb.47:
	s_add_i32 s16, s9, 32
	s_mov_b32 s17, 0
	s_delay_alu instid0(SALU_CYCLE_1) | instskip(NEXT) | instid1(SALU_CYCLE_1)
	s_lshl_b64 s[16:17], s[16:17], 4
	s_add_u32 s16, s14, s16
	s_addc_u32 s17, s15, s17
	s_delay_alu instid0(SALU_CYCLE_1)
	v_dual_mov_b32 v15, 1 :: v_dual_mov_b32 v18, s17
	v_mov_b32_e32 v17, s16
	s_waitcnt lgkmcnt(0)
	;;#ASMSTART
	global_store_dwordx4 v[17:18], v[13:16] off	
s_waitcnt vmcnt(0)
	;;#ASMEND
.LBB268_48:
	s_or_b32 exec_lo, exec_lo, s11
	v_xad_u32 v25, v42, -1, s9
	s_mov_b32 s16, 0
	s_mov_b32 s11, exec_lo
	s_delay_alu instid0(VALU_DEP_1) | instskip(NEXT) | instid1(VALU_DEP_1)
	v_add_nc_u32_e32 v15, 32, v25
	v_lshlrev_b64 v[15:16], 4, v[15:16]
	s_delay_alu instid0(VALU_DEP_1) | instskip(NEXT) | instid1(VALU_DEP_2)
	v_add_co_u32 v15, vcc_lo, s14, v15
	v_add_co_ci_u32_e32 v16, vcc_lo, s15, v16, vcc_lo
	;;#ASMSTART
	global_load_dwordx4 v[17:20], v[15:16] off glc	
s_waitcnt vmcnt(0)
	;;#ASMEND
	v_and_b32_e32 v20, 0xff, v18
	v_and_b32_e32 v26, 0xff00, v18
	v_or3_b32 v17, v17, 0, 0
	v_and_b32_e32 v27, 0xff000000, v18
	v_and_b32_e32 v18, 0xff0000, v18
	s_delay_alu instid0(VALU_DEP_4) | instskip(SKIP_2) | instid1(VALU_DEP_3)
	v_or3_b32 v20, 0, v20, v26
	v_and_b32_e32 v26, 0xff, v19
	v_or3_b32 v17, v17, 0, 0
	v_or3_b32 v18, v20, v18, v27
	s_delay_alu instid0(VALU_DEP_3)
	v_cmpx_eq_u16_e32 0, v26
	s_cbranch_execz .LBB268_54
; %bb.49:
	s_mov_b32 s17, 1
	.p2align	6
.LBB268_50:                             ; =>This Loop Header: Depth=1
                                        ;     Child Loop BB268_51 Depth 2
	s_delay_alu instid0(SALU_CYCLE_1)
	s_max_u32 s18, s17, 1
.LBB268_51:                             ;   Parent Loop BB268_50 Depth=1
                                        ; =>  This Inner Loop Header: Depth=2
	s_delay_alu instid0(SALU_CYCLE_1)
	s_add_i32 s18, s18, -1
	s_sleep 1
	s_cmp_eq_u32 s18, 0
	s_cbranch_scc0 .LBB268_51
; %bb.52:                               ;   in Loop: Header=BB268_50 Depth=1
	;;#ASMSTART
	global_load_dwordx4 v[17:20], v[15:16] off glc	
s_waitcnt vmcnt(0)
	;;#ASMEND
	v_and_b32_e32 v20, 0xff, v19
	s_cmp_lt_u32 s17, 32
	s_cselect_b32 s18, -1, 0
	s_delay_alu instid0(SALU_CYCLE_1) | instskip(NEXT) | instid1(VALU_DEP_1)
	s_cmp_lg_u32 s18, 0
	v_cmp_ne_u16_e32 vcc_lo, 0, v20
	s_addc_u32 s17, s17, 0
	s_or_b32 s16, vcc_lo, s16
	s_delay_alu instid0(SALU_CYCLE_1)
	s_and_not1_b32 exec_lo, exec_lo, s16
	s_cbranch_execnz .LBB268_50
; %bb.53:
	s_or_b32 exec_lo, exec_lo, s16
.LBB268_54:
	s_delay_alu instid0(SALU_CYCLE_1)
	s_or_b32 exec_lo, exec_lo, s11
	v_cmp_ne_u32_e32 vcc_lo, 31, v42
	v_and_b32_e32 v16, 0xff, v19
	v_lshlrev_b32_e64 v46, v42, -1
	s_mov_b32 s11, exec_lo
	v_add_co_ci_u32_e32 v15, vcc_lo, 0, v42, vcc_lo
	s_delay_alu instid0(VALU_DEP_3) | instskip(NEXT) | instid1(VALU_DEP_2)
	v_cmp_eq_u16_e32 vcc_lo, 2, v16
	v_dual_mov_b32 v16, v17 :: v_dual_lshlrev_b32 v45, 2, v15
	v_and_or_b32 v15, vcc_lo, v46, 0x80000000
	ds_bpermute_b32 v26, v45, v17
	ds_bpermute_b32 v20, v45, v18
	v_ctz_i32_b32_e32 v15, v15
	s_delay_alu instid0(VALU_DEP_1)
	v_cmpx_lt_u32_e64 v42, v15
	s_cbranch_execz .LBB268_56
; %bb.55:
	s_waitcnt lgkmcnt(1)
	v_add_co_u32 v16, vcc_lo, v17, v26
	v_add_co_ci_u32_e32 v18, vcc_lo, 0, v18, vcc_lo
	s_delay_alu instid0(VALU_DEP_2) | instskip(SKIP_1) | instid1(VALU_DEP_2)
	v_add_co_u32 v17, vcc_lo, 0, v16
	s_waitcnt lgkmcnt(0)
	v_add_co_ci_u32_e32 v18, vcc_lo, v20, v18, vcc_lo
.LBB268_56:
	s_or_b32 exec_lo, exec_lo, s11
	v_cmp_gt_u32_e32 vcc_lo, 30, v42
	v_add_nc_u32_e32 v48, 2, v42
	s_mov_b32 s11, exec_lo
	s_waitcnt lgkmcnt(0)
	v_cndmask_b32_e64 v20, 0, 1, vcc_lo
	s_delay_alu instid0(VALU_DEP_1) | instskip(NEXT) | instid1(VALU_DEP_1)
	v_lshlrev_b32_e32 v20, 1, v20
	v_add_lshl_u32 v47, v20, v42, 2
	ds_bpermute_b32 v26, v47, v16
	ds_bpermute_b32 v20, v47, v18
	v_cmpx_le_u32_e64 v48, v15
	s_cbranch_execz .LBB268_58
; %bb.57:
	s_waitcnt lgkmcnt(1)
	v_add_co_u32 v16, vcc_lo, v17, v26
	v_add_co_ci_u32_e32 v18, vcc_lo, 0, v18, vcc_lo
	s_delay_alu instid0(VALU_DEP_2) | instskip(SKIP_1) | instid1(VALU_DEP_2)
	v_add_co_u32 v17, vcc_lo, 0, v16
	s_waitcnt lgkmcnt(0)
	v_add_co_ci_u32_e32 v18, vcc_lo, v20, v18, vcc_lo
.LBB268_58:
	s_or_b32 exec_lo, exec_lo, s11
	v_cmp_gt_u32_e32 vcc_lo, 28, v42
	v_add_nc_u32_e32 v50, 4, v42
	s_mov_b32 s11, exec_lo
	s_waitcnt lgkmcnt(0)
	v_cndmask_b32_e64 v20, 0, 1, vcc_lo
	s_delay_alu instid0(VALU_DEP_1) | instskip(NEXT) | instid1(VALU_DEP_1)
	v_lshlrev_b32_e32 v20, 2, v20
	v_add_lshl_u32 v49, v20, v42, 2
	ds_bpermute_b32 v26, v49, v16
	ds_bpermute_b32 v20, v49, v18
	v_cmpx_le_u32_e64 v50, v15
	;; [unrolled: 22-line block ×4, first 2 shown]
	s_cbranch_execz .LBB268_64
; %bb.63:
	s_waitcnt lgkmcnt(1)
	v_add_co_u32 v15, vcc_lo, v17, v20
	v_add_co_ci_u32_e32 v18, vcc_lo, 0, v18, vcc_lo
	s_delay_alu instid0(VALU_DEP_2) | instskip(SKIP_1) | instid1(VALU_DEP_2)
	v_add_co_u32 v17, vcc_lo, v15, 0
	s_waitcnt lgkmcnt(0)
	v_add_co_ci_u32_e32 v18, vcc_lo, v18, v16, vcc_lo
.LBB268_64:
	s_or_b32 exec_lo, exec_lo, s11
	v_mov_b32_e32 v26, 0
	s_branch .LBB268_66
.LBB268_65:                             ;   in Loop: Header=BB268_66 Depth=1
	s_or_b32 exec_lo, exec_lo, s11
	v_add_co_u32 v17, vcc_lo, v17, v15
	v_subrev_nc_u32_e32 v25, 32, v25
	v_add_co_ci_u32_e32 v18, vcc_lo, v18, v16, vcc_lo
.LBB268_66:                             ; =>This Loop Header: Depth=1
                                        ;     Child Loop BB268_69 Depth 2
                                        ;       Child Loop BB268_70 Depth 3
	v_and_b32_e32 v15, 0xff, v19
	s_delay_alu instid0(VALU_DEP_1) | instskip(SKIP_2) | instid1(VALU_DEP_1)
	v_cmp_ne_u16_e32 vcc_lo, 2, v15
	v_cndmask_b32_e64 v15, 0, 1, vcc_lo
	;;#ASMSTART
	;;#ASMEND
	v_cmp_ne_u32_e32 vcc_lo, 0, v15
	s_waitcnt lgkmcnt(0)
	v_dual_mov_b32 v15, v17 :: v_dual_mov_b32 v16, v18
	s_cmp_lg_u32 vcc_lo, exec_lo
	s_cbranch_scc1 .LBB268_83
; %bb.67:                               ;   in Loop: Header=BB268_66 Depth=1
	v_lshlrev_b64 v[17:18], 4, v[25:26]
	s_mov_b32 s11, exec_lo
	s_delay_alu instid0(VALU_DEP_1) | instskip(NEXT) | instid1(VALU_DEP_2)
	v_add_co_u32 v27, vcc_lo, s14, v17
	v_add_co_ci_u32_e32 v28, vcc_lo, s15, v18, vcc_lo
	;;#ASMSTART
	global_load_dwordx4 v[17:20], v[27:28] off glc	
s_waitcnt vmcnt(0)
	;;#ASMEND
	v_and_b32_e32 v20, 0xff, v18
	v_and_b32_e32 v55, 0xff00, v18
	v_or3_b32 v17, v17, 0, 0
	v_and_b32_e32 v56, 0xff000000, v18
	v_and_b32_e32 v18, 0xff0000, v18
	s_delay_alu instid0(VALU_DEP_4) | instskip(SKIP_2) | instid1(VALU_DEP_3)
	v_or3_b32 v20, 0, v20, v55
	v_and_b32_e32 v55, 0xff, v19
	v_or3_b32 v17, v17, 0, 0
	v_or3_b32 v18, v20, v18, v56
	s_delay_alu instid0(VALU_DEP_3)
	v_cmpx_eq_u16_e32 0, v55
	s_cbranch_execz .LBB268_73
; %bb.68:                               ;   in Loop: Header=BB268_66 Depth=1
	s_mov_b32 s17, 1
	s_mov_b32 s16, 0
	.p2align	6
.LBB268_69:                             ;   Parent Loop BB268_66 Depth=1
                                        ; =>  This Loop Header: Depth=2
                                        ;       Child Loop BB268_70 Depth 3
	s_max_u32 s18, s17, 1
.LBB268_70:                             ;   Parent Loop BB268_66 Depth=1
                                        ;     Parent Loop BB268_69 Depth=2
                                        ; =>    This Inner Loop Header: Depth=3
	s_delay_alu instid0(SALU_CYCLE_1)
	s_add_i32 s18, s18, -1
	s_sleep 1
	s_cmp_eq_u32 s18, 0
	s_cbranch_scc0 .LBB268_70
; %bb.71:                               ;   in Loop: Header=BB268_69 Depth=2
	;;#ASMSTART
	global_load_dwordx4 v[17:20], v[27:28] off glc	
s_waitcnt vmcnt(0)
	;;#ASMEND
	v_and_b32_e32 v20, 0xff, v19
	s_cmp_lt_u32 s17, 32
	s_cselect_b32 s18, -1, 0
	s_delay_alu instid0(SALU_CYCLE_1) | instskip(NEXT) | instid1(VALU_DEP_1)
	s_cmp_lg_u32 s18, 0
	v_cmp_ne_u16_e32 vcc_lo, 0, v20
	s_addc_u32 s17, s17, 0
	s_or_b32 s16, vcc_lo, s16
	s_delay_alu instid0(SALU_CYCLE_1)
	s_and_not1_b32 exec_lo, exec_lo, s16
	s_cbranch_execnz .LBB268_69
; %bb.72:                               ;   in Loop: Header=BB268_66 Depth=1
	s_or_b32 exec_lo, exec_lo, s16
.LBB268_73:                             ;   in Loop: Header=BB268_66 Depth=1
	s_delay_alu instid0(SALU_CYCLE_1)
	s_or_b32 exec_lo, exec_lo, s11
	v_dual_mov_b32 v27, v17 :: v_dual_and_b32 v20, 0xff, v19
	ds_bpermute_b32 v55, v45, v17
	ds_bpermute_b32 v28, v45, v18
	s_mov_b32 s11, exec_lo
	v_cmp_eq_u16_e32 vcc_lo, 2, v20
	v_and_or_b32 v20, vcc_lo, v46, 0x80000000
	s_delay_alu instid0(VALU_DEP_1) | instskip(NEXT) | instid1(VALU_DEP_1)
	v_ctz_i32_b32_e32 v20, v20
	v_cmpx_lt_u32_e64 v42, v20
	s_cbranch_execz .LBB268_75
; %bb.74:                               ;   in Loop: Header=BB268_66 Depth=1
	s_waitcnt lgkmcnt(1)
	v_add_co_u32 v27, vcc_lo, v17, v55
	v_add_co_ci_u32_e32 v18, vcc_lo, 0, v18, vcc_lo
	s_delay_alu instid0(VALU_DEP_2) | instskip(SKIP_1) | instid1(VALU_DEP_2)
	v_add_co_u32 v17, vcc_lo, 0, v27
	s_waitcnt lgkmcnt(0)
	v_add_co_ci_u32_e32 v18, vcc_lo, v28, v18, vcc_lo
.LBB268_75:                             ;   in Loop: Header=BB268_66 Depth=1
	s_or_b32 exec_lo, exec_lo, s11
	s_waitcnt lgkmcnt(1)
	ds_bpermute_b32 v55, v47, v27
	s_waitcnt lgkmcnt(1)
	ds_bpermute_b32 v28, v47, v18
	s_mov_b32 s11, exec_lo
	v_cmpx_le_u32_e64 v48, v20
	s_cbranch_execz .LBB268_77
; %bb.76:                               ;   in Loop: Header=BB268_66 Depth=1
	s_waitcnt lgkmcnt(1)
	v_add_co_u32 v27, vcc_lo, v17, v55
	v_add_co_ci_u32_e32 v18, vcc_lo, 0, v18, vcc_lo
	s_delay_alu instid0(VALU_DEP_2) | instskip(SKIP_1) | instid1(VALU_DEP_2)
	v_add_co_u32 v17, vcc_lo, 0, v27
	s_waitcnt lgkmcnt(0)
	v_add_co_ci_u32_e32 v18, vcc_lo, v28, v18, vcc_lo
.LBB268_77:                             ;   in Loop: Header=BB268_66 Depth=1
	s_or_b32 exec_lo, exec_lo, s11
	s_waitcnt lgkmcnt(1)
	ds_bpermute_b32 v55, v49, v27
	s_waitcnt lgkmcnt(1)
	ds_bpermute_b32 v28, v49, v18
	s_mov_b32 s11, exec_lo
	v_cmpx_le_u32_e64 v50, v20
	;; [unrolled: 17-line block ×3, first 2 shown]
	s_cbranch_execz .LBB268_81
; %bb.80:                               ;   in Loop: Header=BB268_66 Depth=1
	s_waitcnt lgkmcnt(1)
	v_add_co_u32 v27, vcc_lo, v17, v55
	v_add_co_ci_u32_e32 v18, vcc_lo, 0, v18, vcc_lo
	s_delay_alu instid0(VALU_DEP_2) | instskip(SKIP_1) | instid1(VALU_DEP_2)
	v_add_co_u32 v17, vcc_lo, 0, v27
	s_waitcnt lgkmcnt(0)
	v_add_co_ci_u32_e32 v18, vcc_lo, v28, v18, vcc_lo
.LBB268_81:                             ;   in Loop: Header=BB268_66 Depth=1
	s_or_b32 exec_lo, exec_lo, s11
	s_waitcnt lgkmcnt(0)
	ds_bpermute_b32 v28, v53, v27
	ds_bpermute_b32 v27, v53, v18
	s_mov_b32 s11, exec_lo
	v_cmpx_le_u32_e64 v54, v20
	s_cbranch_execz .LBB268_65
; %bb.82:                               ;   in Loop: Header=BB268_66 Depth=1
	s_waitcnt lgkmcnt(1)
	v_add_co_u32 v17, vcc_lo, v17, v28
	v_add_co_ci_u32_e32 v18, vcc_lo, 0, v18, vcc_lo
	s_delay_alu instid0(VALU_DEP_2) | instskip(SKIP_1) | instid1(VALU_DEP_2)
	v_add_co_u32 v17, vcc_lo, v17, 0
	s_waitcnt lgkmcnt(0)
	v_add_co_ci_u32_e32 v18, vcc_lo, v18, v27, vcc_lo
	s_branch .LBB268_65
.LBB268_83:                             ;   in Loop: Header=BB268_66 Depth=1
                                        ; implicit-def: $vgpr17_vgpr18
	s_cbranch_execz .LBB268_66
; %bb.84:
	s_and_saveexec_b32 s11, s1
	s_cbranch_execz .LBB268_86
; %bb.85:
	s_add_i32 s16, s9, 32
	s_mov_b32 s17, 0
	v_add_co_u32 v17, vcc_lo, v15, v13
	s_lshl_b64 s[16:17], s[16:17], 4
	v_dual_mov_b32 v19, 2 :: v_dual_mov_b32 v20, 0
	s_add_u32 s16, s14, s16
	s_addc_u32 s17, s15, s17
	v_add_co_ci_u32_e32 v18, vcc_lo, v16, v14, vcc_lo
	v_dual_mov_b32 v26, s17 :: v_dual_mov_b32 v25, s16
	;;#ASMSTART
	global_store_dwordx4 v[25:26], v[17:20] off	
s_waitcnt vmcnt(0)
	;;#ASMEND
	ds_store_b128 v20, v[13:16] offset:6144
.LBB268_86:
	s_or_b32 exec_lo, exec_lo, s11
	s_delay_alu instid0(SALU_CYCLE_1)
	s_and_b32 exec_lo, exec_lo, s2
	s_cbranch_execz .LBB268_88
; %bb.87:
	v_mov_b32_e32 v13, 0
	ds_store_b64 v13, v[15:16] offset:24
.LBB268_88:
	s_or_b32 exec_lo, exec_lo, s10
	v_mov_b32_e32 v15, 0
	s_waitcnt lgkmcnt(0)
	s_barrier
	buffer_gl0_inv
	v_cndmask_b32_e64 v16, v29, v23, s1
	ds_load_b64 v[13:14], v15 offset:24
	v_cndmask_b32_e64 v17, v30, v24, s1
	s_waitcnt lgkmcnt(0)
	s_barrier
	v_cndmask_b32_e64 v16, v16, 0, s2
	buffer_gl0_inv
	v_cndmask_b32_e64 v17, v17, 0, s2
	v_add_co_u32 v29, vcc_lo, v13, v16
	s_delay_alu instid0(VALU_DEP_2) | instskip(SKIP_3) | instid1(VALU_DEP_2)
	v_add_co_ci_u32_e32 v30, vcc_lo, v14, v17, vcc_lo
	ds_load_b128 v[13:16], v15 offset:6144
	v_add_co_u32 v27, vcc_lo, v29, v41
	v_add_co_ci_u32_e32 v28, vcc_lo, 0, v30, vcc_lo
	v_add_co_u32 v25, vcc_lo, v27, v40
	s_delay_alu instid0(VALU_DEP_2) | instskip(NEXT) | instid1(VALU_DEP_2)
	v_add_co_ci_u32_e32 v26, vcc_lo, 0, v28, vcc_lo
	v_add_co_u32 v23, vcc_lo, v25, v39
	s_delay_alu instid0(VALU_DEP_2) | instskip(NEXT) | instid1(VALU_DEP_2)
	;; [unrolled: 3-line block ×3, first 2 shown]
	v_add_co_ci_u32_e32 v20, vcc_lo, 0, v24, vcc_lo
	v_add_co_u32 v17, vcc_lo, v19, v37
	s_delay_alu instid0(VALU_DEP_2)
	v_add_co_ci_u32_e32 v18, vcc_lo, 0, v20, vcc_lo
.LBB268_89:
	s_waitcnt lgkmcnt(0)
	v_cmp_gt_u64_e32 vcc_lo, 0x81, v[13:14]
	s_mov_b32 s0, -1
	s_cbranch_vccnz .LBB268_117
.LBB268_90:
	s_and_b32 vcc_lo, exec_lo, s0
	s_cbranch_vccnz .LBB268_136
.LBB268_91:
	s_and_b32 s0, s2, s3
	s_delay_alu instid0(SALU_CYCLE_1)
	s_and_saveexec_b32 s1, s0
	s_cbranch_execnz .LBB268_152
.LBB268_92:
	s_nop 0
	s_sendmsg sendmsg(MSG_DEALLOC_VGPRS)
	s_endpgm
.LBB268_93:
                                        ; kill: def $vgpr13_vgpr14 killed $sgpr0_sgpr1 killed $exec
                                        ; implicit-def: $vgpr17_vgpr18
                                        ; implicit-def: $vgpr19_vgpr20
                                        ; implicit-def: $vgpr23_vgpr24
                                        ; implicit-def: $vgpr25_vgpr26
                                        ; implicit-def: $vgpr27_vgpr28
                                        ; implicit-def: $vgpr29_vgpr30
                                        ; implicit-def: $vgpr15_vgpr16
	s_and_b32 vcc_lo, exec_lo, s1
	s_cbranch_vccz .LBB268_89
; %bb.94:
	s_waitcnt lgkmcnt(0)
	v_dual_mov_b32 v14, 0 :: v_dual_mov_b32 v15, v21
	v_mov_b32_dpp v16, v21 row_shr:1 row_mask:0xf bank_mask:0xf
	s_delay_alu instid0(VALU_DEP_2)
	v_mov_b32_dpp v13, v14 row_shr:1 row_mask:0xf bank_mask:0xf
	s_and_saveexec_b32 s1, s0
; %bb.95:
	s_delay_alu instid0(VALU_DEP_2) | instskip(SKIP_1) | instid1(VALU_DEP_2)
	v_add_co_u32 v15, vcc_lo, v21, v16
	v_add_co_ci_u32_e32 v14, vcc_lo, 0, v22, vcc_lo
	v_add_co_u32 v21, vcc_lo, 0, v15
	s_delay_alu instid0(VALU_DEP_2) | instskip(NEXT) | instid1(VALU_DEP_1)
	v_add_co_ci_u32_e32 v22, vcc_lo, v13, v14, vcc_lo
	v_mov_b32_e32 v14, v22
; %bb.96:
	s_or_b32 exec_lo, exec_lo, s1
	v_mov_b32_dpp v13, v15 row_shr:2 row_mask:0xf bank_mask:0xf
	s_delay_alu instid0(VALU_DEP_2)
	v_mov_b32_dpp v16, v14 row_shr:2 row_mask:0xf bank_mask:0xf
	s_mov_b32 s0, exec_lo
	v_cmpx_lt_u32_e32 1, v44
; %bb.97:
	s_delay_alu instid0(VALU_DEP_3) | instskip(SKIP_1) | instid1(VALU_DEP_2)
	v_add_co_u32 v15, vcc_lo, v21, v13
	v_add_co_ci_u32_e32 v14, vcc_lo, 0, v22, vcc_lo
	v_add_co_u32 v13, vcc_lo, 0, v15
	s_delay_alu instid0(VALU_DEP_2) | instskip(NEXT) | instid1(VALU_DEP_1)
	v_add_co_ci_u32_e32 v14, vcc_lo, v16, v14, vcc_lo
	v_dual_mov_b32 v22, v14 :: v_dual_mov_b32 v21, v13
; %bb.98:
	s_or_b32 exec_lo, exec_lo, s0
	v_mov_b32_dpp v13, v15 row_shr:4 row_mask:0xf bank_mask:0xf
	v_mov_b32_dpp v16, v14 row_shr:4 row_mask:0xf bank_mask:0xf
	s_mov_b32 s0, exec_lo
	v_cmpx_lt_u32_e32 3, v44
; %bb.99:
	s_delay_alu instid0(VALU_DEP_3) | instskip(SKIP_1) | instid1(VALU_DEP_2)
	v_add_co_u32 v15, vcc_lo, v21, v13
	v_add_co_ci_u32_e32 v14, vcc_lo, 0, v22, vcc_lo
	v_add_co_u32 v13, vcc_lo, 0, v15
	s_delay_alu instid0(VALU_DEP_2) | instskip(NEXT) | instid1(VALU_DEP_1)
	v_add_co_ci_u32_e32 v14, vcc_lo, v16, v14, vcc_lo
	v_dual_mov_b32 v22, v14 :: v_dual_mov_b32 v21, v13
; %bb.100:
	s_or_b32 exec_lo, exec_lo, s0
	v_mov_b32_dpp v16, v15 row_shr:8 row_mask:0xf bank_mask:0xf
	v_mov_b32_dpp v13, v14 row_shr:8 row_mask:0xf bank_mask:0xf
	s_mov_b32 s0, exec_lo
	v_cmpx_lt_u32_e32 7, v44
; %bb.101:
	s_delay_alu instid0(VALU_DEP_3) | instskip(SKIP_1) | instid1(VALU_DEP_2)
	v_add_co_u32 v15, vcc_lo, v21, v16
	v_add_co_ci_u32_e32 v14, vcc_lo, 0, v22, vcc_lo
	v_add_co_u32 v21, vcc_lo, 0, v15
	s_delay_alu instid0(VALU_DEP_2) | instskip(NEXT) | instid1(VALU_DEP_1)
	v_add_co_ci_u32_e32 v22, vcc_lo, v13, v14, vcc_lo
	v_mov_b32_e32 v14, v22
; %bb.102:
	s_or_b32 exec_lo, exec_lo, s0
	ds_swizzle_b32 v15, v15 offset:swizzle(BROADCAST,32,15)
	ds_swizzle_b32 v13, v14 offset:swizzle(BROADCAST,32,15)
	v_and_b32_e32 v14, 16, v42
	s_mov_b32 s0, exec_lo
	s_delay_alu instid0(VALU_DEP_1)
	v_cmpx_ne_u32_e32 0, v14
	s_cbranch_execz .LBB268_104
; %bb.103:
	s_waitcnt lgkmcnt(1)
	v_add_co_u32 v14, vcc_lo, v21, v15
	v_add_co_ci_u32_e32 v15, vcc_lo, 0, v22, vcc_lo
	s_delay_alu instid0(VALU_DEP_2) | instskip(SKIP_1) | instid1(VALU_DEP_2)
	v_add_co_u32 v21, vcc_lo, v14, 0
	s_waitcnt lgkmcnt(0)
	v_add_co_ci_u32_e32 v22, vcc_lo, v15, v13, vcc_lo
.LBB268_104:
	s_or_b32 exec_lo, exec_lo, s0
	s_waitcnt lgkmcnt(0)
	v_or_b32_e32 v13, 31, v0
	v_lshrrev_b32_e32 v15, 5, v0
	s_mov_b32 s0, exec_lo
	s_delay_alu instid0(VALU_DEP_2)
	v_cmpx_eq_u32_e64 v13, v0
	s_cbranch_execz .LBB268_106
; %bb.105:
	s_delay_alu instid0(VALU_DEP_2)
	v_lshlrev_b32_e32 v13, 3, v15
	ds_store_b64 v13, v[21:22]
.LBB268_106:
	s_or_b32 exec_lo, exec_lo, s0
	s_delay_alu instid0(SALU_CYCLE_1)
	s_mov_b32 s0, exec_lo
	s_waitcnt lgkmcnt(0)
	s_barrier
	buffer_gl0_inv
	v_cmpx_gt_u32_e32 4, v0
	s_cbranch_execz .LBB268_112
; %bb.107:
	v_lshlrev_b32_e32 v13, 1, v0
	s_mov_b32 s1, exec_lo
	s_delay_alu instid0(VALU_DEP_1)
	v_add_nc_u32_e32 v16, v43, v13
	ds_load_b64 v[13:14], v16
	s_waitcnt lgkmcnt(0)
	v_dual_mov_b32 v18, v13 :: v_dual_and_b32 v17, 3, v42
	v_mov_b32_dpp v20, v13 row_shr:1 row_mask:0xf bank_mask:0xf
	v_mov_b32_dpp v19, v14 row_shr:1 row_mask:0xf bank_mask:0xf
	s_delay_alu instid0(VALU_DEP_3)
	v_cmpx_ne_u32_e32 0, v17
; %bb.108:
	s_delay_alu instid0(VALU_DEP_3) | instskip(SKIP_1) | instid1(VALU_DEP_2)
	v_add_co_u32 v18, vcc_lo, v13, v20
	v_add_co_ci_u32_e32 v14, vcc_lo, 0, v14, vcc_lo
	v_add_co_u32 v13, vcc_lo, 0, v18
	s_delay_alu instid0(VALU_DEP_2)
	v_add_co_ci_u32_e32 v14, vcc_lo, v19, v14, vcc_lo
; %bb.109:
	s_or_b32 exec_lo, exec_lo, s1
	v_mov_b32_dpp v19, v18 row_shr:2 row_mask:0xf bank_mask:0xf
	s_delay_alu instid0(VALU_DEP_2)
	v_mov_b32_dpp v18, v14 row_shr:2 row_mask:0xf bank_mask:0xf
	s_mov_b32 s1, exec_lo
	v_cmpx_lt_u32_e32 1, v17
; %bb.110:
	s_delay_alu instid0(VALU_DEP_3) | instskip(SKIP_1) | instid1(VALU_DEP_2)
	v_add_co_u32 v13, vcc_lo, v13, v19
	v_add_co_ci_u32_e32 v14, vcc_lo, 0, v14, vcc_lo
	v_add_co_u32 v13, vcc_lo, v13, 0
	s_delay_alu instid0(VALU_DEP_2)
	v_add_co_ci_u32_e32 v14, vcc_lo, v14, v18, vcc_lo
; %bb.111:
	s_or_b32 exec_lo, exec_lo, s1
	ds_store_b64 v16, v[13:14]
.LBB268_112:
	s_or_b32 exec_lo, exec_lo, s0
	v_mov_b32_e32 v17, 0
	v_mov_b32_e32 v18, 0
	s_mov_b32 s0, exec_lo
	s_waitcnt lgkmcnt(0)
	s_barrier
	buffer_gl0_inv
	v_cmpx_lt_u32_e32 31, v0
	s_cbranch_execz .LBB268_114
; %bb.113:
	v_lshl_add_u32 v13, v15, 3, -8
	ds_load_b64 v[17:18], v13
.LBB268_114:
	s_or_b32 exec_lo, exec_lo, s0
	v_dual_mov_b32 v16, 0 :: v_dual_add_nc_u32 v13, -1, v42
	s_delay_alu instid0(VALU_DEP_1) | instskip(SKIP_4) | instid1(VALU_DEP_3)
	v_cmp_gt_i32_e32 vcc_lo, 0, v13
	v_cndmask_b32_e32 v13, v13, v42, vcc_lo
	s_waitcnt lgkmcnt(0)
	v_add_co_u32 v14, vcc_lo, v17, v21
	v_add_co_ci_u32_e32 v15, vcc_lo, v18, v22, vcc_lo
	v_lshlrev_b32_e32 v13, 2, v13
	ds_bpermute_b32 v19, v13, v14
	ds_bpermute_b32 v20, v13, v15
	ds_load_b64 v[13:14], v16 offset:24
	s_and_saveexec_b32 s0, s2
	s_cbranch_execz .LBB268_116
; %bb.115:
	s_add_u32 s10, s14, 0x200
	s_addc_u32 s11, s15, 0
	s_delay_alu instid0(SALU_CYCLE_1)
	v_dual_mov_b32 v15, 2 :: v_dual_mov_b32 v22, s11
	v_mov_b32_e32 v21, s10
	s_waitcnt lgkmcnt(0)
	;;#ASMSTART
	global_store_dwordx4 v[21:22], v[13:16] off	
s_waitcnt vmcnt(0)
	;;#ASMEND
.LBB268_116:
	s_or_b32 exec_lo, exec_lo, s0
	v_cmp_eq_u32_e32 vcc_lo, 0, v42
	s_waitcnt lgkmcnt(0)
	s_barrier
	buffer_gl0_inv
	v_dual_cndmask_b32 v15, v19, v17 :: v_dual_cndmask_b32 v16, v20, v18
	s_delay_alu instid0(VALU_DEP_1) | instskip(NEXT) | instid1(VALU_DEP_2)
	v_cndmask_b32_e64 v29, v15, 0, s2
	v_cndmask_b32_e64 v30, v16, 0, s2
	v_mov_b32_e32 v15, 0
	v_mov_b32_e32 v16, 0
	s_delay_alu instid0(VALU_DEP_4) | instskip(NEXT) | instid1(VALU_DEP_4)
	v_add_co_u32 v27, vcc_lo, v29, v41
	v_add_co_ci_u32_e32 v28, vcc_lo, 0, v30, vcc_lo
	s_delay_alu instid0(VALU_DEP_2) | instskip(NEXT) | instid1(VALU_DEP_2)
	v_add_co_u32 v25, vcc_lo, v27, v40
	v_add_co_ci_u32_e32 v26, vcc_lo, 0, v28, vcc_lo
	s_delay_alu instid0(VALU_DEP_2) | instskip(NEXT) | instid1(VALU_DEP_2)
	;; [unrolled: 3-line block ×4, first 2 shown]
	v_add_co_u32 v17, vcc_lo, v19, v37
	v_add_co_ci_u32_e32 v18, vcc_lo, 0, v20, vcc_lo
	v_cmp_gt_u64_e32 vcc_lo, 0x81, v[13:14]
	s_mov_b32 s0, -1
	s_cbranch_vccz .LBB268_90
.LBB268_117:
	v_add_co_u32 v21, vcc_lo, v15, v13
	v_add_co_ci_u32_e32 v22, vcc_lo, v16, v14, vcc_lo
	s_delay_alu instid0(VALU_DEP_1) | instskip(SKIP_1) | instid1(SALU_CYCLE_1)
	v_cmp_lt_u64_e32 vcc_lo, v[29:30], v[21:22]
	s_or_b32 s1, s8, vcc_lo
	s_and_saveexec_b32 s0, s1
	s_cbranch_execz .LBB268_120
; %bb.118:
	v_and_b32_e32 v37, 1, v36
	s_delay_alu instid0(VALU_DEP_1)
	v_cmp_eq_u32_e32 vcc_lo, 1, v37
	s_and_b32 exec_lo, exec_lo, vcc_lo
	s_cbranch_execz .LBB268_120
; %bb.119:
	v_lshlrev_b64 v[37:38], 3, v[29:30]
	s_lshl_b64 s[10:11], s[6:7], 3
	s_delay_alu instid0(SALU_CYCLE_1) | instskip(SKIP_1) | instid1(VALU_DEP_1)
	s_add_u32 s1, s12, s10
	s_addc_u32 s9, s13, s11
	v_add_co_u32 v37, vcc_lo, s1, v37
	s_delay_alu instid0(VALU_DEP_2)
	v_add_co_ci_u32_e32 v38, vcc_lo, s9, v38, vcc_lo
	global_store_b64 v[37:38], v[9:10], off
.LBB268_120:
	s_or_b32 exec_lo, exec_lo, s0
	v_cmp_lt_u64_e32 vcc_lo, v[27:28], v[21:22]
	s_or_b32 s1, s8, vcc_lo
	s_delay_alu instid0(SALU_CYCLE_1)
	s_and_saveexec_b32 s0, s1
	s_cbranch_execz .LBB268_123
; %bb.121:
	v_and_b32_e32 v30, 1, v34
	s_delay_alu instid0(VALU_DEP_1)
	v_cmp_eq_u32_e32 vcc_lo, 1, v30
	s_and_b32 exec_lo, exec_lo, vcc_lo
	s_cbranch_execz .LBB268_123
; %bb.122:
	v_lshlrev_b64 v[37:38], 3, v[27:28]
	s_lshl_b64 s[10:11], s[6:7], 3
	s_delay_alu instid0(SALU_CYCLE_1) | instskip(SKIP_1) | instid1(VALU_DEP_1)
	s_add_u32 s1, s12, s10
	s_addc_u32 s9, s13, s11
	v_add_co_u32 v37, vcc_lo, s1, v37
	s_delay_alu instid0(VALU_DEP_2)
	v_add_co_ci_u32_e32 v38, vcc_lo, s9, v38, vcc_lo
	global_store_b64 v[37:38], v[11:12], off
.LBB268_123:
	s_or_b32 exec_lo, exec_lo, s0
	v_cmp_lt_u64_e32 vcc_lo, v[25:26], v[21:22]
	s_or_b32 s1, s8, vcc_lo
	s_delay_alu instid0(SALU_CYCLE_1)
	;; [unrolled: 23-line block ×5, first 2 shown]
	s_and_saveexec_b32 s0, s1
	s_cbranch_execz .LBB268_135
; %bb.133:
	v_and_b32_e32 v20, 1, v32
	s_delay_alu instid0(VALU_DEP_1)
	v_cmp_eq_u32_e32 vcc_lo, 1, v20
	s_and_b32 exec_lo, exec_lo, vcc_lo
	s_cbranch_execz .LBB268_135
; %bb.134:
	v_lshlrev_b64 v[20:21], 3, v[17:18]
	s_lshl_b64 s[8:9], s[6:7], 3
	s_delay_alu instid0(SALU_CYCLE_1) | instskip(SKIP_1) | instid1(VALU_DEP_1)
	s_add_u32 s1, s12, s8
	s_addc_u32 s8, s13, s9
	v_add_co_u32 v20, vcc_lo, s1, v20
	s_delay_alu instid0(VALU_DEP_2)
	v_add_co_ci_u32_e32 v21, vcc_lo, s8, v21, vcc_lo
	global_store_b64 v[20:21], v[3:4], off
.LBB268_135:
	s_or_b32 exec_lo, exec_lo, s0
	s_branch .LBB268_91
.LBB268_136:
	v_and_b32_e32 v18, 1, v36
	s_mov_b32 s0, exec_lo
	s_delay_alu instid0(VALU_DEP_1)
	v_cmpx_eq_u32_e32 1, v18
	s_cbranch_execz .LBB268_138
; %bb.137:
	v_sub_nc_u32_e32 v18, v29, v15
	s_delay_alu instid0(VALU_DEP_1)
	v_lshlrev_b32_e32 v18, 3, v18
	ds_store_b64 v18, v[9:10]
.LBB268_138:
	s_or_b32 exec_lo, exec_lo, s0
	v_and_b32_e32 v9, 1, v34
	s_mov_b32 s0, exec_lo
	s_delay_alu instid0(VALU_DEP_1)
	v_cmpx_eq_u32_e32 1, v9
	s_cbranch_execz .LBB268_140
; %bb.139:
	v_sub_nc_u32_e32 v9, v27, v15
	s_delay_alu instid0(VALU_DEP_1)
	v_lshlrev_b32_e32 v9, 3, v9
	ds_store_b64 v9, v[11:12]
.LBB268_140:
	s_or_b32 exec_lo, exec_lo, s0
	;; [unrolled: 12-line block ×6, first 2 shown]
	v_mov_b32_e32 v1, 0
	s_mov_b32 s1, exec_lo
	s_waitcnt lgkmcnt(0)
	s_waitcnt_vscnt null, 0x0
	s_barrier
	buffer_gl0_inv
	v_cmpx_gt_u64_e64 v[13:14], v[0:1]
	s_cbranch_execz .LBB268_151
; %bb.149:
	v_lshlrev_b64 v[4:5], 3, v[15:16]
	s_lshl_b64 s[8:9], s[6:7], 3
	v_dual_mov_b32 v3, v1 :: v_dual_mov_b32 v2, v0
	v_or_b32_e32 v0, 0x80, v0
	s_delay_alu instid0(VALU_DEP_3) | instskip(NEXT) | instid1(VALU_DEP_4)
	v_add_co_u32 v4, vcc_lo, s12, v4
	v_add_co_ci_u32_e32 v5, vcc_lo, s13, v5, vcc_lo
	s_delay_alu instid0(VALU_DEP_2) | instskip(NEXT) | instid1(VALU_DEP_2)
	v_add_co_u32 v4, vcc_lo, v4, s8
	v_add_co_ci_u32_e32 v5, vcc_lo, s9, v5, vcc_lo
	s_mov_b32 s8, 0
	.p2align	6
.LBB268_150:                            ; =>This Inner Loop Header: Depth=1
	v_lshlrev_b32_e32 v6, 3, v2
	v_lshlrev_b64 v[8:9], 3, v[2:3]
	v_mov_b32_e32 v3, v1
	v_cmp_le_u64_e32 vcc_lo, v[13:14], v[0:1]
	v_mov_b32_e32 v2, v0
	ds_load_b64 v[6:7], v6
	v_add_nc_u32_e32 v0, 0x80, v0
	v_add_co_u32 v8, s0, v4, v8
	s_delay_alu instid0(VALU_DEP_1)
	v_add_co_ci_u32_e64 v9, s0, v5, v9, s0
	s_or_b32 s8, vcc_lo, s8
	s_waitcnt lgkmcnt(0)
	global_store_b64 v[8:9], v[6:7], off
	s_and_not1_b32 exec_lo, exec_lo, s8
	s_cbranch_execnz .LBB268_150
.LBB268_151:
	s_or_b32 exec_lo, exec_lo, s1
	s_and_b32 s0, s2, s3
	s_delay_alu instid0(SALU_CYCLE_1)
	s_and_saveexec_b32 s1, s0
	s_cbranch_execz .LBB268_92
.LBB268_152:
	v_add_co_u32 v0, vcc_lo, v15, v13
	v_add_co_ci_u32_e32 v1, vcc_lo, v16, v14, vcc_lo
	v_mov_b32_e32 v2, 0
	s_delay_alu instid0(VALU_DEP_3) | instskip(NEXT) | instid1(VALU_DEP_3)
	v_add_co_u32 v0, vcc_lo, v0, s6
	v_add_co_ci_u32_e32 v1, vcc_lo, s7, v1, vcc_lo
	global_store_b64 v2, v[0:1], s[4:5]
	s_nop 0
	s_sendmsg sendmsg(MSG_DEALLOC_VGPRS)
	s_endpgm
	.section	.rodata,"a",@progbits
	.p2align	6, 0x0
	.amdhsa_kernel _ZN7rocprim17ROCPRIM_400000_NS6detail17trampoline_kernelINS0_14default_configENS1_25partition_config_selectorILNS1_17partition_subalgoE5ElNS0_10empty_typeEbEEZZNS1_14partition_implILS5_5ELb0ES3_mN6hipcub16HIPCUB_304000_NS21CountingInputIteratorIllEEPS6_NSA_22TransformInputIteratorIbN2at6native12_GLOBAL__N_19NonZeroOpIlEEPKllEENS0_5tupleIJPlS6_EEENSN_IJSD_SD_EEES6_PiJS6_EEE10hipError_tPvRmT3_T4_T5_T6_T7_T9_mT8_P12ihipStream_tbDpT10_ENKUlT_T0_E_clISt17integral_constantIbLb1EES1B_EEDaS16_S17_EUlS16_E_NS1_11comp_targetILNS1_3genE9ELNS1_11target_archE1100ELNS1_3gpuE3ELNS1_3repE0EEENS1_30default_config_static_selectorELNS0_4arch9wavefront6targetE0EEEvT1_
		.amdhsa_group_segment_fixed_size 6160
		.amdhsa_private_segment_fixed_size 0
		.amdhsa_kernarg_size 136
		.amdhsa_user_sgpr_count 15
		.amdhsa_user_sgpr_dispatch_ptr 0
		.amdhsa_user_sgpr_queue_ptr 0
		.amdhsa_user_sgpr_kernarg_segment_ptr 1
		.amdhsa_user_sgpr_dispatch_id 0
		.amdhsa_user_sgpr_private_segment_size 0
		.amdhsa_wavefront_size32 1
		.amdhsa_uses_dynamic_stack 0
		.amdhsa_enable_private_segment 0
		.amdhsa_system_sgpr_workgroup_id_x 1
		.amdhsa_system_sgpr_workgroup_id_y 0
		.amdhsa_system_sgpr_workgroup_id_z 0
		.amdhsa_system_sgpr_workgroup_info 0
		.amdhsa_system_vgpr_workitem_id 0
		.amdhsa_next_free_vgpr 57
		.amdhsa_next_free_sgpr 24
		.amdhsa_reserve_vcc 1
		.amdhsa_float_round_mode_32 0
		.amdhsa_float_round_mode_16_64 0
		.amdhsa_float_denorm_mode_32 3
		.amdhsa_float_denorm_mode_16_64 3
		.amdhsa_dx10_clamp 1
		.amdhsa_ieee_mode 1
		.amdhsa_fp16_overflow 0
		.amdhsa_workgroup_processor_mode 1
		.amdhsa_memory_ordered 1
		.amdhsa_forward_progress 0
		.amdhsa_shared_vgpr_count 0
		.amdhsa_exception_fp_ieee_invalid_op 0
		.amdhsa_exception_fp_denorm_src 0
		.amdhsa_exception_fp_ieee_div_zero 0
		.amdhsa_exception_fp_ieee_overflow 0
		.amdhsa_exception_fp_ieee_underflow 0
		.amdhsa_exception_fp_ieee_inexact 0
		.amdhsa_exception_int_div_zero 0
	.end_amdhsa_kernel
	.section	.text._ZN7rocprim17ROCPRIM_400000_NS6detail17trampoline_kernelINS0_14default_configENS1_25partition_config_selectorILNS1_17partition_subalgoE5ElNS0_10empty_typeEbEEZZNS1_14partition_implILS5_5ELb0ES3_mN6hipcub16HIPCUB_304000_NS21CountingInputIteratorIllEEPS6_NSA_22TransformInputIteratorIbN2at6native12_GLOBAL__N_19NonZeroOpIlEEPKllEENS0_5tupleIJPlS6_EEENSN_IJSD_SD_EEES6_PiJS6_EEE10hipError_tPvRmT3_T4_T5_T6_T7_T9_mT8_P12ihipStream_tbDpT10_ENKUlT_T0_E_clISt17integral_constantIbLb1EES1B_EEDaS16_S17_EUlS16_E_NS1_11comp_targetILNS1_3genE9ELNS1_11target_archE1100ELNS1_3gpuE3ELNS1_3repE0EEENS1_30default_config_static_selectorELNS0_4arch9wavefront6targetE0EEEvT1_,"axG",@progbits,_ZN7rocprim17ROCPRIM_400000_NS6detail17trampoline_kernelINS0_14default_configENS1_25partition_config_selectorILNS1_17partition_subalgoE5ElNS0_10empty_typeEbEEZZNS1_14partition_implILS5_5ELb0ES3_mN6hipcub16HIPCUB_304000_NS21CountingInputIteratorIllEEPS6_NSA_22TransformInputIteratorIbN2at6native12_GLOBAL__N_19NonZeroOpIlEEPKllEENS0_5tupleIJPlS6_EEENSN_IJSD_SD_EEES6_PiJS6_EEE10hipError_tPvRmT3_T4_T5_T6_T7_T9_mT8_P12ihipStream_tbDpT10_ENKUlT_T0_E_clISt17integral_constantIbLb1EES1B_EEDaS16_S17_EUlS16_E_NS1_11comp_targetILNS1_3genE9ELNS1_11target_archE1100ELNS1_3gpuE3ELNS1_3repE0EEENS1_30default_config_static_selectorELNS0_4arch9wavefront6targetE0EEEvT1_,comdat
.Lfunc_end268:
	.size	_ZN7rocprim17ROCPRIM_400000_NS6detail17trampoline_kernelINS0_14default_configENS1_25partition_config_selectorILNS1_17partition_subalgoE5ElNS0_10empty_typeEbEEZZNS1_14partition_implILS5_5ELb0ES3_mN6hipcub16HIPCUB_304000_NS21CountingInputIteratorIllEEPS6_NSA_22TransformInputIteratorIbN2at6native12_GLOBAL__N_19NonZeroOpIlEEPKllEENS0_5tupleIJPlS6_EEENSN_IJSD_SD_EEES6_PiJS6_EEE10hipError_tPvRmT3_T4_T5_T6_T7_T9_mT8_P12ihipStream_tbDpT10_ENKUlT_T0_E_clISt17integral_constantIbLb1EES1B_EEDaS16_S17_EUlS16_E_NS1_11comp_targetILNS1_3genE9ELNS1_11target_archE1100ELNS1_3gpuE3ELNS1_3repE0EEENS1_30default_config_static_selectorELNS0_4arch9wavefront6targetE0EEEvT1_, .Lfunc_end268-_ZN7rocprim17ROCPRIM_400000_NS6detail17trampoline_kernelINS0_14default_configENS1_25partition_config_selectorILNS1_17partition_subalgoE5ElNS0_10empty_typeEbEEZZNS1_14partition_implILS5_5ELb0ES3_mN6hipcub16HIPCUB_304000_NS21CountingInputIteratorIllEEPS6_NSA_22TransformInputIteratorIbN2at6native12_GLOBAL__N_19NonZeroOpIlEEPKllEENS0_5tupleIJPlS6_EEENSN_IJSD_SD_EEES6_PiJS6_EEE10hipError_tPvRmT3_T4_T5_T6_T7_T9_mT8_P12ihipStream_tbDpT10_ENKUlT_T0_E_clISt17integral_constantIbLb1EES1B_EEDaS16_S17_EUlS16_E_NS1_11comp_targetILNS1_3genE9ELNS1_11target_archE1100ELNS1_3gpuE3ELNS1_3repE0EEENS1_30default_config_static_selectorELNS0_4arch9wavefront6targetE0EEEvT1_
                                        ; -- End function
	.section	.AMDGPU.csdata,"",@progbits
; Kernel info:
; codeLenInByte = 6656
; NumSgprs: 26
; NumVgprs: 57
; ScratchSize: 0
; MemoryBound: 0
; FloatMode: 240
; IeeeMode: 1
; LDSByteSize: 6160 bytes/workgroup (compile time only)
; SGPRBlocks: 3
; VGPRBlocks: 7
; NumSGPRsForWavesPerEU: 26
; NumVGPRsForWavesPerEU: 57
; Occupancy: 16
; WaveLimiterHint : 1
; COMPUTE_PGM_RSRC2:SCRATCH_EN: 0
; COMPUTE_PGM_RSRC2:USER_SGPR: 15
; COMPUTE_PGM_RSRC2:TRAP_HANDLER: 0
; COMPUTE_PGM_RSRC2:TGID_X_EN: 1
; COMPUTE_PGM_RSRC2:TGID_Y_EN: 0
; COMPUTE_PGM_RSRC2:TGID_Z_EN: 0
; COMPUTE_PGM_RSRC2:TIDIG_COMP_CNT: 0
	.section	.text._ZN7rocprim17ROCPRIM_400000_NS6detail17trampoline_kernelINS0_14default_configENS1_25partition_config_selectorILNS1_17partition_subalgoE5ElNS0_10empty_typeEbEEZZNS1_14partition_implILS5_5ELb0ES3_mN6hipcub16HIPCUB_304000_NS21CountingInputIteratorIllEEPS6_NSA_22TransformInputIteratorIbN2at6native12_GLOBAL__N_19NonZeroOpIlEEPKllEENS0_5tupleIJPlS6_EEENSN_IJSD_SD_EEES6_PiJS6_EEE10hipError_tPvRmT3_T4_T5_T6_T7_T9_mT8_P12ihipStream_tbDpT10_ENKUlT_T0_E_clISt17integral_constantIbLb1EES1B_EEDaS16_S17_EUlS16_E_NS1_11comp_targetILNS1_3genE8ELNS1_11target_archE1030ELNS1_3gpuE2ELNS1_3repE0EEENS1_30default_config_static_selectorELNS0_4arch9wavefront6targetE0EEEvT1_,"axG",@progbits,_ZN7rocprim17ROCPRIM_400000_NS6detail17trampoline_kernelINS0_14default_configENS1_25partition_config_selectorILNS1_17partition_subalgoE5ElNS0_10empty_typeEbEEZZNS1_14partition_implILS5_5ELb0ES3_mN6hipcub16HIPCUB_304000_NS21CountingInputIteratorIllEEPS6_NSA_22TransformInputIteratorIbN2at6native12_GLOBAL__N_19NonZeroOpIlEEPKllEENS0_5tupleIJPlS6_EEENSN_IJSD_SD_EEES6_PiJS6_EEE10hipError_tPvRmT3_T4_T5_T6_T7_T9_mT8_P12ihipStream_tbDpT10_ENKUlT_T0_E_clISt17integral_constantIbLb1EES1B_EEDaS16_S17_EUlS16_E_NS1_11comp_targetILNS1_3genE8ELNS1_11target_archE1030ELNS1_3gpuE2ELNS1_3repE0EEENS1_30default_config_static_selectorELNS0_4arch9wavefront6targetE0EEEvT1_,comdat
	.globl	_ZN7rocprim17ROCPRIM_400000_NS6detail17trampoline_kernelINS0_14default_configENS1_25partition_config_selectorILNS1_17partition_subalgoE5ElNS0_10empty_typeEbEEZZNS1_14partition_implILS5_5ELb0ES3_mN6hipcub16HIPCUB_304000_NS21CountingInputIteratorIllEEPS6_NSA_22TransformInputIteratorIbN2at6native12_GLOBAL__N_19NonZeroOpIlEEPKllEENS0_5tupleIJPlS6_EEENSN_IJSD_SD_EEES6_PiJS6_EEE10hipError_tPvRmT3_T4_T5_T6_T7_T9_mT8_P12ihipStream_tbDpT10_ENKUlT_T0_E_clISt17integral_constantIbLb1EES1B_EEDaS16_S17_EUlS16_E_NS1_11comp_targetILNS1_3genE8ELNS1_11target_archE1030ELNS1_3gpuE2ELNS1_3repE0EEENS1_30default_config_static_selectorELNS0_4arch9wavefront6targetE0EEEvT1_ ; -- Begin function _ZN7rocprim17ROCPRIM_400000_NS6detail17trampoline_kernelINS0_14default_configENS1_25partition_config_selectorILNS1_17partition_subalgoE5ElNS0_10empty_typeEbEEZZNS1_14partition_implILS5_5ELb0ES3_mN6hipcub16HIPCUB_304000_NS21CountingInputIteratorIllEEPS6_NSA_22TransformInputIteratorIbN2at6native12_GLOBAL__N_19NonZeroOpIlEEPKllEENS0_5tupleIJPlS6_EEENSN_IJSD_SD_EEES6_PiJS6_EEE10hipError_tPvRmT3_T4_T5_T6_T7_T9_mT8_P12ihipStream_tbDpT10_ENKUlT_T0_E_clISt17integral_constantIbLb1EES1B_EEDaS16_S17_EUlS16_E_NS1_11comp_targetILNS1_3genE8ELNS1_11target_archE1030ELNS1_3gpuE2ELNS1_3repE0EEENS1_30default_config_static_selectorELNS0_4arch9wavefront6targetE0EEEvT1_
	.p2align	8
	.type	_ZN7rocprim17ROCPRIM_400000_NS6detail17trampoline_kernelINS0_14default_configENS1_25partition_config_selectorILNS1_17partition_subalgoE5ElNS0_10empty_typeEbEEZZNS1_14partition_implILS5_5ELb0ES3_mN6hipcub16HIPCUB_304000_NS21CountingInputIteratorIllEEPS6_NSA_22TransformInputIteratorIbN2at6native12_GLOBAL__N_19NonZeroOpIlEEPKllEENS0_5tupleIJPlS6_EEENSN_IJSD_SD_EEES6_PiJS6_EEE10hipError_tPvRmT3_T4_T5_T6_T7_T9_mT8_P12ihipStream_tbDpT10_ENKUlT_T0_E_clISt17integral_constantIbLb1EES1B_EEDaS16_S17_EUlS16_E_NS1_11comp_targetILNS1_3genE8ELNS1_11target_archE1030ELNS1_3gpuE2ELNS1_3repE0EEENS1_30default_config_static_selectorELNS0_4arch9wavefront6targetE0EEEvT1_,@function
_ZN7rocprim17ROCPRIM_400000_NS6detail17trampoline_kernelINS0_14default_configENS1_25partition_config_selectorILNS1_17partition_subalgoE5ElNS0_10empty_typeEbEEZZNS1_14partition_implILS5_5ELb0ES3_mN6hipcub16HIPCUB_304000_NS21CountingInputIteratorIllEEPS6_NSA_22TransformInputIteratorIbN2at6native12_GLOBAL__N_19NonZeroOpIlEEPKllEENS0_5tupleIJPlS6_EEENSN_IJSD_SD_EEES6_PiJS6_EEE10hipError_tPvRmT3_T4_T5_T6_T7_T9_mT8_P12ihipStream_tbDpT10_ENKUlT_T0_E_clISt17integral_constantIbLb1EES1B_EEDaS16_S17_EUlS16_E_NS1_11comp_targetILNS1_3genE8ELNS1_11target_archE1030ELNS1_3gpuE2ELNS1_3repE0EEENS1_30default_config_static_selectorELNS0_4arch9wavefront6targetE0EEEvT1_: ; @_ZN7rocprim17ROCPRIM_400000_NS6detail17trampoline_kernelINS0_14default_configENS1_25partition_config_selectorILNS1_17partition_subalgoE5ElNS0_10empty_typeEbEEZZNS1_14partition_implILS5_5ELb0ES3_mN6hipcub16HIPCUB_304000_NS21CountingInputIteratorIllEEPS6_NSA_22TransformInputIteratorIbN2at6native12_GLOBAL__N_19NonZeroOpIlEEPKllEENS0_5tupleIJPlS6_EEENSN_IJSD_SD_EEES6_PiJS6_EEE10hipError_tPvRmT3_T4_T5_T6_T7_T9_mT8_P12ihipStream_tbDpT10_ENKUlT_T0_E_clISt17integral_constantIbLb1EES1B_EEDaS16_S17_EUlS16_E_NS1_11comp_targetILNS1_3genE8ELNS1_11target_archE1030ELNS1_3gpuE2ELNS1_3repE0EEENS1_30default_config_static_selectorELNS0_4arch9wavefront6targetE0EEEvT1_
; %bb.0:
	.section	.rodata,"a",@progbits
	.p2align	6, 0x0
	.amdhsa_kernel _ZN7rocprim17ROCPRIM_400000_NS6detail17trampoline_kernelINS0_14default_configENS1_25partition_config_selectorILNS1_17partition_subalgoE5ElNS0_10empty_typeEbEEZZNS1_14partition_implILS5_5ELb0ES3_mN6hipcub16HIPCUB_304000_NS21CountingInputIteratorIllEEPS6_NSA_22TransformInputIteratorIbN2at6native12_GLOBAL__N_19NonZeroOpIlEEPKllEENS0_5tupleIJPlS6_EEENSN_IJSD_SD_EEES6_PiJS6_EEE10hipError_tPvRmT3_T4_T5_T6_T7_T9_mT8_P12ihipStream_tbDpT10_ENKUlT_T0_E_clISt17integral_constantIbLb1EES1B_EEDaS16_S17_EUlS16_E_NS1_11comp_targetILNS1_3genE8ELNS1_11target_archE1030ELNS1_3gpuE2ELNS1_3repE0EEENS1_30default_config_static_selectorELNS0_4arch9wavefront6targetE0EEEvT1_
		.amdhsa_group_segment_fixed_size 0
		.amdhsa_private_segment_fixed_size 0
		.amdhsa_kernarg_size 136
		.amdhsa_user_sgpr_count 15
		.amdhsa_user_sgpr_dispatch_ptr 0
		.amdhsa_user_sgpr_queue_ptr 0
		.amdhsa_user_sgpr_kernarg_segment_ptr 1
		.amdhsa_user_sgpr_dispatch_id 0
		.amdhsa_user_sgpr_private_segment_size 0
		.amdhsa_wavefront_size32 1
		.amdhsa_uses_dynamic_stack 0
		.amdhsa_enable_private_segment 0
		.amdhsa_system_sgpr_workgroup_id_x 1
		.amdhsa_system_sgpr_workgroup_id_y 0
		.amdhsa_system_sgpr_workgroup_id_z 0
		.amdhsa_system_sgpr_workgroup_info 0
		.amdhsa_system_vgpr_workitem_id 0
		.amdhsa_next_free_vgpr 1
		.amdhsa_next_free_sgpr 1
		.amdhsa_reserve_vcc 0
		.amdhsa_float_round_mode_32 0
		.amdhsa_float_round_mode_16_64 0
		.amdhsa_float_denorm_mode_32 3
		.amdhsa_float_denorm_mode_16_64 3
		.amdhsa_dx10_clamp 1
		.amdhsa_ieee_mode 1
		.amdhsa_fp16_overflow 0
		.amdhsa_workgroup_processor_mode 1
		.amdhsa_memory_ordered 1
		.amdhsa_forward_progress 0
		.amdhsa_shared_vgpr_count 0
		.amdhsa_exception_fp_ieee_invalid_op 0
		.amdhsa_exception_fp_denorm_src 0
		.amdhsa_exception_fp_ieee_div_zero 0
		.amdhsa_exception_fp_ieee_overflow 0
		.amdhsa_exception_fp_ieee_underflow 0
		.amdhsa_exception_fp_ieee_inexact 0
		.amdhsa_exception_int_div_zero 0
	.end_amdhsa_kernel
	.section	.text._ZN7rocprim17ROCPRIM_400000_NS6detail17trampoline_kernelINS0_14default_configENS1_25partition_config_selectorILNS1_17partition_subalgoE5ElNS0_10empty_typeEbEEZZNS1_14partition_implILS5_5ELb0ES3_mN6hipcub16HIPCUB_304000_NS21CountingInputIteratorIllEEPS6_NSA_22TransformInputIteratorIbN2at6native12_GLOBAL__N_19NonZeroOpIlEEPKllEENS0_5tupleIJPlS6_EEENSN_IJSD_SD_EEES6_PiJS6_EEE10hipError_tPvRmT3_T4_T5_T6_T7_T9_mT8_P12ihipStream_tbDpT10_ENKUlT_T0_E_clISt17integral_constantIbLb1EES1B_EEDaS16_S17_EUlS16_E_NS1_11comp_targetILNS1_3genE8ELNS1_11target_archE1030ELNS1_3gpuE2ELNS1_3repE0EEENS1_30default_config_static_selectorELNS0_4arch9wavefront6targetE0EEEvT1_,"axG",@progbits,_ZN7rocprim17ROCPRIM_400000_NS6detail17trampoline_kernelINS0_14default_configENS1_25partition_config_selectorILNS1_17partition_subalgoE5ElNS0_10empty_typeEbEEZZNS1_14partition_implILS5_5ELb0ES3_mN6hipcub16HIPCUB_304000_NS21CountingInputIteratorIllEEPS6_NSA_22TransformInputIteratorIbN2at6native12_GLOBAL__N_19NonZeroOpIlEEPKllEENS0_5tupleIJPlS6_EEENSN_IJSD_SD_EEES6_PiJS6_EEE10hipError_tPvRmT3_T4_T5_T6_T7_T9_mT8_P12ihipStream_tbDpT10_ENKUlT_T0_E_clISt17integral_constantIbLb1EES1B_EEDaS16_S17_EUlS16_E_NS1_11comp_targetILNS1_3genE8ELNS1_11target_archE1030ELNS1_3gpuE2ELNS1_3repE0EEENS1_30default_config_static_selectorELNS0_4arch9wavefront6targetE0EEEvT1_,comdat
.Lfunc_end269:
	.size	_ZN7rocprim17ROCPRIM_400000_NS6detail17trampoline_kernelINS0_14default_configENS1_25partition_config_selectorILNS1_17partition_subalgoE5ElNS0_10empty_typeEbEEZZNS1_14partition_implILS5_5ELb0ES3_mN6hipcub16HIPCUB_304000_NS21CountingInputIteratorIllEEPS6_NSA_22TransformInputIteratorIbN2at6native12_GLOBAL__N_19NonZeroOpIlEEPKllEENS0_5tupleIJPlS6_EEENSN_IJSD_SD_EEES6_PiJS6_EEE10hipError_tPvRmT3_T4_T5_T6_T7_T9_mT8_P12ihipStream_tbDpT10_ENKUlT_T0_E_clISt17integral_constantIbLb1EES1B_EEDaS16_S17_EUlS16_E_NS1_11comp_targetILNS1_3genE8ELNS1_11target_archE1030ELNS1_3gpuE2ELNS1_3repE0EEENS1_30default_config_static_selectorELNS0_4arch9wavefront6targetE0EEEvT1_, .Lfunc_end269-_ZN7rocprim17ROCPRIM_400000_NS6detail17trampoline_kernelINS0_14default_configENS1_25partition_config_selectorILNS1_17partition_subalgoE5ElNS0_10empty_typeEbEEZZNS1_14partition_implILS5_5ELb0ES3_mN6hipcub16HIPCUB_304000_NS21CountingInputIteratorIllEEPS6_NSA_22TransformInputIteratorIbN2at6native12_GLOBAL__N_19NonZeroOpIlEEPKllEENS0_5tupleIJPlS6_EEENSN_IJSD_SD_EEES6_PiJS6_EEE10hipError_tPvRmT3_T4_T5_T6_T7_T9_mT8_P12ihipStream_tbDpT10_ENKUlT_T0_E_clISt17integral_constantIbLb1EES1B_EEDaS16_S17_EUlS16_E_NS1_11comp_targetILNS1_3genE8ELNS1_11target_archE1030ELNS1_3gpuE2ELNS1_3repE0EEENS1_30default_config_static_selectorELNS0_4arch9wavefront6targetE0EEEvT1_
                                        ; -- End function
	.section	.AMDGPU.csdata,"",@progbits
; Kernel info:
; codeLenInByte = 0
; NumSgprs: 0
; NumVgprs: 0
; ScratchSize: 0
; MemoryBound: 0
; FloatMode: 240
; IeeeMode: 1
; LDSByteSize: 0 bytes/workgroup (compile time only)
; SGPRBlocks: 0
; VGPRBlocks: 0
; NumSGPRsForWavesPerEU: 1
; NumVGPRsForWavesPerEU: 1
; Occupancy: 16
; WaveLimiterHint : 0
; COMPUTE_PGM_RSRC2:SCRATCH_EN: 0
; COMPUTE_PGM_RSRC2:USER_SGPR: 15
; COMPUTE_PGM_RSRC2:TRAP_HANDLER: 0
; COMPUTE_PGM_RSRC2:TGID_X_EN: 1
; COMPUTE_PGM_RSRC2:TGID_Y_EN: 0
; COMPUTE_PGM_RSRC2:TGID_Z_EN: 0
; COMPUTE_PGM_RSRC2:TIDIG_COMP_CNT: 0
	.section	.text._ZN7rocprim17ROCPRIM_400000_NS6detail17trampoline_kernelINS0_14default_configENS1_25partition_config_selectorILNS1_17partition_subalgoE5ElNS0_10empty_typeEbEEZZNS1_14partition_implILS5_5ELb0ES3_mN6hipcub16HIPCUB_304000_NS21CountingInputIteratorIllEEPS6_NSA_22TransformInputIteratorIbN2at6native12_GLOBAL__N_19NonZeroOpIlEEPKllEENS0_5tupleIJPlS6_EEENSN_IJSD_SD_EEES6_PiJS6_EEE10hipError_tPvRmT3_T4_T5_T6_T7_T9_mT8_P12ihipStream_tbDpT10_ENKUlT_T0_E_clISt17integral_constantIbLb1EES1A_IbLb0EEEEDaS16_S17_EUlS16_E_NS1_11comp_targetILNS1_3genE0ELNS1_11target_archE4294967295ELNS1_3gpuE0ELNS1_3repE0EEENS1_30default_config_static_selectorELNS0_4arch9wavefront6targetE0EEEvT1_,"axG",@progbits,_ZN7rocprim17ROCPRIM_400000_NS6detail17trampoline_kernelINS0_14default_configENS1_25partition_config_selectorILNS1_17partition_subalgoE5ElNS0_10empty_typeEbEEZZNS1_14partition_implILS5_5ELb0ES3_mN6hipcub16HIPCUB_304000_NS21CountingInputIteratorIllEEPS6_NSA_22TransformInputIteratorIbN2at6native12_GLOBAL__N_19NonZeroOpIlEEPKllEENS0_5tupleIJPlS6_EEENSN_IJSD_SD_EEES6_PiJS6_EEE10hipError_tPvRmT3_T4_T5_T6_T7_T9_mT8_P12ihipStream_tbDpT10_ENKUlT_T0_E_clISt17integral_constantIbLb1EES1A_IbLb0EEEEDaS16_S17_EUlS16_E_NS1_11comp_targetILNS1_3genE0ELNS1_11target_archE4294967295ELNS1_3gpuE0ELNS1_3repE0EEENS1_30default_config_static_selectorELNS0_4arch9wavefront6targetE0EEEvT1_,comdat
	.globl	_ZN7rocprim17ROCPRIM_400000_NS6detail17trampoline_kernelINS0_14default_configENS1_25partition_config_selectorILNS1_17partition_subalgoE5ElNS0_10empty_typeEbEEZZNS1_14partition_implILS5_5ELb0ES3_mN6hipcub16HIPCUB_304000_NS21CountingInputIteratorIllEEPS6_NSA_22TransformInputIteratorIbN2at6native12_GLOBAL__N_19NonZeroOpIlEEPKllEENS0_5tupleIJPlS6_EEENSN_IJSD_SD_EEES6_PiJS6_EEE10hipError_tPvRmT3_T4_T5_T6_T7_T9_mT8_P12ihipStream_tbDpT10_ENKUlT_T0_E_clISt17integral_constantIbLb1EES1A_IbLb0EEEEDaS16_S17_EUlS16_E_NS1_11comp_targetILNS1_3genE0ELNS1_11target_archE4294967295ELNS1_3gpuE0ELNS1_3repE0EEENS1_30default_config_static_selectorELNS0_4arch9wavefront6targetE0EEEvT1_ ; -- Begin function _ZN7rocprim17ROCPRIM_400000_NS6detail17trampoline_kernelINS0_14default_configENS1_25partition_config_selectorILNS1_17partition_subalgoE5ElNS0_10empty_typeEbEEZZNS1_14partition_implILS5_5ELb0ES3_mN6hipcub16HIPCUB_304000_NS21CountingInputIteratorIllEEPS6_NSA_22TransformInputIteratorIbN2at6native12_GLOBAL__N_19NonZeroOpIlEEPKllEENS0_5tupleIJPlS6_EEENSN_IJSD_SD_EEES6_PiJS6_EEE10hipError_tPvRmT3_T4_T5_T6_T7_T9_mT8_P12ihipStream_tbDpT10_ENKUlT_T0_E_clISt17integral_constantIbLb1EES1A_IbLb0EEEEDaS16_S17_EUlS16_E_NS1_11comp_targetILNS1_3genE0ELNS1_11target_archE4294967295ELNS1_3gpuE0ELNS1_3repE0EEENS1_30default_config_static_selectorELNS0_4arch9wavefront6targetE0EEEvT1_
	.p2align	8
	.type	_ZN7rocprim17ROCPRIM_400000_NS6detail17trampoline_kernelINS0_14default_configENS1_25partition_config_selectorILNS1_17partition_subalgoE5ElNS0_10empty_typeEbEEZZNS1_14partition_implILS5_5ELb0ES3_mN6hipcub16HIPCUB_304000_NS21CountingInputIteratorIllEEPS6_NSA_22TransformInputIteratorIbN2at6native12_GLOBAL__N_19NonZeroOpIlEEPKllEENS0_5tupleIJPlS6_EEENSN_IJSD_SD_EEES6_PiJS6_EEE10hipError_tPvRmT3_T4_T5_T6_T7_T9_mT8_P12ihipStream_tbDpT10_ENKUlT_T0_E_clISt17integral_constantIbLb1EES1A_IbLb0EEEEDaS16_S17_EUlS16_E_NS1_11comp_targetILNS1_3genE0ELNS1_11target_archE4294967295ELNS1_3gpuE0ELNS1_3repE0EEENS1_30default_config_static_selectorELNS0_4arch9wavefront6targetE0EEEvT1_,@function
_ZN7rocprim17ROCPRIM_400000_NS6detail17trampoline_kernelINS0_14default_configENS1_25partition_config_selectorILNS1_17partition_subalgoE5ElNS0_10empty_typeEbEEZZNS1_14partition_implILS5_5ELb0ES3_mN6hipcub16HIPCUB_304000_NS21CountingInputIteratorIllEEPS6_NSA_22TransformInputIteratorIbN2at6native12_GLOBAL__N_19NonZeroOpIlEEPKllEENS0_5tupleIJPlS6_EEENSN_IJSD_SD_EEES6_PiJS6_EEE10hipError_tPvRmT3_T4_T5_T6_T7_T9_mT8_P12ihipStream_tbDpT10_ENKUlT_T0_E_clISt17integral_constantIbLb1EES1A_IbLb0EEEEDaS16_S17_EUlS16_E_NS1_11comp_targetILNS1_3genE0ELNS1_11target_archE4294967295ELNS1_3gpuE0ELNS1_3repE0EEENS1_30default_config_static_selectorELNS0_4arch9wavefront6targetE0EEEvT1_: ; @_ZN7rocprim17ROCPRIM_400000_NS6detail17trampoline_kernelINS0_14default_configENS1_25partition_config_selectorILNS1_17partition_subalgoE5ElNS0_10empty_typeEbEEZZNS1_14partition_implILS5_5ELb0ES3_mN6hipcub16HIPCUB_304000_NS21CountingInputIteratorIllEEPS6_NSA_22TransformInputIteratorIbN2at6native12_GLOBAL__N_19NonZeroOpIlEEPKllEENS0_5tupleIJPlS6_EEENSN_IJSD_SD_EEES6_PiJS6_EEE10hipError_tPvRmT3_T4_T5_T6_T7_T9_mT8_P12ihipStream_tbDpT10_ENKUlT_T0_E_clISt17integral_constantIbLb1EES1A_IbLb0EEEEDaS16_S17_EUlS16_E_NS1_11comp_targetILNS1_3genE0ELNS1_11target_archE4294967295ELNS1_3gpuE0ELNS1_3repE0EEENS1_30default_config_static_selectorELNS0_4arch9wavefront6targetE0EEEvT1_
; %bb.0:
	.section	.rodata,"a",@progbits
	.p2align	6, 0x0
	.amdhsa_kernel _ZN7rocprim17ROCPRIM_400000_NS6detail17trampoline_kernelINS0_14default_configENS1_25partition_config_selectorILNS1_17partition_subalgoE5ElNS0_10empty_typeEbEEZZNS1_14partition_implILS5_5ELb0ES3_mN6hipcub16HIPCUB_304000_NS21CountingInputIteratorIllEEPS6_NSA_22TransformInputIteratorIbN2at6native12_GLOBAL__N_19NonZeroOpIlEEPKllEENS0_5tupleIJPlS6_EEENSN_IJSD_SD_EEES6_PiJS6_EEE10hipError_tPvRmT3_T4_T5_T6_T7_T9_mT8_P12ihipStream_tbDpT10_ENKUlT_T0_E_clISt17integral_constantIbLb1EES1A_IbLb0EEEEDaS16_S17_EUlS16_E_NS1_11comp_targetILNS1_3genE0ELNS1_11target_archE4294967295ELNS1_3gpuE0ELNS1_3repE0EEENS1_30default_config_static_selectorELNS0_4arch9wavefront6targetE0EEEvT1_
		.amdhsa_group_segment_fixed_size 0
		.amdhsa_private_segment_fixed_size 0
		.amdhsa_kernarg_size 120
		.amdhsa_user_sgpr_count 15
		.amdhsa_user_sgpr_dispatch_ptr 0
		.amdhsa_user_sgpr_queue_ptr 0
		.amdhsa_user_sgpr_kernarg_segment_ptr 1
		.amdhsa_user_sgpr_dispatch_id 0
		.amdhsa_user_sgpr_private_segment_size 0
		.amdhsa_wavefront_size32 1
		.amdhsa_uses_dynamic_stack 0
		.amdhsa_enable_private_segment 0
		.amdhsa_system_sgpr_workgroup_id_x 1
		.amdhsa_system_sgpr_workgroup_id_y 0
		.amdhsa_system_sgpr_workgroup_id_z 0
		.amdhsa_system_sgpr_workgroup_info 0
		.amdhsa_system_vgpr_workitem_id 0
		.amdhsa_next_free_vgpr 1
		.amdhsa_next_free_sgpr 1
		.amdhsa_reserve_vcc 0
		.amdhsa_float_round_mode_32 0
		.amdhsa_float_round_mode_16_64 0
		.amdhsa_float_denorm_mode_32 3
		.amdhsa_float_denorm_mode_16_64 3
		.amdhsa_dx10_clamp 1
		.amdhsa_ieee_mode 1
		.amdhsa_fp16_overflow 0
		.amdhsa_workgroup_processor_mode 1
		.amdhsa_memory_ordered 1
		.amdhsa_forward_progress 0
		.amdhsa_shared_vgpr_count 0
		.amdhsa_exception_fp_ieee_invalid_op 0
		.amdhsa_exception_fp_denorm_src 0
		.amdhsa_exception_fp_ieee_div_zero 0
		.amdhsa_exception_fp_ieee_overflow 0
		.amdhsa_exception_fp_ieee_underflow 0
		.amdhsa_exception_fp_ieee_inexact 0
		.amdhsa_exception_int_div_zero 0
	.end_amdhsa_kernel
	.section	.text._ZN7rocprim17ROCPRIM_400000_NS6detail17trampoline_kernelINS0_14default_configENS1_25partition_config_selectorILNS1_17partition_subalgoE5ElNS0_10empty_typeEbEEZZNS1_14partition_implILS5_5ELb0ES3_mN6hipcub16HIPCUB_304000_NS21CountingInputIteratorIllEEPS6_NSA_22TransformInputIteratorIbN2at6native12_GLOBAL__N_19NonZeroOpIlEEPKllEENS0_5tupleIJPlS6_EEENSN_IJSD_SD_EEES6_PiJS6_EEE10hipError_tPvRmT3_T4_T5_T6_T7_T9_mT8_P12ihipStream_tbDpT10_ENKUlT_T0_E_clISt17integral_constantIbLb1EES1A_IbLb0EEEEDaS16_S17_EUlS16_E_NS1_11comp_targetILNS1_3genE0ELNS1_11target_archE4294967295ELNS1_3gpuE0ELNS1_3repE0EEENS1_30default_config_static_selectorELNS0_4arch9wavefront6targetE0EEEvT1_,"axG",@progbits,_ZN7rocprim17ROCPRIM_400000_NS6detail17trampoline_kernelINS0_14default_configENS1_25partition_config_selectorILNS1_17partition_subalgoE5ElNS0_10empty_typeEbEEZZNS1_14partition_implILS5_5ELb0ES3_mN6hipcub16HIPCUB_304000_NS21CountingInputIteratorIllEEPS6_NSA_22TransformInputIteratorIbN2at6native12_GLOBAL__N_19NonZeroOpIlEEPKllEENS0_5tupleIJPlS6_EEENSN_IJSD_SD_EEES6_PiJS6_EEE10hipError_tPvRmT3_T4_T5_T6_T7_T9_mT8_P12ihipStream_tbDpT10_ENKUlT_T0_E_clISt17integral_constantIbLb1EES1A_IbLb0EEEEDaS16_S17_EUlS16_E_NS1_11comp_targetILNS1_3genE0ELNS1_11target_archE4294967295ELNS1_3gpuE0ELNS1_3repE0EEENS1_30default_config_static_selectorELNS0_4arch9wavefront6targetE0EEEvT1_,comdat
.Lfunc_end270:
	.size	_ZN7rocprim17ROCPRIM_400000_NS6detail17trampoline_kernelINS0_14default_configENS1_25partition_config_selectorILNS1_17partition_subalgoE5ElNS0_10empty_typeEbEEZZNS1_14partition_implILS5_5ELb0ES3_mN6hipcub16HIPCUB_304000_NS21CountingInputIteratorIllEEPS6_NSA_22TransformInputIteratorIbN2at6native12_GLOBAL__N_19NonZeroOpIlEEPKllEENS0_5tupleIJPlS6_EEENSN_IJSD_SD_EEES6_PiJS6_EEE10hipError_tPvRmT3_T4_T5_T6_T7_T9_mT8_P12ihipStream_tbDpT10_ENKUlT_T0_E_clISt17integral_constantIbLb1EES1A_IbLb0EEEEDaS16_S17_EUlS16_E_NS1_11comp_targetILNS1_3genE0ELNS1_11target_archE4294967295ELNS1_3gpuE0ELNS1_3repE0EEENS1_30default_config_static_selectorELNS0_4arch9wavefront6targetE0EEEvT1_, .Lfunc_end270-_ZN7rocprim17ROCPRIM_400000_NS6detail17trampoline_kernelINS0_14default_configENS1_25partition_config_selectorILNS1_17partition_subalgoE5ElNS0_10empty_typeEbEEZZNS1_14partition_implILS5_5ELb0ES3_mN6hipcub16HIPCUB_304000_NS21CountingInputIteratorIllEEPS6_NSA_22TransformInputIteratorIbN2at6native12_GLOBAL__N_19NonZeroOpIlEEPKllEENS0_5tupleIJPlS6_EEENSN_IJSD_SD_EEES6_PiJS6_EEE10hipError_tPvRmT3_T4_T5_T6_T7_T9_mT8_P12ihipStream_tbDpT10_ENKUlT_T0_E_clISt17integral_constantIbLb1EES1A_IbLb0EEEEDaS16_S17_EUlS16_E_NS1_11comp_targetILNS1_3genE0ELNS1_11target_archE4294967295ELNS1_3gpuE0ELNS1_3repE0EEENS1_30default_config_static_selectorELNS0_4arch9wavefront6targetE0EEEvT1_
                                        ; -- End function
	.section	.AMDGPU.csdata,"",@progbits
; Kernel info:
; codeLenInByte = 0
; NumSgprs: 0
; NumVgprs: 0
; ScratchSize: 0
; MemoryBound: 0
; FloatMode: 240
; IeeeMode: 1
; LDSByteSize: 0 bytes/workgroup (compile time only)
; SGPRBlocks: 0
; VGPRBlocks: 0
; NumSGPRsForWavesPerEU: 1
; NumVGPRsForWavesPerEU: 1
; Occupancy: 16
; WaveLimiterHint : 0
; COMPUTE_PGM_RSRC2:SCRATCH_EN: 0
; COMPUTE_PGM_RSRC2:USER_SGPR: 15
; COMPUTE_PGM_RSRC2:TRAP_HANDLER: 0
; COMPUTE_PGM_RSRC2:TGID_X_EN: 1
; COMPUTE_PGM_RSRC2:TGID_Y_EN: 0
; COMPUTE_PGM_RSRC2:TGID_Z_EN: 0
; COMPUTE_PGM_RSRC2:TIDIG_COMP_CNT: 0
	.section	.text._ZN7rocprim17ROCPRIM_400000_NS6detail17trampoline_kernelINS0_14default_configENS1_25partition_config_selectorILNS1_17partition_subalgoE5ElNS0_10empty_typeEbEEZZNS1_14partition_implILS5_5ELb0ES3_mN6hipcub16HIPCUB_304000_NS21CountingInputIteratorIllEEPS6_NSA_22TransformInputIteratorIbN2at6native12_GLOBAL__N_19NonZeroOpIlEEPKllEENS0_5tupleIJPlS6_EEENSN_IJSD_SD_EEES6_PiJS6_EEE10hipError_tPvRmT3_T4_T5_T6_T7_T9_mT8_P12ihipStream_tbDpT10_ENKUlT_T0_E_clISt17integral_constantIbLb1EES1A_IbLb0EEEEDaS16_S17_EUlS16_E_NS1_11comp_targetILNS1_3genE5ELNS1_11target_archE942ELNS1_3gpuE9ELNS1_3repE0EEENS1_30default_config_static_selectorELNS0_4arch9wavefront6targetE0EEEvT1_,"axG",@progbits,_ZN7rocprim17ROCPRIM_400000_NS6detail17trampoline_kernelINS0_14default_configENS1_25partition_config_selectorILNS1_17partition_subalgoE5ElNS0_10empty_typeEbEEZZNS1_14partition_implILS5_5ELb0ES3_mN6hipcub16HIPCUB_304000_NS21CountingInputIteratorIllEEPS6_NSA_22TransformInputIteratorIbN2at6native12_GLOBAL__N_19NonZeroOpIlEEPKllEENS0_5tupleIJPlS6_EEENSN_IJSD_SD_EEES6_PiJS6_EEE10hipError_tPvRmT3_T4_T5_T6_T7_T9_mT8_P12ihipStream_tbDpT10_ENKUlT_T0_E_clISt17integral_constantIbLb1EES1A_IbLb0EEEEDaS16_S17_EUlS16_E_NS1_11comp_targetILNS1_3genE5ELNS1_11target_archE942ELNS1_3gpuE9ELNS1_3repE0EEENS1_30default_config_static_selectorELNS0_4arch9wavefront6targetE0EEEvT1_,comdat
	.globl	_ZN7rocprim17ROCPRIM_400000_NS6detail17trampoline_kernelINS0_14default_configENS1_25partition_config_selectorILNS1_17partition_subalgoE5ElNS0_10empty_typeEbEEZZNS1_14partition_implILS5_5ELb0ES3_mN6hipcub16HIPCUB_304000_NS21CountingInputIteratorIllEEPS6_NSA_22TransformInputIteratorIbN2at6native12_GLOBAL__N_19NonZeroOpIlEEPKllEENS0_5tupleIJPlS6_EEENSN_IJSD_SD_EEES6_PiJS6_EEE10hipError_tPvRmT3_T4_T5_T6_T7_T9_mT8_P12ihipStream_tbDpT10_ENKUlT_T0_E_clISt17integral_constantIbLb1EES1A_IbLb0EEEEDaS16_S17_EUlS16_E_NS1_11comp_targetILNS1_3genE5ELNS1_11target_archE942ELNS1_3gpuE9ELNS1_3repE0EEENS1_30default_config_static_selectorELNS0_4arch9wavefront6targetE0EEEvT1_ ; -- Begin function _ZN7rocprim17ROCPRIM_400000_NS6detail17trampoline_kernelINS0_14default_configENS1_25partition_config_selectorILNS1_17partition_subalgoE5ElNS0_10empty_typeEbEEZZNS1_14partition_implILS5_5ELb0ES3_mN6hipcub16HIPCUB_304000_NS21CountingInputIteratorIllEEPS6_NSA_22TransformInputIteratorIbN2at6native12_GLOBAL__N_19NonZeroOpIlEEPKllEENS0_5tupleIJPlS6_EEENSN_IJSD_SD_EEES6_PiJS6_EEE10hipError_tPvRmT3_T4_T5_T6_T7_T9_mT8_P12ihipStream_tbDpT10_ENKUlT_T0_E_clISt17integral_constantIbLb1EES1A_IbLb0EEEEDaS16_S17_EUlS16_E_NS1_11comp_targetILNS1_3genE5ELNS1_11target_archE942ELNS1_3gpuE9ELNS1_3repE0EEENS1_30default_config_static_selectorELNS0_4arch9wavefront6targetE0EEEvT1_
	.p2align	8
	.type	_ZN7rocprim17ROCPRIM_400000_NS6detail17trampoline_kernelINS0_14default_configENS1_25partition_config_selectorILNS1_17partition_subalgoE5ElNS0_10empty_typeEbEEZZNS1_14partition_implILS5_5ELb0ES3_mN6hipcub16HIPCUB_304000_NS21CountingInputIteratorIllEEPS6_NSA_22TransformInputIteratorIbN2at6native12_GLOBAL__N_19NonZeroOpIlEEPKllEENS0_5tupleIJPlS6_EEENSN_IJSD_SD_EEES6_PiJS6_EEE10hipError_tPvRmT3_T4_T5_T6_T7_T9_mT8_P12ihipStream_tbDpT10_ENKUlT_T0_E_clISt17integral_constantIbLb1EES1A_IbLb0EEEEDaS16_S17_EUlS16_E_NS1_11comp_targetILNS1_3genE5ELNS1_11target_archE942ELNS1_3gpuE9ELNS1_3repE0EEENS1_30default_config_static_selectorELNS0_4arch9wavefront6targetE0EEEvT1_,@function
_ZN7rocprim17ROCPRIM_400000_NS6detail17trampoline_kernelINS0_14default_configENS1_25partition_config_selectorILNS1_17partition_subalgoE5ElNS0_10empty_typeEbEEZZNS1_14partition_implILS5_5ELb0ES3_mN6hipcub16HIPCUB_304000_NS21CountingInputIteratorIllEEPS6_NSA_22TransformInputIteratorIbN2at6native12_GLOBAL__N_19NonZeroOpIlEEPKllEENS0_5tupleIJPlS6_EEENSN_IJSD_SD_EEES6_PiJS6_EEE10hipError_tPvRmT3_T4_T5_T6_T7_T9_mT8_P12ihipStream_tbDpT10_ENKUlT_T0_E_clISt17integral_constantIbLb1EES1A_IbLb0EEEEDaS16_S17_EUlS16_E_NS1_11comp_targetILNS1_3genE5ELNS1_11target_archE942ELNS1_3gpuE9ELNS1_3repE0EEENS1_30default_config_static_selectorELNS0_4arch9wavefront6targetE0EEEvT1_: ; @_ZN7rocprim17ROCPRIM_400000_NS6detail17trampoline_kernelINS0_14default_configENS1_25partition_config_selectorILNS1_17partition_subalgoE5ElNS0_10empty_typeEbEEZZNS1_14partition_implILS5_5ELb0ES3_mN6hipcub16HIPCUB_304000_NS21CountingInputIteratorIllEEPS6_NSA_22TransformInputIteratorIbN2at6native12_GLOBAL__N_19NonZeroOpIlEEPKllEENS0_5tupleIJPlS6_EEENSN_IJSD_SD_EEES6_PiJS6_EEE10hipError_tPvRmT3_T4_T5_T6_T7_T9_mT8_P12ihipStream_tbDpT10_ENKUlT_T0_E_clISt17integral_constantIbLb1EES1A_IbLb0EEEEDaS16_S17_EUlS16_E_NS1_11comp_targetILNS1_3genE5ELNS1_11target_archE942ELNS1_3gpuE9ELNS1_3repE0EEENS1_30default_config_static_selectorELNS0_4arch9wavefront6targetE0EEEvT1_
; %bb.0:
	.section	.rodata,"a",@progbits
	.p2align	6, 0x0
	.amdhsa_kernel _ZN7rocprim17ROCPRIM_400000_NS6detail17trampoline_kernelINS0_14default_configENS1_25partition_config_selectorILNS1_17partition_subalgoE5ElNS0_10empty_typeEbEEZZNS1_14partition_implILS5_5ELb0ES3_mN6hipcub16HIPCUB_304000_NS21CountingInputIteratorIllEEPS6_NSA_22TransformInputIteratorIbN2at6native12_GLOBAL__N_19NonZeroOpIlEEPKllEENS0_5tupleIJPlS6_EEENSN_IJSD_SD_EEES6_PiJS6_EEE10hipError_tPvRmT3_T4_T5_T6_T7_T9_mT8_P12ihipStream_tbDpT10_ENKUlT_T0_E_clISt17integral_constantIbLb1EES1A_IbLb0EEEEDaS16_S17_EUlS16_E_NS1_11comp_targetILNS1_3genE5ELNS1_11target_archE942ELNS1_3gpuE9ELNS1_3repE0EEENS1_30default_config_static_selectorELNS0_4arch9wavefront6targetE0EEEvT1_
		.amdhsa_group_segment_fixed_size 0
		.amdhsa_private_segment_fixed_size 0
		.amdhsa_kernarg_size 120
		.amdhsa_user_sgpr_count 15
		.amdhsa_user_sgpr_dispatch_ptr 0
		.amdhsa_user_sgpr_queue_ptr 0
		.amdhsa_user_sgpr_kernarg_segment_ptr 1
		.amdhsa_user_sgpr_dispatch_id 0
		.amdhsa_user_sgpr_private_segment_size 0
		.amdhsa_wavefront_size32 1
		.amdhsa_uses_dynamic_stack 0
		.amdhsa_enable_private_segment 0
		.amdhsa_system_sgpr_workgroup_id_x 1
		.amdhsa_system_sgpr_workgroup_id_y 0
		.amdhsa_system_sgpr_workgroup_id_z 0
		.amdhsa_system_sgpr_workgroup_info 0
		.amdhsa_system_vgpr_workitem_id 0
		.amdhsa_next_free_vgpr 1
		.amdhsa_next_free_sgpr 1
		.amdhsa_reserve_vcc 0
		.amdhsa_float_round_mode_32 0
		.amdhsa_float_round_mode_16_64 0
		.amdhsa_float_denorm_mode_32 3
		.amdhsa_float_denorm_mode_16_64 3
		.amdhsa_dx10_clamp 1
		.amdhsa_ieee_mode 1
		.amdhsa_fp16_overflow 0
		.amdhsa_workgroup_processor_mode 1
		.amdhsa_memory_ordered 1
		.amdhsa_forward_progress 0
		.amdhsa_shared_vgpr_count 0
		.amdhsa_exception_fp_ieee_invalid_op 0
		.amdhsa_exception_fp_denorm_src 0
		.amdhsa_exception_fp_ieee_div_zero 0
		.amdhsa_exception_fp_ieee_overflow 0
		.amdhsa_exception_fp_ieee_underflow 0
		.amdhsa_exception_fp_ieee_inexact 0
		.amdhsa_exception_int_div_zero 0
	.end_amdhsa_kernel
	.section	.text._ZN7rocprim17ROCPRIM_400000_NS6detail17trampoline_kernelINS0_14default_configENS1_25partition_config_selectorILNS1_17partition_subalgoE5ElNS0_10empty_typeEbEEZZNS1_14partition_implILS5_5ELb0ES3_mN6hipcub16HIPCUB_304000_NS21CountingInputIteratorIllEEPS6_NSA_22TransformInputIteratorIbN2at6native12_GLOBAL__N_19NonZeroOpIlEEPKllEENS0_5tupleIJPlS6_EEENSN_IJSD_SD_EEES6_PiJS6_EEE10hipError_tPvRmT3_T4_T5_T6_T7_T9_mT8_P12ihipStream_tbDpT10_ENKUlT_T0_E_clISt17integral_constantIbLb1EES1A_IbLb0EEEEDaS16_S17_EUlS16_E_NS1_11comp_targetILNS1_3genE5ELNS1_11target_archE942ELNS1_3gpuE9ELNS1_3repE0EEENS1_30default_config_static_selectorELNS0_4arch9wavefront6targetE0EEEvT1_,"axG",@progbits,_ZN7rocprim17ROCPRIM_400000_NS6detail17trampoline_kernelINS0_14default_configENS1_25partition_config_selectorILNS1_17partition_subalgoE5ElNS0_10empty_typeEbEEZZNS1_14partition_implILS5_5ELb0ES3_mN6hipcub16HIPCUB_304000_NS21CountingInputIteratorIllEEPS6_NSA_22TransformInputIteratorIbN2at6native12_GLOBAL__N_19NonZeroOpIlEEPKllEENS0_5tupleIJPlS6_EEENSN_IJSD_SD_EEES6_PiJS6_EEE10hipError_tPvRmT3_T4_T5_T6_T7_T9_mT8_P12ihipStream_tbDpT10_ENKUlT_T0_E_clISt17integral_constantIbLb1EES1A_IbLb0EEEEDaS16_S17_EUlS16_E_NS1_11comp_targetILNS1_3genE5ELNS1_11target_archE942ELNS1_3gpuE9ELNS1_3repE0EEENS1_30default_config_static_selectorELNS0_4arch9wavefront6targetE0EEEvT1_,comdat
.Lfunc_end271:
	.size	_ZN7rocprim17ROCPRIM_400000_NS6detail17trampoline_kernelINS0_14default_configENS1_25partition_config_selectorILNS1_17partition_subalgoE5ElNS0_10empty_typeEbEEZZNS1_14partition_implILS5_5ELb0ES3_mN6hipcub16HIPCUB_304000_NS21CountingInputIteratorIllEEPS6_NSA_22TransformInputIteratorIbN2at6native12_GLOBAL__N_19NonZeroOpIlEEPKllEENS0_5tupleIJPlS6_EEENSN_IJSD_SD_EEES6_PiJS6_EEE10hipError_tPvRmT3_T4_T5_T6_T7_T9_mT8_P12ihipStream_tbDpT10_ENKUlT_T0_E_clISt17integral_constantIbLb1EES1A_IbLb0EEEEDaS16_S17_EUlS16_E_NS1_11comp_targetILNS1_3genE5ELNS1_11target_archE942ELNS1_3gpuE9ELNS1_3repE0EEENS1_30default_config_static_selectorELNS0_4arch9wavefront6targetE0EEEvT1_, .Lfunc_end271-_ZN7rocprim17ROCPRIM_400000_NS6detail17trampoline_kernelINS0_14default_configENS1_25partition_config_selectorILNS1_17partition_subalgoE5ElNS0_10empty_typeEbEEZZNS1_14partition_implILS5_5ELb0ES3_mN6hipcub16HIPCUB_304000_NS21CountingInputIteratorIllEEPS6_NSA_22TransformInputIteratorIbN2at6native12_GLOBAL__N_19NonZeroOpIlEEPKllEENS0_5tupleIJPlS6_EEENSN_IJSD_SD_EEES6_PiJS6_EEE10hipError_tPvRmT3_T4_T5_T6_T7_T9_mT8_P12ihipStream_tbDpT10_ENKUlT_T0_E_clISt17integral_constantIbLb1EES1A_IbLb0EEEEDaS16_S17_EUlS16_E_NS1_11comp_targetILNS1_3genE5ELNS1_11target_archE942ELNS1_3gpuE9ELNS1_3repE0EEENS1_30default_config_static_selectorELNS0_4arch9wavefront6targetE0EEEvT1_
                                        ; -- End function
	.section	.AMDGPU.csdata,"",@progbits
; Kernel info:
; codeLenInByte = 0
; NumSgprs: 0
; NumVgprs: 0
; ScratchSize: 0
; MemoryBound: 0
; FloatMode: 240
; IeeeMode: 1
; LDSByteSize: 0 bytes/workgroup (compile time only)
; SGPRBlocks: 0
; VGPRBlocks: 0
; NumSGPRsForWavesPerEU: 1
; NumVGPRsForWavesPerEU: 1
; Occupancy: 16
; WaveLimiterHint : 0
; COMPUTE_PGM_RSRC2:SCRATCH_EN: 0
; COMPUTE_PGM_RSRC2:USER_SGPR: 15
; COMPUTE_PGM_RSRC2:TRAP_HANDLER: 0
; COMPUTE_PGM_RSRC2:TGID_X_EN: 1
; COMPUTE_PGM_RSRC2:TGID_Y_EN: 0
; COMPUTE_PGM_RSRC2:TGID_Z_EN: 0
; COMPUTE_PGM_RSRC2:TIDIG_COMP_CNT: 0
	.section	.text._ZN7rocprim17ROCPRIM_400000_NS6detail17trampoline_kernelINS0_14default_configENS1_25partition_config_selectorILNS1_17partition_subalgoE5ElNS0_10empty_typeEbEEZZNS1_14partition_implILS5_5ELb0ES3_mN6hipcub16HIPCUB_304000_NS21CountingInputIteratorIllEEPS6_NSA_22TransformInputIteratorIbN2at6native12_GLOBAL__N_19NonZeroOpIlEEPKllEENS0_5tupleIJPlS6_EEENSN_IJSD_SD_EEES6_PiJS6_EEE10hipError_tPvRmT3_T4_T5_T6_T7_T9_mT8_P12ihipStream_tbDpT10_ENKUlT_T0_E_clISt17integral_constantIbLb1EES1A_IbLb0EEEEDaS16_S17_EUlS16_E_NS1_11comp_targetILNS1_3genE4ELNS1_11target_archE910ELNS1_3gpuE8ELNS1_3repE0EEENS1_30default_config_static_selectorELNS0_4arch9wavefront6targetE0EEEvT1_,"axG",@progbits,_ZN7rocprim17ROCPRIM_400000_NS6detail17trampoline_kernelINS0_14default_configENS1_25partition_config_selectorILNS1_17partition_subalgoE5ElNS0_10empty_typeEbEEZZNS1_14partition_implILS5_5ELb0ES3_mN6hipcub16HIPCUB_304000_NS21CountingInputIteratorIllEEPS6_NSA_22TransformInputIteratorIbN2at6native12_GLOBAL__N_19NonZeroOpIlEEPKllEENS0_5tupleIJPlS6_EEENSN_IJSD_SD_EEES6_PiJS6_EEE10hipError_tPvRmT3_T4_T5_T6_T7_T9_mT8_P12ihipStream_tbDpT10_ENKUlT_T0_E_clISt17integral_constantIbLb1EES1A_IbLb0EEEEDaS16_S17_EUlS16_E_NS1_11comp_targetILNS1_3genE4ELNS1_11target_archE910ELNS1_3gpuE8ELNS1_3repE0EEENS1_30default_config_static_selectorELNS0_4arch9wavefront6targetE0EEEvT1_,comdat
	.globl	_ZN7rocprim17ROCPRIM_400000_NS6detail17trampoline_kernelINS0_14default_configENS1_25partition_config_selectorILNS1_17partition_subalgoE5ElNS0_10empty_typeEbEEZZNS1_14partition_implILS5_5ELb0ES3_mN6hipcub16HIPCUB_304000_NS21CountingInputIteratorIllEEPS6_NSA_22TransformInputIteratorIbN2at6native12_GLOBAL__N_19NonZeroOpIlEEPKllEENS0_5tupleIJPlS6_EEENSN_IJSD_SD_EEES6_PiJS6_EEE10hipError_tPvRmT3_T4_T5_T6_T7_T9_mT8_P12ihipStream_tbDpT10_ENKUlT_T0_E_clISt17integral_constantIbLb1EES1A_IbLb0EEEEDaS16_S17_EUlS16_E_NS1_11comp_targetILNS1_3genE4ELNS1_11target_archE910ELNS1_3gpuE8ELNS1_3repE0EEENS1_30default_config_static_selectorELNS0_4arch9wavefront6targetE0EEEvT1_ ; -- Begin function _ZN7rocprim17ROCPRIM_400000_NS6detail17trampoline_kernelINS0_14default_configENS1_25partition_config_selectorILNS1_17partition_subalgoE5ElNS0_10empty_typeEbEEZZNS1_14partition_implILS5_5ELb0ES3_mN6hipcub16HIPCUB_304000_NS21CountingInputIteratorIllEEPS6_NSA_22TransformInputIteratorIbN2at6native12_GLOBAL__N_19NonZeroOpIlEEPKllEENS0_5tupleIJPlS6_EEENSN_IJSD_SD_EEES6_PiJS6_EEE10hipError_tPvRmT3_T4_T5_T6_T7_T9_mT8_P12ihipStream_tbDpT10_ENKUlT_T0_E_clISt17integral_constantIbLb1EES1A_IbLb0EEEEDaS16_S17_EUlS16_E_NS1_11comp_targetILNS1_3genE4ELNS1_11target_archE910ELNS1_3gpuE8ELNS1_3repE0EEENS1_30default_config_static_selectorELNS0_4arch9wavefront6targetE0EEEvT1_
	.p2align	8
	.type	_ZN7rocprim17ROCPRIM_400000_NS6detail17trampoline_kernelINS0_14default_configENS1_25partition_config_selectorILNS1_17partition_subalgoE5ElNS0_10empty_typeEbEEZZNS1_14partition_implILS5_5ELb0ES3_mN6hipcub16HIPCUB_304000_NS21CountingInputIteratorIllEEPS6_NSA_22TransformInputIteratorIbN2at6native12_GLOBAL__N_19NonZeroOpIlEEPKllEENS0_5tupleIJPlS6_EEENSN_IJSD_SD_EEES6_PiJS6_EEE10hipError_tPvRmT3_T4_T5_T6_T7_T9_mT8_P12ihipStream_tbDpT10_ENKUlT_T0_E_clISt17integral_constantIbLb1EES1A_IbLb0EEEEDaS16_S17_EUlS16_E_NS1_11comp_targetILNS1_3genE4ELNS1_11target_archE910ELNS1_3gpuE8ELNS1_3repE0EEENS1_30default_config_static_selectorELNS0_4arch9wavefront6targetE0EEEvT1_,@function
_ZN7rocprim17ROCPRIM_400000_NS6detail17trampoline_kernelINS0_14default_configENS1_25partition_config_selectorILNS1_17partition_subalgoE5ElNS0_10empty_typeEbEEZZNS1_14partition_implILS5_5ELb0ES3_mN6hipcub16HIPCUB_304000_NS21CountingInputIteratorIllEEPS6_NSA_22TransformInputIteratorIbN2at6native12_GLOBAL__N_19NonZeroOpIlEEPKllEENS0_5tupleIJPlS6_EEENSN_IJSD_SD_EEES6_PiJS6_EEE10hipError_tPvRmT3_T4_T5_T6_T7_T9_mT8_P12ihipStream_tbDpT10_ENKUlT_T0_E_clISt17integral_constantIbLb1EES1A_IbLb0EEEEDaS16_S17_EUlS16_E_NS1_11comp_targetILNS1_3genE4ELNS1_11target_archE910ELNS1_3gpuE8ELNS1_3repE0EEENS1_30default_config_static_selectorELNS0_4arch9wavefront6targetE0EEEvT1_: ; @_ZN7rocprim17ROCPRIM_400000_NS6detail17trampoline_kernelINS0_14default_configENS1_25partition_config_selectorILNS1_17partition_subalgoE5ElNS0_10empty_typeEbEEZZNS1_14partition_implILS5_5ELb0ES3_mN6hipcub16HIPCUB_304000_NS21CountingInputIteratorIllEEPS6_NSA_22TransformInputIteratorIbN2at6native12_GLOBAL__N_19NonZeroOpIlEEPKllEENS0_5tupleIJPlS6_EEENSN_IJSD_SD_EEES6_PiJS6_EEE10hipError_tPvRmT3_T4_T5_T6_T7_T9_mT8_P12ihipStream_tbDpT10_ENKUlT_T0_E_clISt17integral_constantIbLb1EES1A_IbLb0EEEEDaS16_S17_EUlS16_E_NS1_11comp_targetILNS1_3genE4ELNS1_11target_archE910ELNS1_3gpuE8ELNS1_3repE0EEENS1_30default_config_static_selectorELNS0_4arch9wavefront6targetE0EEEvT1_
; %bb.0:
	.section	.rodata,"a",@progbits
	.p2align	6, 0x0
	.amdhsa_kernel _ZN7rocprim17ROCPRIM_400000_NS6detail17trampoline_kernelINS0_14default_configENS1_25partition_config_selectorILNS1_17partition_subalgoE5ElNS0_10empty_typeEbEEZZNS1_14partition_implILS5_5ELb0ES3_mN6hipcub16HIPCUB_304000_NS21CountingInputIteratorIllEEPS6_NSA_22TransformInputIteratorIbN2at6native12_GLOBAL__N_19NonZeroOpIlEEPKllEENS0_5tupleIJPlS6_EEENSN_IJSD_SD_EEES6_PiJS6_EEE10hipError_tPvRmT3_T4_T5_T6_T7_T9_mT8_P12ihipStream_tbDpT10_ENKUlT_T0_E_clISt17integral_constantIbLb1EES1A_IbLb0EEEEDaS16_S17_EUlS16_E_NS1_11comp_targetILNS1_3genE4ELNS1_11target_archE910ELNS1_3gpuE8ELNS1_3repE0EEENS1_30default_config_static_selectorELNS0_4arch9wavefront6targetE0EEEvT1_
		.amdhsa_group_segment_fixed_size 0
		.amdhsa_private_segment_fixed_size 0
		.amdhsa_kernarg_size 120
		.amdhsa_user_sgpr_count 15
		.amdhsa_user_sgpr_dispatch_ptr 0
		.amdhsa_user_sgpr_queue_ptr 0
		.amdhsa_user_sgpr_kernarg_segment_ptr 1
		.amdhsa_user_sgpr_dispatch_id 0
		.amdhsa_user_sgpr_private_segment_size 0
		.amdhsa_wavefront_size32 1
		.amdhsa_uses_dynamic_stack 0
		.amdhsa_enable_private_segment 0
		.amdhsa_system_sgpr_workgroup_id_x 1
		.amdhsa_system_sgpr_workgroup_id_y 0
		.amdhsa_system_sgpr_workgroup_id_z 0
		.amdhsa_system_sgpr_workgroup_info 0
		.amdhsa_system_vgpr_workitem_id 0
		.amdhsa_next_free_vgpr 1
		.amdhsa_next_free_sgpr 1
		.amdhsa_reserve_vcc 0
		.amdhsa_float_round_mode_32 0
		.amdhsa_float_round_mode_16_64 0
		.amdhsa_float_denorm_mode_32 3
		.amdhsa_float_denorm_mode_16_64 3
		.amdhsa_dx10_clamp 1
		.amdhsa_ieee_mode 1
		.amdhsa_fp16_overflow 0
		.amdhsa_workgroup_processor_mode 1
		.amdhsa_memory_ordered 1
		.amdhsa_forward_progress 0
		.amdhsa_shared_vgpr_count 0
		.amdhsa_exception_fp_ieee_invalid_op 0
		.amdhsa_exception_fp_denorm_src 0
		.amdhsa_exception_fp_ieee_div_zero 0
		.amdhsa_exception_fp_ieee_overflow 0
		.amdhsa_exception_fp_ieee_underflow 0
		.amdhsa_exception_fp_ieee_inexact 0
		.amdhsa_exception_int_div_zero 0
	.end_amdhsa_kernel
	.section	.text._ZN7rocprim17ROCPRIM_400000_NS6detail17trampoline_kernelINS0_14default_configENS1_25partition_config_selectorILNS1_17partition_subalgoE5ElNS0_10empty_typeEbEEZZNS1_14partition_implILS5_5ELb0ES3_mN6hipcub16HIPCUB_304000_NS21CountingInputIteratorIllEEPS6_NSA_22TransformInputIteratorIbN2at6native12_GLOBAL__N_19NonZeroOpIlEEPKllEENS0_5tupleIJPlS6_EEENSN_IJSD_SD_EEES6_PiJS6_EEE10hipError_tPvRmT3_T4_T5_T6_T7_T9_mT8_P12ihipStream_tbDpT10_ENKUlT_T0_E_clISt17integral_constantIbLb1EES1A_IbLb0EEEEDaS16_S17_EUlS16_E_NS1_11comp_targetILNS1_3genE4ELNS1_11target_archE910ELNS1_3gpuE8ELNS1_3repE0EEENS1_30default_config_static_selectorELNS0_4arch9wavefront6targetE0EEEvT1_,"axG",@progbits,_ZN7rocprim17ROCPRIM_400000_NS6detail17trampoline_kernelINS0_14default_configENS1_25partition_config_selectorILNS1_17partition_subalgoE5ElNS0_10empty_typeEbEEZZNS1_14partition_implILS5_5ELb0ES3_mN6hipcub16HIPCUB_304000_NS21CountingInputIteratorIllEEPS6_NSA_22TransformInputIteratorIbN2at6native12_GLOBAL__N_19NonZeroOpIlEEPKllEENS0_5tupleIJPlS6_EEENSN_IJSD_SD_EEES6_PiJS6_EEE10hipError_tPvRmT3_T4_T5_T6_T7_T9_mT8_P12ihipStream_tbDpT10_ENKUlT_T0_E_clISt17integral_constantIbLb1EES1A_IbLb0EEEEDaS16_S17_EUlS16_E_NS1_11comp_targetILNS1_3genE4ELNS1_11target_archE910ELNS1_3gpuE8ELNS1_3repE0EEENS1_30default_config_static_selectorELNS0_4arch9wavefront6targetE0EEEvT1_,comdat
.Lfunc_end272:
	.size	_ZN7rocprim17ROCPRIM_400000_NS6detail17trampoline_kernelINS0_14default_configENS1_25partition_config_selectorILNS1_17partition_subalgoE5ElNS0_10empty_typeEbEEZZNS1_14partition_implILS5_5ELb0ES3_mN6hipcub16HIPCUB_304000_NS21CountingInputIteratorIllEEPS6_NSA_22TransformInputIteratorIbN2at6native12_GLOBAL__N_19NonZeroOpIlEEPKllEENS0_5tupleIJPlS6_EEENSN_IJSD_SD_EEES6_PiJS6_EEE10hipError_tPvRmT3_T4_T5_T6_T7_T9_mT8_P12ihipStream_tbDpT10_ENKUlT_T0_E_clISt17integral_constantIbLb1EES1A_IbLb0EEEEDaS16_S17_EUlS16_E_NS1_11comp_targetILNS1_3genE4ELNS1_11target_archE910ELNS1_3gpuE8ELNS1_3repE0EEENS1_30default_config_static_selectorELNS0_4arch9wavefront6targetE0EEEvT1_, .Lfunc_end272-_ZN7rocprim17ROCPRIM_400000_NS6detail17trampoline_kernelINS0_14default_configENS1_25partition_config_selectorILNS1_17partition_subalgoE5ElNS0_10empty_typeEbEEZZNS1_14partition_implILS5_5ELb0ES3_mN6hipcub16HIPCUB_304000_NS21CountingInputIteratorIllEEPS6_NSA_22TransformInputIteratorIbN2at6native12_GLOBAL__N_19NonZeroOpIlEEPKllEENS0_5tupleIJPlS6_EEENSN_IJSD_SD_EEES6_PiJS6_EEE10hipError_tPvRmT3_T4_T5_T6_T7_T9_mT8_P12ihipStream_tbDpT10_ENKUlT_T0_E_clISt17integral_constantIbLb1EES1A_IbLb0EEEEDaS16_S17_EUlS16_E_NS1_11comp_targetILNS1_3genE4ELNS1_11target_archE910ELNS1_3gpuE8ELNS1_3repE0EEENS1_30default_config_static_selectorELNS0_4arch9wavefront6targetE0EEEvT1_
                                        ; -- End function
	.section	.AMDGPU.csdata,"",@progbits
; Kernel info:
; codeLenInByte = 0
; NumSgprs: 0
; NumVgprs: 0
; ScratchSize: 0
; MemoryBound: 0
; FloatMode: 240
; IeeeMode: 1
; LDSByteSize: 0 bytes/workgroup (compile time only)
; SGPRBlocks: 0
; VGPRBlocks: 0
; NumSGPRsForWavesPerEU: 1
; NumVGPRsForWavesPerEU: 1
; Occupancy: 15
; WaveLimiterHint : 0
; COMPUTE_PGM_RSRC2:SCRATCH_EN: 0
; COMPUTE_PGM_RSRC2:USER_SGPR: 15
; COMPUTE_PGM_RSRC2:TRAP_HANDLER: 0
; COMPUTE_PGM_RSRC2:TGID_X_EN: 1
; COMPUTE_PGM_RSRC2:TGID_Y_EN: 0
; COMPUTE_PGM_RSRC2:TGID_Z_EN: 0
; COMPUTE_PGM_RSRC2:TIDIG_COMP_CNT: 0
	.section	.text._ZN7rocprim17ROCPRIM_400000_NS6detail17trampoline_kernelINS0_14default_configENS1_25partition_config_selectorILNS1_17partition_subalgoE5ElNS0_10empty_typeEbEEZZNS1_14partition_implILS5_5ELb0ES3_mN6hipcub16HIPCUB_304000_NS21CountingInputIteratorIllEEPS6_NSA_22TransformInputIteratorIbN2at6native12_GLOBAL__N_19NonZeroOpIlEEPKllEENS0_5tupleIJPlS6_EEENSN_IJSD_SD_EEES6_PiJS6_EEE10hipError_tPvRmT3_T4_T5_T6_T7_T9_mT8_P12ihipStream_tbDpT10_ENKUlT_T0_E_clISt17integral_constantIbLb1EES1A_IbLb0EEEEDaS16_S17_EUlS16_E_NS1_11comp_targetILNS1_3genE3ELNS1_11target_archE908ELNS1_3gpuE7ELNS1_3repE0EEENS1_30default_config_static_selectorELNS0_4arch9wavefront6targetE0EEEvT1_,"axG",@progbits,_ZN7rocprim17ROCPRIM_400000_NS6detail17trampoline_kernelINS0_14default_configENS1_25partition_config_selectorILNS1_17partition_subalgoE5ElNS0_10empty_typeEbEEZZNS1_14partition_implILS5_5ELb0ES3_mN6hipcub16HIPCUB_304000_NS21CountingInputIteratorIllEEPS6_NSA_22TransformInputIteratorIbN2at6native12_GLOBAL__N_19NonZeroOpIlEEPKllEENS0_5tupleIJPlS6_EEENSN_IJSD_SD_EEES6_PiJS6_EEE10hipError_tPvRmT3_T4_T5_T6_T7_T9_mT8_P12ihipStream_tbDpT10_ENKUlT_T0_E_clISt17integral_constantIbLb1EES1A_IbLb0EEEEDaS16_S17_EUlS16_E_NS1_11comp_targetILNS1_3genE3ELNS1_11target_archE908ELNS1_3gpuE7ELNS1_3repE0EEENS1_30default_config_static_selectorELNS0_4arch9wavefront6targetE0EEEvT1_,comdat
	.globl	_ZN7rocprim17ROCPRIM_400000_NS6detail17trampoline_kernelINS0_14default_configENS1_25partition_config_selectorILNS1_17partition_subalgoE5ElNS0_10empty_typeEbEEZZNS1_14partition_implILS5_5ELb0ES3_mN6hipcub16HIPCUB_304000_NS21CountingInputIteratorIllEEPS6_NSA_22TransformInputIteratorIbN2at6native12_GLOBAL__N_19NonZeroOpIlEEPKllEENS0_5tupleIJPlS6_EEENSN_IJSD_SD_EEES6_PiJS6_EEE10hipError_tPvRmT3_T4_T5_T6_T7_T9_mT8_P12ihipStream_tbDpT10_ENKUlT_T0_E_clISt17integral_constantIbLb1EES1A_IbLb0EEEEDaS16_S17_EUlS16_E_NS1_11comp_targetILNS1_3genE3ELNS1_11target_archE908ELNS1_3gpuE7ELNS1_3repE0EEENS1_30default_config_static_selectorELNS0_4arch9wavefront6targetE0EEEvT1_ ; -- Begin function _ZN7rocprim17ROCPRIM_400000_NS6detail17trampoline_kernelINS0_14default_configENS1_25partition_config_selectorILNS1_17partition_subalgoE5ElNS0_10empty_typeEbEEZZNS1_14partition_implILS5_5ELb0ES3_mN6hipcub16HIPCUB_304000_NS21CountingInputIteratorIllEEPS6_NSA_22TransformInputIteratorIbN2at6native12_GLOBAL__N_19NonZeroOpIlEEPKllEENS0_5tupleIJPlS6_EEENSN_IJSD_SD_EEES6_PiJS6_EEE10hipError_tPvRmT3_T4_T5_T6_T7_T9_mT8_P12ihipStream_tbDpT10_ENKUlT_T0_E_clISt17integral_constantIbLb1EES1A_IbLb0EEEEDaS16_S17_EUlS16_E_NS1_11comp_targetILNS1_3genE3ELNS1_11target_archE908ELNS1_3gpuE7ELNS1_3repE0EEENS1_30default_config_static_selectorELNS0_4arch9wavefront6targetE0EEEvT1_
	.p2align	8
	.type	_ZN7rocprim17ROCPRIM_400000_NS6detail17trampoline_kernelINS0_14default_configENS1_25partition_config_selectorILNS1_17partition_subalgoE5ElNS0_10empty_typeEbEEZZNS1_14partition_implILS5_5ELb0ES3_mN6hipcub16HIPCUB_304000_NS21CountingInputIteratorIllEEPS6_NSA_22TransformInputIteratorIbN2at6native12_GLOBAL__N_19NonZeroOpIlEEPKllEENS0_5tupleIJPlS6_EEENSN_IJSD_SD_EEES6_PiJS6_EEE10hipError_tPvRmT3_T4_T5_T6_T7_T9_mT8_P12ihipStream_tbDpT10_ENKUlT_T0_E_clISt17integral_constantIbLb1EES1A_IbLb0EEEEDaS16_S17_EUlS16_E_NS1_11comp_targetILNS1_3genE3ELNS1_11target_archE908ELNS1_3gpuE7ELNS1_3repE0EEENS1_30default_config_static_selectorELNS0_4arch9wavefront6targetE0EEEvT1_,@function
_ZN7rocprim17ROCPRIM_400000_NS6detail17trampoline_kernelINS0_14default_configENS1_25partition_config_selectorILNS1_17partition_subalgoE5ElNS0_10empty_typeEbEEZZNS1_14partition_implILS5_5ELb0ES3_mN6hipcub16HIPCUB_304000_NS21CountingInputIteratorIllEEPS6_NSA_22TransformInputIteratorIbN2at6native12_GLOBAL__N_19NonZeroOpIlEEPKllEENS0_5tupleIJPlS6_EEENSN_IJSD_SD_EEES6_PiJS6_EEE10hipError_tPvRmT3_T4_T5_T6_T7_T9_mT8_P12ihipStream_tbDpT10_ENKUlT_T0_E_clISt17integral_constantIbLb1EES1A_IbLb0EEEEDaS16_S17_EUlS16_E_NS1_11comp_targetILNS1_3genE3ELNS1_11target_archE908ELNS1_3gpuE7ELNS1_3repE0EEENS1_30default_config_static_selectorELNS0_4arch9wavefront6targetE0EEEvT1_: ; @_ZN7rocprim17ROCPRIM_400000_NS6detail17trampoline_kernelINS0_14default_configENS1_25partition_config_selectorILNS1_17partition_subalgoE5ElNS0_10empty_typeEbEEZZNS1_14partition_implILS5_5ELb0ES3_mN6hipcub16HIPCUB_304000_NS21CountingInputIteratorIllEEPS6_NSA_22TransformInputIteratorIbN2at6native12_GLOBAL__N_19NonZeroOpIlEEPKllEENS0_5tupleIJPlS6_EEENSN_IJSD_SD_EEES6_PiJS6_EEE10hipError_tPvRmT3_T4_T5_T6_T7_T9_mT8_P12ihipStream_tbDpT10_ENKUlT_T0_E_clISt17integral_constantIbLb1EES1A_IbLb0EEEEDaS16_S17_EUlS16_E_NS1_11comp_targetILNS1_3genE3ELNS1_11target_archE908ELNS1_3gpuE7ELNS1_3repE0EEENS1_30default_config_static_selectorELNS0_4arch9wavefront6targetE0EEEvT1_
; %bb.0:
	.section	.rodata,"a",@progbits
	.p2align	6, 0x0
	.amdhsa_kernel _ZN7rocprim17ROCPRIM_400000_NS6detail17trampoline_kernelINS0_14default_configENS1_25partition_config_selectorILNS1_17partition_subalgoE5ElNS0_10empty_typeEbEEZZNS1_14partition_implILS5_5ELb0ES3_mN6hipcub16HIPCUB_304000_NS21CountingInputIteratorIllEEPS6_NSA_22TransformInputIteratorIbN2at6native12_GLOBAL__N_19NonZeroOpIlEEPKllEENS0_5tupleIJPlS6_EEENSN_IJSD_SD_EEES6_PiJS6_EEE10hipError_tPvRmT3_T4_T5_T6_T7_T9_mT8_P12ihipStream_tbDpT10_ENKUlT_T0_E_clISt17integral_constantIbLb1EES1A_IbLb0EEEEDaS16_S17_EUlS16_E_NS1_11comp_targetILNS1_3genE3ELNS1_11target_archE908ELNS1_3gpuE7ELNS1_3repE0EEENS1_30default_config_static_selectorELNS0_4arch9wavefront6targetE0EEEvT1_
		.amdhsa_group_segment_fixed_size 0
		.amdhsa_private_segment_fixed_size 0
		.amdhsa_kernarg_size 120
		.amdhsa_user_sgpr_count 15
		.amdhsa_user_sgpr_dispatch_ptr 0
		.amdhsa_user_sgpr_queue_ptr 0
		.amdhsa_user_sgpr_kernarg_segment_ptr 1
		.amdhsa_user_sgpr_dispatch_id 0
		.amdhsa_user_sgpr_private_segment_size 0
		.amdhsa_wavefront_size32 1
		.amdhsa_uses_dynamic_stack 0
		.amdhsa_enable_private_segment 0
		.amdhsa_system_sgpr_workgroup_id_x 1
		.amdhsa_system_sgpr_workgroup_id_y 0
		.amdhsa_system_sgpr_workgroup_id_z 0
		.amdhsa_system_sgpr_workgroup_info 0
		.amdhsa_system_vgpr_workitem_id 0
		.amdhsa_next_free_vgpr 1
		.amdhsa_next_free_sgpr 1
		.amdhsa_reserve_vcc 0
		.amdhsa_float_round_mode_32 0
		.amdhsa_float_round_mode_16_64 0
		.amdhsa_float_denorm_mode_32 3
		.amdhsa_float_denorm_mode_16_64 3
		.amdhsa_dx10_clamp 1
		.amdhsa_ieee_mode 1
		.amdhsa_fp16_overflow 0
		.amdhsa_workgroup_processor_mode 1
		.amdhsa_memory_ordered 1
		.amdhsa_forward_progress 0
		.amdhsa_shared_vgpr_count 0
		.amdhsa_exception_fp_ieee_invalid_op 0
		.amdhsa_exception_fp_denorm_src 0
		.amdhsa_exception_fp_ieee_div_zero 0
		.amdhsa_exception_fp_ieee_overflow 0
		.amdhsa_exception_fp_ieee_underflow 0
		.amdhsa_exception_fp_ieee_inexact 0
		.amdhsa_exception_int_div_zero 0
	.end_amdhsa_kernel
	.section	.text._ZN7rocprim17ROCPRIM_400000_NS6detail17trampoline_kernelINS0_14default_configENS1_25partition_config_selectorILNS1_17partition_subalgoE5ElNS0_10empty_typeEbEEZZNS1_14partition_implILS5_5ELb0ES3_mN6hipcub16HIPCUB_304000_NS21CountingInputIteratorIllEEPS6_NSA_22TransformInputIteratorIbN2at6native12_GLOBAL__N_19NonZeroOpIlEEPKllEENS0_5tupleIJPlS6_EEENSN_IJSD_SD_EEES6_PiJS6_EEE10hipError_tPvRmT3_T4_T5_T6_T7_T9_mT8_P12ihipStream_tbDpT10_ENKUlT_T0_E_clISt17integral_constantIbLb1EES1A_IbLb0EEEEDaS16_S17_EUlS16_E_NS1_11comp_targetILNS1_3genE3ELNS1_11target_archE908ELNS1_3gpuE7ELNS1_3repE0EEENS1_30default_config_static_selectorELNS0_4arch9wavefront6targetE0EEEvT1_,"axG",@progbits,_ZN7rocprim17ROCPRIM_400000_NS6detail17trampoline_kernelINS0_14default_configENS1_25partition_config_selectorILNS1_17partition_subalgoE5ElNS0_10empty_typeEbEEZZNS1_14partition_implILS5_5ELb0ES3_mN6hipcub16HIPCUB_304000_NS21CountingInputIteratorIllEEPS6_NSA_22TransformInputIteratorIbN2at6native12_GLOBAL__N_19NonZeroOpIlEEPKllEENS0_5tupleIJPlS6_EEENSN_IJSD_SD_EEES6_PiJS6_EEE10hipError_tPvRmT3_T4_T5_T6_T7_T9_mT8_P12ihipStream_tbDpT10_ENKUlT_T0_E_clISt17integral_constantIbLb1EES1A_IbLb0EEEEDaS16_S17_EUlS16_E_NS1_11comp_targetILNS1_3genE3ELNS1_11target_archE908ELNS1_3gpuE7ELNS1_3repE0EEENS1_30default_config_static_selectorELNS0_4arch9wavefront6targetE0EEEvT1_,comdat
.Lfunc_end273:
	.size	_ZN7rocprim17ROCPRIM_400000_NS6detail17trampoline_kernelINS0_14default_configENS1_25partition_config_selectorILNS1_17partition_subalgoE5ElNS0_10empty_typeEbEEZZNS1_14partition_implILS5_5ELb0ES3_mN6hipcub16HIPCUB_304000_NS21CountingInputIteratorIllEEPS6_NSA_22TransformInputIteratorIbN2at6native12_GLOBAL__N_19NonZeroOpIlEEPKllEENS0_5tupleIJPlS6_EEENSN_IJSD_SD_EEES6_PiJS6_EEE10hipError_tPvRmT3_T4_T5_T6_T7_T9_mT8_P12ihipStream_tbDpT10_ENKUlT_T0_E_clISt17integral_constantIbLb1EES1A_IbLb0EEEEDaS16_S17_EUlS16_E_NS1_11comp_targetILNS1_3genE3ELNS1_11target_archE908ELNS1_3gpuE7ELNS1_3repE0EEENS1_30default_config_static_selectorELNS0_4arch9wavefront6targetE0EEEvT1_, .Lfunc_end273-_ZN7rocprim17ROCPRIM_400000_NS6detail17trampoline_kernelINS0_14default_configENS1_25partition_config_selectorILNS1_17partition_subalgoE5ElNS0_10empty_typeEbEEZZNS1_14partition_implILS5_5ELb0ES3_mN6hipcub16HIPCUB_304000_NS21CountingInputIteratorIllEEPS6_NSA_22TransformInputIteratorIbN2at6native12_GLOBAL__N_19NonZeroOpIlEEPKllEENS0_5tupleIJPlS6_EEENSN_IJSD_SD_EEES6_PiJS6_EEE10hipError_tPvRmT3_T4_T5_T6_T7_T9_mT8_P12ihipStream_tbDpT10_ENKUlT_T0_E_clISt17integral_constantIbLb1EES1A_IbLb0EEEEDaS16_S17_EUlS16_E_NS1_11comp_targetILNS1_3genE3ELNS1_11target_archE908ELNS1_3gpuE7ELNS1_3repE0EEENS1_30default_config_static_selectorELNS0_4arch9wavefront6targetE0EEEvT1_
                                        ; -- End function
	.section	.AMDGPU.csdata,"",@progbits
; Kernel info:
; codeLenInByte = 0
; NumSgprs: 0
; NumVgprs: 0
; ScratchSize: 0
; MemoryBound: 0
; FloatMode: 240
; IeeeMode: 1
; LDSByteSize: 0 bytes/workgroup (compile time only)
; SGPRBlocks: 0
; VGPRBlocks: 0
; NumSGPRsForWavesPerEU: 1
; NumVGPRsForWavesPerEU: 1
; Occupancy: 16
; WaveLimiterHint : 0
; COMPUTE_PGM_RSRC2:SCRATCH_EN: 0
; COMPUTE_PGM_RSRC2:USER_SGPR: 15
; COMPUTE_PGM_RSRC2:TRAP_HANDLER: 0
; COMPUTE_PGM_RSRC2:TGID_X_EN: 1
; COMPUTE_PGM_RSRC2:TGID_Y_EN: 0
; COMPUTE_PGM_RSRC2:TGID_Z_EN: 0
; COMPUTE_PGM_RSRC2:TIDIG_COMP_CNT: 0
	.section	.text._ZN7rocprim17ROCPRIM_400000_NS6detail17trampoline_kernelINS0_14default_configENS1_25partition_config_selectorILNS1_17partition_subalgoE5ElNS0_10empty_typeEbEEZZNS1_14partition_implILS5_5ELb0ES3_mN6hipcub16HIPCUB_304000_NS21CountingInputIteratorIllEEPS6_NSA_22TransformInputIteratorIbN2at6native12_GLOBAL__N_19NonZeroOpIlEEPKllEENS0_5tupleIJPlS6_EEENSN_IJSD_SD_EEES6_PiJS6_EEE10hipError_tPvRmT3_T4_T5_T6_T7_T9_mT8_P12ihipStream_tbDpT10_ENKUlT_T0_E_clISt17integral_constantIbLb1EES1A_IbLb0EEEEDaS16_S17_EUlS16_E_NS1_11comp_targetILNS1_3genE2ELNS1_11target_archE906ELNS1_3gpuE6ELNS1_3repE0EEENS1_30default_config_static_selectorELNS0_4arch9wavefront6targetE0EEEvT1_,"axG",@progbits,_ZN7rocprim17ROCPRIM_400000_NS6detail17trampoline_kernelINS0_14default_configENS1_25partition_config_selectorILNS1_17partition_subalgoE5ElNS0_10empty_typeEbEEZZNS1_14partition_implILS5_5ELb0ES3_mN6hipcub16HIPCUB_304000_NS21CountingInputIteratorIllEEPS6_NSA_22TransformInputIteratorIbN2at6native12_GLOBAL__N_19NonZeroOpIlEEPKllEENS0_5tupleIJPlS6_EEENSN_IJSD_SD_EEES6_PiJS6_EEE10hipError_tPvRmT3_T4_T5_T6_T7_T9_mT8_P12ihipStream_tbDpT10_ENKUlT_T0_E_clISt17integral_constantIbLb1EES1A_IbLb0EEEEDaS16_S17_EUlS16_E_NS1_11comp_targetILNS1_3genE2ELNS1_11target_archE906ELNS1_3gpuE6ELNS1_3repE0EEENS1_30default_config_static_selectorELNS0_4arch9wavefront6targetE0EEEvT1_,comdat
	.globl	_ZN7rocprim17ROCPRIM_400000_NS6detail17trampoline_kernelINS0_14default_configENS1_25partition_config_selectorILNS1_17partition_subalgoE5ElNS0_10empty_typeEbEEZZNS1_14partition_implILS5_5ELb0ES3_mN6hipcub16HIPCUB_304000_NS21CountingInputIteratorIllEEPS6_NSA_22TransformInputIteratorIbN2at6native12_GLOBAL__N_19NonZeroOpIlEEPKllEENS0_5tupleIJPlS6_EEENSN_IJSD_SD_EEES6_PiJS6_EEE10hipError_tPvRmT3_T4_T5_T6_T7_T9_mT8_P12ihipStream_tbDpT10_ENKUlT_T0_E_clISt17integral_constantIbLb1EES1A_IbLb0EEEEDaS16_S17_EUlS16_E_NS1_11comp_targetILNS1_3genE2ELNS1_11target_archE906ELNS1_3gpuE6ELNS1_3repE0EEENS1_30default_config_static_selectorELNS0_4arch9wavefront6targetE0EEEvT1_ ; -- Begin function _ZN7rocprim17ROCPRIM_400000_NS6detail17trampoline_kernelINS0_14default_configENS1_25partition_config_selectorILNS1_17partition_subalgoE5ElNS0_10empty_typeEbEEZZNS1_14partition_implILS5_5ELb0ES3_mN6hipcub16HIPCUB_304000_NS21CountingInputIteratorIllEEPS6_NSA_22TransformInputIteratorIbN2at6native12_GLOBAL__N_19NonZeroOpIlEEPKllEENS0_5tupleIJPlS6_EEENSN_IJSD_SD_EEES6_PiJS6_EEE10hipError_tPvRmT3_T4_T5_T6_T7_T9_mT8_P12ihipStream_tbDpT10_ENKUlT_T0_E_clISt17integral_constantIbLb1EES1A_IbLb0EEEEDaS16_S17_EUlS16_E_NS1_11comp_targetILNS1_3genE2ELNS1_11target_archE906ELNS1_3gpuE6ELNS1_3repE0EEENS1_30default_config_static_selectorELNS0_4arch9wavefront6targetE0EEEvT1_
	.p2align	8
	.type	_ZN7rocprim17ROCPRIM_400000_NS6detail17trampoline_kernelINS0_14default_configENS1_25partition_config_selectorILNS1_17partition_subalgoE5ElNS0_10empty_typeEbEEZZNS1_14partition_implILS5_5ELb0ES3_mN6hipcub16HIPCUB_304000_NS21CountingInputIteratorIllEEPS6_NSA_22TransformInputIteratorIbN2at6native12_GLOBAL__N_19NonZeroOpIlEEPKllEENS0_5tupleIJPlS6_EEENSN_IJSD_SD_EEES6_PiJS6_EEE10hipError_tPvRmT3_T4_T5_T6_T7_T9_mT8_P12ihipStream_tbDpT10_ENKUlT_T0_E_clISt17integral_constantIbLb1EES1A_IbLb0EEEEDaS16_S17_EUlS16_E_NS1_11comp_targetILNS1_3genE2ELNS1_11target_archE906ELNS1_3gpuE6ELNS1_3repE0EEENS1_30default_config_static_selectorELNS0_4arch9wavefront6targetE0EEEvT1_,@function
_ZN7rocprim17ROCPRIM_400000_NS6detail17trampoline_kernelINS0_14default_configENS1_25partition_config_selectorILNS1_17partition_subalgoE5ElNS0_10empty_typeEbEEZZNS1_14partition_implILS5_5ELb0ES3_mN6hipcub16HIPCUB_304000_NS21CountingInputIteratorIllEEPS6_NSA_22TransformInputIteratorIbN2at6native12_GLOBAL__N_19NonZeroOpIlEEPKllEENS0_5tupleIJPlS6_EEENSN_IJSD_SD_EEES6_PiJS6_EEE10hipError_tPvRmT3_T4_T5_T6_T7_T9_mT8_P12ihipStream_tbDpT10_ENKUlT_T0_E_clISt17integral_constantIbLb1EES1A_IbLb0EEEEDaS16_S17_EUlS16_E_NS1_11comp_targetILNS1_3genE2ELNS1_11target_archE906ELNS1_3gpuE6ELNS1_3repE0EEENS1_30default_config_static_selectorELNS0_4arch9wavefront6targetE0EEEvT1_: ; @_ZN7rocprim17ROCPRIM_400000_NS6detail17trampoline_kernelINS0_14default_configENS1_25partition_config_selectorILNS1_17partition_subalgoE5ElNS0_10empty_typeEbEEZZNS1_14partition_implILS5_5ELb0ES3_mN6hipcub16HIPCUB_304000_NS21CountingInputIteratorIllEEPS6_NSA_22TransformInputIteratorIbN2at6native12_GLOBAL__N_19NonZeroOpIlEEPKllEENS0_5tupleIJPlS6_EEENSN_IJSD_SD_EEES6_PiJS6_EEE10hipError_tPvRmT3_T4_T5_T6_T7_T9_mT8_P12ihipStream_tbDpT10_ENKUlT_T0_E_clISt17integral_constantIbLb1EES1A_IbLb0EEEEDaS16_S17_EUlS16_E_NS1_11comp_targetILNS1_3genE2ELNS1_11target_archE906ELNS1_3gpuE6ELNS1_3repE0EEENS1_30default_config_static_selectorELNS0_4arch9wavefront6targetE0EEEvT1_
; %bb.0:
	.section	.rodata,"a",@progbits
	.p2align	6, 0x0
	.amdhsa_kernel _ZN7rocprim17ROCPRIM_400000_NS6detail17trampoline_kernelINS0_14default_configENS1_25partition_config_selectorILNS1_17partition_subalgoE5ElNS0_10empty_typeEbEEZZNS1_14partition_implILS5_5ELb0ES3_mN6hipcub16HIPCUB_304000_NS21CountingInputIteratorIllEEPS6_NSA_22TransformInputIteratorIbN2at6native12_GLOBAL__N_19NonZeroOpIlEEPKllEENS0_5tupleIJPlS6_EEENSN_IJSD_SD_EEES6_PiJS6_EEE10hipError_tPvRmT3_T4_T5_T6_T7_T9_mT8_P12ihipStream_tbDpT10_ENKUlT_T0_E_clISt17integral_constantIbLb1EES1A_IbLb0EEEEDaS16_S17_EUlS16_E_NS1_11comp_targetILNS1_3genE2ELNS1_11target_archE906ELNS1_3gpuE6ELNS1_3repE0EEENS1_30default_config_static_selectorELNS0_4arch9wavefront6targetE0EEEvT1_
		.amdhsa_group_segment_fixed_size 0
		.amdhsa_private_segment_fixed_size 0
		.amdhsa_kernarg_size 120
		.amdhsa_user_sgpr_count 15
		.amdhsa_user_sgpr_dispatch_ptr 0
		.amdhsa_user_sgpr_queue_ptr 0
		.amdhsa_user_sgpr_kernarg_segment_ptr 1
		.amdhsa_user_sgpr_dispatch_id 0
		.amdhsa_user_sgpr_private_segment_size 0
		.amdhsa_wavefront_size32 1
		.amdhsa_uses_dynamic_stack 0
		.amdhsa_enable_private_segment 0
		.amdhsa_system_sgpr_workgroup_id_x 1
		.amdhsa_system_sgpr_workgroup_id_y 0
		.amdhsa_system_sgpr_workgroup_id_z 0
		.amdhsa_system_sgpr_workgroup_info 0
		.amdhsa_system_vgpr_workitem_id 0
		.amdhsa_next_free_vgpr 1
		.amdhsa_next_free_sgpr 1
		.amdhsa_reserve_vcc 0
		.amdhsa_float_round_mode_32 0
		.amdhsa_float_round_mode_16_64 0
		.amdhsa_float_denorm_mode_32 3
		.amdhsa_float_denorm_mode_16_64 3
		.amdhsa_dx10_clamp 1
		.amdhsa_ieee_mode 1
		.amdhsa_fp16_overflow 0
		.amdhsa_workgroup_processor_mode 1
		.amdhsa_memory_ordered 1
		.amdhsa_forward_progress 0
		.amdhsa_shared_vgpr_count 0
		.amdhsa_exception_fp_ieee_invalid_op 0
		.amdhsa_exception_fp_denorm_src 0
		.amdhsa_exception_fp_ieee_div_zero 0
		.amdhsa_exception_fp_ieee_overflow 0
		.amdhsa_exception_fp_ieee_underflow 0
		.amdhsa_exception_fp_ieee_inexact 0
		.amdhsa_exception_int_div_zero 0
	.end_amdhsa_kernel
	.section	.text._ZN7rocprim17ROCPRIM_400000_NS6detail17trampoline_kernelINS0_14default_configENS1_25partition_config_selectorILNS1_17partition_subalgoE5ElNS0_10empty_typeEbEEZZNS1_14partition_implILS5_5ELb0ES3_mN6hipcub16HIPCUB_304000_NS21CountingInputIteratorIllEEPS6_NSA_22TransformInputIteratorIbN2at6native12_GLOBAL__N_19NonZeroOpIlEEPKllEENS0_5tupleIJPlS6_EEENSN_IJSD_SD_EEES6_PiJS6_EEE10hipError_tPvRmT3_T4_T5_T6_T7_T9_mT8_P12ihipStream_tbDpT10_ENKUlT_T0_E_clISt17integral_constantIbLb1EES1A_IbLb0EEEEDaS16_S17_EUlS16_E_NS1_11comp_targetILNS1_3genE2ELNS1_11target_archE906ELNS1_3gpuE6ELNS1_3repE0EEENS1_30default_config_static_selectorELNS0_4arch9wavefront6targetE0EEEvT1_,"axG",@progbits,_ZN7rocprim17ROCPRIM_400000_NS6detail17trampoline_kernelINS0_14default_configENS1_25partition_config_selectorILNS1_17partition_subalgoE5ElNS0_10empty_typeEbEEZZNS1_14partition_implILS5_5ELb0ES3_mN6hipcub16HIPCUB_304000_NS21CountingInputIteratorIllEEPS6_NSA_22TransformInputIteratorIbN2at6native12_GLOBAL__N_19NonZeroOpIlEEPKllEENS0_5tupleIJPlS6_EEENSN_IJSD_SD_EEES6_PiJS6_EEE10hipError_tPvRmT3_T4_T5_T6_T7_T9_mT8_P12ihipStream_tbDpT10_ENKUlT_T0_E_clISt17integral_constantIbLb1EES1A_IbLb0EEEEDaS16_S17_EUlS16_E_NS1_11comp_targetILNS1_3genE2ELNS1_11target_archE906ELNS1_3gpuE6ELNS1_3repE0EEENS1_30default_config_static_selectorELNS0_4arch9wavefront6targetE0EEEvT1_,comdat
.Lfunc_end274:
	.size	_ZN7rocprim17ROCPRIM_400000_NS6detail17trampoline_kernelINS0_14default_configENS1_25partition_config_selectorILNS1_17partition_subalgoE5ElNS0_10empty_typeEbEEZZNS1_14partition_implILS5_5ELb0ES3_mN6hipcub16HIPCUB_304000_NS21CountingInputIteratorIllEEPS6_NSA_22TransformInputIteratorIbN2at6native12_GLOBAL__N_19NonZeroOpIlEEPKllEENS0_5tupleIJPlS6_EEENSN_IJSD_SD_EEES6_PiJS6_EEE10hipError_tPvRmT3_T4_T5_T6_T7_T9_mT8_P12ihipStream_tbDpT10_ENKUlT_T0_E_clISt17integral_constantIbLb1EES1A_IbLb0EEEEDaS16_S17_EUlS16_E_NS1_11comp_targetILNS1_3genE2ELNS1_11target_archE906ELNS1_3gpuE6ELNS1_3repE0EEENS1_30default_config_static_selectorELNS0_4arch9wavefront6targetE0EEEvT1_, .Lfunc_end274-_ZN7rocprim17ROCPRIM_400000_NS6detail17trampoline_kernelINS0_14default_configENS1_25partition_config_selectorILNS1_17partition_subalgoE5ElNS0_10empty_typeEbEEZZNS1_14partition_implILS5_5ELb0ES3_mN6hipcub16HIPCUB_304000_NS21CountingInputIteratorIllEEPS6_NSA_22TransformInputIteratorIbN2at6native12_GLOBAL__N_19NonZeroOpIlEEPKllEENS0_5tupleIJPlS6_EEENSN_IJSD_SD_EEES6_PiJS6_EEE10hipError_tPvRmT3_T4_T5_T6_T7_T9_mT8_P12ihipStream_tbDpT10_ENKUlT_T0_E_clISt17integral_constantIbLb1EES1A_IbLb0EEEEDaS16_S17_EUlS16_E_NS1_11comp_targetILNS1_3genE2ELNS1_11target_archE906ELNS1_3gpuE6ELNS1_3repE0EEENS1_30default_config_static_selectorELNS0_4arch9wavefront6targetE0EEEvT1_
                                        ; -- End function
	.section	.AMDGPU.csdata,"",@progbits
; Kernel info:
; codeLenInByte = 0
; NumSgprs: 0
; NumVgprs: 0
; ScratchSize: 0
; MemoryBound: 0
; FloatMode: 240
; IeeeMode: 1
; LDSByteSize: 0 bytes/workgroup (compile time only)
; SGPRBlocks: 0
; VGPRBlocks: 0
; NumSGPRsForWavesPerEU: 1
; NumVGPRsForWavesPerEU: 1
; Occupancy: 16
; WaveLimiterHint : 0
; COMPUTE_PGM_RSRC2:SCRATCH_EN: 0
; COMPUTE_PGM_RSRC2:USER_SGPR: 15
; COMPUTE_PGM_RSRC2:TRAP_HANDLER: 0
; COMPUTE_PGM_RSRC2:TGID_X_EN: 1
; COMPUTE_PGM_RSRC2:TGID_Y_EN: 0
; COMPUTE_PGM_RSRC2:TGID_Z_EN: 0
; COMPUTE_PGM_RSRC2:TIDIG_COMP_CNT: 0
	.section	.text._ZN7rocprim17ROCPRIM_400000_NS6detail17trampoline_kernelINS0_14default_configENS1_25partition_config_selectorILNS1_17partition_subalgoE5ElNS0_10empty_typeEbEEZZNS1_14partition_implILS5_5ELb0ES3_mN6hipcub16HIPCUB_304000_NS21CountingInputIteratorIllEEPS6_NSA_22TransformInputIteratorIbN2at6native12_GLOBAL__N_19NonZeroOpIlEEPKllEENS0_5tupleIJPlS6_EEENSN_IJSD_SD_EEES6_PiJS6_EEE10hipError_tPvRmT3_T4_T5_T6_T7_T9_mT8_P12ihipStream_tbDpT10_ENKUlT_T0_E_clISt17integral_constantIbLb1EES1A_IbLb0EEEEDaS16_S17_EUlS16_E_NS1_11comp_targetILNS1_3genE10ELNS1_11target_archE1200ELNS1_3gpuE4ELNS1_3repE0EEENS1_30default_config_static_selectorELNS0_4arch9wavefront6targetE0EEEvT1_,"axG",@progbits,_ZN7rocprim17ROCPRIM_400000_NS6detail17trampoline_kernelINS0_14default_configENS1_25partition_config_selectorILNS1_17partition_subalgoE5ElNS0_10empty_typeEbEEZZNS1_14partition_implILS5_5ELb0ES3_mN6hipcub16HIPCUB_304000_NS21CountingInputIteratorIllEEPS6_NSA_22TransformInputIteratorIbN2at6native12_GLOBAL__N_19NonZeroOpIlEEPKllEENS0_5tupleIJPlS6_EEENSN_IJSD_SD_EEES6_PiJS6_EEE10hipError_tPvRmT3_T4_T5_T6_T7_T9_mT8_P12ihipStream_tbDpT10_ENKUlT_T0_E_clISt17integral_constantIbLb1EES1A_IbLb0EEEEDaS16_S17_EUlS16_E_NS1_11comp_targetILNS1_3genE10ELNS1_11target_archE1200ELNS1_3gpuE4ELNS1_3repE0EEENS1_30default_config_static_selectorELNS0_4arch9wavefront6targetE0EEEvT1_,comdat
	.globl	_ZN7rocprim17ROCPRIM_400000_NS6detail17trampoline_kernelINS0_14default_configENS1_25partition_config_selectorILNS1_17partition_subalgoE5ElNS0_10empty_typeEbEEZZNS1_14partition_implILS5_5ELb0ES3_mN6hipcub16HIPCUB_304000_NS21CountingInputIteratorIllEEPS6_NSA_22TransformInputIteratorIbN2at6native12_GLOBAL__N_19NonZeroOpIlEEPKllEENS0_5tupleIJPlS6_EEENSN_IJSD_SD_EEES6_PiJS6_EEE10hipError_tPvRmT3_T4_T5_T6_T7_T9_mT8_P12ihipStream_tbDpT10_ENKUlT_T0_E_clISt17integral_constantIbLb1EES1A_IbLb0EEEEDaS16_S17_EUlS16_E_NS1_11comp_targetILNS1_3genE10ELNS1_11target_archE1200ELNS1_3gpuE4ELNS1_3repE0EEENS1_30default_config_static_selectorELNS0_4arch9wavefront6targetE0EEEvT1_ ; -- Begin function _ZN7rocprim17ROCPRIM_400000_NS6detail17trampoline_kernelINS0_14default_configENS1_25partition_config_selectorILNS1_17partition_subalgoE5ElNS0_10empty_typeEbEEZZNS1_14partition_implILS5_5ELb0ES3_mN6hipcub16HIPCUB_304000_NS21CountingInputIteratorIllEEPS6_NSA_22TransformInputIteratorIbN2at6native12_GLOBAL__N_19NonZeroOpIlEEPKllEENS0_5tupleIJPlS6_EEENSN_IJSD_SD_EEES6_PiJS6_EEE10hipError_tPvRmT3_T4_T5_T6_T7_T9_mT8_P12ihipStream_tbDpT10_ENKUlT_T0_E_clISt17integral_constantIbLb1EES1A_IbLb0EEEEDaS16_S17_EUlS16_E_NS1_11comp_targetILNS1_3genE10ELNS1_11target_archE1200ELNS1_3gpuE4ELNS1_3repE0EEENS1_30default_config_static_selectorELNS0_4arch9wavefront6targetE0EEEvT1_
	.p2align	8
	.type	_ZN7rocprim17ROCPRIM_400000_NS6detail17trampoline_kernelINS0_14default_configENS1_25partition_config_selectorILNS1_17partition_subalgoE5ElNS0_10empty_typeEbEEZZNS1_14partition_implILS5_5ELb0ES3_mN6hipcub16HIPCUB_304000_NS21CountingInputIteratorIllEEPS6_NSA_22TransformInputIteratorIbN2at6native12_GLOBAL__N_19NonZeroOpIlEEPKllEENS0_5tupleIJPlS6_EEENSN_IJSD_SD_EEES6_PiJS6_EEE10hipError_tPvRmT3_T4_T5_T6_T7_T9_mT8_P12ihipStream_tbDpT10_ENKUlT_T0_E_clISt17integral_constantIbLb1EES1A_IbLb0EEEEDaS16_S17_EUlS16_E_NS1_11comp_targetILNS1_3genE10ELNS1_11target_archE1200ELNS1_3gpuE4ELNS1_3repE0EEENS1_30default_config_static_selectorELNS0_4arch9wavefront6targetE0EEEvT1_,@function
_ZN7rocprim17ROCPRIM_400000_NS6detail17trampoline_kernelINS0_14default_configENS1_25partition_config_selectorILNS1_17partition_subalgoE5ElNS0_10empty_typeEbEEZZNS1_14partition_implILS5_5ELb0ES3_mN6hipcub16HIPCUB_304000_NS21CountingInputIteratorIllEEPS6_NSA_22TransformInputIteratorIbN2at6native12_GLOBAL__N_19NonZeroOpIlEEPKllEENS0_5tupleIJPlS6_EEENSN_IJSD_SD_EEES6_PiJS6_EEE10hipError_tPvRmT3_T4_T5_T6_T7_T9_mT8_P12ihipStream_tbDpT10_ENKUlT_T0_E_clISt17integral_constantIbLb1EES1A_IbLb0EEEEDaS16_S17_EUlS16_E_NS1_11comp_targetILNS1_3genE10ELNS1_11target_archE1200ELNS1_3gpuE4ELNS1_3repE0EEENS1_30default_config_static_selectorELNS0_4arch9wavefront6targetE0EEEvT1_: ; @_ZN7rocprim17ROCPRIM_400000_NS6detail17trampoline_kernelINS0_14default_configENS1_25partition_config_selectorILNS1_17partition_subalgoE5ElNS0_10empty_typeEbEEZZNS1_14partition_implILS5_5ELb0ES3_mN6hipcub16HIPCUB_304000_NS21CountingInputIteratorIllEEPS6_NSA_22TransformInputIteratorIbN2at6native12_GLOBAL__N_19NonZeroOpIlEEPKllEENS0_5tupleIJPlS6_EEENSN_IJSD_SD_EEES6_PiJS6_EEE10hipError_tPvRmT3_T4_T5_T6_T7_T9_mT8_P12ihipStream_tbDpT10_ENKUlT_T0_E_clISt17integral_constantIbLb1EES1A_IbLb0EEEEDaS16_S17_EUlS16_E_NS1_11comp_targetILNS1_3genE10ELNS1_11target_archE1200ELNS1_3gpuE4ELNS1_3repE0EEENS1_30default_config_static_selectorELNS0_4arch9wavefront6targetE0EEEvT1_
; %bb.0:
	.section	.rodata,"a",@progbits
	.p2align	6, 0x0
	.amdhsa_kernel _ZN7rocprim17ROCPRIM_400000_NS6detail17trampoline_kernelINS0_14default_configENS1_25partition_config_selectorILNS1_17partition_subalgoE5ElNS0_10empty_typeEbEEZZNS1_14partition_implILS5_5ELb0ES3_mN6hipcub16HIPCUB_304000_NS21CountingInputIteratorIllEEPS6_NSA_22TransformInputIteratorIbN2at6native12_GLOBAL__N_19NonZeroOpIlEEPKllEENS0_5tupleIJPlS6_EEENSN_IJSD_SD_EEES6_PiJS6_EEE10hipError_tPvRmT3_T4_T5_T6_T7_T9_mT8_P12ihipStream_tbDpT10_ENKUlT_T0_E_clISt17integral_constantIbLb1EES1A_IbLb0EEEEDaS16_S17_EUlS16_E_NS1_11comp_targetILNS1_3genE10ELNS1_11target_archE1200ELNS1_3gpuE4ELNS1_3repE0EEENS1_30default_config_static_selectorELNS0_4arch9wavefront6targetE0EEEvT1_
		.amdhsa_group_segment_fixed_size 0
		.amdhsa_private_segment_fixed_size 0
		.amdhsa_kernarg_size 120
		.amdhsa_user_sgpr_count 15
		.amdhsa_user_sgpr_dispatch_ptr 0
		.amdhsa_user_sgpr_queue_ptr 0
		.amdhsa_user_sgpr_kernarg_segment_ptr 1
		.amdhsa_user_sgpr_dispatch_id 0
		.amdhsa_user_sgpr_private_segment_size 0
		.amdhsa_wavefront_size32 1
		.amdhsa_uses_dynamic_stack 0
		.amdhsa_enable_private_segment 0
		.amdhsa_system_sgpr_workgroup_id_x 1
		.amdhsa_system_sgpr_workgroup_id_y 0
		.amdhsa_system_sgpr_workgroup_id_z 0
		.amdhsa_system_sgpr_workgroup_info 0
		.amdhsa_system_vgpr_workitem_id 0
		.amdhsa_next_free_vgpr 1
		.amdhsa_next_free_sgpr 1
		.amdhsa_reserve_vcc 0
		.amdhsa_float_round_mode_32 0
		.amdhsa_float_round_mode_16_64 0
		.amdhsa_float_denorm_mode_32 3
		.amdhsa_float_denorm_mode_16_64 3
		.amdhsa_dx10_clamp 1
		.amdhsa_ieee_mode 1
		.amdhsa_fp16_overflow 0
		.amdhsa_workgroup_processor_mode 1
		.amdhsa_memory_ordered 1
		.amdhsa_forward_progress 0
		.amdhsa_shared_vgpr_count 0
		.amdhsa_exception_fp_ieee_invalid_op 0
		.amdhsa_exception_fp_denorm_src 0
		.amdhsa_exception_fp_ieee_div_zero 0
		.amdhsa_exception_fp_ieee_overflow 0
		.amdhsa_exception_fp_ieee_underflow 0
		.amdhsa_exception_fp_ieee_inexact 0
		.amdhsa_exception_int_div_zero 0
	.end_amdhsa_kernel
	.section	.text._ZN7rocprim17ROCPRIM_400000_NS6detail17trampoline_kernelINS0_14default_configENS1_25partition_config_selectorILNS1_17partition_subalgoE5ElNS0_10empty_typeEbEEZZNS1_14partition_implILS5_5ELb0ES3_mN6hipcub16HIPCUB_304000_NS21CountingInputIteratorIllEEPS6_NSA_22TransformInputIteratorIbN2at6native12_GLOBAL__N_19NonZeroOpIlEEPKllEENS0_5tupleIJPlS6_EEENSN_IJSD_SD_EEES6_PiJS6_EEE10hipError_tPvRmT3_T4_T5_T6_T7_T9_mT8_P12ihipStream_tbDpT10_ENKUlT_T0_E_clISt17integral_constantIbLb1EES1A_IbLb0EEEEDaS16_S17_EUlS16_E_NS1_11comp_targetILNS1_3genE10ELNS1_11target_archE1200ELNS1_3gpuE4ELNS1_3repE0EEENS1_30default_config_static_selectorELNS0_4arch9wavefront6targetE0EEEvT1_,"axG",@progbits,_ZN7rocprim17ROCPRIM_400000_NS6detail17trampoline_kernelINS0_14default_configENS1_25partition_config_selectorILNS1_17partition_subalgoE5ElNS0_10empty_typeEbEEZZNS1_14partition_implILS5_5ELb0ES3_mN6hipcub16HIPCUB_304000_NS21CountingInputIteratorIllEEPS6_NSA_22TransformInputIteratorIbN2at6native12_GLOBAL__N_19NonZeroOpIlEEPKllEENS0_5tupleIJPlS6_EEENSN_IJSD_SD_EEES6_PiJS6_EEE10hipError_tPvRmT3_T4_T5_T6_T7_T9_mT8_P12ihipStream_tbDpT10_ENKUlT_T0_E_clISt17integral_constantIbLb1EES1A_IbLb0EEEEDaS16_S17_EUlS16_E_NS1_11comp_targetILNS1_3genE10ELNS1_11target_archE1200ELNS1_3gpuE4ELNS1_3repE0EEENS1_30default_config_static_selectorELNS0_4arch9wavefront6targetE0EEEvT1_,comdat
.Lfunc_end275:
	.size	_ZN7rocprim17ROCPRIM_400000_NS6detail17trampoline_kernelINS0_14default_configENS1_25partition_config_selectorILNS1_17partition_subalgoE5ElNS0_10empty_typeEbEEZZNS1_14partition_implILS5_5ELb0ES3_mN6hipcub16HIPCUB_304000_NS21CountingInputIteratorIllEEPS6_NSA_22TransformInputIteratorIbN2at6native12_GLOBAL__N_19NonZeroOpIlEEPKllEENS0_5tupleIJPlS6_EEENSN_IJSD_SD_EEES6_PiJS6_EEE10hipError_tPvRmT3_T4_T5_T6_T7_T9_mT8_P12ihipStream_tbDpT10_ENKUlT_T0_E_clISt17integral_constantIbLb1EES1A_IbLb0EEEEDaS16_S17_EUlS16_E_NS1_11comp_targetILNS1_3genE10ELNS1_11target_archE1200ELNS1_3gpuE4ELNS1_3repE0EEENS1_30default_config_static_selectorELNS0_4arch9wavefront6targetE0EEEvT1_, .Lfunc_end275-_ZN7rocprim17ROCPRIM_400000_NS6detail17trampoline_kernelINS0_14default_configENS1_25partition_config_selectorILNS1_17partition_subalgoE5ElNS0_10empty_typeEbEEZZNS1_14partition_implILS5_5ELb0ES3_mN6hipcub16HIPCUB_304000_NS21CountingInputIteratorIllEEPS6_NSA_22TransformInputIteratorIbN2at6native12_GLOBAL__N_19NonZeroOpIlEEPKllEENS0_5tupleIJPlS6_EEENSN_IJSD_SD_EEES6_PiJS6_EEE10hipError_tPvRmT3_T4_T5_T6_T7_T9_mT8_P12ihipStream_tbDpT10_ENKUlT_T0_E_clISt17integral_constantIbLb1EES1A_IbLb0EEEEDaS16_S17_EUlS16_E_NS1_11comp_targetILNS1_3genE10ELNS1_11target_archE1200ELNS1_3gpuE4ELNS1_3repE0EEENS1_30default_config_static_selectorELNS0_4arch9wavefront6targetE0EEEvT1_
                                        ; -- End function
	.section	.AMDGPU.csdata,"",@progbits
; Kernel info:
; codeLenInByte = 0
; NumSgprs: 0
; NumVgprs: 0
; ScratchSize: 0
; MemoryBound: 0
; FloatMode: 240
; IeeeMode: 1
; LDSByteSize: 0 bytes/workgroup (compile time only)
; SGPRBlocks: 0
; VGPRBlocks: 0
; NumSGPRsForWavesPerEU: 1
; NumVGPRsForWavesPerEU: 1
; Occupancy: 16
; WaveLimiterHint : 0
; COMPUTE_PGM_RSRC2:SCRATCH_EN: 0
; COMPUTE_PGM_RSRC2:USER_SGPR: 15
; COMPUTE_PGM_RSRC2:TRAP_HANDLER: 0
; COMPUTE_PGM_RSRC2:TGID_X_EN: 1
; COMPUTE_PGM_RSRC2:TGID_Y_EN: 0
; COMPUTE_PGM_RSRC2:TGID_Z_EN: 0
; COMPUTE_PGM_RSRC2:TIDIG_COMP_CNT: 0
	.section	.text._ZN7rocprim17ROCPRIM_400000_NS6detail17trampoline_kernelINS0_14default_configENS1_25partition_config_selectorILNS1_17partition_subalgoE5ElNS0_10empty_typeEbEEZZNS1_14partition_implILS5_5ELb0ES3_mN6hipcub16HIPCUB_304000_NS21CountingInputIteratorIllEEPS6_NSA_22TransformInputIteratorIbN2at6native12_GLOBAL__N_19NonZeroOpIlEEPKllEENS0_5tupleIJPlS6_EEENSN_IJSD_SD_EEES6_PiJS6_EEE10hipError_tPvRmT3_T4_T5_T6_T7_T9_mT8_P12ihipStream_tbDpT10_ENKUlT_T0_E_clISt17integral_constantIbLb1EES1A_IbLb0EEEEDaS16_S17_EUlS16_E_NS1_11comp_targetILNS1_3genE9ELNS1_11target_archE1100ELNS1_3gpuE3ELNS1_3repE0EEENS1_30default_config_static_selectorELNS0_4arch9wavefront6targetE0EEEvT1_,"axG",@progbits,_ZN7rocprim17ROCPRIM_400000_NS6detail17trampoline_kernelINS0_14default_configENS1_25partition_config_selectorILNS1_17partition_subalgoE5ElNS0_10empty_typeEbEEZZNS1_14partition_implILS5_5ELb0ES3_mN6hipcub16HIPCUB_304000_NS21CountingInputIteratorIllEEPS6_NSA_22TransformInputIteratorIbN2at6native12_GLOBAL__N_19NonZeroOpIlEEPKllEENS0_5tupleIJPlS6_EEENSN_IJSD_SD_EEES6_PiJS6_EEE10hipError_tPvRmT3_T4_T5_T6_T7_T9_mT8_P12ihipStream_tbDpT10_ENKUlT_T0_E_clISt17integral_constantIbLb1EES1A_IbLb0EEEEDaS16_S17_EUlS16_E_NS1_11comp_targetILNS1_3genE9ELNS1_11target_archE1100ELNS1_3gpuE3ELNS1_3repE0EEENS1_30default_config_static_selectorELNS0_4arch9wavefront6targetE0EEEvT1_,comdat
	.globl	_ZN7rocprim17ROCPRIM_400000_NS6detail17trampoline_kernelINS0_14default_configENS1_25partition_config_selectorILNS1_17partition_subalgoE5ElNS0_10empty_typeEbEEZZNS1_14partition_implILS5_5ELb0ES3_mN6hipcub16HIPCUB_304000_NS21CountingInputIteratorIllEEPS6_NSA_22TransformInputIteratorIbN2at6native12_GLOBAL__N_19NonZeroOpIlEEPKllEENS0_5tupleIJPlS6_EEENSN_IJSD_SD_EEES6_PiJS6_EEE10hipError_tPvRmT3_T4_T5_T6_T7_T9_mT8_P12ihipStream_tbDpT10_ENKUlT_T0_E_clISt17integral_constantIbLb1EES1A_IbLb0EEEEDaS16_S17_EUlS16_E_NS1_11comp_targetILNS1_3genE9ELNS1_11target_archE1100ELNS1_3gpuE3ELNS1_3repE0EEENS1_30default_config_static_selectorELNS0_4arch9wavefront6targetE0EEEvT1_ ; -- Begin function _ZN7rocprim17ROCPRIM_400000_NS6detail17trampoline_kernelINS0_14default_configENS1_25partition_config_selectorILNS1_17partition_subalgoE5ElNS0_10empty_typeEbEEZZNS1_14partition_implILS5_5ELb0ES3_mN6hipcub16HIPCUB_304000_NS21CountingInputIteratorIllEEPS6_NSA_22TransformInputIteratorIbN2at6native12_GLOBAL__N_19NonZeroOpIlEEPKllEENS0_5tupleIJPlS6_EEENSN_IJSD_SD_EEES6_PiJS6_EEE10hipError_tPvRmT3_T4_T5_T6_T7_T9_mT8_P12ihipStream_tbDpT10_ENKUlT_T0_E_clISt17integral_constantIbLb1EES1A_IbLb0EEEEDaS16_S17_EUlS16_E_NS1_11comp_targetILNS1_3genE9ELNS1_11target_archE1100ELNS1_3gpuE3ELNS1_3repE0EEENS1_30default_config_static_selectorELNS0_4arch9wavefront6targetE0EEEvT1_
	.p2align	8
	.type	_ZN7rocprim17ROCPRIM_400000_NS6detail17trampoline_kernelINS0_14default_configENS1_25partition_config_selectorILNS1_17partition_subalgoE5ElNS0_10empty_typeEbEEZZNS1_14partition_implILS5_5ELb0ES3_mN6hipcub16HIPCUB_304000_NS21CountingInputIteratorIllEEPS6_NSA_22TransformInputIteratorIbN2at6native12_GLOBAL__N_19NonZeroOpIlEEPKllEENS0_5tupleIJPlS6_EEENSN_IJSD_SD_EEES6_PiJS6_EEE10hipError_tPvRmT3_T4_T5_T6_T7_T9_mT8_P12ihipStream_tbDpT10_ENKUlT_T0_E_clISt17integral_constantIbLb1EES1A_IbLb0EEEEDaS16_S17_EUlS16_E_NS1_11comp_targetILNS1_3genE9ELNS1_11target_archE1100ELNS1_3gpuE3ELNS1_3repE0EEENS1_30default_config_static_selectorELNS0_4arch9wavefront6targetE0EEEvT1_,@function
_ZN7rocprim17ROCPRIM_400000_NS6detail17trampoline_kernelINS0_14default_configENS1_25partition_config_selectorILNS1_17partition_subalgoE5ElNS0_10empty_typeEbEEZZNS1_14partition_implILS5_5ELb0ES3_mN6hipcub16HIPCUB_304000_NS21CountingInputIteratorIllEEPS6_NSA_22TransformInputIteratorIbN2at6native12_GLOBAL__N_19NonZeroOpIlEEPKllEENS0_5tupleIJPlS6_EEENSN_IJSD_SD_EEES6_PiJS6_EEE10hipError_tPvRmT3_T4_T5_T6_T7_T9_mT8_P12ihipStream_tbDpT10_ENKUlT_T0_E_clISt17integral_constantIbLb1EES1A_IbLb0EEEEDaS16_S17_EUlS16_E_NS1_11comp_targetILNS1_3genE9ELNS1_11target_archE1100ELNS1_3gpuE3ELNS1_3repE0EEENS1_30default_config_static_selectorELNS0_4arch9wavefront6targetE0EEEvT1_: ; @_ZN7rocprim17ROCPRIM_400000_NS6detail17trampoline_kernelINS0_14default_configENS1_25partition_config_selectorILNS1_17partition_subalgoE5ElNS0_10empty_typeEbEEZZNS1_14partition_implILS5_5ELb0ES3_mN6hipcub16HIPCUB_304000_NS21CountingInputIteratorIllEEPS6_NSA_22TransformInputIteratorIbN2at6native12_GLOBAL__N_19NonZeroOpIlEEPKllEENS0_5tupleIJPlS6_EEENSN_IJSD_SD_EEES6_PiJS6_EEE10hipError_tPvRmT3_T4_T5_T6_T7_T9_mT8_P12ihipStream_tbDpT10_ENKUlT_T0_E_clISt17integral_constantIbLb1EES1A_IbLb0EEEEDaS16_S17_EUlS16_E_NS1_11comp_targetILNS1_3genE9ELNS1_11target_archE1100ELNS1_3gpuE3ELNS1_3repE0EEENS1_30default_config_static_selectorELNS0_4arch9wavefront6targetE0EEEvT1_
; %bb.0:
	s_clause 0x4
	s_load_b128 s[8:11], s[0:1], 0x8
	s_load_b128 s[4:7], s[0:1], 0x48
	s_load_b32 s14, s[0:1], 0x70
	s_load_b64 s[2:3], s[0:1], 0x58
	s_load_b64 s[12:13], s[0:1], 0x20
	s_waitcnt lgkmcnt(0)
	s_add_u32 s18, s10, s8
	s_load_b64 s[6:7], s[6:7], 0x0
	s_mul_i32 s17, s14, 0x300
	s_addc_u32 s19, s11, s9
	s_add_i32 s14, s14, -1
	s_add_u32 s8, s10, s17
	s_addc_u32 s9, s11, 0
	s_cmp_eq_u32 s15, s14
	v_cmp_ge_u64_e64 s3, s[8:9], s[2:3]
	s_cselect_b32 s14, -1, 0
	s_mul_i32 s8, s15, 0x300
	s_mov_b32 s9, 0
	s_delay_alu instid0(VALU_DEP_1) | instskip(NEXT) | instid1(SALU_CYCLE_1)
	s_and_b32 s3, s14, s3
	s_xor_b32 s16, s3, -1
	s_mov_b32 s3, -1
	s_and_b32 vcc_lo, exec_lo, s16
	s_cbranch_vccz .LBB276_2
; %bb.1:
	s_add_u32 s3, s18, s8
	s_addc_u32 s20, s19, 0
	v_add_co_u32 v1, s3, s3, v0
	s_delay_alu instid0(VALU_DEP_1) | instskip(SKIP_1) | instid1(VALU_DEP_3)
	v_add_co_ci_u32_e64 v2, null, s20, 0, s3
	v_lshlrev_b32_e32 v13, 3, v0
	v_add_co_u32 v3, vcc_lo, 0x80, v1
	s_delay_alu instid0(VALU_DEP_3)
	v_add_co_ci_u32_e32 v4, vcc_lo, 0, v2, vcc_lo
	v_add_co_u32 v5, vcc_lo, 0x100, v1
	v_add_co_ci_u32_e32 v6, vcc_lo, 0, v2, vcc_lo
	v_add_co_u32 v7, vcc_lo, 0x180, v1
	;; [unrolled: 2-line block ×4, first 2 shown]
	v_add_co_ci_u32_e32 v12, vcc_lo, 0, v2, vcc_lo
	ds_store_2addr_stride64_b64 v13, v[1:2], v[3:4] offset1:2
	ds_store_2addr_stride64_b64 v13, v[5:6], v[7:8] offset0:4 offset1:6
	ds_store_2addr_stride64_b64 v13, v[9:10], v[11:12] offset0:8 offset1:10
	s_waitcnt lgkmcnt(0)
	s_mov_b32 s3, s9
	s_barrier
.LBB276_2:
	v_or_b32_e32 v17, 0x100, v0
	v_or_b32_e32 v16, 0x180, v0
	;; [unrolled: 1-line block ×4, first 2 shown]
	s_and_not1_b32 vcc_lo, exec_lo, s3
	s_cbranch_vccnz .LBB276_4
; %bb.3:
	v_or_b32_e32 v3, 0x80, v0
	s_add_u32 s3, s18, s8
	s_addc_u32 s18, s19, 0
	v_add_co_u32 v1, s19, s3, v0
	s_delay_alu instid0(VALU_DEP_1) | instskip(SKIP_1) | instid1(VALU_DEP_1)
	v_add_co_ci_u32_e64 v2, null, s18, 0, s19
	v_add_co_u32 v3, s19, s3, v3
	v_add_co_ci_u32_e64 v4, null, s18, 0, s19
	v_add_co_u32 v5, s19, s3, v17
	s_delay_alu instid0(VALU_DEP_1) | instskip(SKIP_1) | instid1(VALU_DEP_1)
	v_add_co_ci_u32_e64 v6, null, s18, 0, s19
	v_add_co_u32 v7, s19, s3, v16
	v_add_co_ci_u32_e64 v8, null, s18, 0, s19
	v_add_co_u32 v9, s19, s3, v14
	v_lshlrev_b32_e32 v15, 3, v0
	v_add_co_u32 v11, s3, s3, v13
	v_add_co_ci_u32_e64 v10, null, s18, 0, s19
	v_add_co_ci_u32_e64 v12, null, s18, 0, s3
	ds_store_2addr_stride64_b64 v15, v[1:2], v[3:4] offset1:2
	ds_store_2addr_stride64_b64 v15, v[5:6], v[7:8] offset0:4 offset1:6
	ds_store_2addr_stride64_b64 v15, v[9:10], v[11:12] offset0:8 offset1:10
	s_waitcnt lgkmcnt(0)
	s_barrier
.LBB276_4:
	v_mul_u32_u24_e32 v1, 6, v0
	s_waitcnt lgkmcnt(0)
	buffer_gl0_inv
	s_lshl_b64 s[18:19], s[10:11], 3
	s_delay_alu instid0(SALU_CYCLE_1)
	s_add_u32 s3, s12, s18
	v_lshlrev_b32_e32 v15, 3, v1
	s_addc_u32 s11, s13, s19
	s_lshl_b64 s[8:9], s[8:9], 3
	ds_load_b128 v[9:12], v15
	ds_load_b128 v[5:8], v15 offset:16
	ds_load_b128 v[1:4], v15 offset:32
	s_add_u32 s12, s3, s8
	s_addc_u32 s13, s11, s9
	s_and_b32 vcc_lo, exec_lo, s16
	s_mov_b32 s3, -1
	s_waitcnt lgkmcnt(0)
	s_barrier
	buffer_gl0_inv
	s_cbranch_vccz .LBB276_6
; %bb.5:
	v_lshlrev_b32_e32 v26, 3, v0
	s_clause 0x1
	global_load_b64 v[18:19], v26, s[12:13]
	global_load_b64 v[20:21], v26, s[12:13] offset:1024
	v_add_co_u32 v22, s3, s12, v26
	s_delay_alu instid0(VALU_DEP_1) | instskip(SKIP_1) | instid1(VALU_DEP_2)
	v_add_co_ci_u32_e64 v23, null, s13, 0, s3
	s_mov_b32 s3, 0
	v_add_co_u32 v22, vcc_lo, 0x1000, v22
	s_delay_alu instid0(VALU_DEP_2)
	v_add_co_ci_u32_e32 v23, vcc_lo, 0, v23, vcc_lo
	s_clause 0x3
	global_load_b64 v[24:25], v26, s[12:13] offset:2048
	global_load_b64 v[26:27], v26, s[12:13] offset:3072
	global_load_b64 v[28:29], v[22:23], off
	global_load_b64 v[22:23], v[22:23], off offset:1024
	s_waitcnt vmcnt(5)
	v_cmp_ne_u64_e32 vcc_lo, 0, v[18:19]
	v_cndmask_b32_e64 v18, 0, 1, vcc_lo
	s_waitcnt vmcnt(4)
	v_cmp_ne_u64_e32 vcc_lo, 0, v[20:21]
	v_cndmask_b32_e64 v19, 0, 1, vcc_lo
	;; [unrolled: 3-line block ×6, first 2 shown]
	ds_store_b8 v0, v18
	ds_store_b8 v0, v19 offset:128
	ds_store_b8 v0, v20 offset:256
	;; [unrolled: 1-line block ×5, first 2 shown]
	s_waitcnt lgkmcnt(0)
	s_barrier
.LBB276_6:
	s_load_b64 s[8:9], s[0:1], 0x68
	s_and_not1_b32 vcc_lo, exec_lo, s3
	s_cbranch_vccnz .LBB276_20
; %bb.7:
	s_add_i32 s17, s17, s10
	v_dual_mov_b32 v18, 0 :: v_dual_mov_b32 v19, 0
	s_sub_i32 s2, s2, s17
	s_mov_b32 s3, exec_lo
	s_addk_i32 s2, 0x300
	s_delay_alu instid0(SALU_CYCLE_1)
	v_cmpx_gt_u32_e64 s2, v0
	s_cbranch_execz .LBB276_9
; %bb.8:
	v_lshlrev_b32_e32 v19, 3, v0
	global_load_b64 v[19:20], v19, s[12:13]
	s_waitcnt vmcnt(0)
	v_cmp_ne_u64_e32 vcc_lo, 0, v[19:20]
	v_cndmask_b32_e64 v19, 0, 1, vcc_lo
.LBB276_9:
	s_or_b32 exec_lo, exec_lo, s3
	v_or_b32_e32 v20, 0x80, v0
	s_mov_b32 s3, exec_lo
	s_delay_alu instid0(VALU_DEP_1)
	v_cmpx_gt_u32_e64 s2, v20
	s_cbranch_execz .LBB276_11
; %bb.10:
	v_lshlrev_b32_e32 v18, 3, v0
	global_load_b64 v[20:21], v18, s[12:13] offset:1024
	s_waitcnt vmcnt(0)
	v_cmp_ne_u64_e32 vcc_lo, 0, v[20:21]
	v_cndmask_b32_e64 v18, 0, 1, vcc_lo
.LBB276_11:
	s_or_b32 exec_lo, exec_lo, s3
	v_cmp_gt_u32_e32 vcc_lo, s2, v17
	v_dual_mov_b32 v17, 0 :: v_dual_mov_b32 v20, 0
	s_and_saveexec_b32 s3, vcc_lo
	s_cbranch_execz .LBB276_13
; %bb.12:
	v_lshlrev_b32_e32 v20, 3, v0
	global_load_b64 v[20:21], v20, s[12:13] offset:2048
	s_waitcnt vmcnt(0)
	v_cmp_ne_u64_e32 vcc_lo, 0, v[20:21]
	v_cndmask_b32_e64 v20, 0, 1, vcc_lo
.LBB276_13:
	s_or_b32 exec_lo, exec_lo, s3
	s_delay_alu instid0(SALU_CYCLE_1)
	s_mov_b32 s3, exec_lo
	v_cmpx_gt_u32_e64 s2, v16
	s_cbranch_execz .LBB276_15
; %bb.14:
	v_lshlrev_b32_e32 v16, 3, v0
	global_load_b64 v[16:17], v16, s[12:13] offset:3072
	s_waitcnt vmcnt(0)
	v_cmp_ne_u64_e32 vcc_lo, 0, v[16:17]
	v_cndmask_b32_e64 v17, 0, 1, vcc_lo
.LBB276_15:
	s_or_b32 exec_lo, exec_lo, s3
	v_dual_mov_b32 v16, 0 :: v_dual_mov_b32 v21, 0
	s_mov_b32 s3, exec_lo
	v_cmpx_gt_u32_e64 s2, v14
	s_cbranch_execz .LBB276_17
; %bb.16:
	v_lshlrev_b32_e32 v14, 3, v14
	global_load_b64 v[21:22], v14, s[12:13]
	s_waitcnt vmcnt(0)
	v_cmp_ne_u64_e32 vcc_lo, 0, v[21:22]
	v_cndmask_b32_e64 v21, 0, 1, vcc_lo
.LBB276_17:
	s_or_b32 exec_lo, exec_lo, s3
	v_cmp_gt_u32_e32 vcc_lo, s2, v13
	s_and_saveexec_b32 s2, vcc_lo
	s_cbranch_execz .LBB276_19
; %bb.18:
	v_lshlrev_b32_e32 v13, 3, v13
	global_load_b64 v[13:14], v13, s[12:13]
	s_waitcnt vmcnt(0)
	v_cmp_ne_u64_e32 vcc_lo, 0, v[13:14]
	v_cndmask_b32_e64 v16, 0, 1, vcc_lo
.LBB276_19:
	s_or_b32 exec_lo, exec_lo, s2
	ds_store_b8 v0, v19
	ds_store_b8 v0, v18 offset:128
	ds_store_b8 v0, v20 offset:256
	;; [unrolled: 1-line block ×5, first 2 shown]
	s_waitcnt lgkmcnt(0)
	s_barrier
.LBB276_20:
	v_mad_i32_i24 v43, 0xffffffd6, v0, v15
	s_waitcnt lgkmcnt(0)
	buffer_gl0_inv
	v_mbcnt_lo_u32_b32 v42, -1, 0
	s_cmp_lg_u32 s15, 0
	s_mov_b32 s3, -1
	ds_load_u16 v36, v43
	ds_load_u16 v33, v43 offset:2
	ds_load_u16 v31, v43 offset:4
	v_mov_b32_e32 v14, 0
	v_and_b32_e32 v44, 15, v42
	s_waitcnt lgkmcnt(0)
	s_barrier
	buffer_gl0_inv
	v_and_b32_e32 v41, 0xff, v36
	v_lshrrev_b16 v34, 8, v36
	v_lshrrev_b16 v35, 8, v33
	v_and_b32_e32 v39, 0xff, v33
	v_lshrrev_b16 v32, 8, v31
	v_and_b32_e32 v37, 0xff, v31
	v_and_b32_e32 v40, 0xffff, v34
	;; [unrolled: 1-line block ×3, first 2 shown]
	s_delay_alu instid0(VALU_DEP_4) | instskip(NEXT) | instid1(VALU_DEP_3)
	v_and_b32_e32 v16, 0xffff, v32
	v_add_co_u32 v13, s2, v40, v41
	s_delay_alu instid0(VALU_DEP_1) | instskip(SKIP_1) | instid1(VALU_DEP_3)
	v_add_co_ci_u32_e64 v15, null, 0, 0, s2
	v_cmp_ne_u32_e64 s2, 0, v44
	v_add_co_u32 v13, vcc_lo, v13, v39
	s_delay_alu instid0(VALU_DEP_3) | instskip(NEXT) | instid1(VALU_DEP_2)
	v_add_co_ci_u32_e32 v15, vcc_lo, 0, v15, vcc_lo
	v_add_co_u32 v13, vcc_lo, v13, v38
	s_delay_alu instid0(VALU_DEP_2) | instskip(NEXT) | instid1(VALU_DEP_2)
	v_add_co_ci_u32_e32 v15, vcc_lo, 0, v15, vcc_lo
	v_add_co_u32 v13, vcc_lo, v13, v37
	s_delay_alu instid0(VALU_DEP_2) | instskip(NEXT) | instid1(VALU_DEP_2)
	v_add_co_ci_u32_e32 v15, vcc_lo, 0, v15, vcc_lo
	v_add_co_u32 v21, vcc_lo, v13, v16
	s_delay_alu instid0(VALU_DEP_2)
	v_add_co_ci_u32_e32 v22, vcc_lo, 0, v15, vcc_lo
	s_cbranch_scc0 .LBB276_89
; %bb.21:
	s_delay_alu instid0(VALU_DEP_2)
	v_mov_b32_e32 v15, v21
	v_mov_b32_dpp v13, v21 row_shr:1 row_mask:0xf bank_mask:0xf
	v_mov_b32_dpp v18, v14 row_shr:1 row_mask:0xf bank_mask:0xf
	v_dual_mov_b32 v17, v21 :: v_dual_mov_b32 v16, v22
	s_and_saveexec_b32 s3, s2
; %bb.22:
	s_delay_alu instid0(VALU_DEP_3) | instskip(SKIP_1) | instid1(VALU_DEP_2)
	v_add_co_u32 v17, vcc_lo, v21, v13
	v_add_co_ci_u32_e32 v14, vcc_lo, 0, v22, vcc_lo
	v_add_co_u32 v13, vcc_lo, 0, v17
	s_delay_alu instid0(VALU_DEP_2) | instskip(NEXT) | instid1(VALU_DEP_1)
	v_add_co_ci_u32_e32 v14, vcc_lo, v18, v14, vcc_lo
	v_dual_mov_b32 v16, v14 :: v_dual_mov_b32 v15, v13
; %bb.23:
	s_or_b32 exec_lo, exec_lo, s3
	v_mov_b32_dpp v13, v17 row_shr:2 row_mask:0xf bank_mask:0xf
	v_mov_b32_dpp v18, v14 row_shr:2 row_mask:0xf bank_mask:0xf
	s_mov_b32 s3, exec_lo
	v_cmpx_lt_u32_e32 1, v44
; %bb.24:
	s_delay_alu instid0(VALU_DEP_3) | instskip(SKIP_1) | instid1(VALU_DEP_2)
	v_add_co_u32 v17, vcc_lo, v15, v13
	v_add_co_ci_u32_e32 v14, vcc_lo, 0, v16, vcc_lo
	v_add_co_u32 v13, vcc_lo, 0, v17
	s_delay_alu instid0(VALU_DEP_2) | instskip(NEXT) | instid1(VALU_DEP_1)
	v_add_co_ci_u32_e32 v14, vcc_lo, v18, v14, vcc_lo
	v_dual_mov_b32 v16, v14 :: v_dual_mov_b32 v15, v13
; %bb.25:
	s_or_b32 exec_lo, exec_lo, s3
	v_mov_b32_dpp v13, v17 row_shr:4 row_mask:0xf bank_mask:0xf
	v_mov_b32_dpp v18, v14 row_shr:4 row_mask:0xf bank_mask:0xf
	s_mov_b32 s3, exec_lo
	v_cmpx_lt_u32_e32 3, v44
	;; [unrolled: 14-line block ×3, first 2 shown]
; %bb.28:
	s_delay_alu instid0(VALU_DEP_3) | instskip(SKIP_1) | instid1(VALU_DEP_2)
	v_add_co_u32 v17, vcc_lo, v15, v18
	v_add_co_ci_u32_e32 v14, vcc_lo, 0, v16, vcc_lo
	v_add_co_u32 v15, vcc_lo, 0, v17
	s_delay_alu instid0(VALU_DEP_2) | instskip(NEXT) | instid1(VALU_DEP_1)
	v_add_co_ci_u32_e32 v16, vcc_lo, v13, v14, vcc_lo
	v_mov_b32_e32 v14, v16
; %bb.29:
	s_or_b32 exec_lo, exec_lo, s3
	ds_swizzle_b32 v13, v17 offset:swizzle(BROADCAST,32,15)
	ds_swizzle_b32 v18, v14 offset:swizzle(BROADCAST,32,15)
	v_and_b32_e32 v19, 16, v42
	s_mov_b32 s3, exec_lo
	s_delay_alu instid0(VALU_DEP_1)
	v_cmpx_ne_u32_e32 0, v19
	s_cbranch_execz .LBB276_31
; %bb.30:
	s_waitcnt lgkmcnt(1)
	v_add_co_u32 v17, vcc_lo, v15, v13
	v_add_co_ci_u32_e32 v14, vcc_lo, 0, v16, vcc_lo
	s_delay_alu instid0(VALU_DEP_2) | instskip(SKIP_1) | instid1(VALU_DEP_2)
	v_add_co_u32 v13, vcc_lo, 0, v17
	s_waitcnt lgkmcnt(0)
	v_add_co_ci_u32_e32 v14, vcc_lo, v18, v14, vcc_lo
	s_delay_alu instid0(VALU_DEP_1)
	v_dual_mov_b32 v16, v14 :: v_dual_mov_b32 v15, v13
.LBB276_31:
	s_or_b32 exec_lo, exec_lo, s3
	s_waitcnt lgkmcnt(0)
	v_or_b32_e32 v18, 31, v0
	v_lshrrev_b32_e32 v13, 5, v0
	s_mov_b32 s3, exec_lo
	s_delay_alu instid0(VALU_DEP_2)
	v_cmpx_eq_u32_e64 v18, v0
	s_cbranch_execz .LBB276_33
; %bb.32:
	s_delay_alu instid0(VALU_DEP_2)
	v_lshlrev_b32_e32 v18, 3, v13
	ds_store_b64 v18, v[15:16]
.LBB276_33:
	s_or_b32 exec_lo, exec_lo, s3
	s_delay_alu instid0(SALU_CYCLE_1)
	s_mov_b32 s3, exec_lo
	s_waitcnt lgkmcnt(0)
	s_barrier
	buffer_gl0_inv
	v_cmpx_gt_u32_e32 4, v0
	s_cbranch_execz .LBB276_39
; %bb.34:
	v_lshlrev_b32_e32 v18, 3, v0
	s_mov_b32 s10, exec_lo
	ds_load_b64 v[15:16], v18
	s_waitcnt lgkmcnt(0)
	v_dual_mov_b32 v20, v15 :: v_dual_and_b32 v19, 3, v42
	v_mov_b32_dpp v24, v15 row_shr:1 row_mask:0xf bank_mask:0xf
	v_mov_b32_dpp v23, v16 row_shr:1 row_mask:0xf bank_mask:0xf
	s_delay_alu instid0(VALU_DEP_3)
	v_cmpx_ne_u32_e32 0, v19
; %bb.35:
	s_delay_alu instid0(VALU_DEP_3) | instskip(SKIP_1) | instid1(VALU_DEP_2)
	v_add_co_u32 v20, vcc_lo, v15, v24
	v_add_co_ci_u32_e32 v16, vcc_lo, 0, v16, vcc_lo
	v_add_co_u32 v15, vcc_lo, 0, v20
	s_delay_alu instid0(VALU_DEP_2)
	v_add_co_ci_u32_e32 v16, vcc_lo, v23, v16, vcc_lo
; %bb.36:
	s_or_b32 exec_lo, exec_lo, s10
	v_mov_b32_dpp v23, v20 row_shr:2 row_mask:0xf bank_mask:0xf
	s_delay_alu instid0(VALU_DEP_2)
	v_mov_b32_dpp v20, v16 row_shr:2 row_mask:0xf bank_mask:0xf
	s_mov_b32 s10, exec_lo
	v_cmpx_lt_u32_e32 1, v19
; %bb.37:
	s_delay_alu instid0(VALU_DEP_3) | instskip(SKIP_1) | instid1(VALU_DEP_2)
	v_add_co_u32 v15, vcc_lo, v15, v23
	v_add_co_ci_u32_e32 v16, vcc_lo, 0, v16, vcc_lo
	v_add_co_u32 v15, vcc_lo, v15, 0
	s_delay_alu instid0(VALU_DEP_2)
	v_add_co_ci_u32_e32 v16, vcc_lo, v16, v20, vcc_lo
; %bb.38:
	s_or_b32 exec_lo, exec_lo, s10
	ds_store_b64 v18, v[15:16]
.LBB276_39:
	s_or_b32 exec_lo, exec_lo, s3
	v_cmp_gt_u32_e32 vcc_lo, 32, v0
	s_mov_b32 s10, exec_lo
	s_waitcnt lgkmcnt(0)
	s_barrier
	buffer_gl0_inv
                                        ; implicit-def: $vgpr23_vgpr24
	v_cmpx_lt_u32_e32 31, v0
	s_cbranch_execz .LBB276_41
; %bb.40:
	v_lshl_add_u32 v13, v13, 3, -8
	ds_load_b64 v[23:24], v13
	s_waitcnt lgkmcnt(0)
	v_add_co_u32 v17, s3, v17, v23
	s_delay_alu instid0(VALU_DEP_1)
	v_add_co_ci_u32_e64 v14, s3, v14, v24, s3
.LBB276_41:
	s_or_b32 exec_lo, exec_lo, s10
	v_add_nc_u32_e32 v13, -1, v42
	s_delay_alu instid0(VALU_DEP_1) | instskip(NEXT) | instid1(VALU_DEP_1)
	v_cmp_gt_i32_e64 s3, 0, v13
	v_cndmask_b32_e64 v13, v13, v42, s3
	v_cmp_eq_u32_e64 s3, 0, v42
	s_delay_alu instid0(VALU_DEP_2)
	v_lshlrev_b32_e32 v13, 2, v13
	ds_bpermute_b32 v29, v13, v17
	ds_bpermute_b32 v30, v13, v14
	s_and_saveexec_b32 s10, vcc_lo
	s_cbranch_execz .LBB276_84
; %bb.42:
	v_mov_b32_e32 v16, 0
	ds_load_b64 v[13:14], v16 offset:24
	s_and_saveexec_b32 s11, s3
	s_cbranch_execz .LBB276_44
; %bb.43:
	s_add_i32 s12, s15, 32
	s_mov_b32 s13, 0
	s_delay_alu instid0(SALU_CYCLE_1) | instskip(NEXT) | instid1(SALU_CYCLE_1)
	s_lshl_b64 s[12:13], s[12:13], 4
	s_add_u32 s12, s8, s12
	s_addc_u32 s13, s9, s13
	s_delay_alu instid0(SALU_CYCLE_1)
	v_dual_mov_b32 v15, 1 :: v_dual_mov_b32 v18, s13
	v_mov_b32_e32 v17, s12
	s_waitcnt lgkmcnt(0)
	;;#ASMSTART
	global_store_dwordx4 v[17:18], v[13:16] off	
s_waitcnt vmcnt(0)
	;;#ASMEND
.LBB276_44:
	s_or_b32 exec_lo, exec_lo, s11
	v_xad_u32 v25, v42, -1, s15
	s_mov_b32 s12, 0
	s_mov_b32 s11, exec_lo
	s_delay_alu instid0(VALU_DEP_1) | instskip(NEXT) | instid1(VALU_DEP_1)
	v_add_nc_u32_e32 v15, 32, v25
	v_lshlrev_b64 v[15:16], 4, v[15:16]
	s_delay_alu instid0(VALU_DEP_1) | instskip(NEXT) | instid1(VALU_DEP_2)
	v_add_co_u32 v15, vcc_lo, s8, v15
	v_add_co_ci_u32_e32 v16, vcc_lo, s9, v16, vcc_lo
	;;#ASMSTART
	global_load_dwordx4 v[17:20], v[15:16] off glc	
s_waitcnt vmcnt(0)
	;;#ASMEND
	v_and_b32_e32 v20, 0xff, v18
	v_and_b32_e32 v26, 0xff00, v18
	v_or3_b32 v17, v17, 0, 0
	v_and_b32_e32 v27, 0xff000000, v18
	v_and_b32_e32 v18, 0xff0000, v18
	s_delay_alu instid0(VALU_DEP_4) | instskip(SKIP_2) | instid1(VALU_DEP_3)
	v_or3_b32 v20, 0, v20, v26
	v_and_b32_e32 v26, 0xff, v19
	v_or3_b32 v17, v17, 0, 0
	v_or3_b32 v18, v20, v18, v27
	s_delay_alu instid0(VALU_DEP_3)
	v_cmpx_eq_u16_e32 0, v26
	s_cbranch_execz .LBB276_50
; %bb.45:
	s_mov_b32 s13, 1
	.p2align	6
.LBB276_46:                             ; =>This Loop Header: Depth=1
                                        ;     Child Loop BB276_47 Depth 2
	s_delay_alu instid0(SALU_CYCLE_1)
	s_max_u32 s17, s13, 1
.LBB276_47:                             ;   Parent Loop BB276_46 Depth=1
                                        ; =>  This Inner Loop Header: Depth=2
	s_delay_alu instid0(SALU_CYCLE_1)
	s_add_i32 s17, s17, -1
	s_sleep 1
	s_cmp_eq_u32 s17, 0
	s_cbranch_scc0 .LBB276_47
; %bb.48:                               ;   in Loop: Header=BB276_46 Depth=1
	;;#ASMSTART
	global_load_dwordx4 v[17:20], v[15:16] off glc	
s_waitcnt vmcnt(0)
	;;#ASMEND
	v_and_b32_e32 v20, 0xff, v19
	s_cmp_lt_u32 s13, 32
	s_cselect_b32 s17, -1, 0
	s_delay_alu instid0(SALU_CYCLE_1) | instskip(NEXT) | instid1(VALU_DEP_1)
	s_cmp_lg_u32 s17, 0
	v_cmp_ne_u16_e32 vcc_lo, 0, v20
	s_addc_u32 s13, s13, 0
	s_or_b32 s12, vcc_lo, s12
	s_delay_alu instid0(SALU_CYCLE_1)
	s_and_not1_b32 exec_lo, exec_lo, s12
	s_cbranch_execnz .LBB276_46
; %bb.49:
	s_or_b32 exec_lo, exec_lo, s12
.LBB276_50:
	s_delay_alu instid0(SALU_CYCLE_1)
	s_or_b32 exec_lo, exec_lo, s11
	v_cmp_ne_u32_e32 vcc_lo, 31, v42
	v_and_b32_e32 v16, 0xff, v19
	v_lshlrev_b32_e64 v46, v42, -1
	s_mov_b32 s11, exec_lo
	v_add_co_ci_u32_e32 v15, vcc_lo, 0, v42, vcc_lo
	s_delay_alu instid0(VALU_DEP_3) | instskip(NEXT) | instid1(VALU_DEP_2)
	v_cmp_eq_u16_e32 vcc_lo, 2, v16
	v_dual_mov_b32 v16, v17 :: v_dual_lshlrev_b32 v45, 2, v15
	v_and_or_b32 v15, vcc_lo, v46, 0x80000000
	ds_bpermute_b32 v26, v45, v17
	ds_bpermute_b32 v20, v45, v18
	v_ctz_i32_b32_e32 v15, v15
	s_delay_alu instid0(VALU_DEP_1)
	v_cmpx_lt_u32_e64 v42, v15
	s_cbranch_execz .LBB276_52
; %bb.51:
	s_waitcnt lgkmcnt(1)
	v_add_co_u32 v16, vcc_lo, v17, v26
	v_add_co_ci_u32_e32 v18, vcc_lo, 0, v18, vcc_lo
	s_delay_alu instid0(VALU_DEP_2) | instskip(SKIP_1) | instid1(VALU_DEP_2)
	v_add_co_u32 v17, vcc_lo, 0, v16
	s_waitcnt lgkmcnt(0)
	v_add_co_ci_u32_e32 v18, vcc_lo, v20, v18, vcc_lo
.LBB276_52:
	s_or_b32 exec_lo, exec_lo, s11
	v_cmp_gt_u32_e32 vcc_lo, 30, v42
	v_add_nc_u32_e32 v48, 2, v42
	s_mov_b32 s11, exec_lo
	s_waitcnt lgkmcnt(0)
	v_cndmask_b32_e64 v20, 0, 1, vcc_lo
	s_delay_alu instid0(VALU_DEP_1) | instskip(NEXT) | instid1(VALU_DEP_1)
	v_lshlrev_b32_e32 v20, 1, v20
	v_add_lshl_u32 v47, v20, v42, 2
	ds_bpermute_b32 v26, v47, v16
	ds_bpermute_b32 v20, v47, v18
	v_cmpx_le_u32_e64 v48, v15
	s_cbranch_execz .LBB276_54
; %bb.53:
	s_waitcnt lgkmcnt(1)
	v_add_co_u32 v16, vcc_lo, v17, v26
	v_add_co_ci_u32_e32 v18, vcc_lo, 0, v18, vcc_lo
	s_delay_alu instid0(VALU_DEP_2) | instskip(SKIP_1) | instid1(VALU_DEP_2)
	v_add_co_u32 v17, vcc_lo, 0, v16
	s_waitcnt lgkmcnt(0)
	v_add_co_ci_u32_e32 v18, vcc_lo, v20, v18, vcc_lo
.LBB276_54:
	s_or_b32 exec_lo, exec_lo, s11
	v_cmp_gt_u32_e32 vcc_lo, 28, v42
	v_add_nc_u32_e32 v50, 4, v42
	s_mov_b32 s11, exec_lo
	s_waitcnt lgkmcnt(0)
	v_cndmask_b32_e64 v20, 0, 1, vcc_lo
	s_delay_alu instid0(VALU_DEP_1) | instskip(NEXT) | instid1(VALU_DEP_1)
	v_lshlrev_b32_e32 v20, 2, v20
	v_add_lshl_u32 v49, v20, v42, 2
	ds_bpermute_b32 v26, v49, v16
	ds_bpermute_b32 v20, v49, v18
	v_cmpx_le_u32_e64 v50, v15
	;; [unrolled: 22-line block ×4, first 2 shown]
	s_cbranch_execz .LBB276_60
; %bb.59:
	s_waitcnt lgkmcnt(1)
	v_add_co_u32 v15, vcc_lo, v17, v20
	v_add_co_ci_u32_e32 v18, vcc_lo, 0, v18, vcc_lo
	s_delay_alu instid0(VALU_DEP_2) | instskip(SKIP_1) | instid1(VALU_DEP_2)
	v_add_co_u32 v17, vcc_lo, v15, 0
	s_waitcnt lgkmcnt(0)
	v_add_co_ci_u32_e32 v18, vcc_lo, v18, v16, vcc_lo
.LBB276_60:
	s_or_b32 exec_lo, exec_lo, s11
	v_mov_b32_e32 v26, 0
	s_branch .LBB276_62
.LBB276_61:                             ;   in Loop: Header=BB276_62 Depth=1
	s_or_b32 exec_lo, exec_lo, s11
	v_add_co_u32 v17, vcc_lo, v17, v15
	v_subrev_nc_u32_e32 v25, 32, v25
	v_add_co_ci_u32_e32 v18, vcc_lo, v18, v16, vcc_lo
.LBB276_62:                             ; =>This Loop Header: Depth=1
                                        ;     Child Loop BB276_65 Depth 2
                                        ;       Child Loop BB276_66 Depth 3
	v_and_b32_e32 v15, 0xff, v19
	s_delay_alu instid0(VALU_DEP_1) | instskip(SKIP_2) | instid1(VALU_DEP_1)
	v_cmp_ne_u16_e32 vcc_lo, 2, v15
	v_cndmask_b32_e64 v15, 0, 1, vcc_lo
	;;#ASMSTART
	;;#ASMEND
	v_cmp_ne_u32_e32 vcc_lo, 0, v15
	s_waitcnt lgkmcnt(0)
	v_dual_mov_b32 v15, v17 :: v_dual_mov_b32 v16, v18
	s_cmp_lg_u32 vcc_lo, exec_lo
	s_cbranch_scc1 .LBB276_79
; %bb.63:                               ;   in Loop: Header=BB276_62 Depth=1
	v_lshlrev_b64 v[17:18], 4, v[25:26]
	s_mov_b32 s11, exec_lo
	s_delay_alu instid0(VALU_DEP_1) | instskip(NEXT) | instid1(VALU_DEP_2)
	v_add_co_u32 v27, vcc_lo, s8, v17
	v_add_co_ci_u32_e32 v28, vcc_lo, s9, v18, vcc_lo
	;;#ASMSTART
	global_load_dwordx4 v[17:20], v[27:28] off glc	
s_waitcnt vmcnt(0)
	;;#ASMEND
	v_and_b32_e32 v20, 0xff, v18
	v_and_b32_e32 v55, 0xff00, v18
	v_or3_b32 v17, v17, 0, 0
	v_and_b32_e32 v56, 0xff000000, v18
	v_and_b32_e32 v18, 0xff0000, v18
	s_delay_alu instid0(VALU_DEP_4) | instskip(SKIP_2) | instid1(VALU_DEP_3)
	v_or3_b32 v20, 0, v20, v55
	v_and_b32_e32 v55, 0xff, v19
	v_or3_b32 v17, v17, 0, 0
	v_or3_b32 v18, v20, v18, v56
	s_delay_alu instid0(VALU_DEP_3)
	v_cmpx_eq_u16_e32 0, v55
	s_cbranch_execz .LBB276_69
; %bb.64:                               ;   in Loop: Header=BB276_62 Depth=1
	s_mov_b32 s13, 1
	s_mov_b32 s12, 0
	.p2align	6
.LBB276_65:                             ;   Parent Loop BB276_62 Depth=1
                                        ; =>  This Loop Header: Depth=2
                                        ;       Child Loop BB276_66 Depth 3
	s_max_u32 s17, s13, 1
.LBB276_66:                             ;   Parent Loop BB276_62 Depth=1
                                        ;     Parent Loop BB276_65 Depth=2
                                        ; =>    This Inner Loop Header: Depth=3
	s_delay_alu instid0(SALU_CYCLE_1)
	s_add_i32 s17, s17, -1
	s_sleep 1
	s_cmp_eq_u32 s17, 0
	s_cbranch_scc0 .LBB276_66
; %bb.67:                               ;   in Loop: Header=BB276_65 Depth=2
	;;#ASMSTART
	global_load_dwordx4 v[17:20], v[27:28] off glc	
s_waitcnt vmcnt(0)
	;;#ASMEND
	v_and_b32_e32 v20, 0xff, v19
	s_cmp_lt_u32 s13, 32
	s_cselect_b32 s17, -1, 0
	s_delay_alu instid0(SALU_CYCLE_1) | instskip(NEXT) | instid1(VALU_DEP_1)
	s_cmp_lg_u32 s17, 0
	v_cmp_ne_u16_e32 vcc_lo, 0, v20
	s_addc_u32 s13, s13, 0
	s_or_b32 s12, vcc_lo, s12
	s_delay_alu instid0(SALU_CYCLE_1)
	s_and_not1_b32 exec_lo, exec_lo, s12
	s_cbranch_execnz .LBB276_65
; %bb.68:                               ;   in Loop: Header=BB276_62 Depth=1
	s_or_b32 exec_lo, exec_lo, s12
.LBB276_69:                             ;   in Loop: Header=BB276_62 Depth=1
	s_delay_alu instid0(SALU_CYCLE_1)
	s_or_b32 exec_lo, exec_lo, s11
	v_dual_mov_b32 v27, v17 :: v_dual_and_b32 v20, 0xff, v19
	ds_bpermute_b32 v55, v45, v17
	ds_bpermute_b32 v28, v45, v18
	s_mov_b32 s11, exec_lo
	v_cmp_eq_u16_e32 vcc_lo, 2, v20
	v_and_or_b32 v20, vcc_lo, v46, 0x80000000
	s_delay_alu instid0(VALU_DEP_1) | instskip(NEXT) | instid1(VALU_DEP_1)
	v_ctz_i32_b32_e32 v20, v20
	v_cmpx_lt_u32_e64 v42, v20
	s_cbranch_execz .LBB276_71
; %bb.70:                               ;   in Loop: Header=BB276_62 Depth=1
	s_waitcnt lgkmcnt(1)
	v_add_co_u32 v27, vcc_lo, v17, v55
	v_add_co_ci_u32_e32 v18, vcc_lo, 0, v18, vcc_lo
	s_delay_alu instid0(VALU_DEP_2) | instskip(SKIP_1) | instid1(VALU_DEP_2)
	v_add_co_u32 v17, vcc_lo, 0, v27
	s_waitcnt lgkmcnt(0)
	v_add_co_ci_u32_e32 v18, vcc_lo, v28, v18, vcc_lo
.LBB276_71:                             ;   in Loop: Header=BB276_62 Depth=1
	s_or_b32 exec_lo, exec_lo, s11
	s_waitcnt lgkmcnt(1)
	ds_bpermute_b32 v55, v47, v27
	s_waitcnt lgkmcnt(1)
	ds_bpermute_b32 v28, v47, v18
	s_mov_b32 s11, exec_lo
	v_cmpx_le_u32_e64 v48, v20
	s_cbranch_execz .LBB276_73
; %bb.72:                               ;   in Loop: Header=BB276_62 Depth=1
	s_waitcnt lgkmcnt(1)
	v_add_co_u32 v27, vcc_lo, v17, v55
	v_add_co_ci_u32_e32 v18, vcc_lo, 0, v18, vcc_lo
	s_delay_alu instid0(VALU_DEP_2) | instskip(SKIP_1) | instid1(VALU_DEP_2)
	v_add_co_u32 v17, vcc_lo, 0, v27
	s_waitcnt lgkmcnt(0)
	v_add_co_ci_u32_e32 v18, vcc_lo, v28, v18, vcc_lo
.LBB276_73:                             ;   in Loop: Header=BB276_62 Depth=1
	s_or_b32 exec_lo, exec_lo, s11
	s_waitcnt lgkmcnt(1)
	ds_bpermute_b32 v55, v49, v27
	s_waitcnt lgkmcnt(1)
	ds_bpermute_b32 v28, v49, v18
	s_mov_b32 s11, exec_lo
	v_cmpx_le_u32_e64 v50, v20
	;; [unrolled: 17-line block ×3, first 2 shown]
	s_cbranch_execz .LBB276_77
; %bb.76:                               ;   in Loop: Header=BB276_62 Depth=1
	s_waitcnt lgkmcnt(1)
	v_add_co_u32 v27, vcc_lo, v17, v55
	v_add_co_ci_u32_e32 v18, vcc_lo, 0, v18, vcc_lo
	s_delay_alu instid0(VALU_DEP_2) | instskip(SKIP_1) | instid1(VALU_DEP_2)
	v_add_co_u32 v17, vcc_lo, 0, v27
	s_waitcnt lgkmcnt(0)
	v_add_co_ci_u32_e32 v18, vcc_lo, v28, v18, vcc_lo
.LBB276_77:                             ;   in Loop: Header=BB276_62 Depth=1
	s_or_b32 exec_lo, exec_lo, s11
	s_waitcnt lgkmcnt(0)
	ds_bpermute_b32 v28, v53, v27
	ds_bpermute_b32 v27, v53, v18
	s_mov_b32 s11, exec_lo
	v_cmpx_le_u32_e64 v54, v20
	s_cbranch_execz .LBB276_61
; %bb.78:                               ;   in Loop: Header=BB276_62 Depth=1
	s_waitcnt lgkmcnt(1)
	v_add_co_u32 v17, vcc_lo, v17, v28
	v_add_co_ci_u32_e32 v18, vcc_lo, 0, v18, vcc_lo
	s_delay_alu instid0(VALU_DEP_2) | instskip(SKIP_1) | instid1(VALU_DEP_2)
	v_add_co_u32 v17, vcc_lo, v17, 0
	s_waitcnt lgkmcnt(0)
	v_add_co_ci_u32_e32 v18, vcc_lo, v18, v27, vcc_lo
	s_branch .LBB276_61
.LBB276_79:                             ;   in Loop: Header=BB276_62 Depth=1
                                        ; implicit-def: $vgpr17_vgpr18
	s_cbranch_execz .LBB276_62
; %bb.80:
	s_and_saveexec_b32 s11, s3
	s_cbranch_execz .LBB276_82
; %bb.81:
	s_add_i32 s12, s15, 32
	s_mov_b32 s13, 0
	v_add_co_u32 v17, vcc_lo, v15, v13
	s_lshl_b64 s[12:13], s[12:13], 4
	v_dual_mov_b32 v19, 2 :: v_dual_mov_b32 v20, 0
	s_add_u32 s12, s8, s12
	s_addc_u32 s13, s9, s13
	v_add_co_ci_u32_e32 v18, vcc_lo, v16, v14, vcc_lo
	v_dual_mov_b32 v26, s13 :: v_dual_mov_b32 v25, s12
	;;#ASMSTART
	global_store_dwordx4 v[25:26], v[17:20] off	
s_waitcnt vmcnt(0)
	;;#ASMEND
	ds_store_b128 v20, v[13:16] offset:6144
.LBB276_82:
	s_or_b32 exec_lo, exec_lo, s11
	v_cmp_eq_u32_e32 vcc_lo, 0, v0
	s_and_b32 exec_lo, exec_lo, vcc_lo
	s_cbranch_execz .LBB276_84
; %bb.83:
	v_mov_b32_e32 v13, 0
	ds_store_b64 v13, v[15:16] offset:24
.LBB276_84:
	s_or_b32 exec_lo, exec_lo, s10
	s_waitcnt lgkmcnt(1)
	v_cndmask_b32_e64 v16, v29, v23, s3
	v_cmp_ne_u32_e32 vcc_lo, 0, v0
	v_mov_b32_e32 v15, 0
	s_waitcnt lgkmcnt(0)
	s_barrier
	buffer_gl0_inv
	v_cndmask_b32_e32 v16, 0, v16, vcc_lo
	ds_load_b64 v[13:14], v15 offset:24
	v_cndmask_b32_e64 v17, v30, v24, s3
	s_waitcnt lgkmcnt(0)
	s_barrier
	buffer_gl0_inv
	v_cndmask_b32_e32 v17, 0, v17, vcc_lo
	v_add_co_u32 v29, vcc_lo, v13, v16
	s_delay_alu instid0(VALU_DEP_2) | instskip(SKIP_3) | instid1(VALU_DEP_2)
	v_add_co_ci_u32_e32 v30, vcc_lo, v14, v17, vcc_lo
	ds_load_b128 v[13:16], v15 offset:6144
	v_add_co_u32 v27, vcc_lo, v29, v41
	v_add_co_ci_u32_e32 v28, vcc_lo, 0, v30, vcc_lo
	v_add_co_u32 v25, vcc_lo, v27, v40
	s_delay_alu instid0(VALU_DEP_2) | instskip(NEXT) | instid1(VALU_DEP_2)
	v_add_co_ci_u32_e32 v26, vcc_lo, 0, v28, vcc_lo
	v_add_co_u32 v23, vcc_lo, v25, v39
	s_delay_alu instid0(VALU_DEP_2) | instskip(NEXT) | instid1(VALU_DEP_2)
	;; [unrolled: 3-line block ×3, first 2 shown]
	v_add_co_ci_u32_e32 v20, vcc_lo, 0, v24, vcc_lo
	v_add_co_u32 v17, vcc_lo, v19, v37
	s_delay_alu instid0(VALU_DEP_2)
	v_add_co_ci_u32_e32 v18, vcc_lo, 0, v20, vcc_lo
	s_load_b64 s[10:11], s[0:1], 0x30
.LBB276_85:
	s_waitcnt lgkmcnt(0)
	v_cmp_gt_u64_e32 vcc_lo, 0x81, v[13:14]
	s_mov_b32 s0, -1
	s_cbranch_vccnz .LBB276_113
.LBB276_86:
	s_and_b32 vcc_lo, exec_lo, s0
	s_cbranch_vccnz .LBB276_132
.LBB276_87:
	v_cmp_eq_u32_e32 vcc_lo, 0, v0
	s_and_b32 s0, vcc_lo, s14
	s_delay_alu instid0(SALU_CYCLE_1)
	s_and_saveexec_b32 s1, s0
	s_cbranch_execnz .LBB276_148
.LBB276_88:
	s_nop 0
	s_sendmsg sendmsg(MSG_DEALLOC_VGPRS)
	s_endpgm
.LBB276_89:
                                        ; kill: def $vgpr13_vgpr14 killed $sgpr0_sgpr1 killed $exec
                                        ; implicit-def: $vgpr17_vgpr18
                                        ; implicit-def: $vgpr19_vgpr20
                                        ; implicit-def: $vgpr23_vgpr24
                                        ; implicit-def: $vgpr25_vgpr26
                                        ; implicit-def: $vgpr27_vgpr28
                                        ; implicit-def: $vgpr29_vgpr30
                                        ; implicit-def: $vgpr15_vgpr16
	s_load_b64 s[10:11], s[0:1], 0x30
	s_and_b32 vcc_lo, exec_lo, s3
	s_cbranch_vccz .LBB276_85
; %bb.90:
	s_waitcnt lgkmcnt(0)
	v_dual_mov_b32 v14, 0 :: v_dual_mov_b32 v15, v21
	v_mov_b32_dpp v16, v21 row_shr:1 row_mask:0xf bank_mask:0xf
	s_delay_alu instid0(VALU_DEP_2)
	v_mov_b32_dpp v13, v14 row_shr:1 row_mask:0xf bank_mask:0xf
	s_and_saveexec_b32 s0, s2
; %bb.91:
	s_delay_alu instid0(VALU_DEP_2) | instskip(SKIP_1) | instid1(VALU_DEP_2)
	v_add_co_u32 v15, vcc_lo, v21, v16
	v_add_co_ci_u32_e32 v14, vcc_lo, 0, v22, vcc_lo
	v_add_co_u32 v21, vcc_lo, 0, v15
	s_delay_alu instid0(VALU_DEP_2) | instskip(NEXT) | instid1(VALU_DEP_1)
	v_add_co_ci_u32_e32 v22, vcc_lo, v13, v14, vcc_lo
	v_mov_b32_e32 v14, v22
; %bb.92:
	s_or_b32 exec_lo, exec_lo, s0
	v_mov_b32_dpp v13, v15 row_shr:2 row_mask:0xf bank_mask:0xf
	s_delay_alu instid0(VALU_DEP_2)
	v_mov_b32_dpp v16, v14 row_shr:2 row_mask:0xf bank_mask:0xf
	s_mov_b32 s0, exec_lo
	v_cmpx_lt_u32_e32 1, v44
; %bb.93:
	s_delay_alu instid0(VALU_DEP_3) | instskip(SKIP_1) | instid1(VALU_DEP_2)
	v_add_co_u32 v15, vcc_lo, v21, v13
	v_add_co_ci_u32_e32 v14, vcc_lo, 0, v22, vcc_lo
	v_add_co_u32 v13, vcc_lo, 0, v15
	s_delay_alu instid0(VALU_DEP_2) | instskip(NEXT) | instid1(VALU_DEP_1)
	v_add_co_ci_u32_e32 v14, vcc_lo, v16, v14, vcc_lo
	v_dual_mov_b32 v22, v14 :: v_dual_mov_b32 v21, v13
; %bb.94:
	s_or_b32 exec_lo, exec_lo, s0
	v_mov_b32_dpp v13, v15 row_shr:4 row_mask:0xf bank_mask:0xf
	v_mov_b32_dpp v16, v14 row_shr:4 row_mask:0xf bank_mask:0xf
	s_mov_b32 s0, exec_lo
	v_cmpx_lt_u32_e32 3, v44
; %bb.95:
	s_delay_alu instid0(VALU_DEP_3) | instskip(SKIP_1) | instid1(VALU_DEP_2)
	v_add_co_u32 v15, vcc_lo, v21, v13
	v_add_co_ci_u32_e32 v14, vcc_lo, 0, v22, vcc_lo
	v_add_co_u32 v13, vcc_lo, 0, v15
	s_delay_alu instid0(VALU_DEP_2) | instskip(NEXT) | instid1(VALU_DEP_1)
	v_add_co_ci_u32_e32 v14, vcc_lo, v16, v14, vcc_lo
	v_dual_mov_b32 v22, v14 :: v_dual_mov_b32 v21, v13
; %bb.96:
	s_or_b32 exec_lo, exec_lo, s0
	v_mov_b32_dpp v16, v15 row_shr:8 row_mask:0xf bank_mask:0xf
	v_mov_b32_dpp v13, v14 row_shr:8 row_mask:0xf bank_mask:0xf
	s_mov_b32 s0, exec_lo
	v_cmpx_lt_u32_e32 7, v44
; %bb.97:
	s_delay_alu instid0(VALU_DEP_3) | instskip(SKIP_1) | instid1(VALU_DEP_2)
	v_add_co_u32 v15, vcc_lo, v21, v16
	v_add_co_ci_u32_e32 v14, vcc_lo, 0, v22, vcc_lo
	v_add_co_u32 v21, vcc_lo, 0, v15
	s_delay_alu instid0(VALU_DEP_2) | instskip(NEXT) | instid1(VALU_DEP_1)
	v_add_co_ci_u32_e32 v22, vcc_lo, v13, v14, vcc_lo
	v_mov_b32_e32 v14, v22
; %bb.98:
	s_or_b32 exec_lo, exec_lo, s0
	ds_swizzle_b32 v15, v15 offset:swizzle(BROADCAST,32,15)
	ds_swizzle_b32 v13, v14 offset:swizzle(BROADCAST,32,15)
	v_and_b32_e32 v14, 16, v42
	s_mov_b32 s0, exec_lo
	s_delay_alu instid0(VALU_DEP_1)
	v_cmpx_ne_u32_e32 0, v14
	s_cbranch_execz .LBB276_100
; %bb.99:
	s_waitcnt lgkmcnt(1)
	v_add_co_u32 v14, vcc_lo, v21, v15
	v_add_co_ci_u32_e32 v15, vcc_lo, 0, v22, vcc_lo
	s_delay_alu instid0(VALU_DEP_2) | instskip(SKIP_1) | instid1(VALU_DEP_2)
	v_add_co_u32 v21, vcc_lo, v14, 0
	s_waitcnt lgkmcnt(0)
	v_add_co_ci_u32_e32 v22, vcc_lo, v15, v13, vcc_lo
.LBB276_100:
	s_or_b32 exec_lo, exec_lo, s0
	s_waitcnt lgkmcnt(0)
	v_or_b32_e32 v13, 31, v0
	v_lshrrev_b32_e32 v15, 5, v0
	s_mov_b32 s0, exec_lo
	s_delay_alu instid0(VALU_DEP_2)
	v_cmpx_eq_u32_e64 v13, v0
	s_cbranch_execz .LBB276_102
; %bb.101:
	s_delay_alu instid0(VALU_DEP_2)
	v_lshlrev_b32_e32 v13, 3, v15
	ds_store_b64 v13, v[21:22]
.LBB276_102:
	s_or_b32 exec_lo, exec_lo, s0
	s_delay_alu instid0(SALU_CYCLE_1)
	s_mov_b32 s0, exec_lo
	s_waitcnt lgkmcnt(0)
	s_barrier
	buffer_gl0_inv
	v_cmpx_gt_u32_e32 4, v0
	s_cbranch_execz .LBB276_108
; %bb.103:
	v_lshlrev_b32_e32 v13, 1, v0
	s_mov_b32 s1, exec_lo
	s_delay_alu instid0(VALU_DEP_1)
	v_add_nc_u32_e32 v16, v43, v13
	ds_load_b64 v[13:14], v16
	s_waitcnt lgkmcnt(0)
	v_dual_mov_b32 v18, v13 :: v_dual_and_b32 v17, 3, v42
	v_mov_b32_dpp v20, v13 row_shr:1 row_mask:0xf bank_mask:0xf
	v_mov_b32_dpp v19, v14 row_shr:1 row_mask:0xf bank_mask:0xf
	s_delay_alu instid0(VALU_DEP_3)
	v_cmpx_ne_u32_e32 0, v17
; %bb.104:
	s_delay_alu instid0(VALU_DEP_3) | instskip(SKIP_1) | instid1(VALU_DEP_2)
	v_add_co_u32 v18, vcc_lo, v13, v20
	v_add_co_ci_u32_e32 v14, vcc_lo, 0, v14, vcc_lo
	v_add_co_u32 v13, vcc_lo, 0, v18
	s_delay_alu instid0(VALU_DEP_2)
	v_add_co_ci_u32_e32 v14, vcc_lo, v19, v14, vcc_lo
; %bb.105:
	s_or_b32 exec_lo, exec_lo, s1
	v_mov_b32_dpp v19, v18 row_shr:2 row_mask:0xf bank_mask:0xf
	s_delay_alu instid0(VALU_DEP_2)
	v_mov_b32_dpp v18, v14 row_shr:2 row_mask:0xf bank_mask:0xf
	s_mov_b32 s1, exec_lo
	v_cmpx_lt_u32_e32 1, v17
; %bb.106:
	s_delay_alu instid0(VALU_DEP_3) | instskip(SKIP_1) | instid1(VALU_DEP_2)
	v_add_co_u32 v13, vcc_lo, v13, v19
	v_add_co_ci_u32_e32 v14, vcc_lo, 0, v14, vcc_lo
	v_add_co_u32 v13, vcc_lo, v13, 0
	s_delay_alu instid0(VALU_DEP_2)
	v_add_co_ci_u32_e32 v14, vcc_lo, v14, v18, vcc_lo
; %bb.107:
	s_or_b32 exec_lo, exec_lo, s1
	ds_store_b64 v16, v[13:14]
.LBB276_108:
	s_or_b32 exec_lo, exec_lo, s0
	v_mov_b32_e32 v17, 0
	v_mov_b32_e32 v18, 0
	s_mov_b32 s0, exec_lo
	s_waitcnt lgkmcnt(0)
	s_barrier
	buffer_gl0_inv
	v_cmpx_lt_u32_e32 31, v0
	s_cbranch_execz .LBB276_110
; %bb.109:
	v_lshl_add_u32 v13, v15, 3, -8
	ds_load_b64 v[17:18], v13
.LBB276_110:
	s_or_b32 exec_lo, exec_lo, s0
	v_dual_mov_b32 v16, 0 :: v_dual_add_nc_u32 v13, -1, v42
	s_delay_alu instid0(VALU_DEP_1) | instskip(SKIP_4) | instid1(VALU_DEP_3)
	v_cmp_gt_i32_e32 vcc_lo, 0, v13
	v_cndmask_b32_e32 v13, v13, v42, vcc_lo
	s_waitcnt lgkmcnt(0)
	v_add_co_u32 v14, vcc_lo, v17, v21
	v_add_co_ci_u32_e32 v15, vcc_lo, v18, v22, vcc_lo
	v_lshlrev_b32_e32 v13, 2, v13
	v_cmp_eq_u32_e32 vcc_lo, 0, v0
	ds_bpermute_b32 v19, v13, v14
	ds_bpermute_b32 v20, v13, v15
	ds_load_b64 v[13:14], v16 offset:24
	s_and_saveexec_b32 s0, vcc_lo
	s_cbranch_execz .LBB276_112
; %bb.111:
	s_add_u32 s2, s8, 0x200
	s_addc_u32 s3, s9, 0
	s_delay_alu instid0(SALU_CYCLE_1)
	v_dual_mov_b32 v15, 2 :: v_dual_mov_b32 v22, s3
	v_mov_b32_e32 v21, s2
	s_waitcnt lgkmcnt(0)
	;;#ASMSTART
	global_store_dwordx4 v[21:22], v[13:16] off	
s_waitcnt vmcnt(0)
	;;#ASMEND
.LBB276_112:
	s_or_b32 exec_lo, exec_lo, s0
	v_cmp_eq_u32_e64 s0, 0, v42
	s_waitcnt lgkmcnt(0)
	s_barrier
	buffer_gl0_inv
	v_cndmask_b32_e64 v15, v19, v17, s0
	v_cndmask_b32_e64 v16, v20, v18, s0
	s_delay_alu instid0(VALU_DEP_2) | instskip(NEXT) | instid1(VALU_DEP_2)
	v_cndmask_b32_e64 v29, v15, 0, vcc_lo
	v_cndmask_b32_e64 v30, v16, 0, vcc_lo
	v_mov_b32_e32 v15, 0
	v_mov_b32_e32 v16, 0
	s_delay_alu instid0(VALU_DEP_4) | instskip(NEXT) | instid1(VALU_DEP_4)
	v_add_co_u32 v27, vcc_lo, v29, v41
	v_add_co_ci_u32_e32 v28, vcc_lo, 0, v30, vcc_lo
	s_delay_alu instid0(VALU_DEP_2) | instskip(NEXT) | instid1(VALU_DEP_2)
	v_add_co_u32 v25, vcc_lo, v27, v40
	v_add_co_ci_u32_e32 v26, vcc_lo, 0, v28, vcc_lo
	s_delay_alu instid0(VALU_DEP_2) | instskip(NEXT) | instid1(VALU_DEP_2)
	;; [unrolled: 3-line block ×4, first 2 shown]
	v_add_co_u32 v17, vcc_lo, v19, v37
	v_add_co_ci_u32_e32 v18, vcc_lo, 0, v20, vcc_lo
	v_cmp_gt_u64_e32 vcc_lo, 0x81, v[13:14]
	s_mov_b32 s0, -1
	s_cbranch_vccz .LBB276_86
.LBB276_113:
	v_add_co_u32 v21, vcc_lo, v15, v13
	v_add_co_ci_u32_e32 v22, vcc_lo, v16, v14, vcc_lo
	s_delay_alu instid0(VALU_DEP_1) | instskip(SKIP_1) | instid1(SALU_CYCLE_1)
	v_cmp_lt_u64_e32 vcc_lo, v[29:30], v[21:22]
	s_or_b32 s1, s16, vcc_lo
	s_and_saveexec_b32 s0, s1
	s_cbranch_execz .LBB276_116
; %bb.114:
	v_and_b32_e32 v37, 1, v36
	s_delay_alu instid0(VALU_DEP_1)
	v_cmp_eq_u32_e32 vcc_lo, 1, v37
	s_and_b32 exec_lo, exec_lo, vcc_lo
	s_cbranch_execz .LBB276_116
; %bb.115:
	v_lshlrev_b64 v[37:38], 3, v[29:30]
	s_lshl_b64 s[2:3], s[6:7], 3
	s_delay_alu instid0(SALU_CYCLE_1) | instskip(SKIP_1) | instid1(VALU_DEP_1)
	s_add_u32 s1, s10, s2
	s_addc_u32 s2, s11, s3
	v_add_co_u32 v37, vcc_lo, s1, v37
	s_delay_alu instid0(VALU_DEP_2)
	v_add_co_ci_u32_e32 v38, vcc_lo, s2, v38, vcc_lo
	global_store_b64 v[37:38], v[9:10], off
.LBB276_116:
	s_or_b32 exec_lo, exec_lo, s0
	v_cmp_lt_u64_e32 vcc_lo, v[27:28], v[21:22]
	s_or_b32 s1, s16, vcc_lo
	s_delay_alu instid0(SALU_CYCLE_1)
	s_and_saveexec_b32 s0, s1
	s_cbranch_execz .LBB276_119
; %bb.117:
	v_and_b32_e32 v30, 1, v34
	s_delay_alu instid0(VALU_DEP_1)
	v_cmp_eq_u32_e32 vcc_lo, 1, v30
	s_and_b32 exec_lo, exec_lo, vcc_lo
	s_cbranch_execz .LBB276_119
; %bb.118:
	v_lshlrev_b64 v[37:38], 3, v[27:28]
	s_lshl_b64 s[2:3], s[6:7], 3
	s_delay_alu instid0(SALU_CYCLE_1) | instskip(SKIP_1) | instid1(VALU_DEP_1)
	s_add_u32 s1, s10, s2
	s_addc_u32 s2, s11, s3
	v_add_co_u32 v37, vcc_lo, s1, v37
	s_delay_alu instid0(VALU_DEP_2)
	v_add_co_ci_u32_e32 v38, vcc_lo, s2, v38, vcc_lo
	global_store_b64 v[37:38], v[11:12], off
.LBB276_119:
	s_or_b32 exec_lo, exec_lo, s0
	v_cmp_lt_u64_e32 vcc_lo, v[25:26], v[21:22]
	s_or_b32 s1, s16, vcc_lo
	s_delay_alu instid0(SALU_CYCLE_1)
	;; [unrolled: 23-line block ×5, first 2 shown]
	s_and_saveexec_b32 s0, s1
	s_cbranch_execz .LBB276_131
; %bb.129:
	v_and_b32_e32 v20, 1, v32
	s_delay_alu instid0(VALU_DEP_1)
	v_cmp_eq_u32_e32 vcc_lo, 1, v20
	s_and_b32 exec_lo, exec_lo, vcc_lo
	s_cbranch_execz .LBB276_131
; %bb.130:
	v_lshlrev_b64 v[20:21], 3, v[17:18]
	s_lshl_b64 s[2:3], s[6:7], 3
	s_delay_alu instid0(SALU_CYCLE_1) | instskip(SKIP_1) | instid1(VALU_DEP_1)
	s_add_u32 s1, s10, s2
	s_addc_u32 s2, s11, s3
	v_add_co_u32 v20, vcc_lo, s1, v20
	s_delay_alu instid0(VALU_DEP_2)
	v_add_co_ci_u32_e32 v21, vcc_lo, s2, v21, vcc_lo
	global_store_b64 v[20:21], v[3:4], off
.LBB276_131:
	s_or_b32 exec_lo, exec_lo, s0
	s_branch .LBB276_87
.LBB276_132:
	v_and_b32_e32 v18, 1, v36
	s_mov_b32 s0, exec_lo
	s_delay_alu instid0(VALU_DEP_1)
	v_cmpx_eq_u32_e32 1, v18
	s_cbranch_execz .LBB276_134
; %bb.133:
	v_sub_nc_u32_e32 v18, v29, v15
	s_delay_alu instid0(VALU_DEP_1)
	v_lshlrev_b32_e32 v18, 3, v18
	ds_store_b64 v18, v[9:10]
.LBB276_134:
	s_or_b32 exec_lo, exec_lo, s0
	v_and_b32_e32 v9, 1, v34
	s_mov_b32 s0, exec_lo
	s_delay_alu instid0(VALU_DEP_1)
	v_cmpx_eq_u32_e32 1, v9
	s_cbranch_execz .LBB276_136
; %bb.135:
	v_sub_nc_u32_e32 v9, v27, v15
	s_delay_alu instid0(VALU_DEP_1)
	v_lshlrev_b32_e32 v9, 3, v9
	ds_store_b64 v9, v[11:12]
.LBB276_136:
	s_or_b32 exec_lo, exec_lo, s0
	;; [unrolled: 12-line block ×6, first 2 shown]
	v_mov_b32_e32 v3, 0
	s_mov_b32 s1, exec_lo
	s_waitcnt lgkmcnt(0)
	s_waitcnt_vscnt null, 0x0
	s_barrier
	buffer_gl0_inv
	v_mov_b32_e32 v1, v3
	s_delay_alu instid0(VALU_DEP_1)
	v_cmpx_gt_u64_e64 v[13:14], v[0:1]
	s_cbranch_execz .LBB276_147
; %bb.145:
	v_lshlrev_b64 v[4:5], 3, v[15:16]
	s_lshl_b64 s[2:3], s[6:7], 3
	v_or_b32_e32 v2, 0x80, v0
	s_delay_alu instid0(VALU_DEP_2) | instskip(NEXT) | instid1(VALU_DEP_3)
	v_add_co_u32 v4, vcc_lo, s10, v4
	v_add_co_ci_u32_e32 v5, vcc_lo, s11, v5, vcc_lo
	s_delay_alu instid0(VALU_DEP_2) | instskip(NEXT) | instid1(VALU_DEP_2)
	v_add_co_u32 v6, vcc_lo, v4, s2
	v_add_co_ci_u32_e32 v7, vcc_lo, s3, v5, vcc_lo
	v_dual_mov_b32 v5, v1 :: v_dual_mov_b32 v4, v0
	s_mov_b32 s2, 0
	.p2align	6
.LBB276_146:                            ; =>This Inner Loop Header: Depth=1
	s_delay_alu instid0(VALU_DEP_1) | instskip(NEXT) | instid1(VALU_DEP_2)
	v_lshlrev_b32_e32 v1, 3, v4
	v_lshlrev_b64 v[10:11], 3, v[4:5]
	v_dual_mov_b32 v5, v3 :: v_dual_mov_b32 v4, v2
	v_cmp_le_u64_e32 vcc_lo, v[13:14], v[2:3]
	v_add_nc_u32_e32 v2, 0x80, v2
	ds_load_b64 v[8:9], v1
	v_add_co_u32 v10, s0, v6, v10
	s_delay_alu instid0(VALU_DEP_1)
	v_add_co_ci_u32_e64 v11, s0, v7, v11, s0
	s_or_b32 s2, vcc_lo, s2
	s_waitcnt lgkmcnt(0)
	global_store_b64 v[10:11], v[8:9], off
	s_and_not1_b32 exec_lo, exec_lo, s2
	s_cbranch_execnz .LBB276_146
.LBB276_147:
	s_or_b32 exec_lo, exec_lo, s1
	v_cmp_eq_u32_e32 vcc_lo, 0, v0
	s_and_b32 s0, vcc_lo, s14
	s_delay_alu instid0(SALU_CYCLE_1)
	s_and_saveexec_b32 s1, s0
	s_cbranch_execz .LBB276_88
.LBB276_148:
	v_add_co_u32 v0, vcc_lo, v15, v13
	v_add_co_ci_u32_e32 v1, vcc_lo, v16, v14, vcc_lo
	v_mov_b32_e32 v2, 0
	s_delay_alu instid0(VALU_DEP_3) | instskip(NEXT) | instid1(VALU_DEP_3)
	v_add_co_u32 v0, vcc_lo, v0, s6
	v_add_co_ci_u32_e32 v1, vcc_lo, s7, v1, vcc_lo
	global_store_b64 v2, v[0:1], s[4:5]
	s_nop 0
	s_sendmsg sendmsg(MSG_DEALLOC_VGPRS)
	s_endpgm
	.section	.rodata,"a",@progbits
	.p2align	6, 0x0
	.amdhsa_kernel _ZN7rocprim17ROCPRIM_400000_NS6detail17trampoline_kernelINS0_14default_configENS1_25partition_config_selectorILNS1_17partition_subalgoE5ElNS0_10empty_typeEbEEZZNS1_14partition_implILS5_5ELb0ES3_mN6hipcub16HIPCUB_304000_NS21CountingInputIteratorIllEEPS6_NSA_22TransformInputIteratorIbN2at6native12_GLOBAL__N_19NonZeroOpIlEEPKllEENS0_5tupleIJPlS6_EEENSN_IJSD_SD_EEES6_PiJS6_EEE10hipError_tPvRmT3_T4_T5_T6_T7_T9_mT8_P12ihipStream_tbDpT10_ENKUlT_T0_E_clISt17integral_constantIbLb1EES1A_IbLb0EEEEDaS16_S17_EUlS16_E_NS1_11comp_targetILNS1_3genE9ELNS1_11target_archE1100ELNS1_3gpuE3ELNS1_3repE0EEENS1_30default_config_static_selectorELNS0_4arch9wavefront6targetE0EEEvT1_
		.amdhsa_group_segment_fixed_size 6160
		.amdhsa_private_segment_fixed_size 0
		.amdhsa_kernarg_size 120
		.amdhsa_user_sgpr_count 15
		.amdhsa_user_sgpr_dispatch_ptr 0
		.amdhsa_user_sgpr_queue_ptr 0
		.amdhsa_user_sgpr_kernarg_segment_ptr 1
		.amdhsa_user_sgpr_dispatch_id 0
		.amdhsa_user_sgpr_private_segment_size 0
		.amdhsa_wavefront_size32 1
		.amdhsa_uses_dynamic_stack 0
		.amdhsa_enable_private_segment 0
		.amdhsa_system_sgpr_workgroup_id_x 1
		.amdhsa_system_sgpr_workgroup_id_y 0
		.amdhsa_system_sgpr_workgroup_id_z 0
		.amdhsa_system_sgpr_workgroup_info 0
		.amdhsa_system_vgpr_workitem_id 0
		.amdhsa_next_free_vgpr 57
		.amdhsa_next_free_sgpr 21
		.amdhsa_reserve_vcc 1
		.amdhsa_float_round_mode_32 0
		.amdhsa_float_round_mode_16_64 0
		.amdhsa_float_denorm_mode_32 3
		.amdhsa_float_denorm_mode_16_64 3
		.amdhsa_dx10_clamp 1
		.amdhsa_ieee_mode 1
		.amdhsa_fp16_overflow 0
		.amdhsa_workgroup_processor_mode 1
		.amdhsa_memory_ordered 1
		.amdhsa_forward_progress 0
		.amdhsa_shared_vgpr_count 0
		.amdhsa_exception_fp_ieee_invalid_op 0
		.amdhsa_exception_fp_denorm_src 0
		.amdhsa_exception_fp_ieee_div_zero 0
		.amdhsa_exception_fp_ieee_overflow 0
		.amdhsa_exception_fp_ieee_underflow 0
		.amdhsa_exception_fp_ieee_inexact 0
		.amdhsa_exception_int_div_zero 0
	.end_amdhsa_kernel
	.section	.text._ZN7rocprim17ROCPRIM_400000_NS6detail17trampoline_kernelINS0_14default_configENS1_25partition_config_selectorILNS1_17partition_subalgoE5ElNS0_10empty_typeEbEEZZNS1_14partition_implILS5_5ELb0ES3_mN6hipcub16HIPCUB_304000_NS21CountingInputIteratorIllEEPS6_NSA_22TransformInputIteratorIbN2at6native12_GLOBAL__N_19NonZeroOpIlEEPKllEENS0_5tupleIJPlS6_EEENSN_IJSD_SD_EEES6_PiJS6_EEE10hipError_tPvRmT3_T4_T5_T6_T7_T9_mT8_P12ihipStream_tbDpT10_ENKUlT_T0_E_clISt17integral_constantIbLb1EES1A_IbLb0EEEEDaS16_S17_EUlS16_E_NS1_11comp_targetILNS1_3genE9ELNS1_11target_archE1100ELNS1_3gpuE3ELNS1_3repE0EEENS1_30default_config_static_selectorELNS0_4arch9wavefront6targetE0EEEvT1_,"axG",@progbits,_ZN7rocprim17ROCPRIM_400000_NS6detail17trampoline_kernelINS0_14default_configENS1_25partition_config_selectorILNS1_17partition_subalgoE5ElNS0_10empty_typeEbEEZZNS1_14partition_implILS5_5ELb0ES3_mN6hipcub16HIPCUB_304000_NS21CountingInputIteratorIllEEPS6_NSA_22TransformInputIteratorIbN2at6native12_GLOBAL__N_19NonZeroOpIlEEPKllEENS0_5tupleIJPlS6_EEENSN_IJSD_SD_EEES6_PiJS6_EEE10hipError_tPvRmT3_T4_T5_T6_T7_T9_mT8_P12ihipStream_tbDpT10_ENKUlT_T0_E_clISt17integral_constantIbLb1EES1A_IbLb0EEEEDaS16_S17_EUlS16_E_NS1_11comp_targetILNS1_3genE9ELNS1_11target_archE1100ELNS1_3gpuE3ELNS1_3repE0EEENS1_30default_config_static_selectorELNS0_4arch9wavefront6targetE0EEEvT1_,comdat
.Lfunc_end276:
	.size	_ZN7rocprim17ROCPRIM_400000_NS6detail17trampoline_kernelINS0_14default_configENS1_25partition_config_selectorILNS1_17partition_subalgoE5ElNS0_10empty_typeEbEEZZNS1_14partition_implILS5_5ELb0ES3_mN6hipcub16HIPCUB_304000_NS21CountingInputIteratorIllEEPS6_NSA_22TransformInputIteratorIbN2at6native12_GLOBAL__N_19NonZeroOpIlEEPKllEENS0_5tupleIJPlS6_EEENSN_IJSD_SD_EEES6_PiJS6_EEE10hipError_tPvRmT3_T4_T5_T6_T7_T9_mT8_P12ihipStream_tbDpT10_ENKUlT_T0_E_clISt17integral_constantIbLb1EES1A_IbLb0EEEEDaS16_S17_EUlS16_E_NS1_11comp_targetILNS1_3genE9ELNS1_11target_archE1100ELNS1_3gpuE3ELNS1_3repE0EEENS1_30default_config_static_selectorELNS0_4arch9wavefront6targetE0EEEvT1_, .Lfunc_end276-_ZN7rocprim17ROCPRIM_400000_NS6detail17trampoline_kernelINS0_14default_configENS1_25partition_config_selectorILNS1_17partition_subalgoE5ElNS0_10empty_typeEbEEZZNS1_14partition_implILS5_5ELb0ES3_mN6hipcub16HIPCUB_304000_NS21CountingInputIteratorIllEEPS6_NSA_22TransformInputIteratorIbN2at6native12_GLOBAL__N_19NonZeroOpIlEEPKllEENS0_5tupleIJPlS6_EEENSN_IJSD_SD_EEES6_PiJS6_EEE10hipError_tPvRmT3_T4_T5_T6_T7_T9_mT8_P12ihipStream_tbDpT10_ENKUlT_T0_E_clISt17integral_constantIbLb1EES1A_IbLb0EEEEDaS16_S17_EUlS16_E_NS1_11comp_targetILNS1_3genE9ELNS1_11target_archE1100ELNS1_3gpuE3ELNS1_3repE0EEENS1_30default_config_static_selectorELNS0_4arch9wavefront6targetE0EEEvT1_
                                        ; -- End function
	.section	.AMDGPU.csdata,"",@progbits
; Kernel info:
; codeLenInByte = 6524
; NumSgprs: 23
; NumVgprs: 57
; ScratchSize: 0
; MemoryBound: 0
; FloatMode: 240
; IeeeMode: 1
; LDSByteSize: 6160 bytes/workgroup (compile time only)
; SGPRBlocks: 2
; VGPRBlocks: 7
; NumSGPRsForWavesPerEU: 23
; NumVGPRsForWavesPerEU: 57
; Occupancy: 16
; WaveLimiterHint : 1
; COMPUTE_PGM_RSRC2:SCRATCH_EN: 0
; COMPUTE_PGM_RSRC2:USER_SGPR: 15
; COMPUTE_PGM_RSRC2:TRAP_HANDLER: 0
; COMPUTE_PGM_RSRC2:TGID_X_EN: 1
; COMPUTE_PGM_RSRC2:TGID_Y_EN: 0
; COMPUTE_PGM_RSRC2:TGID_Z_EN: 0
; COMPUTE_PGM_RSRC2:TIDIG_COMP_CNT: 0
	.section	.text._ZN7rocprim17ROCPRIM_400000_NS6detail17trampoline_kernelINS0_14default_configENS1_25partition_config_selectorILNS1_17partition_subalgoE5ElNS0_10empty_typeEbEEZZNS1_14partition_implILS5_5ELb0ES3_mN6hipcub16HIPCUB_304000_NS21CountingInputIteratorIllEEPS6_NSA_22TransformInputIteratorIbN2at6native12_GLOBAL__N_19NonZeroOpIlEEPKllEENS0_5tupleIJPlS6_EEENSN_IJSD_SD_EEES6_PiJS6_EEE10hipError_tPvRmT3_T4_T5_T6_T7_T9_mT8_P12ihipStream_tbDpT10_ENKUlT_T0_E_clISt17integral_constantIbLb1EES1A_IbLb0EEEEDaS16_S17_EUlS16_E_NS1_11comp_targetILNS1_3genE8ELNS1_11target_archE1030ELNS1_3gpuE2ELNS1_3repE0EEENS1_30default_config_static_selectorELNS0_4arch9wavefront6targetE0EEEvT1_,"axG",@progbits,_ZN7rocprim17ROCPRIM_400000_NS6detail17trampoline_kernelINS0_14default_configENS1_25partition_config_selectorILNS1_17partition_subalgoE5ElNS0_10empty_typeEbEEZZNS1_14partition_implILS5_5ELb0ES3_mN6hipcub16HIPCUB_304000_NS21CountingInputIteratorIllEEPS6_NSA_22TransformInputIteratorIbN2at6native12_GLOBAL__N_19NonZeroOpIlEEPKllEENS0_5tupleIJPlS6_EEENSN_IJSD_SD_EEES6_PiJS6_EEE10hipError_tPvRmT3_T4_T5_T6_T7_T9_mT8_P12ihipStream_tbDpT10_ENKUlT_T0_E_clISt17integral_constantIbLb1EES1A_IbLb0EEEEDaS16_S17_EUlS16_E_NS1_11comp_targetILNS1_3genE8ELNS1_11target_archE1030ELNS1_3gpuE2ELNS1_3repE0EEENS1_30default_config_static_selectorELNS0_4arch9wavefront6targetE0EEEvT1_,comdat
	.globl	_ZN7rocprim17ROCPRIM_400000_NS6detail17trampoline_kernelINS0_14default_configENS1_25partition_config_selectorILNS1_17partition_subalgoE5ElNS0_10empty_typeEbEEZZNS1_14partition_implILS5_5ELb0ES3_mN6hipcub16HIPCUB_304000_NS21CountingInputIteratorIllEEPS6_NSA_22TransformInputIteratorIbN2at6native12_GLOBAL__N_19NonZeroOpIlEEPKllEENS0_5tupleIJPlS6_EEENSN_IJSD_SD_EEES6_PiJS6_EEE10hipError_tPvRmT3_T4_T5_T6_T7_T9_mT8_P12ihipStream_tbDpT10_ENKUlT_T0_E_clISt17integral_constantIbLb1EES1A_IbLb0EEEEDaS16_S17_EUlS16_E_NS1_11comp_targetILNS1_3genE8ELNS1_11target_archE1030ELNS1_3gpuE2ELNS1_3repE0EEENS1_30default_config_static_selectorELNS0_4arch9wavefront6targetE0EEEvT1_ ; -- Begin function _ZN7rocprim17ROCPRIM_400000_NS6detail17trampoline_kernelINS0_14default_configENS1_25partition_config_selectorILNS1_17partition_subalgoE5ElNS0_10empty_typeEbEEZZNS1_14partition_implILS5_5ELb0ES3_mN6hipcub16HIPCUB_304000_NS21CountingInputIteratorIllEEPS6_NSA_22TransformInputIteratorIbN2at6native12_GLOBAL__N_19NonZeroOpIlEEPKllEENS0_5tupleIJPlS6_EEENSN_IJSD_SD_EEES6_PiJS6_EEE10hipError_tPvRmT3_T4_T5_T6_T7_T9_mT8_P12ihipStream_tbDpT10_ENKUlT_T0_E_clISt17integral_constantIbLb1EES1A_IbLb0EEEEDaS16_S17_EUlS16_E_NS1_11comp_targetILNS1_3genE8ELNS1_11target_archE1030ELNS1_3gpuE2ELNS1_3repE0EEENS1_30default_config_static_selectorELNS0_4arch9wavefront6targetE0EEEvT1_
	.p2align	8
	.type	_ZN7rocprim17ROCPRIM_400000_NS6detail17trampoline_kernelINS0_14default_configENS1_25partition_config_selectorILNS1_17partition_subalgoE5ElNS0_10empty_typeEbEEZZNS1_14partition_implILS5_5ELb0ES3_mN6hipcub16HIPCUB_304000_NS21CountingInputIteratorIllEEPS6_NSA_22TransformInputIteratorIbN2at6native12_GLOBAL__N_19NonZeroOpIlEEPKllEENS0_5tupleIJPlS6_EEENSN_IJSD_SD_EEES6_PiJS6_EEE10hipError_tPvRmT3_T4_T5_T6_T7_T9_mT8_P12ihipStream_tbDpT10_ENKUlT_T0_E_clISt17integral_constantIbLb1EES1A_IbLb0EEEEDaS16_S17_EUlS16_E_NS1_11comp_targetILNS1_3genE8ELNS1_11target_archE1030ELNS1_3gpuE2ELNS1_3repE0EEENS1_30default_config_static_selectorELNS0_4arch9wavefront6targetE0EEEvT1_,@function
_ZN7rocprim17ROCPRIM_400000_NS6detail17trampoline_kernelINS0_14default_configENS1_25partition_config_selectorILNS1_17partition_subalgoE5ElNS0_10empty_typeEbEEZZNS1_14partition_implILS5_5ELb0ES3_mN6hipcub16HIPCUB_304000_NS21CountingInputIteratorIllEEPS6_NSA_22TransformInputIteratorIbN2at6native12_GLOBAL__N_19NonZeroOpIlEEPKllEENS0_5tupleIJPlS6_EEENSN_IJSD_SD_EEES6_PiJS6_EEE10hipError_tPvRmT3_T4_T5_T6_T7_T9_mT8_P12ihipStream_tbDpT10_ENKUlT_T0_E_clISt17integral_constantIbLb1EES1A_IbLb0EEEEDaS16_S17_EUlS16_E_NS1_11comp_targetILNS1_3genE8ELNS1_11target_archE1030ELNS1_3gpuE2ELNS1_3repE0EEENS1_30default_config_static_selectorELNS0_4arch9wavefront6targetE0EEEvT1_: ; @_ZN7rocprim17ROCPRIM_400000_NS6detail17trampoline_kernelINS0_14default_configENS1_25partition_config_selectorILNS1_17partition_subalgoE5ElNS0_10empty_typeEbEEZZNS1_14partition_implILS5_5ELb0ES3_mN6hipcub16HIPCUB_304000_NS21CountingInputIteratorIllEEPS6_NSA_22TransformInputIteratorIbN2at6native12_GLOBAL__N_19NonZeroOpIlEEPKllEENS0_5tupleIJPlS6_EEENSN_IJSD_SD_EEES6_PiJS6_EEE10hipError_tPvRmT3_T4_T5_T6_T7_T9_mT8_P12ihipStream_tbDpT10_ENKUlT_T0_E_clISt17integral_constantIbLb1EES1A_IbLb0EEEEDaS16_S17_EUlS16_E_NS1_11comp_targetILNS1_3genE8ELNS1_11target_archE1030ELNS1_3gpuE2ELNS1_3repE0EEENS1_30default_config_static_selectorELNS0_4arch9wavefront6targetE0EEEvT1_
; %bb.0:
	.section	.rodata,"a",@progbits
	.p2align	6, 0x0
	.amdhsa_kernel _ZN7rocprim17ROCPRIM_400000_NS6detail17trampoline_kernelINS0_14default_configENS1_25partition_config_selectorILNS1_17partition_subalgoE5ElNS0_10empty_typeEbEEZZNS1_14partition_implILS5_5ELb0ES3_mN6hipcub16HIPCUB_304000_NS21CountingInputIteratorIllEEPS6_NSA_22TransformInputIteratorIbN2at6native12_GLOBAL__N_19NonZeroOpIlEEPKllEENS0_5tupleIJPlS6_EEENSN_IJSD_SD_EEES6_PiJS6_EEE10hipError_tPvRmT3_T4_T5_T6_T7_T9_mT8_P12ihipStream_tbDpT10_ENKUlT_T0_E_clISt17integral_constantIbLb1EES1A_IbLb0EEEEDaS16_S17_EUlS16_E_NS1_11comp_targetILNS1_3genE8ELNS1_11target_archE1030ELNS1_3gpuE2ELNS1_3repE0EEENS1_30default_config_static_selectorELNS0_4arch9wavefront6targetE0EEEvT1_
		.amdhsa_group_segment_fixed_size 0
		.amdhsa_private_segment_fixed_size 0
		.amdhsa_kernarg_size 120
		.amdhsa_user_sgpr_count 15
		.amdhsa_user_sgpr_dispatch_ptr 0
		.amdhsa_user_sgpr_queue_ptr 0
		.amdhsa_user_sgpr_kernarg_segment_ptr 1
		.amdhsa_user_sgpr_dispatch_id 0
		.amdhsa_user_sgpr_private_segment_size 0
		.amdhsa_wavefront_size32 1
		.amdhsa_uses_dynamic_stack 0
		.amdhsa_enable_private_segment 0
		.amdhsa_system_sgpr_workgroup_id_x 1
		.amdhsa_system_sgpr_workgroup_id_y 0
		.amdhsa_system_sgpr_workgroup_id_z 0
		.amdhsa_system_sgpr_workgroup_info 0
		.amdhsa_system_vgpr_workitem_id 0
		.amdhsa_next_free_vgpr 1
		.amdhsa_next_free_sgpr 1
		.amdhsa_reserve_vcc 0
		.amdhsa_float_round_mode_32 0
		.amdhsa_float_round_mode_16_64 0
		.amdhsa_float_denorm_mode_32 3
		.amdhsa_float_denorm_mode_16_64 3
		.amdhsa_dx10_clamp 1
		.amdhsa_ieee_mode 1
		.amdhsa_fp16_overflow 0
		.amdhsa_workgroup_processor_mode 1
		.amdhsa_memory_ordered 1
		.amdhsa_forward_progress 0
		.amdhsa_shared_vgpr_count 0
		.amdhsa_exception_fp_ieee_invalid_op 0
		.amdhsa_exception_fp_denorm_src 0
		.amdhsa_exception_fp_ieee_div_zero 0
		.amdhsa_exception_fp_ieee_overflow 0
		.amdhsa_exception_fp_ieee_underflow 0
		.amdhsa_exception_fp_ieee_inexact 0
		.amdhsa_exception_int_div_zero 0
	.end_amdhsa_kernel
	.section	.text._ZN7rocprim17ROCPRIM_400000_NS6detail17trampoline_kernelINS0_14default_configENS1_25partition_config_selectorILNS1_17partition_subalgoE5ElNS0_10empty_typeEbEEZZNS1_14partition_implILS5_5ELb0ES3_mN6hipcub16HIPCUB_304000_NS21CountingInputIteratorIllEEPS6_NSA_22TransformInputIteratorIbN2at6native12_GLOBAL__N_19NonZeroOpIlEEPKllEENS0_5tupleIJPlS6_EEENSN_IJSD_SD_EEES6_PiJS6_EEE10hipError_tPvRmT3_T4_T5_T6_T7_T9_mT8_P12ihipStream_tbDpT10_ENKUlT_T0_E_clISt17integral_constantIbLb1EES1A_IbLb0EEEEDaS16_S17_EUlS16_E_NS1_11comp_targetILNS1_3genE8ELNS1_11target_archE1030ELNS1_3gpuE2ELNS1_3repE0EEENS1_30default_config_static_selectorELNS0_4arch9wavefront6targetE0EEEvT1_,"axG",@progbits,_ZN7rocprim17ROCPRIM_400000_NS6detail17trampoline_kernelINS0_14default_configENS1_25partition_config_selectorILNS1_17partition_subalgoE5ElNS0_10empty_typeEbEEZZNS1_14partition_implILS5_5ELb0ES3_mN6hipcub16HIPCUB_304000_NS21CountingInputIteratorIllEEPS6_NSA_22TransformInputIteratorIbN2at6native12_GLOBAL__N_19NonZeroOpIlEEPKllEENS0_5tupleIJPlS6_EEENSN_IJSD_SD_EEES6_PiJS6_EEE10hipError_tPvRmT3_T4_T5_T6_T7_T9_mT8_P12ihipStream_tbDpT10_ENKUlT_T0_E_clISt17integral_constantIbLb1EES1A_IbLb0EEEEDaS16_S17_EUlS16_E_NS1_11comp_targetILNS1_3genE8ELNS1_11target_archE1030ELNS1_3gpuE2ELNS1_3repE0EEENS1_30default_config_static_selectorELNS0_4arch9wavefront6targetE0EEEvT1_,comdat
.Lfunc_end277:
	.size	_ZN7rocprim17ROCPRIM_400000_NS6detail17trampoline_kernelINS0_14default_configENS1_25partition_config_selectorILNS1_17partition_subalgoE5ElNS0_10empty_typeEbEEZZNS1_14partition_implILS5_5ELb0ES3_mN6hipcub16HIPCUB_304000_NS21CountingInputIteratorIllEEPS6_NSA_22TransformInputIteratorIbN2at6native12_GLOBAL__N_19NonZeroOpIlEEPKllEENS0_5tupleIJPlS6_EEENSN_IJSD_SD_EEES6_PiJS6_EEE10hipError_tPvRmT3_T4_T5_T6_T7_T9_mT8_P12ihipStream_tbDpT10_ENKUlT_T0_E_clISt17integral_constantIbLb1EES1A_IbLb0EEEEDaS16_S17_EUlS16_E_NS1_11comp_targetILNS1_3genE8ELNS1_11target_archE1030ELNS1_3gpuE2ELNS1_3repE0EEENS1_30default_config_static_selectorELNS0_4arch9wavefront6targetE0EEEvT1_, .Lfunc_end277-_ZN7rocprim17ROCPRIM_400000_NS6detail17trampoline_kernelINS0_14default_configENS1_25partition_config_selectorILNS1_17partition_subalgoE5ElNS0_10empty_typeEbEEZZNS1_14partition_implILS5_5ELb0ES3_mN6hipcub16HIPCUB_304000_NS21CountingInputIteratorIllEEPS6_NSA_22TransformInputIteratorIbN2at6native12_GLOBAL__N_19NonZeroOpIlEEPKllEENS0_5tupleIJPlS6_EEENSN_IJSD_SD_EEES6_PiJS6_EEE10hipError_tPvRmT3_T4_T5_T6_T7_T9_mT8_P12ihipStream_tbDpT10_ENKUlT_T0_E_clISt17integral_constantIbLb1EES1A_IbLb0EEEEDaS16_S17_EUlS16_E_NS1_11comp_targetILNS1_3genE8ELNS1_11target_archE1030ELNS1_3gpuE2ELNS1_3repE0EEENS1_30default_config_static_selectorELNS0_4arch9wavefront6targetE0EEEvT1_
                                        ; -- End function
	.section	.AMDGPU.csdata,"",@progbits
; Kernel info:
; codeLenInByte = 0
; NumSgprs: 0
; NumVgprs: 0
; ScratchSize: 0
; MemoryBound: 0
; FloatMode: 240
; IeeeMode: 1
; LDSByteSize: 0 bytes/workgroup (compile time only)
; SGPRBlocks: 0
; VGPRBlocks: 0
; NumSGPRsForWavesPerEU: 1
; NumVGPRsForWavesPerEU: 1
; Occupancy: 16
; WaveLimiterHint : 0
; COMPUTE_PGM_RSRC2:SCRATCH_EN: 0
; COMPUTE_PGM_RSRC2:USER_SGPR: 15
; COMPUTE_PGM_RSRC2:TRAP_HANDLER: 0
; COMPUTE_PGM_RSRC2:TGID_X_EN: 1
; COMPUTE_PGM_RSRC2:TGID_Y_EN: 0
; COMPUTE_PGM_RSRC2:TGID_Z_EN: 0
; COMPUTE_PGM_RSRC2:TIDIG_COMP_CNT: 0
	.section	.text._ZN7rocprim17ROCPRIM_400000_NS6detail17trampoline_kernelINS0_14default_configENS1_25partition_config_selectorILNS1_17partition_subalgoE5ElNS0_10empty_typeEbEEZZNS1_14partition_implILS5_5ELb0ES3_mN6hipcub16HIPCUB_304000_NS21CountingInputIteratorIllEEPS6_NSA_22TransformInputIteratorIbN2at6native12_GLOBAL__N_19NonZeroOpIlEEPKllEENS0_5tupleIJPlS6_EEENSN_IJSD_SD_EEES6_PiJS6_EEE10hipError_tPvRmT3_T4_T5_T6_T7_T9_mT8_P12ihipStream_tbDpT10_ENKUlT_T0_E_clISt17integral_constantIbLb0EES1A_IbLb1EEEEDaS16_S17_EUlS16_E_NS1_11comp_targetILNS1_3genE0ELNS1_11target_archE4294967295ELNS1_3gpuE0ELNS1_3repE0EEENS1_30default_config_static_selectorELNS0_4arch9wavefront6targetE0EEEvT1_,"axG",@progbits,_ZN7rocprim17ROCPRIM_400000_NS6detail17trampoline_kernelINS0_14default_configENS1_25partition_config_selectorILNS1_17partition_subalgoE5ElNS0_10empty_typeEbEEZZNS1_14partition_implILS5_5ELb0ES3_mN6hipcub16HIPCUB_304000_NS21CountingInputIteratorIllEEPS6_NSA_22TransformInputIteratorIbN2at6native12_GLOBAL__N_19NonZeroOpIlEEPKllEENS0_5tupleIJPlS6_EEENSN_IJSD_SD_EEES6_PiJS6_EEE10hipError_tPvRmT3_T4_T5_T6_T7_T9_mT8_P12ihipStream_tbDpT10_ENKUlT_T0_E_clISt17integral_constantIbLb0EES1A_IbLb1EEEEDaS16_S17_EUlS16_E_NS1_11comp_targetILNS1_3genE0ELNS1_11target_archE4294967295ELNS1_3gpuE0ELNS1_3repE0EEENS1_30default_config_static_selectorELNS0_4arch9wavefront6targetE0EEEvT1_,comdat
	.globl	_ZN7rocprim17ROCPRIM_400000_NS6detail17trampoline_kernelINS0_14default_configENS1_25partition_config_selectorILNS1_17partition_subalgoE5ElNS0_10empty_typeEbEEZZNS1_14partition_implILS5_5ELb0ES3_mN6hipcub16HIPCUB_304000_NS21CountingInputIteratorIllEEPS6_NSA_22TransformInputIteratorIbN2at6native12_GLOBAL__N_19NonZeroOpIlEEPKllEENS0_5tupleIJPlS6_EEENSN_IJSD_SD_EEES6_PiJS6_EEE10hipError_tPvRmT3_T4_T5_T6_T7_T9_mT8_P12ihipStream_tbDpT10_ENKUlT_T0_E_clISt17integral_constantIbLb0EES1A_IbLb1EEEEDaS16_S17_EUlS16_E_NS1_11comp_targetILNS1_3genE0ELNS1_11target_archE4294967295ELNS1_3gpuE0ELNS1_3repE0EEENS1_30default_config_static_selectorELNS0_4arch9wavefront6targetE0EEEvT1_ ; -- Begin function _ZN7rocprim17ROCPRIM_400000_NS6detail17trampoline_kernelINS0_14default_configENS1_25partition_config_selectorILNS1_17partition_subalgoE5ElNS0_10empty_typeEbEEZZNS1_14partition_implILS5_5ELb0ES3_mN6hipcub16HIPCUB_304000_NS21CountingInputIteratorIllEEPS6_NSA_22TransformInputIteratorIbN2at6native12_GLOBAL__N_19NonZeroOpIlEEPKllEENS0_5tupleIJPlS6_EEENSN_IJSD_SD_EEES6_PiJS6_EEE10hipError_tPvRmT3_T4_T5_T6_T7_T9_mT8_P12ihipStream_tbDpT10_ENKUlT_T0_E_clISt17integral_constantIbLb0EES1A_IbLb1EEEEDaS16_S17_EUlS16_E_NS1_11comp_targetILNS1_3genE0ELNS1_11target_archE4294967295ELNS1_3gpuE0ELNS1_3repE0EEENS1_30default_config_static_selectorELNS0_4arch9wavefront6targetE0EEEvT1_
	.p2align	8
	.type	_ZN7rocprim17ROCPRIM_400000_NS6detail17trampoline_kernelINS0_14default_configENS1_25partition_config_selectorILNS1_17partition_subalgoE5ElNS0_10empty_typeEbEEZZNS1_14partition_implILS5_5ELb0ES3_mN6hipcub16HIPCUB_304000_NS21CountingInputIteratorIllEEPS6_NSA_22TransformInputIteratorIbN2at6native12_GLOBAL__N_19NonZeroOpIlEEPKllEENS0_5tupleIJPlS6_EEENSN_IJSD_SD_EEES6_PiJS6_EEE10hipError_tPvRmT3_T4_T5_T6_T7_T9_mT8_P12ihipStream_tbDpT10_ENKUlT_T0_E_clISt17integral_constantIbLb0EES1A_IbLb1EEEEDaS16_S17_EUlS16_E_NS1_11comp_targetILNS1_3genE0ELNS1_11target_archE4294967295ELNS1_3gpuE0ELNS1_3repE0EEENS1_30default_config_static_selectorELNS0_4arch9wavefront6targetE0EEEvT1_,@function
_ZN7rocprim17ROCPRIM_400000_NS6detail17trampoline_kernelINS0_14default_configENS1_25partition_config_selectorILNS1_17partition_subalgoE5ElNS0_10empty_typeEbEEZZNS1_14partition_implILS5_5ELb0ES3_mN6hipcub16HIPCUB_304000_NS21CountingInputIteratorIllEEPS6_NSA_22TransformInputIteratorIbN2at6native12_GLOBAL__N_19NonZeroOpIlEEPKllEENS0_5tupleIJPlS6_EEENSN_IJSD_SD_EEES6_PiJS6_EEE10hipError_tPvRmT3_T4_T5_T6_T7_T9_mT8_P12ihipStream_tbDpT10_ENKUlT_T0_E_clISt17integral_constantIbLb0EES1A_IbLb1EEEEDaS16_S17_EUlS16_E_NS1_11comp_targetILNS1_3genE0ELNS1_11target_archE4294967295ELNS1_3gpuE0ELNS1_3repE0EEENS1_30default_config_static_selectorELNS0_4arch9wavefront6targetE0EEEvT1_: ; @_ZN7rocprim17ROCPRIM_400000_NS6detail17trampoline_kernelINS0_14default_configENS1_25partition_config_selectorILNS1_17partition_subalgoE5ElNS0_10empty_typeEbEEZZNS1_14partition_implILS5_5ELb0ES3_mN6hipcub16HIPCUB_304000_NS21CountingInputIteratorIllEEPS6_NSA_22TransformInputIteratorIbN2at6native12_GLOBAL__N_19NonZeroOpIlEEPKllEENS0_5tupleIJPlS6_EEENSN_IJSD_SD_EEES6_PiJS6_EEE10hipError_tPvRmT3_T4_T5_T6_T7_T9_mT8_P12ihipStream_tbDpT10_ENKUlT_T0_E_clISt17integral_constantIbLb0EES1A_IbLb1EEEEDaS16_S17_EUlS16_E_NS1_11comp_targetILNS1_3genE0ELNS1_11target_archE4294967295ELNS1_3gpuE0ELNS1_3repE0EEENS1_30default_config_static_selectorELNS0_4arch9wavefront6targetE0EEEvT1_
; %bb.0:
	.section	.rodata,"a",@progbits
	.p2align	6, 0x0
	.amdhsa_kernel _ZN7rocprim17ROCPRIM_400000_NS6detail17trampoline_kernelINS0_14default_configENS1_25partition_config_selectorILNS1_17partition_subalgoE5ElNS0_10empty_typeEbEEZZNS1_14partition_implILS5_5ELb0ES3_mN6hipcub16HIPCUB_304000_NS21CountingInputIteratorIllEEPS6_NSA_22TransformInputIteratorIbN2at6native12_GLOBAL__N_19NonZeroOpIlEEPKllEENS0_5tupleIJPlS6_EEENSN_IJSD_SD_EEES6_PiJS6_EEE10hipError_tPvRmT3_T4_T5_T6_T7_T9_mT8_P12ihipStream_tbDpT10_ENKUlT_T0_E_clISt17integral_constantIbLb0EES1A_IbLb1EEEEDaS16_S17_EUlS16_E_NS1_11comp_targetILNS1_3genE0ELNS1_11target_archE4294967295ELNS1_3gpuE0ELNS1_3repE0EEENS1_30default_config_static_selectorELNS0_4arch9wavefront6targetE0EEEvT1_
		.amdhsa_group_segment_fixed_size 0
		.amdhsa_private_segment_fixed_size 0
		.amdhsa_kernarg_size 136
		.amdhsa_user_sgpr_count 15
		.amdhsa_user_sgpr_dispatch_ptr 0
		.amdhsa_user_sgpr_queue_ptr 0
		.amdhsa_user_sgpr_kernarg_segment_ptr 1
		.amdhsa_user_sgpr_dispatch_id 0
		.amdhsa_user_sgpr_private_segment_size 0
		.amdhsa_wavefront_size32 1
		.amdhsa_uses_dynamic_stack 0
		.amdhsa_enable_private_segment 0
		.amdhsa_system_sgpr_workgroup_id_x 1
		.amdhsa_system_sgpr_workgroup_id_y 0
		.amdhsa_system_sgpr_workgroup_id_z 0
		.amdhsa_system_sgpr_workgroup_info 0
		.amdhsa_system_vgpr_workitem_id 0
		.amdhsa_next_free_vgpr 1
		.amdhsa_next_free_sgpr 1
		.amdhsa_reserve_vcc 0
		.amdhsa_float_round_mode_32 0
		.amdhsa_float_round_mode_16_64 0
		.amdhsa_float_denorm_mode_32 3
		.amdhsa_float_denorm_mode_16_64 3
		.amdhsa_dx10_clamp 1
		.amdhsa_ieee_mode 1
		.amdhsa_fp16_overflow 0
		.amdhsa_workgroup_processor_mode 1
		.amdhsa_memory_ordered 1
		.amdhsa_forward_progress 0
		.amdhsa_shared_vgpr_count 0
		.amdhsa_exception_fp_ieee_invalid_op 0
		.amdhsa_exception_fp_denorm_src 0
		.amdhsa_exception_fp_ieee_div_zero 0
		.amdhsa_exception_fp_ieee_overflow 0
		.amdhsa_exception_fp_ieee_underflow 0
		.amdhsa_exception_fp_ieee_inexact 0
		.amdhsa_exception_int_div_zero 0
	.end_amdhsa_kernel
	.section	.text._ZN7rocprim17ROCPRIM_400000_NS6detail17trampoline_kernelINS0_14default_configENS1_25partition_config_selectorILNS1_17partition_subalgoE5ElNS0_10empty_typeEbEEZZNS1_14partition_implILS5_5ELb0ES3_mN6hipcub16HIPCUB_304000_NS21CountingInputIteratorIllEEPS6_NSA_22TransformInputIteratorIbN2at6native12_GLOBAL__N_19NonZeroOpIlEEPKllEENS0_5tupleIJPlS6_EEENSN_IJSD_SD_EEES6_PiJS6_EEE10hipError_tPvRmT3_T4_T5_T6_T7_T9_mT8_P12ihipStream_tbDpT10_ENKUlT_T0_E_clISt17integral_constantIbLb0EES1A_IbLb1EEEEDaS16_S17_EUlS16_E_NS1_11comp_targetILNS1_3genE0ELNS1_11target_archE4294967295ELNS1_3gpuE0ELNS1_3repE0EEENS1_30default_config_static_selectorELNS0_4arch9wavefront6targetE0EEEvT1_,"axG",@progbits,_ZN7rocprim17ROCPRIM_400000_NS6detail17trampoline_kernelINS0_14default_configENS1_25partition_config_selectorILNS1_17partition_subalgoE5ElNS0_10empty_typeEbEEZZNS1_14partition_implILS5_5ELb0ES3_mN6hipcub16HIPCUB_304000_NS21CountingInputIteratorIllEEPS6_NSA_22TransformInputIteratorIbN2at6native12_GLOBAL__N_19NonZeroOpIlEEPKllEENS0_5tupleIJPlS6_EEENSN_IJSD_SD_EEES6_PiJS6_EEE10hipError_tPvRmT3_T4_T5_T6_T7_T9_mT8_P12ihipStream_tbDpT10_ENKUlT_T0_E_clISt17integral_constantIbLb0EES1A_IbLb1EEEEDaS16_S17_EUlS16_E_NS1_11comp_targetILNS1_3genE0ELNS1_11target_archE4294967295ELNS1_3gpuE0ELNS1_3repE0EEENS1_30default_config_static_selectorELNS0_4arch9wavefront6targetE0EEEvT1_,comdat
.Lfunc_end278:
	.size	_ZN7rocprim17ROCPRIM_400000_NS6detail17trampoline_kernelINS0_14default_configENS1_25partition_config_selectorILNS1_17partition_subalgoE5ElNS0_10empty_typeEbEEZZNS1_14partition_implILS5_5ELb0ES3_mN6hipcub16HIPCUB_304000_NS21CountingInputIteratorIllEEPS6_NSA_22TransformInputIteratorIbN2at6native12_GLOBAL__N_19NonZeroOpIlEEPKllEENS0_5tupleIJPlS6_EEENSN_IJSD_SD_EEES6_PiJS6_EEE10hipError_tPvRmT3_T4_T5_T6_T7_T9_mT8_P12ihipStream_tbDpT10_ENKUlT_T0_E_clISt17integral_constantIbLb0EES1A_IbLb1EEEEDaS16_S17_EUlS16_E_NS1_11comp_targetILNS1_3genE0ELNS1_11target_archE4294967295ELNS1_3gpuE0ELNS1_3repE0EEENS1_30default_config_static_selectorELNS0_4arch9wavefront6targetE0EEEvT1_, .Lfunc_end278-_ZN7rocprim17ROCPRIM_400000_NS6detail17trampoline_kernelINS0_14default_configENS1_25partition_config_selectorILNS1_17partition_subalgoE5ElNS0_10empty_typeEbEEZZNS1_14partition_implILS5_5ELb0ES3_mN6hipcub16HIPCUB_304000_NS21CountingInputIteratorIllEEPS6_NSA_22TransformInputIteratorIbN2at6native12_GLOBAL__N_19NonZeroOpIlEEPKllEENS0_5tupleIJPlS6_EEENSN_IJSD_SD_EEES6_PiJS6_EEE10hipError_tPvRmT3_T4_T5_T6_T7_T9_mT8_P12ihipStream_tbDpT10_ENKUlT_T0_E_clISt17integral_constantIbLb0EES1A_IbLb1EEEEDaS16_S17_EUlS16_E_NS1_11comp_targetILNS1_3genE0ELNS1_11target_archE4294967295ELNS1_3gpuE0ELNS1_3repE0EEENS1_30default_config_static_selectorELNS0_4arch9wavefront6targetE0EEEvT1_
                                        ; -- End function
	.section	.AMDGPU.csdata,"",@progbits
; Kernel info:
; codeLenInByte = 0
; NumSgprs: 0
; NumVgprs: 0
; ScratchSize: 0
; MemoryBound: 0
; FloatMode: 240
; IeeeMode: 1
; LDSByteSize: 0 bytes/workgroup (compile time only)
; SGPRBlocks: 0
; VGPRBlocks: 0
; NumSGPRsForWavesPerEU: 1
; NumVGPRsForWavesPerEU: 1
; Occupancy: 16
; WaveLimiterHint : 0
; COMPUTE_PGM_RSRC2:SCRATCH_EN: 0
; COMPUTE_PGM_RSRC2:USER_SGPR: 15
; COMPUTE_PGM_RSRC2:TRAP_HANDLER: 0
; COMPUTE_PGM_RSRC2:TGID_X_EN: 1
; COMPUTE_PGM_RSRC2:TGID_Y_EN: 0
; COMPUTE_PGM_RSRC2:TGID_Z_EN: 0
; COMPUTE_PGM_RSRC2:TIDIG_COMP_CNT: 0
	.section	.text._ZN7rocprim17ROCPRIM_400000_NS6detail17trampoline_kernelINS0_14default_configENS1_25partition_config_selectorILNS1_17partition_subalgoE5ElNS0_10empty_typeEbEEZZNS1_14partition_implILS5_5ELb0ES3_mN6hipcub16HIPCUB_304000_NS21CountingInputIteratorIllEEPS6_NSA_22TransformInputIteratorIbN2at6native12_GLOBAL__N_19NonZeroOpIlEEPKllEENS0_5tupleIJPlS6_EEENSN_IJSD_SD_EEES6_PiJS6_EEE10hipError_tPvRmT3_T4_T5_T6_T7_T9_mT8_P12ihipStream_tbDpT10_ENKUlT_T0_E_clISt17integral_constantIbLb0EES1A_IbLb1EEEEDaS16_S17_EUlS16_E_NS1_11comp_targetILNS1_3genE5ELNS1_11target_archE942ELNS1_3gpuE9ELNS1_3repE0EEENS1_30default_config_static_selectorELNS0_4arch9wavefront6targetE0EEEvT1_,"axG",@progbits,_ZN7rocprim17ROCPRIM_400000_NS6detail17trampoline_kernelINS0_14default_configENS1_25partition_config_selectorILNS1_17partition_subalgoE5ElNS0_10empty_typeEbEEZZNS1_14partition_implILS5_5ELb0ES3_mN6hipcub16HIPCUB_304000_NS21CountingInputIteratorIllEEPS6_NSA_22TransformInputIteratorIbN2at6native12_GLOBAL__N_19NonZeroOpIlEEPKllEENS0_5tupleIJPlS6_EEENSN_IJSD_SD_EEES6_PiJS6_EEE10hipError_tPvRmT3_T4_T5_T6_T7_T9_mT8_P12ihipStream_tbDpT10_ENKUlT_T0_E_clISt17integral_constantIbLb0EES1A_IbLb1EEEEDaS16_S17_EUlS16_E_NS1_11comp_targetILNS1_3genE5ELNS1_11target_archE942ELNS1_3gpuE9ELNS1_3repE0EEENS1_30default_config_static_selectorELNS0_4arch9wavefront6targetE0EEEvT1_,comdat
	.globl	_ZN7rocprim17ROCPRIM_400000_NS6detail17trampoline_kernelINS0_14default_configENS1_25partition_config_selectorILNS1_17partition_subalgoE5ElNS0_10empty_typeEbEEZZNS1_14partition_implILS5_5ELb0ES3_mN6hipcub16HIPCUB_304000_NS21CountingInputIteratorIllEEPS6_NSA_22TransformInputIteratorIbN2at6native12_GLOBAL__N_19NonZeroOpIlEEPKllEENS0_5tupleIJPlS6_EEENSN_IJSD_SD_EEES6_PiJS6_EEE10hipError_tPvRmT3_T4_T5_T6_T7_T9_mT8_P12ihipStream_tbDpT10_ENKUlT_T0_E_clISt17integral_constantIbLb0EES1A_IbLb1EEEEDaS16_S17_EUlS16_E_NS1_11comp_targetILNS1_3genE5ELNS1_11target_archE942ELNS1_3gpuE9ELNS1_3repE0EEENS1_30default_config_static_selectorELNS0_4arch9wavefront6targetE0EEEvT1_ ; -- Begin function _ZN7rocprim17ROCPRIM_400000_NS6detail17trampoline_kernelINS0_14default_configENS1_25partition_config_selectorILNS1_17partition_subalgoE5ElNS0_10empty_typeEbEEZZNS1_14partition_implILS5_5ELb0ES3_mN6hipcub16HIPCUB_304000_NS21CountingInputIteratorIllEEPS6_NSA_22TransformInputIteratorIbN2at6native12_GLOBAL__N_19NonZeroOpIlEEPKllEENS0_5tupleIJPlS6_EEENSN_IJSD_SD_EEES6_PiJS6_EEE10hipError_tPvRmT3_T4_T5_T6_T7_T9_mT8_P12ihipStream_tbDpT10_ENKUlT_T0_E_clISt17integral_constantIbLb0EES1A_IbLb1EEEEDaS16_S17_EUlS16_E_NS1_11comp_targetILNS1_3genE5ELNS1_11target_archE942ELNS1_3gpuE9ELNS1_3repE0EEENS1_30default_config_static_selectorELNS0_4arch9wavefront6targetE0EEEvT1_
	.p2align	8
	.type	_ZN7rocprim17ROCPRIM_400000_NS6detail17trampoline_kernelINS0_14default_configENS1_25partition_config_selectorILNS1_17partition_subalgoE5ElNS0_10empty_typeEbEEZZNS1_14partition_implILS5_5ELb0ES3_mN6hipcub16HIPCUB_304000_NS21CountingInputIteratorIllEEPS6_NSA_22TransformInputIteratorIbN2at6native12_GLOBAL__N_19NonZeroOpIlEEPKllEENS0_5tupleIJPlS6_EEENSN_IJSD_SD_EEES6_PiJS6_EEE10hipError_tPvRmT3_T4_T5_T6_T7_T9_mT8_P12ihipStream_tbDpT10_ENKUlT_T0_E_clISt17integral_constantIbLb0EES1A_IbLb1EEEEDaS16_S17_EUlS16_E_NS1_11comp_targetILNS1_3genE5ELNS1_11target_archE942ELNS1_3gpuE9ELNS1_3repE0EEENS1_30default_config_static_selectorELNS0_4arch9wavefront6targetE0EEEvT1_,@function
_ZN7rocprim17ROCPRIM_400000_NS6detail17trampoline_kernelINS0_14default_configENS1_25partition_config_selectorILNS1_17partition_subalgoE5ElNS0_10empty_typeEbEEZZNS1_14partition_implILS5_5ELb0ES3_mN6hipcub16HIPCUB_304000_NS21CountingInputIteratorIllEEPS6_NSA_22TransformInputIteratorIbN2at6native12_GLOBAL__N_19NonZeroOpIlEEPKllEENS0_5tupleIJPlS6_EEENSN_IJSD_SD_EEES6_PiJS6_EEE10hipError_tPvRmT3_T4_T5_T6_T7_T9_mT8_P12ihipStream_tbDpT10_ENKUlT_T0_E_clISt17integral_constantIbLb0EES1A_IbLb1EEEEDaS16_S17_EUlS16_E_NS1_11comp_targetILNS1_3genE5ELNS1_11target_archE942ELNS1_3gpuE9ELNS1_3repE0EEENS1_30default_config_static_selectorELNS0_4arch9wavefront6targetE0EEEvT1_: ; @_ZN7rocprim17ROCPRIM_400000_NS6detail17trampoline_kernelINS0_14default_configENS1_25partition_config_selectorILNS1_17partition_subalgoE5ElNS0_10empty_typeEbEEZZNS1_14partition_implILS5_5ELb0ES3_mN6hipcub16HIPCUB_304000_NS21CountingInputIteratorIllEEPS6_NSA_22TransformInputIteratorIbN2at6native12_GLOBAL__N_19NonZeroOpIlEEPKllEENS0_5tupleIJPlS6_EEENSN_IJSD_SD_EEES6_PiJS6_EEE10hipError_tPvRmT3_T4_T5_T6_T7_T9_mT8_P12ihipStream_tbDpT10_ENKUlT_T0_E_clISt17integral_constantIbLb0EES1A_IbLb1EEEEDaS16_S17_EUlS16_E_NS1_11comp_targetILNS1_3genE5ELNS1_11target_archE942ELNS1_3gpuE9ELNS1_3repE0EEENS1_30default_config_static_selectorELNS0_4arch9wavefront6targetE0EEEvT1_
; %bb.0:
	.section	.rodata,"a",@progbits
	.p2align	6, 0x0
	.amdhsa_kernel _ZN7rocprim17ROCPRIM_400000_NS6detail17trampoline_kernelINS0_14default_configENS1_25partition_config_selectorILNS1_17partition_subalgoE5ElNS0_10empty_typeEbEEZZNS1_14partition_implILS5_5ELb0ES3_mN6hipcub16HIPCUB_304000_NS21CountingInputIteratorIllEEPS6_NSA_22TransformInputIteratorIbN2at6native12_GLOBAL__N_19NonZeroOpIlEEPKllEENS0_5tupleIJPlS6_EEENSN_IJSD_SD_EEES6_PiJS6_EEE10hipError_tPvRmT3_T4_T5_T6_T7_T9_mT8_P12ihipStream_tbDpT10_ENKUlT_T0_E_clISt17integral_constantIbLb0EES1A_IbLb1EEEEDaS16_S17_EUlS16_E_NS1_11comp_targetILNS1_3genE5ELNS1_11target_archE942ELNS1_3gpuE9ELNS1_3repE0EEENS1_30default_config_static_selectorELNS0_4arch9wavefront6targetE0EEEvT1_
		.amdhsa_group_segment_fixed_size 0
		.amdhsa_private_segment_fixed_size 0
		.amdhsa_kernarg_size 136
		.amdhsa_user_sgpr_count 15
		.amdhsa_user_sgpr_dispatch_ptr 0
		.amdhsa_user_sgpr_queue_ptr 0
		.amdhsa_user_sgpr_kernarg_segment_ptr 1
		.amdhsa_user_sgpr_dispatch_id 0
		.amdhsa_user_sgpr_private_segment_size 0
		.amdhsa_wavefront_size32 1
		.amdhsa_uses_dynamic_stack 0
		.amdhsa_enable_private_segment 0
		.amdhsa_system_sgpr_workgroup_id_x 1
		.amdhsa_system_sgpr_workgroup_id_y 0
		.amdhsa_system_sgpr_workgroup_id_z 0
		.amdhsa_system_sgpr_workgroup_info 0
		.amdhsa_system_vgpr_workitem_id 0
		.amdhsa_next_free_vgpr 1
		.amdhsa_next_free_sgpr 1
		.amdhsa_reserve_vcc 0
		.amdhsa_float_round_mode_32 0
		.amdhsa_float_round_mode_16_64 0
		.amdhsa_float_denorm_mode_32 3
		.amdhsa_float_denorm_mode_16_64 3
		.amdhsa_dx10_clamp 1
		.amdhsa_ieee_mode 1
		.amdhsa_fp16_overflow 0
		.amdhsa_workgroup_processor_mode 1
		.amdhsa_memory_ordered 1
		.amdhsa_forward_progress 0
		.amdhsa_shared_vgpr_count 0
		.amdhsa_exception_fp_ieee_invalid_op 0
		.amdhsa_exception_fp_denorm_src 0
		.amdhsa_exception_fp_ieee_div_zero 0
		.amdhsa_exception_fp_ieee_overflow 0
		.amdhsa_exception_fp_ieee_underflow 0
		.amdhsa_exception_fp_ieee_inexact 0
		.amdhsa_exception_int_div_zero 0
	.end_amdhsa_kernel
	.section	.text._ZN7rocprim17ROCPRIM_400000_NS6detail17trampoline_kernelINS0_14default_configENS1_25partition_config_selectorILNS1_17partition_subalgoE5ElNS0_10empty_typeEbEEZZNS1_14partition_implILS5_5ELb0ES3_mN6hipcub16HIPCUB_304000_NS21CountingInputIteratorIllEEPS6_NSA_22TransformInputIteratorIbN2at6native12_GLOBAL__N_19NonZeroOpIlEEPKllEENS0_5tupleIJPlS6_EEENSN_IJSD_SD_EEES6_PiJS6_EEE10hipError_tPvRmT3_T4_T5_T6_T7_T9_mT8_P12ihipStream_tbDpT10_ENKUlT_T0_E_clISt17integral_constantIbLb0EES1A_IbLb1EEEEDaS16_S17_EUlS16_E_NS1_11comp_targetILNS1_3genE5ELNS1_11target_archE942ELNS1_3gpuE9ELNS1_3repE0EEENS1_30default_config_static_selectorELNS0_4arch9wavefront6targetE0EEEvT1_,"axG",@progbits,_ZN7rocprim17ROCPRIM_400000_NS6detail17trampoline_kernelINS0_14default_configENS1_25partition_config_selectorILNS1_17partition_subalgoE5ElNS0_10empty_typeEbEEZZNS1_14partition_implILS5_5ELb0ES3_mN6hipcub16HIPCUB_304000_NS21CountingInputIteratorIllEEPS6_NSA_22TransformInputIteratorIbN2at6native12_GLOBAL__N_19NonZeroOpIlEEPKllEENS0_5tupleIJPlS6_EEENSN_IJSD_SD_EEES6_PiJS6_EEE10hipError_tPvRmT3_T4_T5_T6_T7_T9_mT8_P12ihipStream_tbDpT10_ENKUlT_T0_E_clISt17integral_constantIbLb0EES1A_IbLb1EEEEDaS16_S17_EUlS16_E_NS1_11comp_targetILNS1_3genE5ELNS1_11target_archE942ELNS1_3gpuE9ELNS1_3repE0EEENS1_30default_config_static_selectorELNS0_4arch9wavefront6targetE0EEEvT1_,comdat
.Lfunc_end279:
	.size	_ZN7rocprim17ROCPRIM_400000_NS6detail17trampoline_kernelINS0_14default_configENS1_25partition_config_selectorILNS1_17partition_subalgoE5ElNS0_10empty_typeEbEEZZNS1_14partition_implILS5_5ELb0ES3_mN6hipcub16HIPCUB_304000_NS21CountingInputIteratorIllEEPS6_NSA_22TransformInputIteratorIbN2at6native12_GLOBAL__N_19NonZeroOpIlEEPKllEENS0_5tupleIJPlS6_EEENSN_IJSD_SD_EEES6_PiJS6_EEE10hipError_tPvRmT3_T4_T5_T6_T7_T9_mT8_P12ihipStream_tbDpT10_ENKUlT_T0_E_clISt17integral_constantIbLb0EES1A_IbLb1EEEEDaS16_S17_EUlS16_E_NS1_11comp_targetILNS1_3genE5ELNS1_11target_archE942ELNS1_3gpuE9ELNS1_3repE0EEENS1_30default_config_static_selectorELNS0_4arch9wavefront6targetE0EEEvT1_, .Lfunc_end279-_ZN7rocprim17ROCPRIM_400000_NS6detail17trampoline_kernelINS0_14default_configENS1_25partition_config_selectorILNS1_17partition_subalgoE5ElNS0_10empty_typeEbEEZZNS1_14partition_implILS5_5ELb0ES3_mN6hipcub16HIPCUB_304000_NS21CountingInputIteratorIllEEPS6_NSA_22TransformInputIteratorIbN2at6native12_GLOBAL__N_19NonZeroOpIlEEPKllEENS0_5tupleIJPlS6_EEENSN_IJSD_SD_EEES6_PiJS6_EEE10hipError_tPvRmT3_T4_T5_T6_T7_T9_mT8_P12ihipStream_tbDpT10_ENKUlT_T0_E_clISt17integral_constantIbLb0EES1A_IbLb1EEEEDaS16_S17_EUlS16_E_NS1_11comp_targetILNS1_3genE5ELNS1_11target_archE942ELNS1_3gpuE9ELNS1_3repE0EEENS1_30default_config_static_selectorELNS0_4arch9wavefront6targetE0EEEvT1_
                                        ; -- End function
	.section	.AMDGPU.csdata,"",@progbits
; Kernel info:
; codeLenInByte = 0
; NumSgprs: 0
; NumVgprs: 0
; ScratchSize: 0
; MemoryBound: 0
; FloatMode: 240
; IeeeMode: 1
; LDSByteSize: 0 bytes/workgroup (compile time only)
; SGPRBlocks: 0
; VGPRBlocks: 0
; NumSGPRsForWavesPerEU: 1
; NumVGPRsForWavesPerEU: 1
; Occupancy: 16
; WaveLimiterHint : 0
; COMPUTE_PGM_RSRC2:SCRATCH_EN: 0
; COMPUTE_PGM_RSRC2:USER_SGPR: 15
; COMPUTE_PGM_RSRC2:TRAP_HANDLER: 0
; COMPUTE_PGM_RSRC2:TGID_X_EN: 1
; COMPUTE_PGM_RSRC2:TGID_Y_EN: 0
; COMPUTE_PGM_RSRC2:TGID_Z_EN: 0
; COMPUTE_PGM_RSRC2:TIDIG_COMP_CNT: 0
	.section	.text._ZN7rocprim17ROCPRIM_400000_NS6detail17trampoline_kernelINS0_14default_configENS1_25partition_config_selectorILNS1_17partition_subalgoE5ElNS0_10empty_typeEbEEZZNS1_14partition_implILS5_5ELb0ES3_mN6hipcub16HIPCUB_304000_NS21CountingInputIteratorIllEEPS6_NSA_22TransformInputIteratorIbN2at6native12_GLOBAL__N_19NonZeroOpIlEEPKllEENS0_5tupleIJPlS6_EEENSN_IJSD_SD_EEES6_PiJS6_EEE10hipError_tPvRmT3_T4_T5_T6_T7_T9_mT8_P12ihipStream_tbDpT10_ENKUlT_T0_E_clISt17integral_constantIbLb0EES1A_IbLb1EEEEDaS16_S17_EUlS16_E_NS1_11comp_targetILNS1_3genE4ELNS1_11target_archE910ELNS1_3gpuE8ELNS1_3repE0EEENS1_30default_config_static_selectorELNS0_4arch9wavefront6targetE0EEEvT1_,"axG",@progbits,_ZN7rocprim17ROCPRIM_400000_NS6detail17trampoline_kernelINS0_14default_configENS1_25partition_config_selectorILNS1_17partition_subalgoE5ElNS0_10empty_typeEbEEZZNS1_14partition_implILS5_5ELb0ES3_mN6hipcub16HIPCUB_304000_NS21CountingInputIteratorIllEEPS6_NSA_22TransformInputIteratorIbN2at6native12_GLOBAL__N_19NonZeroOpIlEEPKllEENS0_5tupleIJPlS6_EEENSN_IJSD_SD_EEES6_PiJS6_EEE10hipError_tPvRmT3_T4_T5_T6_T7_T9_mT8_P12ihipStream_tbDpT10_ENKUlT_T0_E_clISt17integral_constantIbLb0EES1A_IbLb1EEEEDaS16_S17_EUlS16_E_NS1_11comp_targetILNS1_3genE4ELNS1_11target_archE910ELNS1_3gpuE8ELNS1_3repE0EEENS1_30default_config_static_selectorELNS0_4arch9wavefront6targetE0EEEvT1_,comdat
	.globl	_ZN7rocprim17ROCPRIM_400000_NS6detail17trampoline_kernelINS0_14default_configENS1_25partition_config_selectorILNS1_17partition_subalgoE5ElNS0_10empty_typeEbEEZZNS1_14partition_implILS5_5ELb0ES3_mN6hipcub16HIPCUB_304000_NS21CountingInputIteratorIllEEPS6_NSA_22TransformInputIteratorIbN2at6native12_GLOBAL__N_19NonZeroOpIlEEPKllEENS0_5tupleIJPlS6_EEENSN_IJSD_SD_EEES6_PiJS6_EEE10hipError_tPvRmT3_T4_T5_T6_T7_T9_mT8_P12ihipStream_tbDpT10_ENKUlT_T0_E_clISt17integral_constantIbLb0EES1A_IbLb1EEEEDaS16_S17_EUlS16_E_NS1_11comp_targetILNS1_3genE4ELNS1_11target_archE910ELNS1_3gpuE8ELNS1_3repE0EEENS1_30default_config_static_selectorELNS0_4arch9wavefront6targetE0EEEvT1_ ; -- Begin function _ZN7rocprim17ROCPRIM_400000_NS6detail17trampoline_kernelINS0_14default_configENS1_25partition_config_selectorILNS1_17partition_subalgoE5ElNS0_10empty_typeEbEEZZNS1_14partition_implILS5_5ELb0ES3_mN6hipcub16HIPCUB_304000_NS21CountingInputIteratorIllEEPS6_NSA_22TransformInputIteratorIbN2at6native12_GLOBAL__N_19NonZeroOpIlEEPKllEENS0_5tupleIJPlS6_EEENSN_IJSD_SD_EEES6_PiJS6_EEE10hipError_tPvRmT3_T4_T5_T6_T7_T9_mT8_P12ihipStream_tbDpT10_ENKUlT_T0_E_clISt17integral_constantIbLb0EES1A_IbLb1EEEEDaS16_S17_EUlS16_E_NS1_11comp_targetILNS1_3genE4ELNS1_11target_archE910ELNS1_3gpuE8ELNS1_3repE0EEENS1_30default_config_static_selectorELNS0_4arch9wavefront6targetE0EEEvT1_
	.p2align	8
	.type	_ZN7rocprim17ROCPRIM_400000_NS6detail17trampoline_kernelINS0_14default_configENS1_25partition_config_selectorILNS1_17partition_subalgoE5ElNS0_10empty_typeEbEEZZNS1_14partition_implILS5_5ELb0ES3_mN6hipcub16HIPCUB_304000_NS21CountingInputIteratorIllEEPS6_NSA_22TransformInputIteratorIbN2at6native12_GLOBAL__N_19NonZeroOpIlEEPKllEENS0_5tupleIJPlS6_EEENSN_IJSD_SD_EEES6_PiJS6_EEE10hipError_tPvRmT3_T4_T5_T6_T7_T9_mT8_P12ihipStream_tbDpT10_ENKUlT_T0_E_clISt17integral_constantIbLb0EES1A_IbLb1EEEEDaS16_S17_EUlS16_E_NS1_11comp_targetILNS1_3genE4ELNS1_11target_archE910ELNS1_3gpuE8ELNS1_3repE0EEENS1_30default_config_static_selectorELNS0_4arch9wavefront6targetE0EEEvT1_,@function
_ZN7rocprim17ROCPRIM_400000_NS6detail17trampoline_kernelINS0_14default_configENS1_25partition_config_selectorILNS1_17partition_subalgoE5ElNS0_10empty_typeEbEEZZNS1_14partition_implILS5_5ELb0ES3_mN6hipcub16HIPCUB_304000_NS21CountingInputIteratorIllEEPS6_NSA_22TransformInputIteratorIbN2at6native12_GLOBAL__N_19NonZeroOpIlEEPKllEENS0_5tupleIJPlS6_EEENSN_IJSD_SD_EEES6_PiJS6_EEE10hipError_tPvRmT3_T4_T5_T6_T7_T9_mT8_P12ihipStream_tbDpT10_ENKUlT_T0_E_clISt17integral_constantIbLb0EES1A_IbLb1EEEEDaS16_S17_EUlS16_E_NS1_11comp_targetILNS1_3genE4ELNS1_11target_archE910ELNS1_3gpuE8ELNS1_3repE0EEENS1_30default_config_static_selectorELNS0_4arch9wavefront6targetE0EEEvT1_: ; @_ZN7rocprim17ROCPRIM_400000_NS6detail17trampoline_kernelINS0_14default_configENS1_25partition_config_selectorILNS1_17partition_subalgoE5ElNS0_10empty_typeEbEEZZNS1_14partition_implILS5_5ELb0ES3_mN6hipcub16HIPCUB_304000_NS21CountingInputIteratorIllEEPS6_NSA_22TransformInputIteratorIbN2at6native12_GLOBAL__N_19NonZeroOpIlEEPKllEENS0_5tupleIJPlS6_EEENSN_IJSD_SD_EEES6_PiJS6_EEE10hipError_tPvRmT3_T4_T5_T6_T7_T9_mT8_P12ihipStream_tbDpT10_ENKUlT_T0_E_clISt17integral_constantIbLb0EES1A_IbLb1EEEEDaS16_S17_EUlS16_E_NS1_11comp_targetILNS1_3genE4ELNS1_11target_archE910ELNS1_3gpuE8ELNS1_3repE0EEENS1_30default_config_static_selectorELNS0_4arch9wavefront6targetE0EEEvT1_
; %bb.0:
	.section	.rodata,"a",@progbits
	.p2align	6, 0x0
	.amdhsa_kernel _ZN7rocprim17ROCPRIM_400000_NS6detail17trampoline_kernelINS0_14default_configENS1_25partition_config_selectorILNS1_17partition_subalgoE5ElNS0_10empty_typeEbEEZZNS1_14partition_implILS5_5ELb0ES3_mN6hipcub16HIPCUB_304000_NS21CountingInputIteratorIllEEPS6_NSA_22TransformInputIteratorIbN2at6native12_GLOBAL__N_19NonZeroOpIlEEPKllEENS0_5tupleIJPlS6_EEENSN_IJSD_SD_EEES6_PiJS6_EEE10hipError_tPvRmT3_T4_T5_T6_T7_T9_mT8_P12ihipStream_tbDpT10_ENKUlT_T0_E_clISt17integral_constantIbLb0EES1A_IbLb1EEEEDaS16_S17_EUlS16_E_NS1_11comp_targetILNS1_3genE4ELNS1_11target_archE910ELNS1_3gpuE8ELNS1_3repE0EEENS1_30default_config_static_selectorELNS0_4arch9wavefront6targetE0EEEvT1_
		.amdhsa_group_segment_fixed_size 0
		.amdhsa_private_segment_fixed_size 0
		.amdhsa_kernarg_size 136
		.amdhsa_user_sgpr_count 15
		.amdhsa_user_sgpr_dispatch_ptr 0
		.amdhsa_user_sgpr_queue_ptr 0
		.amdhsa_user_sgpr_kernarg_segment_ptr 1
		.amdhsa_user_sgpr_dispatch_id 0
		.amdhsa_user_sgpr_private_segment_size 0
		.amdhsa_wavefront_size32 1
		.amdhsa_uses_dynamic_stack 0
		.amdhsa_enable_private_segment 0
		.amdhsa_system_sgpr_workgroup_id_x 1
		.amdhsa_system_sgpr_workgroup_id_y 0
		.amdhsa_system_sgpr_workgroup_id_z 0
		.amdhsa_system_sgpr_workgroup_info 0
		.amdhsa_system_vgpr_workitem_id 0
		.amdhsa_next_free_vgpr 1
		.amdhsa_next_free_sgpr 1
		.amdhsa_reserve_vcc 0
		.amdhsa_float_round_mode_32 0
		.amdhsa_float_round_mode_16_64 0
		.amdhsa_float_denorm_mode_32 3
		.amdhsa_float_denorm_mode_16_64 3
		.amdhsa_dx10_clamp 1
		.amdhsa_ieee_mode 1
		.amdhsa_fp16_overflow 0
		.amdhsa_workgroup_processor_mode 1
		.amdhsa_memory_ordered 1
		.amdhsa_forward_progress 0
		.amdhsa_shared_vgpr_count 0
		.amdhsa_exception_fp_ieee_invalid_op 0
		.amdhsa_exception_fp_denorm_src 0
		.amdhsa_exception_fp_ieee_div_zero 0
		.amdhsa_exception_fp_ieee_overflow 0
		.amdhsa_exception_fp_ieee_underflow 0
		.amdhsa_exception_fp_ieee_inexact 0
		.amdhsa_exception_int_div_zero 0
	.end_amdhsa_kernel
	.section	.text._ZN7rocprim17ROCPRIM_400000_NS6detail17trampoline_kernelINS0_14default_configENS1_25partition_config_selectorILNS1_17partition_subalgoE5ElNS0_10empty_typeEbEEZZNS1_14partition_implILS5_5ELb0ES3_mN6hipcub16HIPCUB_304000_NS21CountingInputIteratorIllEEPS6_NSA_22TransformInputIteratorIbN2at6native12_GLOBAL__N_19NonZeroOpIlEEPKllEENS0_5tupleIJPlS6_EEENSN_IJSD_SD_EEES6_PiJS6_EEE10hipError_tPvRmT3_T4_T5_T6_T7_T9_mT8_P12ihipStream_tbDpT10_ENKUlT_T0_E_clISt17integral_constantIbLb0EES1A_IbLb1EEEEDaS16_S17_EUlS16_E_NS1_11comp_targetILNS1_3genE4ELNS1_11target_archE910ELNS1_3gpuE8ELNS1_3repE0EEENS1_30default_config_static_selectorELNS0_4arch9wavefront6targetE0EEEvT1_,"axG",@progbits,_ZN7rocprim17ROCPRIM_400000_NS6detail17trampoline_kernelINS0_14default_configENS1_25partition_config_selectorILNS1_17partition_subalgoE5ElNS0_10empty_typeEbEEZZNS1_14partition_implILS5_5ELb0ES3_mN6hipcub16HIPCUB_304000_NS21CountingInputIteratorIllEEPS6_NSA_22TransformInputIteratorIbN2at6native12_GLOBAL__N_19NonZeroOpIlEEPKllEENS0_5tupleIJPlS6_EEENSN_IJSD_SD_EEES6_PiJS6_EEE10hipError_tPvRmT3_T4_T5_T6_T7_T9_mT8_P12ihipStream_tbDpT10_ENKUlT_T0_E_clISt17integral_constantIbLb0EES1A_IbLb1EEEEDaS16_S17_EUlS16_E_NS1_11comp_targetILNS1_3genE4ELNS1_11target_archE910ELNS1_3gpuE8ELNS1_3repE0EEENS1_30default_config_static_selectorELNS0_4arch9wavefront6targetE0EEEvT1_,comdat
.Lfunc_end280:
	.size	_ZN7rocprim17ROCPRIM_400000_NS6detail17trampoline_kernelINS0_14default_configENS1_25partition_config_selectorILNS1_17partition_subalgoE5ElNS0_10empty_typeEbEEZZNS1_14partition_implILS5_5ELb0ES3_mN6hipcub16HIPCUB_304000_NS21CountingInputIteratorIllEEPS6_NSA_22TransformInputIteratorIbN2at6native12_GLOBAL__N_19NonZeroOpIlEEPKllEENS0_5tupleIJPlS6_EEENSN_IJSD_SD_EEES6_PiJS6_EEE10hipError_tPvRmT3_T4_T5_T6_T7_T9_mT8_P12ihipStream_tbDpT10_ENKUlT_T0_E_clISt17integral_constantIbLb0EES1A_IbLb1EEEEDaS16_S17_EUlS16_E_NS1_11comp_targetILNS1_3genE4ELNS1_11target_archE910ELNS1_3gpuE8ELNS1_3repE0EEENS1_30default_config_static_selectorELNS0_4arch9wavefront6targetE0EEEvT1_, .Lfunc_end280-_ZN7rocprim17ROCPRIM_400000_NS6detail17trampoline_kernelINS0_14default_configENS1_25partition_config_selectorILNS1_17partition_subalgoE5ElNS0_10empty_typeEbEEZZNS1_14partition_implILS5_5ELb0ES3_mN6hipcub16HIPCUB_304000_NS21CountingInputIteratorIllEEPS6_NSA_22TransformInputIteratorIbN2at6native12_GLOBAL__N_19NonZeroOpIlEEPKllEENS0_5tupleIJPlS6_EEENSN_IJSD_SD_EEES6_PiJS6_EEE10hipError_tPvRmT3_T4_T5_T6_T7_T9_mT8_P12ihipStream_tbDpT10_ENKUlT_T0_E_clISt17integral_constantIbLb0EES1A_IbLb1EEEEDaS16_S17_EUlS16_E_NS1_11comp_targetILNS1_3genE4ELNS1_11target_archE910ELNS1_3gpuE8ELNS1_3repE0EEENS1_30default_config_static_selectorELNS0_4arch9wavefront6targetE0EEEvT1_
                                        ; -- End function
	.section	.AMDGPU.csdata,"",@progbits
; Kernel info:
; codeLenInByte = 0
; NumSgprs: 0
; NumVgprs: 0
; ScratchSize: 0
; MemoryBound: 0
; FloatMode: 240
; IeeeMode: 1
; LDSByteSize: 0 bytes/workgroup (compile time only)
; SGPRBlocks: 0
; VGPRBlocks: 0
; NumSGPRsForWavesPerEU: 1
; NumVGPRsForWavesPerEU: 1
; Occupancy: 15
; WaveLimiterHint : 0
; COMPUTE_PGM_RSRC2:SCRATCH_EN: 0
; COMPUTE_PGM_RSRC2:USER_SGPR: 15
; COMPUTE_PGM_RSRC2:TRAP_HANDLER: 0
; COMPUTE_PGM_RSRC2:TGID_X_EN: 1
; COMPUTE_PGM_RSRC2:TGID_Y_EN: 0
; COMPUTE_PGM_RSRC2:TGID_Z_EN: 0
; COMPUTE_PGM_RSRC2:TIDIG_COMP_CNT: 0
	.section	.text._ZN7rocprim17ROCPRIM_400000_NS6detail17trampoline_kernelINS0_14default_configENS1_25partition_config_selectorILNS1_17partition_subalgoE5ElNS0_10empty_typeEbEEZZNS1_14partition_implILS5_5ELb0ES3_mN6hipcub16HIPCUB_304000_NS21CountingInputIteratorIllEEPS6_NSA_22TransformInputIteratorIbN2at6native12_GLOBAL__N_19NonZeroOpIlEEPKllEENS0_5tupleIJPlS6_EEENSN_IJSD_SD_EEES6_PiJS6_EEE10hipError_tPvRmT3_T4_T5_T6_T7_T9_mT8_P12ihipStream_tbDpT10_ENKUlT_T0_E_clISt17integral_constantIbLb0EES1A_IbLb1EEEEDaS16_S17_EUlS16_E_NS1_11comp_targetILNS1_3genE3ELNS1_11target_archE908ELNS1_3gpuE7ELNS1_3repE0EEENS1_30default_config_static_selectorELNS0_4arch9wavefront6targetE0EEEvT1_,"axG",@progbits,_ZN7rocprim17ROCPRIM_400000_NS6detail17trampoline_kernelINS0_14default_configENS1_25partition_config_selectorILNS1_17partition_subalgoE5ElNS0_10empty_typeEbEEZZNS1_14partition_implILS5_5ELb0ES3_mN6hipcub16HIPCUB_304000_NS21CountingInputIteratorIllEEPS6_NSA_22TransformInputIteratorIbN2at6native12_GLOBAL__N_19NonZeroOpIlEEPKllEENS0_5tupleIJPlS6_EEENSN_IJSD_SD_EEES6_PiJS6_EEE10hipError_tPvRmT3_T4_T5_T6_T7_T9_mT8_P12ihipStream_tbDpT10_ENKUlT_T0_E_clISt17integral_constantIbLb0EES1A_IbLb1EEEEDaS16_S17_EUlS16_E_NS1_11comp_targetILNS1_3genE3ELNS1_11target_archE908ELNS1_3gpuE7ELNS1_3repE0EEENS1_30default_config_static_selectorELNS0_4arch9wavefront6targetE0EEEvT1_,comdat
	.globl	_ZN7rocprim17ROCPRIM_400000_NS6detail17trampoline_kernelINS0_14default_configENS1_25partition_config_selectorILNS1_17partition_subalgoE5ElNS0_10empty_typeEbEEZZNS1_14partition_implILS5_5ELb0ES3_mN6hipcub16HIPCUB_304000_NS21CountingInputIteratorIllEEPS6_NSA_22TransformInputIteratorIbN2at6native12_GLOBAL__N_19NonZeroOpIlEEPKllEENS0_5tupleIJPlS6_EEENSN_IJSD_SD_EEES6_PiJS6_EEE10hipError_tPvRmT3_T4_T5_T6_T7_T9_mT8_P12ihipStream_tbDpT10_ENKUlT_T0_E_clISt17integral_constantIbLb0EES1A_IbLb1EEEEDaS16_S17_EUlS16_E_NS1_11comp_targetILNS1_3genE3ELNS1_11target_archE908ELNS1_3gpuE7ELNS1_3repE0EEENS1_30default_config_static_selectorELNS0_4arch9wavefront6targetE0EEEvT1_ ; -- Begin function _ZN7rocprim17ROCPRIM_400000_NS6detail17trampoline_kernelINS0_14default_configENS1_25partition_config_selectorILNS1_17partition_subalgoE5ElNS0_10empty_typeEbEEZZNS1_14partition_implILS5_5ELb0ES3_mN6hipcub16HIPCUB_304000_NS21CountingInputIteratorIllEEPS6_NSA_22TransformInputIteratorIbN2at6native12_GLOBAL__N_19NonZeroOpIlEEPKllEENS0_5tupleIJPlS6_EEENSN_IJSD_SD_EEES6_PiJS6_EEE10hipError_tPvRmT3_T4_T5_T6_T7_T9_mT8_P12ihipStream_tbDpT10_ENKUlT_T0_E_clISt17integral_constantIbLb0EES1A_IbLb1EEEEDaS16_S17_EUlS16_E_NS1_11comp_targetILNS1_3genE3ELNS1_11target_archE908ELNS1_3gpuE7ELNS1_3repE0EEENS1_30default_config_static_selectorELNS0_4arch9wavefront6targetE0EEEvT1_
	.p2align	8
	.type	_ZN7rocprim17ROCPRIM_400000_NS6detail17trampoline_kernelINS0_14default_configENS1_25partition_config_selectorILNS1_17partition_subalgoE5ElNS0_10empty_typeEbEEZZNS1_14partition_implILS5_5ELb0ES3_mN6hipcub16HIPCUB_304000_NS21CountingInputIteratorIllEEPS6_NSA_22TransformInputIteratorIbN2at6native12_GLOBAL__N_19NonZeroOpIlEEPKllEENS0_5tupleIJPlS6_EEENSN_IJSD_SD_EEES6_PiJS6_EEE10hipError_tPvRmT3_T4_T5_T6_T7_T9_mT8_P12ihipStream_tbDpT10_ENKUlT_T0_E_clISt17integral_constantIbLb0EES1A_IbLb1EEEEDaS16_S17_EUlS16_E_NS1_11comp_targetILNS1_3genE3ELNS1_11target_archE908ELNS1_3gpuE7ELNS1_3repE0EEENS1_30default_config_static_selectorELNS0_4arch9wavefront6targetE0EEEvT1_,@function
_ZN7rocprim17ROCPRIM_400000_NS6detail17trampoline_kernelINS0_14default_configENS1_25partition_config_selectorILNS1_17partition_subalgoE5ElNS0_10empty_typeEbEEZZNS1_14partition_implILS5_5ELb0ES3_mN6hipcub16HIPCUB_304000_NS21CountingInputIteratorIllEEPS6_NSA_22TransformInputIteratorIbN2at6native12_GLOBAL__N_19NonZeroOpIlEEPKllEENS0_5tupleIJPlS6_EEENSN_IJSD_SD_EEES6_PiJS6_EEE10hipError_tPvRmT3_T4_T5_T6_T7_T9_mT8_P12ihipStream_tbDpT10_ENKUlT_T0_E_clISt17integral_constantIbLb0EES1A_IbLb1EEEEDaS16_S17_EUlS16_E_NS1_11comp_targetILNS1_3genE3ELNS1_11target_archE908ELNS1_3gpuE7ELNS1_3repE0EEENS1_30default_config_static_selectorELNS0_4arch9wavefront6targetE0EEEvT1_: ; @_ZN7rocprim17ROCPRIM_400000_NS6detail17trampoline_kernelINS0_14default_configENS1_25partition_config_selectorILNS1_17partition_subalgoE5ElNS0_10empty_typeEbEEZZNS1_14partition_implILS5_5ELb0ES3_mN6hipcub16HIPCUB_304000_NS21CountingInputIteratorIllEEPS6_NSA_22TransformInputIteratorIbN2at6native12_GLOBAL__N_19NonZeroOpIlEEPKllEENS0_5tupleIJPlS6_EEENSN_IJSD_SD_EEES6_PiJS6_EEE10hipError_tPvRmT3_T4_T5_T6_T7_T9_mT8_P12ihipStream_tbDpT10_ENKUlT_T0_E_clISt17integral_constantIbLb0EES1A_IbLb1EEEEDaS16_S17_EUlS16_E_NS1_11comp_targetILNS1_3genE3ELNS1_11target_archE908ELNS1_3gpuE7ELNS1_3repE0EEENS1_30default_config_static_selectorELNS0_4arch9wavefront6targetE0EEEvT1_
; %bb.0:
	.section	.rodata,"a",@progbits
	.p2align	6, 0x0
	.amdhsa_kernel _ZN7rocprim17ROCPRIM_400000_NS6detail17trampoline_kernelINS0_14default_configENS1_25partition_config_selectorILNS1_17partition_subalgoE5ElNS0_10empty_typeEbEEZZNS1_14partition_implILS5_5ELb0ES3_mN6hipcub16HIPCUB_304000_NS21CountingInputIteratorIllEEPS6_NSA_22TransformInputIteratorIbN2at6native12_GLOBAL__N_19NonZeroOpIlEEPKllEENS0_5tupleIJPlS6_EEENSN_IJSD_SD_EEES6_PiJS6_EEE10hipError_tPvRmT3_T4_T5_T6_T7_T9_mT8_P12ihipStream_tbDpT10_ENKUlT_T0_E_clISt17integral_constantIbLb0EES1A_IbLb1EEEEDaS16_S17_EUlS16_E_NS1_11comp_targetILNS1_3genE3ELNS1_11target_archE908ELNS1_3gpuE7ELNS1_3repE0EEENS1_30default_config_static_selectorELNS0_4arch9wavefront6targetE0EEEvT1_
		.amdhsa_group_segment_fixed_size 0
		.amdhsa_private_segment_fixed_size 0
		.amdhsa_kernarg_size 136
		.amdhsa_user_sgpr_count 15
		.amdhsa_user_sgpr_dispatch_ptr 0
		.amdhsa_user_sgpr_queue_ptr 0
		.amdhsa_user_sgpr_kernarg_segment_ptr 1
		.amdhsa_user_sgpr_dispatch_id 0
		.amdhsa_user_sgpr_private_segment_size 0
		.amdhsa_wavefront_size32 1
		.amdhsa_uses_dynamic_stack 0
		.amdhsa_enable_private_segment 0
		.amdhsa_system_sgpr_workgroup_id_x 1
		.amdhsa_system_sgpr_workgroup_id_y 0
		.amdhsa_system_sgpr_workgroup_id_z 0
		.amdhsa_system_sgpr_workgroup_info 0
		.amdhsa_system_vgpr_workitem_id 0
		.amdhsa_next_free_vgpr 1
		.amdhsa_next_free_sgpr 1
		.amdhsa_reserve_vcc 0
		.amdhsa_float_round_mode_32 0
		.amdhsa_float_round_mode_16_64 0
		.amdhsa_float_denorm_mode_32 3
		.amdhsa_float_denorm_mode_16_64 3
		.amdhsa_dx10_clamp 1
		.amdhsa_ieee_mode 1
		.amdhsa_fp16_overflow 0
		.amdhsa_workgroup_processor_mode 1
		.amdhsa_memory_ordered 1
		.amdhsa_forward_progress 0
		.amdhsa_shared_vgpr_count 0
		.amdhsa_exception_fp_ieee_invalid_op 0
		.amdhsa_exception_fp_denorm_src 0
		.amdhsa_exception_fp_ieee_div_zero 0
		.amdhsa_exception_fp_ieee_overflow 0
		.amdhsa_exception_fp_ieee_underflow 0
		.amdhsa_exception_fp_ieee_inexact 0
		.amdhsa_exception_int_div_zero 0
	.end_amdhsa_kernel
	.section	.text._ZN7rocprim17ROCPRIM_400000_NS6detail17trampoline_kernelINS0_14default_configENS1_25partition_config_selectorILNS1_17partition_subalgoE5ElNS0_10empty_typeEbEEZZNS1_14partition_implILS5_5ELb0ES3_mN6hipcub16HIPCUB_304000_NS21CountingInputIteratorIllEEPS6_NSA_22TransformInputIteratorIbN2at6native12_GLOBAL__N_19NonZeroOpIlEEPKllEENS0_5tupleIJPlS6_EEENSN_IJSD_SD_EEES6_PiJS6_EEE10hipError_tPvRmT3_T4_T5_T6_T7_T9_mT8_P12ihipStream_tbDpT10_ENKUlT_T0_E_clISt17integral_constantIbLb0EES1A_IbLb1EEEEDaS16_S17_EUlS16_E_NS1_11comp_targetILNS1_3genE3ELNS1_11target_archE908ELNS1_3gpuE7ELNS1_3repE0EEENS1_30default_config_static_selectorELNS0_4arch9wavefront6targetE0EEEvT1_,"axG",@progbits,_ZN7rocprim17ROCPRIM_400000_NS6detail17trampoline_kernelINS0_14default_configENS1_25partition_config_selectorILNS1_17partition_subalgoE5ElNS0_10empty_typeEbEEZZNS1_14partition_implILS5_5ELb0ES3_mN6hipcub16HIPCUB_304000_NS21CountingInputIteratorIllEEPS6_NSA_22TransformInputIteratorIbN2at6native12_GLOBAL__N_19NonZeroOpIlEEPKllEENS0_5tupleIJPlS6_EEENSN_IJSD_SD_EEES6_PiJS6_EEE10hipError_tPvRmT3_T4_T5_T6_T7_T9_mT8_P12ihipStream_tbDpT10_ENKUlT_T0_E_clISt17integral_constantIbLb0EES1A_IbLb1EEEEDaS16_S17_EUlS16_E_NS1_11comp_targetILNS1_3genE3ELNS1_11target_archE908ELNS1_3gpuE7ELNS1_3repE0EEENS1_30default_config_static_selectorELNS0_4arch9wavefront6targetE0EEEvT1_,comdat
.Lfunc_end281:
	.size	_ZN7rocprim17ROCPRIM_400000_NS6detail17trampoline_kernelINS0_14default_configENS1_25partition_config_selectorILNS1_17partition_subalgoE5ElNS0_10empty_typeEbEEZZNS1_14partition_implILS5_5ELb0ES3_mN6hipcub16HIPCUB_304000_NS21CountingInputIteratorIllEEPS6_NSA_22TransformInputIteratorIbN2at6native12_GLOBAL__N_19NonZeroOpIlEEPKllEENS0_5tupleIJPlS6_EEENSN_IJSD_SD_EEES6_PiJS6_EEE10hipError_tPvRmT3_T4_T5_T6_T7_T9_mT8_P12ihipStream_tbDpT10_ENKUlT_T0_E_clISt17integral_constantIbLb0EES1A_IbLb1EEEEDaS16_S17_EUlS16_E_NS1_11comp_targetILNS1_3genE3ELNS1_11target_archE908ELNS1_3gpuE7ELNS1_3repE0EEENS1_30default_config_static_selectorELNS0_4arch9wavefront6targetE0EEEvT1_, .Lfunc_end281-_ZN7rocprim17ROCPRIM_400000_NS6detail17trampoline_kernelINS0_14default_configENS1_25partition_config_selectorILNS1_17partition_subalgoE5ElNS0_10empty_typeEbEEZZNS1_14partition_implILS5_5ELb0ES3_mN6hipcub16HIPCUB_304000_NS21CountingInputIteratorIllEEPS6_NSA_22TransformInputIteratorIbN2at6native12_GLOBAL__N_19NonZeroOpIlEEPKllEENS0_5tupleIJPlS6_EEENSN_IJSD_SD_EEES6_PiJS6_EEE10hipError_tPvRmT3_T4_T5_T6_T7_T9_mT8_P12ihipStream_tbDpT10_ENKUlT_T0_E_clISt17integral_constantIbLb0EES1A_IbLb1EEEEDaS16_S17_EUlS16_E_NS1_11comp_targetILNS1_3genE3ELNS1_11target_archE908ELNS1_3gpuE7ELNS1_3repE0EEENS1_30default_config_static_selectorELNS0_4arch9wavefront6targetE0EEEvT1_
                                        ; -- End function
	.section	.AMDGPU.csdata,"",@progbits
; Kernel info:
; codeLenInByte = 0
; NumSgprs: 0
; NumVgprs: 0
; ScratchSize: 0
; MemoryBound: 0
; FloatMode: 240
; IeeeMode: 1
; LDSByteSize: 0 bytes/workgroup (compile time only)
; SGPRBlocks: 0
; VGPRBlocks: 0
; NumSGPRsForWavesPerEU: 1
; NumVGPRsForWavesPerEU: 1
; Occupancy: 16
; WaveLimiterHint : 0
; COMPUTE_PGM_RSRC2:SCRATCH_EN: 0
; COMPUTE_PGM_RSRC2:USER_SGPR: 15
; COMPUTE_PGM_RSRC2:TRAP_HANDLER: 0
; COMPUTE_PGM_RSRC2:TGID_X_EN: 1
; COMPUTE_PGM_RSRC2:TGID_Y_EN: 0
; COMPUTE_PGM_RSRC2:TGID_Z_EN: 0
; COMPUTE_PGM_RSRC2:TIDIG_COMP_CNT: 0
	.section	.text._ZN7rocprim17ROCPRIM_400000_NS6detail17trampoline_kernelINS0_14default_configENS1_25partition_config_selectorILNS1_17partition_subalgoE5ElNS0_10empty_typeEbEEZZNS1_14partition_implILS5_5ELb0ES3_mN6hipcub16HIPCUB_304000_NS21CountingInputIteratorIllEEPS6_NSA_22TransformInputIteratorIbN2at6native12_GLOBAL__N_19NonZeroOpIlEEPKllEENS0_5tupleIJPlS6_EEENSN_IJSD_SD_EEES6_PiJS6_EEE10hipError_tPvRmT3_T4_T5_T6_T7_T9_mT8_P12ihipStream_tbDpT10_ENKUlT_T0_E_clISt17integral_constantIbLb0EES1A_IbLb1EEEEDaS16_S17_EUlS16_E_NS1_11comp_targetILNS1_3genE2ELNS1_11target_archE906ELNS1_3gpuE6ELNS1_3repE0EEENS1_30default_config_static_selectorELNS0_4arch9wavefront6targetE0EEEvT1_,"axG",@progbits,_ZN7rocprim17ROCPRIM_400000_NS6detail17trampoline_kernelINS0_14default_configENS1_25partition_config_selectorILNS1_17partition_subalgoE5ElNS0_10empty_typeEbEEZZNS1_14partition_implILS5_5ELb0ES3_mN6hipcub16HIPCUB_304000_NS21CountingInputIteratorIllEEPS6_NSA_22TransformInputIteratorIbN2at6native12_GLOBAL__N_19NonZeroOpIlEEPKllEENS0_5tupleIJPlS6_EEENSN_IJSD_SD_EEES6_PiJS6_EEE10hipError_tPvRmT3_T4_T5_T6_T7_T9_mT8_P12ihipStream_tbDpT10_ENKUlT_T0_E_clISt17integral_constantIbLb0EES1A_IbLb1EEEEDaS16_S17_EUlS16_E_NS1_11comp_targetILNS1_3genE2ELNS1_11target_archE906ELNS1_3gpuE6ELNS1_3repE0EEENS1_30default_config_static_selectorELNS0_4arch9wavefront6targetE0EEEvT1_,comdat
	.globl	_ZN7rocprim17ROCPRIM_400000_NS6detail17trampoline_kernelINS0_14default_configENS1_25partition_config_selectorILNS1_17partition_subalgoE5ElNS0_10empty_typeEbEEZZNS1_14partition_implILS5_5ELb0ES3_mN6hipcub16HIPCUB_304000_NS21CountingInputIteratorIllEEPS6_NSA_22TransformInputIteratorIbN2at6native12_GLOBAL__N_19NonZeroOpIlEEPKllEENS0_5tupleIJPlS6_EEENSN_IJSD_SD_EEES6_PiJS6_EEE10hipError_tPvRmT3_T4_T5_T6_T7_T9_mT8_P12ihipStream_tbDpT10_ENKUlT_T0_E_clISt17integral_constantIbLb0EES1A_IbLb1EEEEDaS16_S17_EUlS16_E_NS1_11comp_targetILNS1_3genE2ELNS1_11target_archE906ELNS1_3gpuE6ELNS1_3repE0EEENS1_30default_config_static_selectorELNS0_4arch9wavefront6targetE0EEEvT1_ ; -- Begin function _ZN7rocprim17ROCPRIM_400000_NS6detail17trampoline_kernelINS0_14default_configENS1_25partition_config_selectorILNS1_17partition_subalgoE5ElNS0_10empty_typeEbEEZZNS1_14partition_implILS5_5ELb0ES3_mN6hipcub16HIPCUB_304000_NS21CountingInputIteratorIllEEPS6_NSA_22TransformInputIteratorIbN2at6native12_GLOBAL__N_19NonZeroOpIlEEPKllEENS0_5tupleIJPlS6_EEENSN_IJSD_SD_EEES6_PiJS6_EEE10hipError_tPvRmT3_T4_T5_T6_T7_T9_mT8_P12ihipStream_tbDpT10_ENKUlT_T0_E_clISt17integral_constantIbLb0EES1A_IbLb1EEEEDaS16_S17_EUlS16_E_NS1_11comp_targetILNS1_3genE2ELNS1_11target_archE906ELNS1_3gpuE6ELNS1_3repE0EEENS1_30default_config_static_selectorELNS0_4arch9wavefront6targetE0EEEvT1_
	.p2align	8
	.type	_ZN7rocprim17ROCPRIM_400000_NS6detail17trampoline_kernelINS0_14default_configENS1_25partition_config_selectorILNS1_17partition_subalgoE5ElNS0_10empty_typeEbEEZZNS1_14partition_implILS5_5ELb0ES3_mN6hipcub16HIPCUB_304000_NS21CountingInputIteratorIllEEPS6_NSA_22TransformInputIteratorIbN2at6native12_GLOBAL__N_19NonZeroOpIlEEPKllEENS0_5tupleIJPlS6_EEENSN_IJSD_SD_EEES6_PiJS6_EEE10hipError_tPvRmT3_T4_T5_T6_T7_T9_mT8_P12ihipStream_tbDpT10_ENKUlT_T0_E_clISt17integral_constantIbLb0EES1A_IbLb1EEEEDaS16_S17_EUlS16_E_NS1_11comp_targetILNS1_3genE2ELNS1_11target_archE906ELNS1_3gpuE6ELNS1_3repE0EEENS1_30default_config_static_selectorELNS0_4arch9wavefront6targetE0EEEvT1_,@function
_ZN7rocprim17ROCPRIM_400000_NS6detail17trampoline_kernelINS0_14default_configENS1_25partition_config_selectorILNS1_17partition_subalgoE5ElNS0_10empty_typeEbEEZZNS1_14partition_implILS5_5ELb0ES3_mN6hipcub16HIPCUB_304000_NS21CountingInputIteratorIllEEPS6_NSA_22TransformInputIteratorIbN2at6native12_GLOBAL__N_19NonZeroOpIlEEPKllEENS0_5tupleIJPlS6_EEENSN_IJSD_SD_EEES6_PiJS6_EEE10hipError_tPvRmT3_T4_T5_T6_T7_T9_mT8_P12ihipStream_tbDpT10_ENKUlT_T0_E_clISt17integral_constantIbLb0EES1A_IbLb1EEEEDaS16_S17_EUlS16_E_NS1_11comp_targetILNS1_3genE2ELNS1_11target_archE906ELNS1_3gpuE6ELNS1_3repE0EEENS1_30default_config_static_selectorELNS0_4arch9wavefront6targetE0EEEvT1_: ; @_ZN7rocprim17ROCPRIM_400000_NS6detail17trampoline_kernelINS0_14default_configENS1_25partition_config_selectorILNS1_17partition_subalgoE5ElNS0_10empty_typeEbEEZZNS1_14partition_implILS5_5ELb0ES3_mN6hipcub16HIPCUB_304000_NS21CountingInputIteratorIllEEPS6_NSA_22TransformInputIteratorIbN2at6native12_GLOBAL__N_19NonZeroOpIlEEPKllEENS0_5tupleIJPlS6_EEENSN_IJSD_SD_EEES6_PiJS6_EEE10hipError_tPvRmT3_T4_T5_T6_T7_T9_mT8_P12ihipStream_tbDpT10_ENKUlT_T0_E_clISt17integral_constantIbLb0EES1A_IbLb1EEEEDaS16_S17_EUlS16_E_NS1_11comp_targetILNS1_3genE2ELNS1_11target_archE906ELNS1_3gpuE6ELNS1_3repE0EEENS1_30default_config_static_selectorELNS0_4arch9wavefront6targetE0EEEvT1_
; %bb.0:
	.section	.rodata,"a",@progbits
	.p2align	6, 0x0
	.amdhsa_kernel _ZN7rocprim17ROCPRIM_400000_NS6detail17trampoline_kernelINS0_14default_configENS1_25partition_config_selectorILNS1_17partition_subalgoE5ElNS0_10empty_typeEbEEZZNS1_14partition_implILS5_5ELb0ES3_mN6hipcub16HIPCUB_304000_NS21CountingInputIteratorIllEEPS6_NSA_22TransformInputIteratorIbN2at6native12_GLOBAL__N_19NonZeroOpIlEEPKllEENS0_5tupleIJPlS6_EEENSN_IJSD_SD_EEES6_PiJS6_EEE10hipError_tPvRmT3_T4_T5_T6_T7_T9_mT8_P12ihipStream_tbDpT10_ENKUlT_T0_E_clISt17integral_constantIbLb0EES1A_IbLb1EEEEDaS16_S17_EUlS16_E_NS1_11comp_targetILNS1_3genE2ELNS1_11target_archE906ELNS1_3gpuE6ELNS1_3repE0EEENS1_30default_config_static_selectorELNS0_4arch9wavefront6targetE0EEEvT1_
		.amdhsa_group_segment_fixed_size 0
		.amdhsa_private_segment_fixed_size 0
		.amdhsa_kernarg_size 136
		.amdhsa_user_sgpr_count 15
		.amdhsa_user_sgpr_dispatch_ptr 0
		.amdhsa_user_sgpr_queue_ptr 0
		.amdhsa_user_sgpr_kernarg_segment_ptr 1
		.amdhsa_user_sgpr_dispatch_id 0
		.amdhsa_user_sgpr_private_segment_size 0
		.amdhsa_wavefront_size32 1
		.amdhsa_uses_dynamic_stack 0
		.amdhsa_enable_private_segment 0
		.amdhsa_system_sgpr_workgroup_id_x 1
		.amdhsa_system_sgpr_workgroup_id_y 0
		.amdhsa_system_sgpr_workgroup_id_z 0
		.amdhsa_system_sgpr_workgroup_info 0
		.amdhsa_system_vgpr_workitem_id 0
		.amdhsa_next_free_vgpr 1
		.amdhsa_next_free_sgpr 1
		.amdhsa_reserve_vcc 0
		.amdhsa_float_round_mode_32 0
		.amdhsa_float_round_mode_16_64 0
		.amdhsa_float_denorm_mode_32 3
		.amdhsa_float_denorm_mode_16_64 3
		.amdhsa_dx10_clamp 1
		.amdhsa_ieee_mode 1
		.amdhsa_fp16_overflow 0
		.amdhsa_workgroup_processor_mode 1
		.amdhsa_memory_ordered 1
		.amdhsa_forward_progress 0
		.amdhsa_shared_vgpr_count 0
		.amdhsa_exception_fp_ieee_invalid_op 0
		.amdhsa_exception_fp_denorm_src 0
		.amdhsa_exception_fp_ieee_div_zero 0
		.amdhsa_exception_fp_ieee_overflow 0
		.amdhsa_exception_fp_ieee_underflow 0
		.amdhsa_exception_fp_ieee_inexact 0
		.amdhsa_exception_int_div_zero 0
	.end_amdhsa_kernel
	.section	.text._ZN7rocprim17ROCPRIM_400000_NS6detail17trampoline_kernelINS0_14default_configENS1_25partition_config_selectorILNS1_17partition_subalgoE5ElNS0_10empty_typeEbEEZZNS1_14partition_implILS5_5ELb0ES3_mN6hipcub16HIPCUB_304000_NS21CountingInputIteratorIllEEPS6_NSA_22TransformInputIteratorIbN2at6native12_GLOBAL__N_19NonZeroOpIlEEPKllEENS0_5tupleIJPlS6_EEENSN_IJSD_SD_EEES6_PiJS6_EEE10hipError_tPvRmT3_T4_T5_T6_T7_T9_mT8_P12ihipStream_tbDpT10_ENKUlT_T0_E_clISt17integral_constantIbLb0EES1A_IbLb1EEEEDaS16_S17_EUlS16_E_NS1_11comp_targetILNS1_3genE2ELNS1_11target_archE906ELNS1_3gpuE6ELNS1_3repE0EEENS1_30default_config_static_selectorELNS0_4arch9wavefront6targetE0EEEvT1_,"axG",@progbits,_ZN7rocprim17ROCPRIM_400000_NS6detail17trampoline_kernelINS0_14default_configENS1_25partition_config_selectorILNS1_17partition_subalgoE5ElNS0_10empty_typeEbEEZZNS1_14partition_implILS5_5ELb0ES3_mN6hipcub16HIPCUB_304000_NS21CountingInputIteratorIllEEPS6_NSA_22TransformInputIteratorIbN2at6native12_GLOBAL__N_19NonZeroOpIlEEPKllEENS0_5tupleIJPlS6_EEENSN_IJSD_SD_EEES6_PiJS6_EEE10hipError_tPvRmT3_T4_T5_T6_T7_T9_mT8_P12ihipStream_tbDpT10_ENKUlT_T0_E_clISt17integral_constantIbLb0EES1A_IbLb1EEEEDaS16_S17_EUlS16_E_NS1_11comp_targetILNS1_3genE2ELNS1_11target_archE906ELNS1_3gpuE6ELNS1_3repE0EEENS1_30default_config_static_selectorELNS0_4arch9wavefront6targetE0EEEvT1_,comdat
.Lfunc_end282:
	.size	_ZN7rocprim17ROCPRIM_400000_NS6detail17trampoline_kernelINS0_14default_configENS1_25partition_config_selectorILNS1_17partition_subalgoE5ElNS0_10empty_typeEbEEZZNS1_14partition_implILS5_5ELb0ES3_mN6hipcub16HIPCUB_304000_NS21CountingInputIteratorIllEEPS6_NSA_22TransformInputIteratorIbN2at6native12_GLOBAL__N_19NonZeroOpIlEEPKllEENS0_5tupleIJPlS6_EEENSN_IJSD_SD_EEES6_PiJS6_EEE10hipError_tPvRmT3_T4_T5_T6_T7_T9_mT8_P12ihipStream_tbDpT10_ENKUlT_T0_E_clISt17integral_constantIbLb0EES1A_IbLb1EEEEDaS16_S17_EUlS16_E_NS1_11comp_targetILNS1_3genE2ELNS1_11target_archE906ELNS1_3gpuE6ELNS1_3repE0EEENS1_30default_config_static_selectorELNS0_4arch9wavefront6targetE0EEEvT1_, .Lfunc_end282-_ZN7rocprim17ROCPRIM_400000_NS6detail17trampoline_kernelINS0_14default_configENS1_25partition_config_selectorILNS1_17partition_subalgoE5ElNS0_10empty_typeEbEEZZNS1_14partition_implILS5_5ELb0ES3_mN6hipcub16HIPCUB_304000_NS21CountingInputIteratorIllEEPS6_NSA_22TransformInputIteratorIbN2at6native12_GLOBAL__N_19NonZeroOpIlEEPKllEENS0_5tupleIJPlS6_EEENSN_IJSD_SD_EEES6_PiJS6_EEE10hipError_tPvRmT3_T4_T5_T6_T7_T9_mT8_P12ihipStream_tbDpT10_ENKUlT_T0_E_clISt17integral_constantIbLb0EES1A_IbLb1EEEEDaS16_S17_EUlS16_E_NS1_11comp_targetILNS1_3genE2ELNS1_11target_archE906ELNS1_3gpuE6ELNS1_3repE0EEENS1_30default_config_static_selectorELNS0_4arch9wavefront6targetE0EEEvT1_
                                        ; -- End function
	.section	.AMDGPU.csdata,"",@progbits
; Kernel info:
; codeLenInByte = 0
; NumSgprs: 0
; NumVgprs: 0
; ScratchSize: 0
; MemoryBound: 0
; FloatMode: 240
; IeeeMode: 1
; LDSByteSize: 0 bytes/workgroup (compile time only)
; SGPRBlocks: 0
; VGPRBlocks: 0
; NumSGPRsForWavesPerEU: 1
; NumVGPRsForWavesPerEU: 1
; Occupancy: 16
; WaveLimiterHint : 0
; COMPUTE_PGM_RSRC2:SCRATCH_EN: 0
; COMPUTE_PGM_RSRC2:USER_SGPR: 15
; COMPUTE_PGM_RSRC2:TRAP_HANDLER: 0
; COMPUTE_PGM_RSRC2:TGID_X_EN: 1
; COMPUTE_PGM_RSRC2:TGID_Y_EN: 0
; COMPUTE_PGM_RSRC2:TGID_Z_EN: 0
; COMPUTE_PGM_RSRC2:TIDIG_COMP_CNT: 0
	.section	.text._ZN7rocprim17ROCPRIM_400000_NS6detail17trampoline_kernelINS0_14default_configENS1_25partition_config_selectorILNS1_17partition_subalgoE5ElNS0_10empty_typeEbEEZZNS1_14partition_implILS5_5ELb0ES3_mN6hipcub16HIPCUB_304000_NS21CountingInputIteratorIllEEPS6_NSA_22TransformInputIteratorIbN2at6native12_GLOBAL__N_19NonZeroOpIlEEPKllEENS0_5tupleIJPlS6_EEENSN_IJSD_SD_EEES6_PiJS6_EEE10hipError_tPvRmT3_T4_T5_T6_T7_T9_mT8_P12ihipStream_tbDpT10_ENKUlT_T0_E_clISt17integral_constantIbLb0EES1A_IbLb1EEEEDaS16_S17_EUlS16_E_NS1_11comp_targetILNS1_3genE10ELNS1_11target_archE1200ELNS1_3gpuE4ELNS1_3repE0EEENS1_30default_config_static_selectorELNS0_4arch9wavefront6targetE0EEEvT1_,"axG",@progbits,_ZN7rocprim17ROCPRIM_400000_NS6detail17trampoline_kernelINS0_14default_configENS1_25partition_config_selectorILNS1_17partition_subalgoE5ElNS0_10empty_typeEbEEZZNS1_14partition_implILS5_5ELb0ES3_mN6hipcub16HIPCUB_304000_NS21CountingInputIteratorIllEEPS6_NSA_22TransformInputIteratorIbN2at6native12_GLOBAL__N_19NonZeroOpIlEEPKllEENS0_5tupleIJPlS6_EEENSN_IJSD_SD_EEES6_PiJS6_EEE10hipError_tPvRmT3_T4_T5_T6_T7_T9_mT8_P12ihipStream_tbDpT10_ENKUlT_T0_E_clISt17integral_constantIbLb0EES1A_IbLb1EEEEDaS16_S17_EUlS16_E_NS1_11comp_targetILNS1_3genE10ELNS1_11target_archE1200ELNS1_3gpuE4ELNS1_3repE0EEENS1_30default_config_static_selectorELNS0_4arch9wavefront6targetE0EEEvT1_,comdat
	.globl	_ZN7rocprim17ROCPRIM_400000_NS6detail17trampoline_kernelINS0_14default_configENS1_25partition_config_selectorILNS1_17partition_subalgoE5ElNS0_10empty_typeEbEEZZNS1_14partition_implILS5_5ELb0ES3_mN6hipcub16HIPCUB_304000_NS21CountingInputIteratorIllEEPS6_NSA_22TransformInputIteratorIbN2at6native12_GLOBAL__N_19NonZeroOpIlEEPKllEENS0_5tupleIJPlS6_EEENSN_IJSD_SD_EEES6_PiJS6_EEE10hipError_tPvRmT3_T4_T5_T6_T7_T9_mT8_P12ihipStream_tbDpT10_ENKUlT_T0_E_clISt17integral_constantIbLb0EES1A_IbLb1EEEEDaS16_S17_EUlS16_E_NS1_11comp_targetILNS1_3genE10ELNS1_11target_archE1200ELNS1_3gpuE4ELNS1_3repE0EEENS1_30default_config_static_selectorELNS0_4arch9wavefront6targetE0EEEvT1_ ; -- Begin function _ZN7rocprim17ROCPRIM_400000_NS6detail17trampoline_kernelINS0_14default_configENS1_25partition_config_selectorILNS1_17partition_subalgoE5ElNS0_10empty_typeEbEEZZNS1_14partition_implILS5_5ELb0ES3_mN6hipcub16HIPCUB_304000_NS21CountingInputIteratorIllEEPS6_NSA_22TransformInputIteratorIbN2at6native12_GLOBAL__N_19NonZeroOpIlEEPKllEENS0_5tupleIJPlS6_EEENSN_IJSD_SD_EEES6_PiJS6_EEE10hipError_tPvRmT3_T4_T5_T6_T7_T9_mT8_P12ihipStream_tbDpT10_ENKUlT_T0_E_clISt17integral_constantIbLb0EES1A_IbLb1EEEEDaS16_S17_EUlS16_E_NS1_11comp_targetILNS1_3genE10ELNS1_11target_archE1200ELNS1_3gpuE4ELNS1_3repE0EEENS1_30default_config_static_selectorELNS0_4arch9wavefront6targetE0EEEvT1_
	.p2align	8
	.type	_ZN7rocprim17ROCPRIM_400000_NS6detail17trampoline_kernelINS0_14default_configENS1_25partition_config_selectorILNS1_17partition_subalgoE5ElNS0_10empty_typeEbEEZZNS1_14partition_implILS5_5ELb0ES3_mN6hipcub16HIPCUB_304000_NS21CountingInputIteratorIllEEPS6_NSA_22TransformInputIteratorIbN2at6native12_GLOBAL__N_19NonZeroOpIlEEPKllEENS0_5tupleIJPlS6_EEENSN_IJSD_SD_EEES6_PiJS6_EEE10hipError_tPvRmT3_T4_T5_T6_T7_T9_mT8_P12ihipStream_tbDpT10_ENKUlT_T0_E_clISt17integral_constantIbLb0EES1A_IbLb1EEEEDaS16_S17_EUlS16_E_NS1_11comp_targetILNS1_3genE10ELNS1_11target_archE1200ELNS1_3gpuE4ELNS1_3repE0EEENS1_30default_config_static_selectorELNS0_4arch9wavefront6targetE0EEEvT1_,@function
_ZN7rocprim17ROCPRIM_400000_NS6detail17trampoline_kernelINS0_14default_configENS1_25partition_config_selectorILNS1_17partition_subalgoE5ElNS0_10empty_typeEbEEZZNS1_14partition_implILS5_5ELb0ES3_mN6hipcub16HIPCUB_304000_NS21CountingInputIteratorIllEEPS6_NSA_22TransformInputIteratorIbN2at6native12_GLOBAL__N_19NonZeroOpIlEEPKllEENS0_5tupleIJPlS6_EEENSN_IJSD_SD_EEES6_PiJS6_EEE10hipError_tPvRmT3_T4_T5_T6_T7_T9_mT8_P12ihipStream_tbDpT10_ENKUlT_T0_E_clISt17integral_constantIbLb0EES1A_IbLb1EEEEDaS16_S17_EUlS16_E_NS1_11comp_targetILNS1_3genE10ELNS1_11target_archE1200ELNS1_3gpuE4ELNS1_3repE0EEENS1_30default_config_static_selectorELNS0_4arch9wavefront6targetE0EEEvT1_: ; @_ZN7rocprim17ROCPRIM_400000_NS6detail17trampoline_kernelINS0_14default_configENS1_25partition_config_selectorILNS1_17partition_subalgoE5ElNS0_10empty_typeEbEEZZNS1_14partition_implILS5_5ELb0ES3_mN6hipcub16HIPCUB_304000_NS21CountingInputIteratorIllEEPS6_NSA_22TransformInputIteratorIbN2at6native12_GLOBAL__N_19NonZeroOpIlEEPKllEENS0_5tupleIJPlS6_EEENSN_IJSD_SD_EEES6_PiJS6_EEE10hipError_tPvRmT3_T4_T5_T6_T7_T9_mT8_P12ihipStream_tbDpT10_ENKUlT_T0_E_clISt17integral_constantIbLb0EES1A_IbLb1EEEEDaS16_S17_EUlS16_E_NS1_11comp_targetILNS1_3genE10ELNS1_11target_archE1200ELNS1_3gpuE4ELNS1_3repE0EEENS1_30default_config_static_selectorELNS0_4arch9wavefront6targetE0EEEvT1_
; %bb.0:
	.section	.rodata,"a",@progbits
	.p2align	6, 0x0
	.amdhsa_kernel _ZN7rocprim17ROCPRIM_400000_NS6detail17trampoline_kernelINS0_14default_configENS1_25partition_config_selectorILNS1_17partition_subalgoE5ElNS0_10empty_typeEbEEZZNS1_14partition_implILS5_5ELb0ES3_mN6hipcub16HIPCUB_304000_NS21CountingInputIteratorIllEEPS6_NSA_22TransformInputIteratorIbN2at6native12_GLOBAL__N_19NonZeroOpIlEEPKllEENS0_5tupleIJPlS6_EEENSN_IJSD_SD_EEES6_PiJS6_EEE10hipError_tPvRmT3_T4_T5_T6_T7_T9_mT8_P12ihipStream_tbDpT10_ENKUlT_T0_E_clISt17integral_constantIbLb0EES1A_IbLb1EEEEDaS16_S17_EUlS16_E_NS1_11comp_targetILNS1_3genE10ELNS1_11target_archE1200ELNS1_3gpuE4ELNS1_3repE0EEENS1_30default_config_static_selectorELNS0_4arch9wavefront6targetE0EEEvT1_
		.amdhsa_group_segment_fixed_size 0
		.amdhsa_private_segment_fixed_size 0
		.amdhsa_kernarg_size 136
		.amdhsa_user_sgpr_count 15
		.amdhsa_user_sgpr_dispatch_ptr 0
		.amdhsa_user_sgpr_queue_ptr 0
		.amdhsa_user_sgpr_kernarg_segment_ptr 1
		.amdhsa_user_sgpr_dispatch_id 0
		.amdhsa_user_sgpr_private_segment_size 0
		.amdhsa_wavefront_size32 1
		.amdhsa_uses_dynamic_stack 0
		.amdhsa_enable_private_segment 0
		.amdhsa_system_sgpr_workgroup_id_x 1
		.amdhsa_system_sgpr_workgroup_id_y 0
		.amdhsa_system_sgpr_workgroup_id_z 0
		.amdhsa_system_sgpr_workgroup_info 0
		.amdhsa_system_vgpr_workitem_id 0
		.amdhsa_next_free_vgpr 1
		.amdhsa_next_free_sgpr 1
		.amdhsa_reserve_vcc 0
		.amdhsa_float_round_mode_32 0
		.amdhsa_float_round_mode_16_64 0
		.amdhsa_float_denorm_mode_32 3
		.amdhsa_float_denorm_mode_16_64 3
		.amdhsa_dx10_clamp 1
		.amdhsa_ieee_mode 1
		.amdhsa_fp16_overflow 0
		.amdhsa_workgroup_processor_mode 1
		.amdhsa_memory_ordered 1
		.amdhsa_forward_progress 0
		.amdhsa_shared_vgpr_count 0
		.amdhsa_exception_fp_ieee_invalid_op 0
		.amdhsa_exception_fp_denorm_src 0
		.amdhsa_exception_fp_ieee_div_zero 0
		.amdhsa_exception_fp_ieee_overflow 0
		.amdhsa_exception_fp_ieee_underflow 0
		.amdhsa_exception_fp_ieee_inexact 0
		.amdhsa_exception_int_div_zero 0
	.end_amdhsa_kernel
	.section	.text._ZN7rocprim17ROCPRIM_400000_NS6detail17trampoline_kernelINS0_14default_configENS1_25partition_config_selectorILNS1_17partition_subalgoE5ElNS0_10empty_typeEbEEZZNS1_14partition_implILS5_5ELb0ES3_mN6hipcub16HIPCUB_304000_NS21CountingInputIteratorIllEEPS6_NSA_22TransformInputIteratorIbN2at6native12_GLOBAL__N_19NonZeroOpIlEEPKllEENS0_5tupleIJPlS6_EEENSN_IJSD_SD_EEES6_PiJS6_EEE10hipError_tPvRmT3_T4_T5_T6_T7_T9_mT8_P12ihipStream_tbDpT10_ENKUlT_T0_E_clISt17integral_constantIbLb0EES1A_IbLb1EEEEDaS16_S17_EUlS16_E_NS1_11comp_targetILNS1_3genE10ELNS1_11target_archE1200ELNS1_3gpuE4ELNS1_3repE0EEENS1_30default_config_static_selectorELNS0_4arch9wavefront6targetE0EEEvT1_,"axG",@progbits,_ZN7rocprim17ROCPRIM_400000_NS6detail17trampoline_kernelINS0_14default_configENS1_25partition_config_selectorILNS1_17partition_subalgoE5ElNS0_10empty_typeEbEEZZNS1_14partition_implILS5_5ELb0ES3_mN6hipcub16HIPCUB_304000_NS21CountingInputIteratorIllEEPS6_NSA_22TransformInputIteratorIbN2at6native12_GLOBAL__N_19NonZeroOpIlEEPKllEENS0_5tupleIJPlS6_EEENSN_IJSD_SD_EEES6_PiJS6_EEE10hipError_tPvRmT3_T4_T5_T6_T7_T9_mT8_P12ihipStream_tbDpT10_ENKUlT_T0_E_clISt17integral_constantIbLb0EES1A_IbLb1EEEEDaS16_S17_EUlS16_E_NS1_11comp_targetILNS1_3genE10ELNS1_11target_archE1200ELNS1_3gpuE4ELNS1_3repE0EEENS1_30default_config_static_selectorELNS0_4arch9wavefront6targetE0EEEvT1_,comdat
.Lfunc_end283:
	.size	_ZN7rocprim17ROCPRIM_400000_NS6detail17trampoline_kernelINS0_14default_configENS1_25partition_config_selectorILNS1_17partition_subalgoE5ElNS0_10empty_typeEbEEZZNS1_14partition_implILS5_5ELb0ES3_mN6hipcub16HIPCUB_304000_NS21CountingInputIteratorIllEEPS6_NSA_22TransformInputIteratorIbN2at6native12_GLOBAL__N_19NonZeroOpIlEEPKllEENS0_5tupleIJPlS6_EEENSN_IJSD_SD_EEES6_PiJS6_EEE10hipError_tPvRmT3_T4_T5_T6_T7_T9_mT8_P12ihipStream_tbDpT10_ENKUlT_T0_E_clISt17integral_constantIbLb0EES1A_IbLb1EEEEDaS16_S17_EUlS16_E_NS1_11comp_targetILNS1_3genE10ELNS1_11target_archE1200ELNS1_3gpuE4ELNS1_3repE0EEENS1_30default_config_static_selectorELNS0_4arch9wavefront6targetE0EEEvT1_, .Lfunc_end283-_ZN7rocprim17ROCPRIM_400000_NS6detail17trampoline_kernelINS0_14default_configENS1_25partition_config_selectorILNS1_17partition_subalgoE5ElNS0_10empty_typeEbEEZZNS1_14partition_implILS5_5ELb0ES3_mN6hipcub16HIPCUB_304000_NS21CountingInputIteratorIllEEPS6_NSA_22TransformInputIteratorIbN2at6native12_GLOBAL__N_19NonZeroOpIlEEPKllEENS0_5tupleIJPlS6_EEENSN_IJSD_SD_EEES6_PiJS6_EEE10hipError_tPvRmT3_T4_T5_T6_T7_T9_mT8_P12ihipStream_tbDpT10_ENKUlT_T0_E_clISt17integral_constantIbLb0EES1A_IbLb1EEEEDaS16_S17_EUlS16_E_NS1_11comp_targetILNS1_3genE10ELNS1_11target_archE1200ELNS1_3gpuE4ELNS1_3repE0EEENS1_30default_config_static_selectorELNS0_4arch9wavefront6targetE0EEEvT1_
                                        ; -- End function
	.section	.AMDGPU.csdata,"",@progbits
; Kernel info:
; codeLenInByte = 0
; NumSgprs: 0
; NumVgprs: 0
; ScratchSize: 0
; MemoryBound: 0
; FloatMode: 240
; IeeeMode: 1
; LDSByteSize: 0 bytes/workgroup (compile time only)
; SGPRBlocks: 0
; VGPRBlocks: 0
; NumSGPRsForWavesPerEU: 1
; NumVGPRsForWavesPerEU: 1
; Occupancy: 16
; WaveLimiterHint : 0
; COMPUTE_PGM_RSRC2:SCRATCH_EN: 0
; COMPUTE_PGM_RSRC2:USER_SGPR: 15
; COMPUTE_PGM_RSRC2:TRAP_HANDLER: 0
; COMPUTE_PGM_RSRC2:TGID_X_EN: 1
; COMPUTE_PGM_RSRC2:TGID_Y_EN: 0
; COMPUTE_PGM_RSRC2:TGID_Z_EN: 0
; COMPUTE_PGM_RSRC2:TIDIG_COMP_CNT: 0
	.section	.text._ZN7rocprim17ROCPRIM_400000_NS6detail17trampoline_kernelINS0_14default_configENS1_25partition_config_selectorILNS1_17partition_subalgoE5ElNS0_10empty_typeEbEEZZNS1_14partition_implILS5_5ELb0ES3_mN6hipcub16HIPCUB_304000_NS21CountingInputIteratorIllEEPS6_NSA_22TransformInputIteratorIbN2at6native12_GLOBAL__N_19NonZeroOpIlEEPKllEENS0_5tupleIJPlS6_EEENSN_IJSD_SD_EEES6_PiJS6_EEE10hipError_tPvRmT3_T4_T5_T6_T7_T9_mT8_P12ihipStream_tbDpT10_ENKUlT_T0_E_clISt17integral_constantIbLb0EES1A_IbLb1EEEEDaS16_S17_EUlS16_E_NS1_11comp_targetILNS1_3genE9ELNS1_11target_archE1100ELNS1_3gpuE3ELNS1_3repE0EEENS1_30default_config_static_selectorELNS0_4arch9wavefront6targetE0EEEvT1_,"axG",@progbits,_ZN7rocprim17ROCPRIM_400000_NS6detail17trampoline_kernelINS0_14default_configENS1_25partition_config_selectorILNS1_17partition_subalgoE5ElNS0_10empty_typeEbEEZZNS1_14partition_implILS5_5ELb0ES3_mN6hipcub16HIPCUB_304000_NS21CountingInputIteratorIllEEPS6_NSA_22TransformInputIteratorIbN2at6native12_GLOBAL__N_19NonZeroOpIlEEPKllEENS0_5tupleIJPlS6_EEENSN_IJSD_SD_EEES6_PiJS6_EEE10hipError_tPvRmT3_T4_T5_T6_T7_T9_mT8_P12ihipStream_tbDpT10_ENKUlT_T0_E_clISt17integral_constantIbLb0EES1A_IbLb1EEEEDaS16_S17_EUlS16_E_NS1_11comp_targetILNS1_3genE9ELNS1_11target_archE1100ELNS1_3gpuE3ELNS1_3repE0EEENS1_30default_config_static_selectorELNS0_4arch9wavefront6targetE0EEEvT1_,comdat
	.globl	_ZN7rocprim17ROCPRIM_400000_NS6detail17trampoline_kernelINS0_14default_configENS1_25partition_config_selectorILNS1_17partition_subalgoE5ElNS0_10empty_typeEbEEZZNS1_14partition_implILS5_5ELb0ES3_mN6hipcub16HIPCUB_304000_NS21CountingInputIteratorIllEEPS6_NSA_22TransformInputIteratorIbN2at6native12_GLOBAL__N_19NonZeroOpIlEEPKllEENS0_5tupleIJPlS6_EEENSN_IJSD_SD_EEES6_PiJS6_EEE10hipError_tPvRmT3_T4_T5_T6_T7_T9_mT8_P12ihipStream_tbDpT10_ENKUlT_T0_E_clISt17integral_constantIbLb0EES1A_IbLb1EEEEDaS16_S17_EUlS16_E_NS1_11comp_targetILNS1_3genE9ELNS1_11target_archE1100ELNS1_3gpuE3ELNS1_3repE0EEENS1_30default_config_static_selectorELNS0_4arch9wavefront6targetE0EEEvT1_ ; -- Begin function _ZN7rocprim17ROCPRIM_400000_NS6detail17trampoline_kernelINS0_14default_configENS1_25partition_config_selectorILNS1_17partition_subalgoE5ElNS0_10empty_typeEbEEZZNS1_14partition_implILS5_5ELb0ES3_mN6hipcub16HIPCUB_304000_NS21CountingInputIteratorIllEEPS6_NSA_22TransformInputIteratorIbN2at6native12_GLOBAL__N_19NonZeroOpIlEEPKllEENS0_5tupleIJPlS6_EEENSN_IJSD_SD_EEES6_PiJS6_EEE10hipError_tPvRmT3_T4_T5_T6_T7_T9_mT8_P12ihipStream_tbDpT10_ENKUlT_T0_E_clISt17integral_constantIbLb0EES1A_IbLb1EEEEDaS16_S17_EUlS16_E_NS1_11comp_targetILNS1_3genE9ELNS1_11target_archE1100ELNS1_3gpuE3ELNS1_3repE0EEENS1_30default_config_static_selectorELNS0_4arch9wavefront6targetE0EEEvT1_
	.p2align	8
	.type	_ZN7rocprim17ROCPRIM_400000_NS6detail17trampoline_kernelINS0_14default_configENS1_25partition_config_selectorILNS1_17partition_subalgoE5ElNS0_10empty_typeEbEEZZNS1_14partition_implILS5_5ELb0ES3_mN6hipcub16HIPCUB_304000_NS21CountingInputIteratorIllEEPS6_NSA_22TransformInputIteratorIbN2at6native12_GLOBAL__N_19NonZeroOpIlEEPKllEENS0_5tupleIJPlS6_EEENSN_IJSD_SD_EEES6_PiJS6_EEE10hipError_tPvRmT3_T4_T5_T6_T7_T9_mT8_P12ihipStream_tbDpT10_ENKUlT_T0_E_clISt17integral_constantIbLb0EES1A_IbLb1EEEEDaS16_S17_EUlS16_E_NS1_11comp_targetILNS1_3genE9ELNS1_11target_archE1100ELNS1_3gpuE3ELNS1_3repE0EEENS1_30default_config_static_selectorELNS0_4arch9wavefront6targetE0EEEvT1_,@function
_ZN7rocprim17ROCPRIM_400000_NS6detail17trampoline_kernelINS0_14default_configENS1_25partition_config_selectorILNS1_17partition_subalgoE5ElNS0_10empty_typeEbEEZZNS1_14partition_implILS5_5ELb0ES3_mN6hipcub16HIPCUB_304000_NS21CountingInputIteratorIllEEPS6_NSA_22TransformInputIteratorIbN2at6native12_GLOBAL__N_19NonZeroOpIlEEPKllEENS0_5tupleIJPlS6_EEENSN_IJSD_SD_EEES6_PiJS6_EEE10hipError_tPvRmT3_T4_T5_T6_T7_T9_mT8_P12ihipStream_tbDpT10_ENKUlT_T0_E_clISt17integral_constantIbLb0EES1A_IbLb1EEEEDaS16_S17_EUlS16_E_NS1_11comp_targetILNS1_3genE9ELNS1_11target_archE1100ELNS1_3gpuE3ELNS1_3repE0EEENS1_30default_config_static_selectorELNS0_4arch9wavefront6targetE0EEEvT1_: ; @_ZN7rocprim17ROCPRIM_400000_NS6detail17trampoline_kernelINS0_14default_configENS1_25partition_config_selectorILNS1_17partition_subalgoE5ElNS0_10empty_typeEbEEZZNS1_14partition_implILS5_5ELb0ES3_mN6hipcub16HIPCUB_304000_NS21CountingInputIteratorIllEEPS6_NSA_22TransformInputIteratorIbN2at6native12_GLOBAL__N_19NonZeroOpIlEEPKllEENS0_5tupleIJPlS6_EEENSN_IJSD_SD_EEES6_PiJS6_EEE10hipError_tPvRmT3_T4_T5_T6_T7_T9_mT8_P12ihipStream_tbDpT10_ENKUlT_T0_E_clISt17integral_constantIbLb0EES1A_IbLb1EEEEDaS16_S17_EUlS16_E_NS1_11comp_targetILNS1_3genE9ELNS1_11target_archE1100ELNS1_3gpuE3ELNS1_3repE0EEENS1_30default_config_static_selectorELNS0_4arch9wavefront6targetE0EEEvT1_
; %bb.0:
	s_clause 0x4
	s_load_b64 s[18:19], s[0:1], 0x20
	s_load_b64 s[12:13], s[0:1], 0x30
	;; [unrolled: 1-line block ×3, first 2 shown]
	s_load_b128 s[4:7], s[0:1], 0x48
	s_load_b64 s[14:15], s[0:1], 0x68
	v_cmp_eq_u32_e64 s2, 0, v0
	s_delay_alu instid0(VALU_DEP_1)
	s_and_saveexec_b32 s3, s2
	s_cbranch_execz .LBB284_4
; %bb.1:
	s_mov_b32 s9, exec_lo
	s_mov_b32 s8, exec_lo
	v_mbcnt_lo_u32_b32 v1, s9, 0
                                        ; implicit-def: $vgpr2
	s_delay_alu instid0(VALU_DEP_1)
	v_cmpx_eq_u32_e32 0, v1
	s_cbranch_execz .LBB284_3
; %bb.2:
	s_load_b64 s[10:11], s[0:1], 0x78
	s_bcnt1_i32_b32 s9, s9
	s_delay_alu instid0(SALU_CYCLE_1)
	v_dual_mov_b32 v2, 0 :: v_dual_mov_b32 v3, s9
	s_waitcnt lgkmcnt(0)
	global_atomic_add_u32 v2, v2, v3, s[10:11] glc
.LBB284_3:
	s_or_b32 exec_lo, exec_lo, s8
	s_waitcnt vmcnt(0)
	v_readfirstlane_b32 s8, v2
	s_delay_alu instid0(VALU_DEP_1)
	v_dual_mov_b32 v2, 0 :: v_dual_add_nc_u32 v1, s8, v1
	ds_store_b32 v2, v1
.LBB284_4:
	s_or_b32 exec_lo, exec_lo, s3
	v_mov_b32_e32 v1, 0
	s_clause 0x1
	s_load_b128 s[8:11], s[0:1], 0x8
	s_load_b32 s0, s[0:1], 0x70
	s_waitcnt lgkmcnt(0)
	s_barrier
	buffer_gl0_inv
	ds_load_b32 v3, v1
	s_waitcnt lgkmcnt(0)
	s_barrier
	buffer_gl0_inv
	global_load_b64 v[1:2], v1, s[6:7]
	s_add_u32 s21, s10, s8
	s_mul_i32 s20, s0, 0x300
	s_addc_u32 s22, s11, s9
	s_add_i32 s3, s0, -1
	s_add_u32 s0, s10, s20
	v_readfirstlane_b32 s9, v3
	s_addc_u32 s1, s11, 0
	s_delay_alu instid0(SALU_CYCLE_1) | instskip(SKIP_1) | instid1(VALU_DEP_2)
	v_cmp_ge_u64_e64 s0, s[0:1], s[16:17]
	s_mov_b32 s17, -1
	s_cmp_eq_u32 s9, s3
	s_cselect_b32 s3, -1, 0
	s_delay_alu instid0(VALU_DEP_1) | instid1(SALU_CYCLE_1)
	s_and_b32 s1, s0, s3
	s_mul_i32 s0, s9, 0x300
	s_xor_b32 s8, s1, -1
	s_mov_b32 s1, 0
	s_and_b32 vcc_lo, exec_lo, s8
	s_waitcnt vmcnt(0)
	v_readfirstlane_b32 s6, v1
	v_readfirstlane_b32 s7, v2
	s_cbranch_vccz .LBB284_6
; %bb.5:
	s_add_u32 s17, s0, s21
	s_addc_u32 s23, 0, s22
	v_add_co_u32 v1, s17, s17, v0
	s_delay_alu instid0(VALU_DEP_1) | instskip(SKIP_1) | instid1(VALU_DEP_3)
	v_add_co_ci_u32_e64 v2, null, s23, 0, s17
	v_lshlrev_b32_e32 v13, 3, v0
	v_add_co_u32 v3, vcc_lo, 0x80, v1
	s_delay_alu instid0(VALU_DEP_3)
	v_add_co_ci_u32_e32 v4, vcc_lo, 0, v2, vcc_lo
	v_add_co_u32 v5, vcc_lo, 0x100, v1
	v_add_co_ci_u32_e32 v6, vcc_lo, 0, v2, vcc_lo
	v_add_co_u32 v7, vcc_lo, 0x180, v1
	;; [unrolled: 2-line block ×4, first 2 shown]
	v_add_co_ci_u32_e32 v12, vcc_lo, 0, v2, vcc_lo
	ds_store_2addr_stride64_b64 v13, v[1:2], v[3:4] offset1:2
	ds_store_2addr_stride64_b64 v13, v[5:6], v[7:8] offset0:4 offset1:6
	ds_store_2addr_stride64_b64 v13, v[9:10], v[11:12] offset0:8 offset1:10
	s_waitcnt lgkmcnt(0)
	s_mov_b32 s17, s1
	s_barrier
.LBB284_6:
	v_or_b32_e32 v17, 0x100, v0
	v_or_b32_e32 v16, 0x180, v0
	v_or_b32_e32 v14, 0x200, v0
	v_or_b32_e32 v13, 0x280, v0
	s_and_not1_b32 vcc_lo, exec_lo, s17
	s_cbranch_vccnz .LBB284_8
; %bb.7:
	v_or_b32_e32 v3, 0x80, v0
	s_add_u32 s17, s21, s0
	s_addc_u32 s21, s22, 0
	v_add_co_u32 v1, s22, s17, v0
	s_delay_alu instid0(VALU_DEP_1) | instskip(SKIP_1) | instid1(VALU_DEP_1)
	v_add_co_ci_u32_e64 v2, null, s21, 0, s22
	v_add_co_u32 v3, s22, s17, v3
	v_add_co_ci_u32_e64 v4, null, s21, 0, s22
	v_add_co_u32 v5, s22, s17, v17
	s_delay_alu instid0(VALU_DEP_1) | instskip(SKIP_1) | instid1(VALU_DEP_1)
	v_add_co_ci_u32_e64 v6, null, s21, 0, s22
	v_add_co_u32 v7, s22, s17, v16
	v_add_co_ci_u32_e64 v8, null, s21, 0, s22
	v_add_co_u32 v9, s22, s17, v14
	v_lshlrev_b32_e32 v15, 3, v0
	v_add_co_u32 v11, s17, s17, v13
	v_add_co_ci_u32_e64 v10, null, s21, 0, s22
	v_add_co_ci_u32_e64 v12, null, s21, 0, s17
	ds_store_2addr_stride64_b64 v15, v[1:2], v[3:4] offset1:2
	ds_store_2addr_stride64_b64 v15, v[5:6], v[7:8] offset0:4 offset1:6
	ds_store_2addr_stride64_b64 v15, v[9:10], v[11:12] offset0:8 offset1:10
	s_waitcnt lgkmcnt(0)
	s_barrier
.LBB284_8:
	v_mul_u32_u24_e32 v1, 6, v0
	buffer_gl0_inv
	s_lshl_b64 s[22:23], s[10:11], 3
	s_delay_alu instid0(SALU_CYCLE_1)
	s_add_u32 s11, s18, s22
	v_lshlrev_b32_e32 v15, 3, v1
	s_addc_u32 s17, s19, s23
	s_lshl_b64 s[0:1], s[0:1], 3
	ds_load_b128 v[9:12], v15
	ds_load_b128 v[5:8], v15 offset:16
	ds_load_b128 v[1:4], v15 offset:32
	s_add_u32 s0, s11, s0
	s_addc_u32 s1, s17, s1
	s_and_b32 vcc_lo, exec_lo, s8
	s_mov_b32 s11, -1
	s_waitcnt lgkmcnt(0)
	s_barrier
	buffer_gl0_inv
	s_cbranch_vccz .LBB284_10
; %bb.9:
	v_lshlrev_b32_e32 v26, 3, v0
	s_clause 0x1
	global_load_b64 v[18:19], v26, s[0:1]
	global_load_b64 v[20:21], v26, s[0:1] offset:1024
	v_add_co_u32 v22, s11, s0, v26
	s_delay_alu instid0(VALU_DEP_1) | instskip(SKIP_1) | instid1(VALU_DEP_2)
	v_add_co_ci_u32_e64 v23, null, s1, 0, s11
	s_mov_b32 s11, 0
	v_add_co_u32 v22, vcc_lo, 0x1000, v22
	s_delay_alu instid0(VALU_DEP_2)
	v_add_co_ci_u32_e32 v23, vcc_lo, 0, v23, vcc_lo
	s_clause 0x3
	global_load_b64 v[24:25], v26, s[0:1] offset:2048
	global_load_b64 v[26:27], v26, s[0:1] offset:3072
	global_load_b64 v[28:29], v[22:23], off
	global_load_b64 v[22:23], v[22:23], off offset:1024
	s_waitcnt vmcnt(5)
	v_cmp_ne_u64_e32 vcc_lo, 0, v[18:19]
	v_cndmask_b32_e64 v18, 0, 1, vcc_lo
	s_waitcnt vmcnt(4)
	v_cmp_ne_u64_e32 vcc_lo, 0, v[20:21]
	v_cndmask_b32_e64 v19, 0, 1, vcc_lo
	;; [unrolled: 3-line block ×6, first 2 shown]
	ds_store_b8 v0, v18
	ds_store_b8 v0, v19 offset:128
	ds_store_b8 v0, v20 offset:256
	;; [unrolled: 1-line block ×5, first 2 shown]
	s_waitcnt lgkmcnt(0)
	s_barrier
.LBB284_10:
	s_and_not1_b32 vcc_lo, exec_lo, s11
	s_cbranch_vccnz .LBB284_24
; %bb.11:
	s_add_i32 s20, s20, s10
	v_dual_mov_b32 v18, 0 :: v_dual_mov_b32 v19, 0
	s_sub_i32 s10, s16, s20
	s_mov_b32 s11, exec_lo
	s_addk_i32 s10, 0x300
	s_delay_alu instid0(SALU_CYCLE_1)
	v_cmpx_gt_u32_e64 s10, v0
	s_cbranch_execz .LBB284_13
; %bb.12:
	v_lshlrev_b32_e32 v19, 3, v0
	global_load_b64 v[19:20], v19, s[0:1]
	s_waitcnt vmcnt(0)
	v_cmp_ne_u64_e32 vcc_lo, 0, v[19:20]
	v_cndmask_b32_e64 v19, 0, 1, vcc_lo
.LBB284_13:
	s_or_b32 exec_lo, exec_lo, s11
	v_or_b32_e32 v20, 0x80, v0
	s_mov_b32 s11, exec_lo
	s_delay_alu instid0(VALU_DEP_1)
	v_cmpx_gt_u32_e64 s10, v20
	s_cbranch_execz .LBB284_15
; %bb.14:
	v_lshlrev_b32_e32 v18, 3, v0
	global_load_b64 v[20:21], v18, s[0:1] offset:1024
	s_waitcnt vmcnt(0)
	v_cmp_ne_u64_e32 vcc_lo, 0, v[20:21]
	v_cndmask_b32_e64 v18, 0, 1, vcc_lo
.LBB284_15:
	s_or_b32 exec_lo, exec_lo, s11
	v_cmp_gt_u32_e32 vcc_lo, s10, v17
	v_dual_mov_b32 v17, 0 :: v_dual_mov_b32 v20, 0
	s_and_saveexec_b32 s11, vcc_lo
	s_cbranch_execz .LBB284_17
; %bb.16:
	v_lshlrev_b32_e32 v20, 3, v0
	global_load_b64 v[20:21], v20, s[0:1] offset:2048
	s_waitcnt vmcnt(0)
	v_cmp_ne_u64_e32 vcc_lo, 0, v[20:21]
	v_cndmask_b32_e64 v20, 0, 1, vcc_lo
.LBB284_17:
	s_or_b32 exec_lo, exec_lo, s11
	s_delay_alu instid0(SALU_CYCLE_1)
	s_mov_b32 s11, exec_lo
	v_cmpx_gt_u32_e64 s10, v16
	s_cbranch_execz .LBB284_19
; %bb.18:
	v_lshlrev_b32_e32 v16, 3, v0
	global_load_b64 v[16:17], v16, s[0:1] offset:3072
	s_waitcnt vmcnt(0)
	v_cmp_ne_u64_e32 vcc_lo, 0, v[16:17]
	v_cndmask_b32_e64 v17, 0, 1, vcc_lo
.LBB284_19:
	s_or_b32 exec_lo, exec_lo, s11
	v_dual_mov_b32 v16, 0 :: v_dual_mov_b32 v21, 0
	s_mov_b32 s11, exec_lo
	v_cmpx_gt_u32_e64 s10, v14
	s_cbranch_execz .LBB284_21
; %bb.20:
	v_lshlrev_b32_e32 v14, 3, v14
	global_load_b64 v[21:22], v14, s[0:1]
	s_waitcnt vmcnt(0)
	v_cmp_ne_u64_e32 vcc_lo, 0, v[21:22]
	v_cndmask_b32_e64 v21, 0, 1, vcc_lo
.LBB284_21:
	s_or_b32 exec_lo, exec_lo, s11
	v_cmp_gt_u32_e32 vcc_lo, s10, v13
	s_and_saveexec_b32 s10, vcc_lo
	s_cbranch_execz .LBB284_23
; %bb.22:
	v_lshlrev_b32_e32 v13, 3, v13
	global_load_b64 v[13:14], v13, s[0:1]
	s_waitcnt vmcnt(0)
	v_cmp_ne_u64_e32 vcc_lo, 0, v[13:14]
	v_cndmask_b32_e64 v16, 0, 1, vcc_lo
.LBB284_23:
	s_or_b32 exec_lo, exec_lo, s10
	ds_store_b8 v0, v19
	ds_store_b8 v0, v18 offset:128
	ds_store_b8 v0, v20 offset:256
	;; [unrolled: 1-line block ×5, first 2 shown]
	s_waitcnt lgkmcnt(0)
	s_barrier
.LBB284_24:
	v_mad_i32_i24 v43, 0xffffffd6, v0, v15
	buffer_gl0_inv
	v_mbcnt_lo_u32_b32 v42, -1, 0
	s_cmp_lg_u32 s9, 0
	s_mov_b32 s1, -1
	ds_load_u16 v36, v43
	ds_load_u16 v33, v43 offset:2
	ds_load_u16 v31, v43 offset:4
	v_mov_b32_e32 v14, 0
	v_and_b32_e32 v44, 15, v42
	s_waitcnt lgkmcnt(0)
	s_barrier
	buffer_gl0_inv
	v_and_b32_e32 v41, 0xff, v36
	v_lshrrev_b16 v34, 8, v36
	v_lshrrev_b16 v35, 8, v33
	v_and_b32_e32 v39, 0xff, v33
	v_lshrrev_b16 v32, 8, v31
	v_and_b32_e32 v37, 0xff, v31
	v_and_b32_e32 v40, 0xffff, v34
	v_and_b32_e32 v38, 0xffff, v35
	s_delay_alu instid0(VALU_DEP_4) | instskip(NEXT) | instid1(VALU_DEP_3)
	v_and_b32_e32 v16, 0xffff, v32
	v_add_co_u32 v13, s0, v40, v41
	s_delay_alu instid0(VALU_DEP_1) | instskip(SKIP_1) | instid1(VALU_DEP_3)
	v_add_co_ci_u32_e64 v15, null, 0, 0, s0
	v_cmp_ne_u32_e64 s0, 0, v44
	v_add_co_u32 v13, vcc_lo, v13, v39
	s_delay_alu instid0(VALU_DEP_3) | instskip(NEXT) | instid1(VALU_DEP_2)
	v_add_co_ci_u32_e32 v15, vcc_lo, 0, v15, vcc_lo
	v_add_co_u32 v13, vcc_lo, v13, v38
	s_delay_alu instid0(VALU_DEP_2) | instskip(NEXT) | instid1(VALU_DEP_2)
	v_add_co_ci_u32_e32 v15, vcc_lo, 0, v15, vcc_lo
	v_add_co_u32 v13, vcc_lo, v13, v37
	s_delay_alu instid0(VALU_DEP_2) | instskip(NEXT) | instid1(VALU_DEP_2)
	v_add_co_ci_u32_e32 v15, vcc_lo, 0, v15, vcc_lo
	v_add_co_u32 v21, vcc_lo, v13, v16
	s_delay_alu instid0(VALU_DEP_2)
	v_add_co_ci_u32_e32 v22, vcc_lo, 0, v15, vcc_lo
	s_cbranch_scc0 .LBB284_88
; %bb.25:
	s_delay_alu instid0(VALU_DEP_2)
	v_mov_b32_e32 v15, v21
	v_mov_b32_dpp v13, v21 row_shr:1 row_mask:0xf bank_mask:0xf
	v_mov_b32_dpp v18, v14 row_shr:1 row_mask:0xf bank_mask:0xf
	v_dual_mov_b32 v17, v21 :: v_dual_mov_b32 v16, v22
	s_and_saveexec_b32 s1, s0
; %bb.26:
	s_delay_alu instid0(VALU_DEP_3) | instskip(SKIP_1) | instid1(VALU_DEP_2)
	v_add_co_u32 v17, vcc_lo, v21, v13
	v_add_co_ci_u32_e32 v14, vcc_lo, 0, v22, vcc_lo
	v_add_co_u32 v13, vcc_lo, 0, v17
	s_delay_alu instid0(VALU_DEP_2) | instskip(NEXT) | instid1(VALU_DEP_1)
	v_add_co_ci_u32_e32 v14, vcc_lo, v18, v14, vcc_lo
	v_dual_mov_b32 v16, v14 :: v_dual_mov_b32 v15, v13
; %bb.27:
	s_or_b32 exec_lo, exec_lo, s1
	v_mov_b32_dpp v13, v17 row_shr:2 row_mask:0xf bank_mask:0xf
	v_mov_b32_dpp v18, v14 row_shr:2 row_mask:0xf bank_mask:0xf
	s_mov_b32 s1, exec_lo
	v_cmpx_lt_u32_e32 1, v44
; %bb.28:
	s_delay_alu instid0(VALU_DEP_3) | instskip(SKIP_1) | instid1(VALU_DEP_2)
	v_add_co_u32 v17, vcc_lo, v15, v13
	v_add_co_ci_u32_e32 v14, vcc_lo, 0, v16, vcc_lo
	v_add_co_u32 v13, vcc_lo, 0, v17
	s_delay_alu instid0(VALU_DEP_2) | instskip(NEXT) | instid1(VALU_DEP_1)
	v_add_co_ci_u32_e32 v14, vcc_lo, v18, v14, vcc_lo
	v_dual_mov_b32 v16, v14 :: v_dual_mov_b32 v15, v13
; %bb.29:
	s_or_b32 exec_lo, exec_lo, s1
	v_mov_b32_dpp v13, v17 row_shr:4 row_mask:0xf bank_mask:0xf
	v_mov_b32_dpp v18, v14 row_shr:4 row_mask:0xf bank_mask:0xf
	s_mov_b32 s1, exec_lo
	v_cmpx_lt_u32_e32 3, v44
	;; [unrolled: 14-line block ×3, first 2 shown]
; %bb.32:
	s_delay_alu instid0(VALU_DEP_3) | instskip(SKIP_1) | instid1(VALU_DEP_2)
	v_add_co_u32 v17, vcc_lo, v15, v18
	v_add_co_ci_u32_e32 v14, vcc_lo, 0, v16, vcc_lo
	v_add_co_u32 v15, vcc_lo, 0, v17
	s_delay_alu instid0(VALU_DEP_2) | instskip(NEXT) | instid1(VALU_DEP_1)
	v_add_co_ci_u32_e32 v16, vcc_lo, v13, v14, vcc_lo
	v_mov_b32_e32 v14, v16
; %bb.33:
	s_or_b32 exec_lo, exec_lo, s1
	ds_swizzle_b32 v13, v17 offset:swizzle(BROADCAST,32,15)
	ds_swizzle_b32 v18, v14 offset:swizzle(BROADCAST,32,15)
	v_and_b32_e32 v19, 16, v42
	s_mov_b32 s1, exec_lo
	s_delay_alu instid0(VALU_DEP_1)
	v_cmpx_ne_u32_e32 0, v19
	s_cbranch_execz .LBB284_35
; %bb.34:
	s_waitcnt lgkmcnt(1)
	v_add_co_u32 v17, vcc_lo, v15, v13
	v_add_co_ci_u32_e32 v14, vcc_lo, 0, v16, vcc_lo
	s_delay_alu instid0(VALU_DEP_2) | instskip(SKIP_1) | instid1(VALU_DEP_2)
	v_add_co_u32 v13, vcc_lo, 0, v17
	s_waitcnt lgkmcnt(0)
	v_add_co_ci_u32_e32 v14, vcc_lo, v18, v14, vcc_lo
	s_delay_alu instid0(VALU_DEP_1)
	v_dual_mov_b32 v16, v14 :: v_dual_mov_b32 v15, v13
.LBB284_35:
	s_or_b32 exec_lo, exec_lo, s1
	s_waitcnt lgkmcnt(0)
	v_or_b32_e32 v18, 31, v0
	v_lshrrev_b32_e32 v13, 5, v0
	s_mov_b32 s1, exec_lo
	s_delay_alu instid0(VALU_DEP_2)
	v_cmpx_eq_u32_e64 v18, v0
	s_cbranch_execz .LBB284_37
; %bb.36:
	s_delay_alu instid0(VALU_DEP_2)
	v_lshlrev_b32_e32 v18, 3, v13
	ds_store_b64 v18, v[15:16]
.LBB284_37:
	s_or_b32 exec_lo, exec_lo, s1
	s_delay_alu instid0(SALU_CYCLE_1)
	s_mov_b32 s1, exec_lo
	s_waitcnt lgkmcnt(0)
	s_barrier
	buffer_gl0_inv
	v_cmpx_gt_u32_e32 4, v0
	s_cbranch_execz .LBB284_43
; %bb.38:
	v_lshlrev_b32_e32 v18, 3, v0
	s_mov_b32 s10, exec_lo
	ds_load_b64 v[15:16], v18
	s_waitcnt lgkmcnt(0)
	v_dual_mov_b32 v20, v15 :: v_dual_and_b32 v19, 3, v42
	v_mov_b32_dpp v24, v15 row_shr:1 row_mask:0xf bank_mask:0xf
	v_mov_b32_dpp v23, v16 row_shr:1 row_mask:0xf bank_mask:0xf
	s_delay_alu instid0(VALU_DEP_3)
	v_cmpx_ne_u32_e32 0, v19
; %bb.39:
	s_delay_alu instid0(VALU_DEP_3) | instskip(SKIP_1) | instid1(VALU_DEP_2)
	v_add_co_u32 v20, vcc_lo, v15, v24
	v_add_co_ci_u32_e32 v16, vcc_lo, 0, v16, vcc_lo
	v_add_co_u32 v15, vcc_lo, 0, v20
	s_delay_alu instid0(VALU_DEP_2)
	v_add_co_ci_u32_e32 v16, vcc_lo, v23, v16, vcc_lo
; %bb.40:
	s_or_b32 exec_lo, exec_lo, s10
	v_mov_b32_dpp v23, v20 row_shr:2 row_mask:0xf bank_mask:0xf
	s_delay_alu instid0(VALU_DEP_2)
	v_mov_b32_dpp v20, v16 row_shr:2 row_mask:0xf bank_mask:0xf
	s_mov_b32 s10, exec_lo
	v_cmpx_lt_u32_e32 1, v19
; %bb.41:
	s_delay_alu instid0(VALU_DEP_3) | instskip(SKIP_1) | instid1(VALU_DEP_2)
	v_add_co_u32 v15, vcc_lo, v15, v23
	v_add_co_ci_u32_e32 v16, vcc_lo, 0, v16, vcc_lo
	v_add_co_u32 v15, vcc_lo, v15, 0
	s_delay_alu instid0(VALU_DEP_2)
	v_add_co_ci_u32_e32 v16, vcc_lo, v16, v20, vcc_lo
; %bb.42:
	s_or_b32 exec_lo, exec_lo, s10
	ds_store_b64 v18, v[15:16]
.LBB284_43:
	s_or_b32 exec_lo, exec_lo, s1
	v_cmp_gt_u32_e32 vcc_lo, 32, v0
	s_mov_b32 s10, exec_lo
	s_waitcnt lgkmcnt(0)
	s_barrier
	buffer_gl0_inv
                                        ; implicit-def: $vgpr23_vgpr24
	v_cmpx_lt_u32_e32 31, v0
	s_cbranch_execz .LBB284_45
; %bb.44:
	v_lshl_add_u32 v13, v13, 3, -8
	ds_load_b64 v[23:24], v13
	s_waitcnt lgkmcnt(0)
	v_add_co_u32 v17, s1, v17, v23
	s_delay_alu instid0(VALU_DEP_1)
	v_add_co_ci_u32_e64 v14, s1, v14, v24, s1
.LBB284_45:
	s_or_b32 exec_lo, exec_lo, s10
	v_add_nc_u32_e32 v13, -1, v42
	s_delay_alu instid0(VALU_DEP_1) | instskip(NEXT) | instid1(VALU_DEP_1)
	v_cmp_gt_i32_e64 s1, 0, v13
	v_cndmask_b32_e64 v13, v13, v42, s1
	v_cmp_eq_u32_e64 s1, 0, v42
	s_delay_alu instid0(VALU_DEP_2)
	v_lshlrev_b32_e32 v13, 2, v13
	ds_bpermute_b32 v29, v13, v17
	ds_bpermute_b32 v30, v13, v14
	s_and_saveexec_b32 s10, vcc_lo
	s_cbranch_execz .LBB284_83
; %bb.46:
	v_mov_b32_e32 v16, 0
	ds_load_b64 v[13:14], v16 offset:24
	s_and_saveexec_b32 s11, s1
	s_cbranch_execz .LBB284_48
; %bb.47:
	s_add_i32 s16, s9, 32
	s_mov_b32 s17, 0
	s_delay_alu instid0(SALU_CYCLE_1) | instskip(NEXT) | instid1(SALU_CYCLE_1)
	s_lshl_b64 s[16:17], s[16:17], 4
	s_add_u32 s16, s14, s16
	s_addc_u32 s17, s15, s17
	s_delay_alu instid0(SALU_CYCLE_1)
	v_dual_mov_b32 v15, 1 :: v_dual_mov_b32 v18, s17
	v_mov_b32_e32 v17, s16
	s_waitcnt lgkmcnt(0)
	;;#ASMSTART
	global_store_dwordx4 v[17:18], v[13:16] off	
s_waitcnt vmcnt(0)
	;;#ASMEND
.LBB284_48:
	s_or_b32 exec_lo, exec_lo, s11
	v_xad_u32 v25, v42, -1, s9
	s_mov_b32 s16, 0
	s_mov_b32 s11, exec_lo
	s_delay_alu instid0(VALU_DEP_1) | instskip(NEXT) | instid1(VALU_DEP_1)
	v_add_nc_u32_e32 v15, 32, v25
	v_lshlrev_b64 v[15:16], 4, v[15:16]
	s_delay_alu instid0(VALU_DEP_1) | instskip(NEXT) | instid1(VALU_DEP_2)
	v_add_co_u32 v15, vcc_lo, s14, v15
	v_add_co_ci_u32_e32 v16, vcc_lo, s15, v16, vcc_lo
	;;#ASMSTART
	global_load_dwordx4 v[17:20], v[15:16] off glc	
s_waitcnt vmcnt(0)
	;;#ASMEND
	v_and_b32_e32 v20, 0xff, v18
	v_and_b32_e32 v26, 0xff00, v18
	v_or3_b32 v17, v17, 0, 0
	v_and_b32_e32 v27, 0xff000000, v18
	v_and_b32_e32 v18, 0xff0000, v18
	s_delay_alu instid0(VALU_DEP_4) | instskip(SKIP_2) | instid1(VALU_DEP_3)
	v_or3_b32 v20, 0, v20, v26
	v_and_b32_e32 v26, 0xff, v19
	v_or3_b32 v17, v17, 0, 0
	v_or3_b32 v18, v20, v18, v27
	s_delay_alu instid0(VALU_DEP_3)
	v_cmpx_eq_u16_e32 0, v26
	s_cbranch_execz .LBB284_51
.LBB284_49:                             ; =>This Inner Loop Header: Depth=1
	;;#ASMSTART
	global_load_dwordx4 v[17:20], v[15:16] off glc	
s_waitcnt vmcnt(0)
	;;#ASMEND
	v_and_b32_e32 v20, 0xff, v19
	s_delay_alu instid0(VALU_DEP_1) | instskip(SKIP_1) | instid1(SALU_CYCLE_1)
	v_cmp_ne_u16_e32 vcc_lo, 0, v20
	s_or_b32 s16, vcc_lo, s16
	s_and_not1_b32 exec_lo, exec_lo, s16
	s_cbranch_execnz .LBB284_49
; %bb.50:
	s_or_b32 exec_lo, exec_lo, s16
.LBB284_51:
	s_delay_alu instid0(SALU_CYCLE_1)
	s_or_b32 exec_lo, exec_lo, s11
	v_cmp_ne_u32_e32 vcc_lo, 31, v42
	v_and_b32_e32 v16, 0xff, v19
	v_lshlrev_b32_e64 v46, v42, -1
	s_mov_b32 s11, exec_lo
	v_add_co_ci_u32_e32 v15, vcc_lo, 0, v42, vcc_lo
	s_delay_alu instid0(VALU_DEP_3) | instskip(NEXT) | instid1(VALU_DEP_2)
	v_cmp_eq_u16_e32 vcc_lo, 2, v16
	v_dual_mov_b32 v16, v17 :: v_dual_lshlrev_b32 v45, 2, v15
	v_and_or_b32 v15, vcc_lo, v46, 0x80000000
	ds_bpermute_b32 v26, v45, v17
	ds_bpermute_b32 v20, v45, v18
	v_ctz_i32_b32_e32 v15, v15
	s_delay_alu instid0(VALU_DEP_1)
	v_cmpx_lt_u32_e64 v42, v15
	s_cbranch_execz .LBB284_53
; %bb.52:
	s_waitcnt lgkmcnt(1)
	v_add_co_u32 v16, vcc_lo, v17, v26
	v_add_co_ci_u32_e32 v18, vcc_lo, 0, v18, vcc_lo
	s_delay_alu instid0(VALU_DEP_2) | instskip(SKIP_1) | instid1(VALU_DEP_2)
	v_add_co_u32 v17, vcc_lo, 0, v16
	s_waitcnt lgkmcnt(0)
	v_add_co_ci_u32_e32 v18, vcc_lo, v20, v18, vcc_lo
.LBB284_53:
	s_or_b32 exec_lo, exec_lo, s11
	v_cmp_gt_u32_e32 vcc_lo, 30, v42
	v_add_nc_u32_e32 v48, 2, v42
	s_mov_b32 s11, exec_lo
	s_waitcnt lgkmcnt(0)
	v_cndmask_b32_e64 v20, 0, 1, vcc_lo
	s_delay_alu instid0(VALU_DEP_1) | instskip(NEXT) | instid1(VALU_DEP_1)
	v_lshlrev_b32_e32 v20, 1, v20
	v_add_lshl_u32 v47, v20, v42, 2
	ds_bpermute_b32 v26, v47, v16
	ds_bpermute_b32 v20, v47, v18
	v_cmpx_le_u32_e64 v48, v15
	s_cbranch_execz .LBB284_55
; %bb.54:
	s_waitcnt lgkmcnt(1)
	v_add_co_u32 v16, vcc_lo, v17, v26
	v_add_co_ci_u32_e32 v18, vcc_lo, 0, v18, vcc_lo
	s_delay_alu instid0(VALU_DEP_2) | instskip(SKIP_1) | instid1(VALU_DEP_2)
	v_add_co_u32 v17, vcc_lo, 0, v16
	s_waitcnt lgkmcnt(0)
	v_add_co_ci_u32_e32 v18, vcc_lo, v20, v18, vcc_lo
.LBB284_55:
	s_or_b32 exec_lo, exec_lo, s11
	v_cmp_gt_u32_e32 vcc_lo, 28, v42
	v_add_nc_u32_e32 v50, 4, v42
	s_mov_b32 s11, exec_lo
	s_waitcnt lgkmcnt(0)
	v_cndmask_b32_e64 v20, 0, 1, vcc_lo
	s_delay_alu instid0(VALU_DEP_1) | instskip(NEXT) | instid1(VALU_DEP_1)
	v_lshlrev_b32_e32 v20, 2, v20
	v_add_lshl_u32 v49, v20, v42, 2
	ds_bpermute_b32 v26, v49, v16
	ds_bpermute_b32 v20, v49, v18
	v_cmpx_le_u32_e64 v50, v15
	;; [unrolled: 22-line block ×4, first 2 shown]
	s_cbranch_execz .LBB284_61
; %bb.60:
	s_waitcnt lgkmcnt(1)
	v_add_co_u32 v15, vcc_lo, v17, v20
	v_add_co_ci_u32_e32 v18, vcc_lo, 0, v18, vcc_lo
	s_delay_alu instid0(VALU_DEP_2) | instskip(SKIP_1) | instid1(VALU_DEP_2)
	v_add_co_u32 v17, vcc_lo, v15, 0
	s_waitcnt lgkmcnt(0)
	v_add_co_ci_u32_e32 v18, vcc_lo, v18, v16, vcc_lo
.LBB284_61:
	s_or_b32 exec_lo, exec_lo, s11
	v_mov_b32_e32 v26, 0
	s_branch .LBB284_63
.LBB284_62:                             ;   in Loop: Header=BB284_63 Depth=1
	s_or_b32 exec_lo, exec_lo, s11
	v_add_co_u32 v17, vcc_lo, v17, v15
	v_subrev_nc_u32_e32 v25, 32, v25
	v_add_co_ci_u32_e32 v18, vcc_lo, v18, v16, vcc_lo
.LBB284_63:                             ; =>This Loop Header: Depth=1
                                        ;     Child Loop BB284_66 Depth 2
	v_and_b32_e32 v15, 0xff, v19
	s_delay_alu instid0(VALU_DEP_1) | instskip(SKIP_2) | instid1(VALU_DEP_1)
	v_cmp_ne_u16_e32 vcc_lo, 2, v15
	v_cndmask_b32_e64 v15, 0, 1, vcc_lo
	;;#ASMSTART
	;;#ASMEND
	v_cmp_ne_u32_e32 vcc_lo, 0, v15
	s_waitcnt lgkmcnt(0)
	v_dual_mov_b32 v15, v17 :: v_dual_mov_b32 v16, v18
	s_cmp_lg_u32 vcc_lo, exec_lo
	s_cbranch_scc1 .LBB284_78
; %bb.64:                               ;   in Loop: Header=BB284_63 Depth=1
	v_lshlrev_b64 v[17:18], 4, v[25:26]
	s_mov_b32 s11, exec_lo
	s_delay_alu instid0(VALU_DEP_1) | instskip(NEXT) | instid1(VALU_DEP_2)
	v_add_co_u32 v27, vcc_lo, s14, v17
	v_add_co_ci_u32_e32 v28, vcc_lo, s15, v18, vcc_lo
	;;#ASMSTART
	global_load_dwordx4 v[17:20], v[27:28] off glc	
s_waitcnt vmcnt(0)
	;;#ASMEND
	v_and_b32_e32 v20, 0xff, v18
	v_and_b32_e32 v55, 0xff00, v18
	v_or3_b32 v17, v17, 0, 0
	v_and_b32_e32 v56, 0xff000000, v18
	v_and_b32_e32 v18, 0xff0000, v18
	s_delay_alu instid0(VALU_DEP_4) | instskip(SKIP_2) | instid1(VALU_DEP_3)
	v_or3_b32 v20, 0, v20, v55
	v_and_b32_e32 v55, 0xff, v19
	v_or3_b32 v17, v17, 0, 0
	v_or3_b32 v18, v20, v18, v56
	s_delay_alu instid0(VALU_DEP_3)
	v_cmpx_eq_u16_e32 0, v55
	s_cbranch_execz .LBB284_68
; %bb.65:                               ;   in Loop: Header=BB284_63 Depth=1
	s_mov_b32 s16, 0
.LBB284_66:                             ;   Parent Loop BB284_63 Depth=1
                                        ; =>  This Inner Loop Header: Depth=2
	;;#ASMSTART
	global_load_dwordx4 v[17:20], v[27:28] off glc	
s_waitcnt vmcnt(0)
	;;#ASMEND
	v_and_b32_e32 v20, 0xff, v19
	s_delay_alu instid0(VALU_DEP_1) | instskip(SKIP_1) | instid1(SALU_CYCLE_1)
	v_cmp_ne_u16_e32 vcc_lo, 0, v20
	s_or_b32 s16, vcc_lo, s16
	s_and_not1_b32 exec_lo, exec_lo, s16
	s_cbranch_execnz .LBB284_66
; %bb.67:                               ;   in Loop: Header=BB284_63 Depth=1
	s_or_b32 exec_lo, exec_lo, s16
.LBB284_68:                             ;   in Loop: Header=BB284_63 Depth=1
	s_delay_alu instid0(SALU_CYCLE_1)
	s_or_b32 exec_lo, exec_lo, s11
	v_dual_mov_b32 v27, v17 :: v_dual_and_b32 v20, 0xff, v19
	ds_bpermute_b32 v55, v45, v17
	ds_bpermute_b32 v28, v45, v18
	s_mov_b32 s11, exec_lo
	v_cmp_eq_u16_e32 vcc_lo, 2, v20
	v_and_or_b32 v20, vcc_lo, v46, 0x80000000
	s_delay_alu instid0(VALU_DEP_1) | instskip(NEXT) | instid1(VALU_DEP_1)
	v_ctz_i32_b32_e32 v20, v20
	v_cmpx_lt_u32_e64 v42, v20
	s_cbranch_execz .LBB284_70
; %bb.69:                               ;   in Loop: Header=BB284_63 Depth=1
	s_waitcnt lgkmcnt(1)
	v_add_co_u32 v27, vcc_lo, v17, v55
	v_add_co_ci_u32_e32 v18, vcc_lo, 0, v18, vcc_lo
	s_delay_alu instid0(VALU_DEP_2) | instskip(SKIP_1) | instid1(VALU_DEP_2)
	v_add_co_u32 v17, vcc_lo, 0, v27
	s_waitcnt lgkmcnt(0)
	v_add_co_ci_u32_e32 v18, vcc_lo, v28, v18, vcc_lo
.LBB284_70:                             ;   in Loop: Header=BB284_63 Depth=1
	s_or_b32 exec_lo, exec_lo, s11
	s_waitcnt lgkmcnt(1)
	ds_bpermute_b32 v55, v47, v27
	s_waitcnt lgkmcnt(1)
	ds_bpermute_b32 v28, v47, v18
	s_mov_b32 s11, exec_lo
	v_cmpx_le_u32_e64 v48, v20
	s_cbranch_execz .LBB284_72
; %bb.71:                               ;   in Loop: Header=BB284_63 Depth=1
	s_waitcnt lgkmcnt(1)
	v_add_co_u32 v27, vcc_lo, v17, v55
	v_add_co_ci_u32_e32 v18, vcc_lo, 0, v18, vcc_lo
	s_delay_alu instid0(VALU_DEP_2) | instskip(SKIP_1) | instid1(VALU_DEP_2)
	v_add_co_u32 v17, vcc_lo, 0, v27
	s_waitcnt lgkmcnt(0)
	v_add_co_ci_u32_e32 v18, vcc_lo, v28, v18, vcc_lo
.LBB284_72:                             ;   in Loop: Header=BB284_63 Depth=1
	s_or_b32 exec_lo, exec_lo, s11
	s_waitcnt lgkmcnt(1)
	ds_bpermute_b32 v55, v49, v27
	s_waitcnt lgkmcnt(1)
	ds_bpermute_b32 v28, v49, v18
	s_mov_b32 s11, exec_lo
	v_cmpx_le_u32_e64 v50, v20
	;; [unrolled: 17-line block ×3, first 2 shown]
	s_cbranch_execz .LBB284_76
; %bb.75:                               ;   in Loop: Header=BB284_63 Depth=1
	s_waitcnt lgkmcnt(1)
	v_add_co_u32 v27, vcc_lo, v17, v55
	v_add_co_ci_u32_e32 v18, vcc_lo, 0, v18, vcc_lo
	s_delay_alu instid0(VALU_DEP_2) | instskip(SKIP_1) | instid1(VALU_DEP_2)
	v_add_co_u32 v17, vcc_lo, 0, v27
	s_waitcnt lgkmcnt(0)
	v_add_co_ci_u32_e32 v18, vcc_lo, v28, v18, vcc_lo
.LBB284_76:                             ;   in Loop: Header=BB284_63 Depth=1
	s_or_b32 exec_lo, exec_lo, s11
	s_waitcnt lgkmcnt(0)
	ds_bpermute_b32 v28, v53, v27
	ds_bpermute_b32 v27, v53, v18
	s_mov_b32 s11, exec_lo
	v_cmpx_le_u32_e64 v54, v20
	s_cbranch_execz .LBB284_62
; %bb.77:                               ;   in Loop: Header=BB284_63 Depth=1
	s_waitcnt lgkmcnt(1)
	v_add_co_u32 v17, vcc_lo, v17, v28
	v_add_co_ci_u32_e32 v18, vcc_lo, 0, v18, vcc_lo
	s_delay_alu instid0(VALU_DEP_2) | instskip(SKIP_1) | instid1(VALU_DEP_2)
	v_add_co_u32 v17, vcc_lo, v17, 0
	s_waitcnt lgkmcnt(0)
	v_add_co_ci_u32_e32 v18, vcc_lo, v18, v27, vcc_lo
	s_branch .LBB284_62
.LBB284_78:                             ;   in Loop: Header=BB284_63 Depth=1
                                        ; implicit-def: $vgpr17_vgpr18
	s_cbranch_execz .LBB284_63
; %bb.79:
	s_and_saveexec_b32 s11, s1
	s_cbranch_execz .LBB284_81
; %bb.80:
	s_add_i32 s16, s9, 32
	s_mov_b32 s17, 0
	v_add_co_u32 v17, vcc_lo, v15, v13
	s_lshl_b64 s[16:17], s[16:17], 4
	v_dual_mov_b32 v19, 2 :: v_dual_mov_b32 v20, 0
	s_add_u32 s16, s14, s16
	s_addc_u32 s17, s15, s17
	v_add_co_ci_u32_e32 v18, vcc_lo, v16, v14, vcc_lo
	v_dual_mov_b32 v26, s17 :: v_dual_mov_b32 v25, s16
	;;#ASMSTART
	global_store_dwordx4 v[25:26], v[17:20] off	
s_waitcnt vmcnt(0)
	;;#ASMEND
	ds_store_b128 v20, v[13:16] offset:6144
.LBB284_81:
	s_or_b32 exec_lo, exec_lo, s11
	s_delay_alu instid0(SALU_CYCLE_1)
	s_and_b32 exec_lo, exec_lo, s2
	s_cbranch_execz .LBB284_83
; %bb.82:
	v_mov_b32_e32 v13, 0
	ds_store_b64 v13, v[15:16] offset:24
.LBB284_83:
	s_or_b32 exec_lo, exec_lo, s10
	v_mov_b32_e32 v15, 0
	s_waitcnt lgkmcnt(0)
	s_barrier
	buffer_gl0_inv
	v_cndmask_b32_e64 v16, v29, v23, s1
	ds_load_b64 v[13:14], v15 offset:24
	v_cndmask_b32_e64 v17, v30, v24, s1
	s_waitcnt lgkmcnt(0)
	s_barrier
	v_cndmask_b32_e64 v16, v16, 0, s2
	buffer_gl0_inv
	v_cndmask_b32_e64 v17, v17, 0, s2
	v_add_co_u32 v29, vcc_lo, v13, v16
	s_delay_alu instid0(VALU_DEP_2) | instskip(SKIP_3) | instid1(VALU_DEP_2)
	v_add_co_ci_u32_e32 v30, vcc_lo, v14, v17, vcc_lo
	ds_load_b128 v[13:16], v15 offset:6144
	v_add_co_u32 v27, vcc_lo, v29, v41
	v_add_co_ci_u32_e32 v28, vcc_lo, 0, v30, vcc_lo
	v_add_co_u32 v25, vcc_lo, v27, v40
	s_delay_alu instid0(VALU_DEP_2) | instskip(NEXT) | instid1(VALU_DEP_2)
	v_add_co_ci_u32_e32 v26, vcc_lo, 0, v28, vcc_lo
	v_add_co_u32 v23, vcc_lo, v25, v39
	s_delay_alu instid0(VALU_DEP_2) | instskip(NEXT) | instid1(VALU_DEP_2)
	;; [unrolled: 3-line block ×3, first 2 shown]
	v_add_co_ci_u32_e32 v20, vcc_lo, 0, v24, vcc_lo
	v_add_co_u32 v17, vcc_lo, v19, v37
	s_delay_alu instid0(VALU_DEP_2)
	v_add_co_ci_u32_e32 v18, vcc_lo, 0, v20, vcc_lo
.LBB284_84:
	s_waitcnt lgkmcnt(0)
	v_cmp_gt_u64_e32 vcc_lo, 0x81, v[13:14]
	s_mov_b32 s0, -1
	s_cbranch_vccnz .LBB284_112
.LBB284_85:
	s_and_b32 vcc_lo, exec_lo, s0
	s_cbranch_vccnz .LBB284_131
.LBB284_86:
	s_and_b32 s0, s2, s3
	s_delay_alu instid0(SALU_CYCLE_1)
	s_and_saveexec_b32 s1, s0
	s_cbranch_execnz .LBB284_147
.LBB284_87:
	s_nop 0
	s_sendmsg sendmsg(MSG_DEALLOC_VGPRS)
	s_endpgm
.LBB284_88:
                                        ; kill: def $vgpr13_vgpr14 killed $sgpr0_sgpr1 killed $exec
                                        ; implicit-def: $vgpr17_vgpr18
                                        ; implicit-def: $vgpr19_vgpr20
                                        ; implicit-def: $vgpr23_vgpr24
                                        ; implicit-def: $vgpr25_vgpr26
                                        ; implicit-def: $vgpr27_vgpr28
                                        ; implicit-def: $vgpr29_vgpr30
                                        ; implicit-def: $vgpr15_vgpr16
	s_and_b32 vcc_lo, exec_lo, s1
	s_cbranch_vccz .LBB284_84
; %bb.89:
	s_waitcnt lgkmcnt(0)
	v_dual_mov_b32 v14, 0 :: v_dual_mov_b32 v15, v21
	v_mov_b32_dpp v16, v21 row_shr:1 row_mask:0xf bank_mask:0xf
	s_delay_alu instid0(VALU_DEP_2)
	v_mov_b32_dpp v13, v14 row_shr:1 row_mask:0xf bank_mask:0xf
	s_and_saveexec_b32 s1, s0
; %bb.90:
	s_delay_alu instid0(VALU_DEP_2) | instskip(SKIP_1) | instid1(VALU_DEP_2)
	v_add_co_u32 v15, vcc_lo, v21, v16
	v_add_co_ci_u32_e32 v14, vcc_lo, 0, v22, vcc_lo
	v_add_co_u32 v21, vcc_lo, 0, v15
	s_delay_alu instid0(VALU_DEP_2) | instskip(NEXT) | instid1(VALU_DEP_1)
	v_add_co_ci_u32_e32 v22, vcc_lo, v13, v14, vcc_lo
	v_mov_b32_e32 v14, v22
; %bb.91:
	s_or_b32 exec_lo, exec_lo, s1
	v_mov_b32_dpp v13, v15 row_shr:2 row_mask:0xf bank_mask:0xf
	s_delay_alu instid0(VALU_DEP_2)
	v_mov_b32_dpp v16, v14 row_shr:2 row_mask:0xf bank_mask:0xf
	s_mov_b32 s0, exec_lo
	v_cmpx_lt_u32_e32 1, v44
; %bb.92:
	s_delay_alu instid0(VALU_DEP_3) | instskip(SKIP_1) | instid1(VALU_DEP_2)
	v_add_co_u32 v15, vcc_lo, v21, v13
	v_add_co_ci_u32_e32 v14, vcc_lo, 0, v22, vcc_lo
	v_add_co_u32 v13, vcc_lo, 0, v15
	s_delay_alu instid0(VALU_DEP_2) | instskip(NEXT) | instid1(VALU_DEP_1)
	v_add_co_ci_u32_e32 v14, vcc_lo, v16, v14, vcc_lo
	v_dual_mov_b32 v22, v14 :: v_dual_mov_b32 v21, v13
; %bb.93:
	s_or_b32 exec_lo, exec_lo, s0
	v_mov_b32_dpp v13, v15 row_shr:4 row_mask:0xf bank_mask:0xf
	v_mov_b32_dpp v16, v14 row_shr:4 row_mask:0xf bank_mask:0xf
	s_mov_b32 s0, exec_lo
	v_cmpx_lt_u32_e32 3, v44
; %bb.94:
	s_delay_alu instid0(VALU_DEP_3) | instskip(SKIP_1) | instid1(VALU_DEP_2)
	v_add_co_u32 v15, vcc_lo, v21, v13
	v_add_co_ci_u32_e32 v14, vcc_lo, 0, v22, vcc_lo
	v_add_co_u32 v13, vcc_lo, 0, v15
	s_delay_alu instid0(VALU_DEP_2) | instskip(NEXT) | instid1(VALU_DEP_1)
	v_add_co_ci_u32_e32 v14, vcc_lo, v16, v14, vcc_lo
	v_dual_mov_b32 v22, v14 :: v_dual_mov_b32 v21, v13
; %bb.95:
	s_or_b32 exec_lo, exec_lo, s0
	v_mov_b32_dpp v16, v15 row_shr:8 row_mask:0xf bank_mask:0xf
	v_mov_b32_dpp v13, v14 row_shr:8 row_mask:0xf bank_mask:0xf
	s_mov_b32 s0, exec_lo
	v_cmpx_lt_u32_e32 7, v44
; %bb.96:
	s_delay_alu instid0(VALU_DEP_3) | instskip(SKIP_1) | instid1(VALU_DEP_2)
	v_add_co_u32 v15, vcc_lo, v21, v16
	v_add_co_ci_u32_e32 v14, vcc_lo, 0, v22, vcc_lo
	v_add_co_u32 v21, vcc_lo, 0, v15
	s_delay_alu instid0(VALU_DEP_2) | instskip(NEXT) | instid1(VALU_DEP_1)
	v_add_co_ci_u32_e32 v22, vcc_lo, v13, v14, vcc_lo
	v_mov_b32_e32 v14, v22
; %bb.97:
	s_or_b32 exec_lo, exec_lo, s0
	ds_swizzle_b32 v15, v15 offset:swizzle(BROADCAST,32,15)
	ds_swizzle_b32 v13, v14 offset:swizzle(BROADCAST,32,15)
	v_and_b32_e32 v14, 16, v42
	s_mov_b32 s0, exec_lo
	s_delay_alu instid0(VALU_DEP_1)
	v_cmpx_ne_u32_e32 0, v14
	s_cbranch_execz .LBB284_99
; %bb.98:
	s_waitcnt lgkmcnt(1)
	v_add_co_u32 v14, vcc_lo, v21, v15
	v_add_co_ci_u32_e32 v15, vcc_lo, 0, v22, vcc_lo
	s_delay_alu instid0(VALU_DEP_2) | instskip(SKIP_1) | instid1(VALU_DEP_2)
	v_add_co_u32 v21, vcc_lo, v14, 0
	s_waitcnt lgkmcnt(0)
	v_add_co_ci_u32_e32 v22, vcc_lo, v15, v13, vcc_lo
.LBB284_99:
	s_or_b32 exec_lo, exec_lo, s0
	s_waitcnt lgkmcnt(0)
	v_or_b32_e32 v13, 31, v0
	v_lshrrev_b32_e32 v15, 5, v0
	s_mov_b32 s0, exec_lo
	s_delay_alu instid0(VALU_DEP_2)
	v_cmpx_eq_u32_e64 v13, v0
	s_cbranch_execz .LBB284_101
; %bb.100:
	s_delay_alu instid0(VALU_DEP_2)
	v_lshlrev_b32_e32 v13, 3, v15
	ds_store_b64 v13, v[21:22]
.LBB284_101:
	s_or_b32 exec_lo, exec_lo, s0
	s_delay_alu instid0(SALU_CYCLE_1)
	s_mov_b32 s0, exec_lo
	s_waitcnt lgkmcnt(0)
	s_barrier
	buffer_gl0_inv
	v_cmpx_gt_u32_e32 4, v0
	s_cbranch_execz .LBB284_107
; %bb.102:
	v_lshlrev_b32_e32 v13, 1, v0
	s_mov_b32 s1, exec_lo
	s_delay_alu instid0(VALU_DEP_1)
	v_add_nc_u32_e32 v16, v43, v13
	ds_load_b64 v[13:14], v16
	s_waitcnt lgkmcnt(0)
	v_dual_mov_b32 v18, v13 :: v_dual_and_b32 v17, 3, v42
	v_mov_b32_dpp v20, v13 row_shr:1 row_mask:0xf bank_mask:0xf
	v_mov_b32_dpp v19, v14 row_shr:1 row_mask:0xf bank_mask:0xf
	s_delay_alu instid0(VALU_DEP_3)
	v_cmpx_ne_u32_e32 0, v17
; %bb.103:
	s_delay_alu instid0(VALU_DEP_3) | instskip(SKIP_1) | instid1(VALU_DEP_2)
	v_add_co_u32 v18, vcc_lo, v13, v20
	v_add_co_ci_u32_e32 v14, vcc_lo, 0, v14, vcc_lo
	v_add_co_u32 v13, vcc_lo, 0, v18
	s_delay_alu instid0(VALU_DEP_2)
	v_add_co_ci_u32_e32 v14, vcc_lo, v19, v14, vcc_lo
; %bb.104:
	s_or_b32 exec_lo, exec_lo, s1
	v_mov_b32_dpp v19, v18 row_shr:2 row_mask:0xf bank_mask:0xf
	s_delay_alu instid0(VALU_DEP_2)
	v_mov_b32_dpp v18, v14 row_shr:2 row_mask:0xf bank_mask:0xf
	s_mov_b32 s1, exec_lo
	v_cmpx_lt_u32_e32 1, v17
; %bb.105:
	s_delay_alu instid0(VALU_DEP_3) | instskip(SKIP_1) | instid1(VALU_DEP_2)
	v_add_co_u32 v13, vcc_lo, v13, v19
	v_add_co_ci_u32_e32 v14, vcc_lo, 0, v14, vcc_lo
	v_add_co_u32 v13, vcc_lo, v13, 0
	s_delay_alu instid0(VALU_DEP_2)
	v_add_co_ci_u32_e32 v14, vcc_lo, v14, v18, vcc_lo
; %bb.106:
	s_or_b32 exec_lo, exec_lo, s1
	ds_store_b64 v16, v[13:14]
.LBB284_107:
	s_or_b32 exec_lo, exec_lo, s0
	v_mov_b32_e32 v17, 0
	v_mov_b32_e32 v18, 0
	s_mov_b32 s0, exec_lo
	s_waitcnt lgkmcnt(0)
	s_barrier
	buffer_gl0_inv
	v_cmpx_lt_u32_e32 31, v0
	s_cbranch_execz .LBB284_109
; %bb.108:
	v_lshl_add_u32 v13, v15, 3, -8
	ds_load_b64 v[17:18], v13
.LBB284_109:
	s_or_b32 exec_lo, exec_lo, s0
	v_dual_mov_b32 v16, 0 :: v_dual_add_nc_u32 v13, -1, v42
	s_delay_alu instid0(VALU_DEP_1) | instskip(SKIP_4) | instid1(VALU_DEP_3)
	v_cmp_gt_i32_e32 vcc_lo, 0, v13
	v_cndmask_b32_e32 v13, v13, v42, vcc_lo
	s_waitcnt lgkmcnt(0)
	v_add_co_u32 v14, vcc_lo, v17, v21
	v_add_co_ci_u32_e32 v15, vcc_lo, v18, v22, vcc_lo
	v_lshlrev_b32_e32 v13, 2, v13
	ds_bpermute_b32 v19, v13, v14
	ds_bpermute_b32 v20, v13, v15
	ds_load_b64 v[13:14], v16 offset:24
	s_and_saveexec_b32 s0, s2
	s_cbranch_execz .LBB284_111
; %bb.110:
	s_add_u32 s10, s14, 0x200
	s_addc_u32 s11, s15, 0
	s_delay_alu instid0(SALU_CYCLE_1)
	v_dual_mov_b32 v15, 2 :: v_dual_mov_b32 v22, s11
	v_mov_b32_e32 v21, s10
	s_waitcnt lgkmcnt(0)
	;;#ASMSTART
	global_store_dwordx4 v[21:22], v[13:16] off	
s_waitcnt vmcnt(0)
	;;#ASMEND
.LBB284_111:
	s_or_b32 exec_lo, exec_lo, s0
	v_cmp_eq_u32_e32 vcc_lo, 0, v42
	s_waitcnt lgkmcnt(0)
	s_barrier
	buffer_gl0_inv
	v_dual_cndmask_b32 v15, v19, v17 :: v_dual_cndmask_b32 v16, v20, v18
	s_delay_alu instid0(VALU_DEP_1) | instskip(NEXT) | instid1(VALU_DEP_2)
	v_cndmask_b32_e64 v29, v15, 0, s2
	v_cndmask_b32_e64 v30, v16, 0, s2
	v_mov_b32_e32 v15, 0
	v_mov_b32_e32 v16, 0
	s_delay_alu instid0(VALU_DEP_4) | instskip(NEXT) | instid1(VALU_DEP_4)
	v_add_co_u32 v27, vcc_lo, v29, v41
	v_add_co_ci_u32_e32 v28, vcc_lo, 0, v30, vcc_lo
	s_delay_alu instid0(VALU_DEP_2) | instskip(NEXT) | instid1(VALU_DEP_2)
	v_add_co_u32 v25, vcc_lo, v27, v40
	v_add_co_ci_u32_e32 v26, vcc_lo, 0, v28, vcc_lo
	s_delay_alu instid0(VALU_DEP_2) | instskip(NEXT) | instid1(VALU_DEP_2)
	;; [unrolled: 3-line block ×4, first 2 shown]
	v_add_co_u32 v17, vcc_lo, v19, v37
	v_add_co_ci_u32_e32 v18, vcc_lo, 0, v20, vcc_lo
	v_cmp_gt_u64_e32 vcc_lo, 0x81, v[13:14]
	s_mov_b32 s0, -1
	s_cbranch_vccz .LBB284_85
.LBB284_112:
	v_add_co_u32 v21, vcc_lo, v15, v13
	v_add_co_ci_u32_e32 v22, vcc_lo, v16, v14, vcc_lo
	s_delay_alu instid0(VALU_DEP_1) | instskip(SKIP_1) | instid1(SALU_CYCLE_1)
	v_cmp_lt_u64_e32 vcc_lo, v[29:30], v[21:22]
	s_or_b32 s1, s8, vcc_lo
	s_and_saveexec_b32 s0, s1
	s_cbranch_execz .LBB284_115
; %bb.113:
	v_and_b32_e32 v37, 1, v36
	s_delay_alu instid0(VALU_DEP_1)
	v_cmp_eq_u32_e32 vcc_lo, 1, v37
	s_and_b32 exec_lo, exec_lo, vcc_lo
	s_cbranch_execz .LBB284_115
; %bb.114:
	v_lshlrev_b64 v[37:38], 3, v[29:30]
	s_lshl_b64 s[10:11], s[6:7], 3
	s_delay_alu instid0(SALU_CYCLE_1) | instskip(SKIP_1) | instid1(VALU_DEP_1)
	s_add_u32 s1, s12, s10
	s_addc_u32 s9, s13, s11
	v_add_co_u32 v37, vcc_lo, s1, v37
	s_delay_alu instid0(VALU_DEP_2)
	v_add_co_ci_u32_e32 v38, vcc_lo, s9, v38, vcc_lo
	global_store_b64 v[37:38], v[9:10], off
.LBB284_115:
	s_or_b32 exec_lo, exec_lo, s0
	v_cmp_lt_u64_e32 vcc_lo, v[27:28], v[21:22]
	s_or_b32 s1, s8, vcc_lo
	s_delay_alu instid0(SALU_CYCLE_1)
	s_and_saveexec_b32 s0, s1
	s_cbranch_execz .LBB284_118
; %bb.116:
	v_and_b32_e32 v30, 1, v34
	s_delay_alu instid0(VALU_DEP_1)
	v_cmp_eq_u32_e32 vcc_lo, 1, v30
	s_and_b32 exec_lo, exec_lo, vcc_lo
	s_cbranch_execz .LBB284_118
; %bb.117:
	v_lshlrev_b64 v[37:38], 3, v[27:28]
	s_lshl_b64 s[10:11], s[6:7], 3
	s_delay_alu instid0(SALU_CYCLE_1) | instskip(SKIP_1) | instid1(VALU_DEP_1)
	s_add_u32 s1, s12, s10
	s_addc_u32 s9, s13, s11
	v_add_co_u32 v37, vcc_lo, s1, v37
	s_delay_alu instid0(VALU_DEP_2)
	v_add_co_ci_u32_e32 v38, vcc_lo, s9, v38, vcc_lo
	global_store_b64 v[37:38], v[11:12], off
.LBB284_118:
	s_or_b32 exec_lo, exec_lo, s0
	v_cmp_lt_u64_e32 vcc_lo, v[25:26], v[21:22]
	s_or_b32 s1, s8, vcc_lo
	s_delay_alu instid0(SALU_CYCLE_1)
	;; [unrolled: 23-line block ×5, first 2 shown]
	s_and_saveexec_b32 s0, s1
	s_cbranch_execz .LBB284_130
; %bb.128:
	v_and_b32_e32 v20, 1, v32
	s_delay_alu instid0(VALU_DEP_1)
	v_cmp_eq_u32_e32 vcc_lo, 1, v20
	s_and_b32 exec_lo, exec_lo, vcc_lo
	s_cbranch_execz .LBB284_130
; %bb.129:
	v_lshlrev_b64 v[20:21], 3, v[17:18]
	s_lshl_b64 s[8:9], s[6:7], 3
	s_delay_alu instid0(SALU_CYCLE_1) | instskip(SKIP_1) | instid1(VALU_DEP_1)
	s_add_u32 s1, s12, s8
	s_addc_u32 s8, s13, s9
	v_add_co_u32 v20, vcc_lo, s1, v20
	s_delay_alu instid0(VALU_DEP_2)
	v_add_co_ci_u32_e32 v21, vcc_lo, s8, v21, vcc_lo
	global_store_b64 v[20:21], v[3:4], off
.LBB284_130:
	s_or_b32 exec_lo, exec_lo, s0
	s_branch .LBB284_86
.LBB284_131:
	v_and_b32_e32 v18, 1, v36
	s_mov_b32 s0, exec_lo
	s_delay_alu instid0(VALU_DEP_1)
	v_cmpx_eq_u32_e32 1, v18
	s_cbranch_execz .LBB284_133
; %bb.132:
	v_sub_nc_u32_e32 v18, v29, v15
	s_delay_alu instid0(VALU_DEP_1)
	v_lshlrev_b32_e32 v18, 3, v18
	ds_store_b64 v18, v[9:10]
.LBB284_133:
	s_or_b32 exec_lo, exec_lo, s0
	v_and_b32_e32 v9, 1, v34
	s_mov_b32 s0, exec_lo
	s_delay_alu instid0(VALU_DEP_1)
	v_cmpx_eq_u32_e32 1, v9
	s_cbranch_execz .LBB284_135
; %bb.134:
	v_sub_nc_u32_e32 v9, v27, v15
	s_delay_alu instid0(VALU_DEP_1)
	v_lshlrev_b32_e32 v9, 3, v9
	ds_store_b64 v9, v[11:12]
.LBB284_135:
	s_or_b32 exec_lo, exec_lo, s0
	;; [unrolled: 12-line block ×6, first 2 shown]
	v_mov_b32_e32 v1, 0
	s_mov_b32 s1, exec_lo
	s_waitcnt lgkmcnt(0)
	s_waitcnt_vscnt null, 0x0
	s_barrier
	buffer_gl0_inv
	v_cmpx_gt_u64_e64 v[13:14], v[0:1]
	s_cbranch_execz .LBB284_146
; %bb.144:
	v_lshlrev_b64 v[4:5], 3, v[15:16]
	s_lshl_b64 s[8:9], s[6:7], 3
	v_dual_mov_b32 v3, v1 :: v_dual_mov_b32 v2, v0
	v_or_b32_e32 v0, 0x80, v0
	s_delay_alu instid0(VALU_DEP_3) | instskip(NEXT) | instid1(VALU_DEP_4)
	v_add_co_u32 v4, vcc_lo, s12, v4
	v_add_co_ci_u32_e32 v5, vcc_lo, s13, v5, vcc_lo
	s_delay_alu instid0(VALU_DEP_2) | instskip(NEXT) | instid1(VALU_DEP_2)
	v_add_co_u32 v4, vcc_lo, v4, s8
	v_add_co_ci_u32_e32 v5, vcc_lo, s9, v5, vcc_lo
	s_mov_b32 s8, 0
	.p2align	6
.LBB284_145:                            ; =>This Inner Loop Header: Depth=1
	v_lshlrev_b32_e32 v6, 3, v2
	v_lshlrev_b64 v[8:9], 3, v[2:3]
	v_mov_b32_e32 v3, v1
	v_cmp_le_u64_e32 vcc_lo, v[13:14], v[0:1]
	v_mov_b32_e32 v2, v0
	ds_load_b64 v[6:7], v6
	v_add_nc_u32_e32 v0, 0x80, v0
	v_add_co_u32 v8, s0, v4, v8
	s_delay_alu instid0(VALU_DEP_1)
	v_add_co_ci_u32_e64 v9, s0, v5, v9, s0
	s_or_b32 s8, vcc_lo, s8
	s_waitcnt lgkmcnt(0)
	global_store_b64 v[8:9], v[6:7], off
	s_and_not1_b32 exec_lo, exec_lo, s8
	s_cbranch_execnz .LBB284_145
.LBB284_146:
	s_or_b32 exec_lo, exec_lo, s1
	s_and_b32 s0, s2, s3
	s_delay_alu instid0(SALU_CYCLE_1)
	s_and_saveexec_b32 s1, s0
	s_cbranch_execz .LBB284_87
.LBB284_147:
	v_add_co_u32 v0, vcc_lo, v15, v13
	v_add_co_ci_u32_e32 v1, vcc_lo, v16, v14, vcc_lo
	v_mov_b32_e32 v2, 0
	s_delay_alu instid0(VALU_DEP_3) | instskip(NEXT) | instid1(VALU_DEP_3)
	v_add_co_u32 v0, vcc_lo, v0, s6
	v_add_co_ci_u32_e32 v1, vcc_lo, s7, v1, vcc_lo
	global_store_b64 v2, v[0:1], s[4:5]
	s_nop 0
	s_sendmsg sendmsg(MSG_DEALLOC_VGPRS)
	s_endpgm
	.section	.rodata,"a",@progbits
	.p2align	6, 0x0
	.amdhsa_kernel _ZN7rocprim17ROCPRIM_400000_NS6detail17trampoline_kernelINS0_14default_configENS1_25partition_config_selectorILNS1_17partition_subalgoE5ElNS0_10empty_typeEbEEZZNS1_14partition_implILS5_5ELb0ES3_mN6hipcub16HIPCUB_304000_NS21CountingInputIteratorIllEEPS6_NSA_22TransformInputIteratorIbN2at6native12_GLOBAL__N_19NonZeroOpIlEEPKllEENS0_5tupleIJPlS6_EEENSN_IJSD_SD_EEES6_PiJS6_EEE10hipError_tPvRmT3_T4_T5_T6_T7_T9_mT8_P12ihipStream_tbDpT10_ENKUlT_T0_E_clISt17integral_constantIbLb0EES1A_IbLb1EEEEDaS16_S17_EUlS16_E_NS1_11comp_targetILNS1_3genE9ELNS1_11target_archE1100ELNS1_3gpuE3ELNS1_3repE0EEENS1_30default_config_static_selectorELNS0_4arch9wavefront6targetE0EEEvT1_
		.amdhsa_group_segment_fixed_size 6160
		.amdhsa_private_segment_fixed_size 0
		.amdhsa_kernarg_size 136
		.amdhsa_user_sgpr_count 15
		.amdhsa_user_sgpr_dispatch_ptr 0
		.amdhsa_user_sgpr_queue_ptr 0
		.amdhsa_user_sgpr_kernarg_segment_ptr 1
		.amdhsa_user_sgpr_dispatch_id 0
		.amdhsa_user_sgpr_private_segment_size 0
		.amdhsa_wavefront_size32 1
		.amdhsa_uses_dynamic_stack 0
		.amdhsa_enable_private_segment 0
		.amdhsa_system_sgpr_workgroup_id_x 1
		.amdhsa_system_sgpr_workgroup_id_y 0
		.amdhsa_system_sgpr_workgroup_id_z 0
		.amdhsa_system_sgpr_workgroup_info 0
		.amdhsa_system_vgpr_workitem_id 0
		.amdhsa_next_free_vgpr 57
		.amdhsa_next_free_sgpr 24
		.amdhsa_reserve_vcc 1
		.amdhsa_float_round_mode_32 0
		.amdhsa_float_round_mode_16_64 0
		.amdhsa_float_denorm_mode_32 3
		.amdhsa_float_denorm_mode_16_64 3
		.amdhsa_dx10_clamp 1
		.amdhsa_ieee_mode 1
		.amdhsa_fp16_overflow 0
		.amdhsa_workgroup_processor_mode 1
		.amdhsa_memory_ordered 1
		.amdhsa_forward_progress 0
		.amdhsa_shared_vgpr_count 0
		.amdhsa_exception_fp_ieee_invalid_op 0
		.amdhsa_exception_fp_denorm_src 0
		.amdhsa_exception_fp_ieee_div_zero 0
		.amdhsa_exception_fp_ieee_overflow 0
		.amdhsa_exception_fp_ieee_underflow 0
		.amdhsa_exception_fp_ieee_inexact 0
		.amdhsa_exception_int_div_zero 0
	.end_amdhsa_kernel
	.section	.text._ZN7rocprim17ROCPRIM_400000_NS6detail17trampoline_kernelINS0_14default_configENS1_25partition_config_selectorILNS1_17partition_subalgoE5ElNS0_10empty_typeEbEEZZNS1_14partition_implILS5_5ELb0ES3_mN6hipcub16HIPCUB_304000_NS21CountingInputIteratorIllEEPS6_NSA_22TransformInputIteratorIbN2at6native12_GLOBAL__N_19NonZeroOpIlEEPKllEENS0_5tupleIJPlS6_EEENSN_IJSD_SD_EEES6_PiJS6_EEE10hipError_tPvRmT3_T4_T5_T6_T7_T9_mT8_P12ihipStream_tbDpT10_ENKUlT_T0_E_clISt17integral_constantIbLb0EES1A_IbLb1EEEEDaS16_S17_EUlS16_E_NS1_11comp_targetILNS1_3genE9ELNS1_11target_archE1100ELNS1_3gpuE3ELNS1_3repE0EEENS1_30default_config_static_selectorELNS0_4arch9wavefront6targetE0EEEvT1_,"axG",@progbits,_ZN7rocprim17ROCPRIM_400000_NS6detail17trampoline_kernelINS0_14default_configENS1_25partition_config_selectorILNS1_17partition_subalgoE5ElNS0_10empty_typeEbEEZZNS1_14partition_implILS5_5ELb0ES3_mN6hipcub16HIPCUB_304000_NS21CountingInputIteratorIllEEPS6_NSA_22TransformInputIteratorIbN2at6native12_GLOBAL__N_19NonZeroOpIlEEPKllEENS0_5tupleIJPlS6_EEENSN_IJSD_SD_EEES6_PiJS6_EEE10hipError_tPvRmT3_T4_T5_T6_T7_T9_mT8_P12ihipStream_tbDpT10_ENKUlT_T0_E_clISt17integral_constantIbLb0EES1A_IbLb1EEEEDaS16_S17_EUlS16_E_NS1_11comp_targetILNS1_3genE9ELNS1_11target_archE1100ELNS1_3gpuE3ELNS1_3repE0EEENS1_30default_config_static_selectorELNS0_4arch9wavefront6targetE0EEEvT1_,comdat
.Lfunc_end284:
	.size	_ZN7rocprim17ROCPRIM_400000_NS6detail17trampoline_kernelINS0_14default_configENS1_25partition_config_selectorILNS1_17partition_subalgoE5ElNS0_10empty_typeEbEEZZNS1_14partition_implILS5_5ELb0ES3_mN6hipcub16HIPCUB_304000_NS21CountingInputIteratorIllEEPS6_NSA_22TransformInputIteratorIbN2at6native12_GLOBAL__N_19NonZeroOpIlEEPKllEENS0_5tupleIJPlS6_EEENSN_IJSD_SD_EEES6_PiJS6_EEE10hipError_tPvRmT3_T4_T5_T6_T7_T9_mT8_P12ihipStream_tbDpT10_ENKUlT_T0_E_clISt17integral_constantIbLb0EES1A_IbLb1EEEEDaS16_S17_EUlS16_E_NS1_11comp_targetILNS1_3genE9ELNS1_11target_archE1100ELNS1_3gpuE3ELNS1_3repE0EEENS1_30default_config_static_selectorELNS0_4arch9wavefront6targetE0EEEvT1_, .Lfunc_end284-_ZN7rocprim17ROCPRIM_400000_NS6detail17trampoline_kernelINS0_14default_configENS1_25partition_config_selectorILNS1_17partition_subalgoE5ElNS0_10empty_typeEbEEZZNS1_14partition_implILS5_5ELb0ES3_mN6hipcub16HIPCUB_304000_NS21CountingInputIteratorIllEEPS6_NSA_22TransformInputIteratorIbN2at6native12_GLOBAL__N_19NonZeroOpIlEEPKllEENS0_5tupleIJPlS6_EEENSN_IJSD_SD_EEES6_PiJS6_EEE10hipError_tPvRmT3_T4_T5_T6_T7_T9_mT8_P12ihipStream_tbDpT10_ENKUlT_T0_E_clISt17integral_constantIbLb0EES1A_IbLb1EEEEDaS16_S17_EUlS16_E_NS1_11comp_targetILNS1_3genE9ELNS1_11target_archE1100ELNS1_3gpuE3ELNS1_3repE0EEENS1_30default_config_static_selectorELNS0_4arch9wavefront6targetE0EEEvT1_
                                        ; -- End function
	.section	.AMDGPU.csdata,"",@progbits
; Kernel info:
; codeLenInByte = 6556
; NumSgprs: 26
; NumVgprs: 57
; ScratchSize: 0
; MemoryBound: 0
; FloatMode: 240
; IeeeMode: 1
; LDSByteSize: 6160 bytes/workgroup (compile time only)
; SGPRBlocks: 3
; VGPRBlocks: 7
; NumSGPRsForWavesPerEU: 26
; NumVGPRsForWavesPerEU: 57
; Occupancy: 16
; WaveLimiterHint : 1
; COMPUTE_PGM_RSRC2:SCRATCH_EN: 0
; COMPUTE_PGM_RSRC2:USER_SGPR: 15
; COMPUTE_PGM_RSRC2:TRAP_HANDLER: 0
; COMPUTE_PGM_RSRC2:TGID_X_EN: 1
; COMPUTE_PGM_RSRC2:TGID_Y_EN: 0
; COMPUTE_PGM_RSRC2:TGID_Z_EN: 0
; COMPUTE_PGM_RSRC2:TIDIG_COMP_CNT: 0
	.section	.text._ZN7rocprim17ROCPRIM_400000_NS6detail17trampoline_kernelINS0_14default_configENS1_25partition_config_selectorILNS1_17partition_subalgoE5ElNS0_10empty_typeEbEEZZNS1_14partition_implILS5_5ELb0ES3_mN6hipcub16HIPCUB_304000_NS21CountingInputIteratorIllEEPS6_NSA_22TransformInputIteratorIbN2at6native12_GLOBAL__N_19NonZeroOpIlEEPKllEENS0_5tupleIJPlS6_EEENSN_IJSD_SD_EEES6_PiJS6_EEE10hipError_tPvRmT3_T4_T5_T6_T7_T9_mT8_P12ihipStream_tbDpT10_ENKUlT_T0_E_clISt17integral_constantIbLb0EES1A_IbLb1EEEEDaS16_S17_EUlS16_E_NS1_11comp_targetILNS1_3genE8ELNS1_11target_archE1030ELNS1_3gpuE2ELNS1_3repE0EEENS1_30default_config_static_selectorELNS0_4arch9wavefront6targetE0EEEvT1_,"axG",@progbits,_ZN7rocprim17ROCPRIM_400000_NS6detail17trampoline_kernelINS0_14default_configENS1_25partition_config_selectorILNS1_17partition_subalgoE5ElNS0_10empty_typeEbEEZZNS1_14partition_implILS5_5ELb0ES3_mN6hipcub16HIPCUB_304000_NS21CountingInputIteratorIllEEPS6_NSA_22TransformInputIteratorIbN2at6native12_GLOBAL__N_19NonZeroOpIlEEPKllEENS0_5tupleIJPlS6_EEENSN_IJSD_SD_EEES6_PiJS6_EEE10hipError_tPvRmT3_T4_T5_T6_T7_T9_mT8_P12ihipStream_tbDpT10_ENKUlT_T0_E_clISt17integral_constantIbLb0EES1A_IbLb1EEEEDaS16_S17_EUlS16_E_NS1_11comp_targetILNS1_3genE8ELNS1_11target_archE1030ELNS1_3gpuE2ELNS1_3repE0EEENS1_30default_config_static_selectorELNS0_4arch9wavefront6targetE0EEEvT1_,comdat
	.globl	_ZN7rocprim17ROCPRIM_400000_NS6detail17trampoline_kernelINS0_14default_configENS1_25partition_config_selectorILNS1_17partition_subalgoE5ElNS0_10empty_typeEbEEZZNS1_14partition_implILS5_5ELb0ES3_mN6hipcub16HIPCUB_304000_NS21CountingInputIteratorIllEEPS6_NSA_22TransformInputIteratorIbN2at6native12_GLOBAL__N_19NonZeroOpIlEEPKllEENS0_5tupleIJPlS6_EEENSN_IJSD_SD_EEES6_PiJS6_EEE10hipError_tPvRmT3_T4_T5_T6_T7_T9_mT8_P12ihipStream_tbDpT10_ENKUlT_T0_E_clISt17integral_constantIbLb0EES1A_IbLb1EEEEDaS16_S17_EUlS16_E_NS1_11comp_targetILNS1_3genE8ELNS1_11target_archE1030ELNS1_3gpuE2ELNS1_3repE0EEENS1_30default_config_static_selectorELNS0_4arch9wavefront6targetE0EEEvT1_ ; -- Begin function _ZN7rocprim17ROCPRIM_400000_NS6detail17trampoline_kernelINS0_14default_configENS1_25partition_config_selectorILNS1_17partition_subalgoE5ElNS0_10empty_typeEbEEZZNS1_14partition_implILS5_5ELb0ES3_mN6hipcub16HIPCUB_304000_NS21CountingInputIteratorIllEEPS6_NSA_22TransformInputIteratorIbN2at6native12_GLOBAL__N_19NonZeroOpIlEEPKllEENS0_5tupleIJPlS6_EEENSN_IJSD_SD_EEES6_PiJS6_EEE10hipError_tPvRmT3_T4_T5_T6_T7_T9_mT8_P12ihipStream_tbDpT10_ENKUlT_T0_E_clISt17integral_constantIbLb0EES1A_IbLb1EEEEDaS16_S17_EUlS16_E_NS1_11comp_targetILNS1_3genE8ELNS1_11target_archE1030ELNS1_3gpuE2ELNS1_3repE0EEENS1_30default_config_static_selectorELNS0_4arch9wavefront6targetE0EEEvT1_
	.p2align	8
	.type	_ZN7rocprim17ROCPRIM_400000_NS6detail17trampoline_kernelINS0_14default_configENS1_25partition_config_selectorILNS1_17partition_subalgoE5ElNS0_10empty_typeEbEEZZNS1_14partition_implILS5_5ELb0ES3_mN6hipcub16HIPCUB_304000_NS21CountingInputIteratorIllEEPS6_NSA_22TransformInputIteratorIbN2at6native12_GLOBAL__N_19NonZeroOpIlEEPKllEENS0_5tupleIJPlS6_EEENSN_IJSD_SD_EEES6_PiJS6_EEE10hipError_tPvRmT3_T4_T5_T6_T7_T9_mT8_P12ihipStream_tbDpT10_ENKUlT_T0_E_clISt17integral_constantIbLb0EES1A_IbLb1EEEEDaS16_S17_EUlS16_E_NS1_11comp_targetILNS1_3genE8ELNS1_11target_archE1030ELNS1_3gpuE2ELNS1_3repE0EEENS1_30default_config_static_selectorELNS0_4arch9wavefront6targetE0EEEvT1_,@function
_ZN7rocprim17ROCPRIM_400000_NS6detail17trampoline_kernelINS0_14default_configENS1_25partition_config_selectorILNS1_17partition_subalgoE5ElNS0_10empty_typeEbEEZZNS1_14partition_implILS5_5ELb0ES3_mN6hipcub16HIPCUB_304000_NS21CountingInputIteratorIllEEPS6_NSA_22TransformInputIteratorIbN2at6native12_GLOBAL__N_19NonZeroOpIlEEPKllEENS0_5tupleIJPlS6_EEENSN_IJSD_SD_EEES6_PiJS6_EEE10hipError_tPvRmT3_T4_T5_T6_T7_T9_mT8_P12ihipStream_tbDpT10_ENKUlT_T0_E_clISt17integral_constantIbLb0EES1A_IbLb1EEEEDaS16_S17_EUlS16_E_NS1_11comp_targetILNS1_3genE8ELNS1_11target_archE1030ELNS1_3gpuE2ELNS1_3repE0EEENS1_30default_config_static_selectorELNS0_4arch9wavefront6targetE0EEEvT1_: ; @_ZN7rocprim17ROCPRIM_400000_NS6detail17trampoline_kernelINS0_14default_configENS1_25partition_config_selectorILNS1_17partition_subalgoE5ElNS0_10empty_typeEbEEZZNS1_14partition_implILS5_5ELb0ES3_mN6hipcub16HIPCUB_304000_NS21CountingInputIteratorIllEEPS6_NSA_22TransformInputIteratorIbN2at6native12_GLOBAL__N_19NonZeroOpIlEEPKllEENS0_5tupleIJPlS6_EEENSN_IJSD_SD_EEES6_PiJS6_EEE10hipError_tPvRmT3_T4_T5_T6_T7_T9_mT8_P12ihipStream_tbDpT10_ENKUlT_T0_E_clISt17integral_constantIbLb0EES1A_IbLb1EEEEDaS16_S17_EUlS16_E_NS1_11comp_targetILNS1_3genE8ELNS1_11target_archE1030ELNS1_3gpuE2ELNS1_3repE0EEENS1_30default_config_static_selectorELNS0_4arch9wavefront6targetE0EEEvT1_
; %bb.0:
	.section	.rodata,"a",@progbits
	.p2align	6, 0x0
	.amdhsa_kernel _ZN7rocprim17ROCPRIM_400000_NS6detail17trampoline_kernelINS0_14default_configENS1_25partition_config_selectorILNS1_17partition_subalgoE5ElNS0_10empty_typeEbEEZZNS1_14partition_implILS5_5ELb0ES3_mN6hipcub16HIPCUB_304000_NS21CountingInputIteratorIllEEPS6_NSA_22TransformInputIteratorIbN2at6native12_GLOBAL__N_19NonZeroOpIlEEPKllEENS0_5tupleIJPlS6_EEENSN_IJSD_SD_EEES6_PiJS6_EEE10hipError_tPvRmT3_T4_T5_T6_T7_T9_mT8_P12ihipStream_tbDpT10_ENKUlT_T0_E_clISt17integral_constantIbLb0EES1A_IbLb1EEEEDaS16_S17_EUlS16_E_NS1_11comp_targetILNS1_3genE8ELNS1_11target_archE1030ELNS1_3gpuE2ELNS1_3repE0EEENS1_30default_config_static_selectorELNS0_4arch9wavefront6targetE0EEEvT1_
		.amdhsa_group_segment_fixed_size 0
		.amdhsa_private_segment_fixed_size 0
		.amdhsa_kernarg_size 136
		.amdhsa_user_sgpr_count 15
		.amdhsa_user_sgpr_dispatch_ptr 0
		.amdhsa_user_sgpr_queue_ptr 0
		.amdhsa_user_sgpr_kernarg_segment_ptr 1
		.amdhsa_user_sgpr_dispatch_id 0
		.amdhsa_user_sgpr_private_segment_size 0
		.amdhsa_wavefront_size32 1
		.amdhsa_uses_dynamic_stack 0
		.amdhsa_enable_private_segment 0
		.amdhsa_system_sgpr_workgroup_id_x 1
		.amdhsa_system_sgpr_workgroup_id_y 0
		.amdhsa_system_sgpr_workgroup_id_z 0
		.amdhsa_system_sgpr_workgroup_info 0
		.amdhsa_system_vgpr_workitem_id 0
		.amdhsa_next_free_vgpr 1
		.amdhsa_next_free_sgpr 1
		.amdhsa_reserve_vcc 0
		.amdhsa_float_round_mode_32 0
		.amdhsa_float_round_mode_16_64 0
		.amdhsa_float_denorm_mode_32 3
		.amdhsa_float_denorm_mode_16_64 3
		.amdhsa_dx10_clamp 1
		.amdhsa_ieee_mode 1
		.amdhsa_fp16_overflow 0
		.amdhsa_workgroup_processor_mode 1
		.amdhsa_memory_ordered 1
		.amdhsa_forward_progress 0
		.amdhsa_shared_vgpr_count 0
		.amdhsa_exception_fp_ieee_invalid_op 0
		.amdhsa_exception_fp_denorm_src 0
		.amdhsa_exception_fp_ieee_div_zero 0
		.amdhsa_exception_fp_ieee_overflow 0
		.amdhsa_exception_fp_ieee_underflow 0
		.amdhsa_exception_fp_ieee_inexact 0
		.amdhsa_exception_int_div_zero 0
	.end_amdhsa_kernel
	.section	.text._ZN7rocprim17ROCPRIM_400000_NS6detail17trampoline_kernelINS0_14default_configENS1_25partition_config_selectorILNS1_17partition_subalgoE5ElNS0_10empty_typeEbEEZZNS1_14partition_implILS5_5ELb0ES3_mN6hipcub16HIPCUB_304000_NS21CountingInputIteratorIllEEPS6_NSA_22TransformInputIteratorIbN2at6native12_GLOBAL__N_19NonZeroOpIlEEPKllEENS0_5tupleIJPlS6_EEENSN_IJSD_SD_EEES6_PiJS6_EEE10hipError_tPvRmT3_T4_T5_T6_T7_T9_mT8_P12ihipStream_tbDpT10_ENKUlT_T0_E_clISt17integral_constantIbLb0EES1A_IbLb1EEEEDaS16_S17_EUlS16_E_NS1_11comp_targetILNS1_3genE8ELNS1_11target_archE1030ELNS1_3gpuE2ELNS1_3repE0EEENS1_30default_config_static_selectorELNS0_4arch9wavefront6targetE0EEEvT1_,"axG",@progbits,_ZN7rocprim17ROCPRIM_400000_NS6detail17trampoline_kernelINS0_14default_configENS1_25partition_config_selectorILNS1_17partition_subalgoE5ElNS0_10empty_typeEbEEZZNS1_14partition_implILS5_5ELb0ES3_mN6hipcub16HIPCUB_304000_NS21CountingInputIteratorIllEEPS6_NSA_22TransformInputIteratorIbN2at6native12_GLOBAL__N_19NonZeroOpIlEEPKllEENS0_5tupleIJPlS6_EEENSN_IJSD_SD_EEES6_PiJS6_EEE10hipError_tPvRmT3_T4_T5_T6_T7_T9_mT8_P12ihipStream_tbDpT10_ENKUlT_T0_E_clISt17integral_constantIbLb0EES1A_IbLb1EEEEDaS16_S17_EUlS16_E_NS1_11comp_targetILNS1_3genE8ELNS1_11target_archE1030ELNS1_3gpuE2ELNS1_3repE0EEENS1_30default_config_static_selectorELNS0_4arch9wavefront6targetE0EEEvT1_,comdat
.Lfunc_end285:
	.size	_ZN7rocprim17ROCPRIM_400000_NS6detail17trampoline_kernelINS0_14default_configENS1_25partition_config_selectorILNS1_17partition_subalgoE5ElNS0_10empty_typeEbEEZZNS1_14partition_implILS5_5ELb0ES3_mN6hipcub16HIPCUB_304000_NS21CountingInputIteratorIllEEPS6_NSA_22TransformInputIteratorIbN2at6native12_GLOBAL__N_19NonZeroOpIlEEPKllEENS0_5tupleIJPlS6_EEENSN_IJSD_SD_EEES6_PiJS6_EEE10hipError_tPvRmT3_T4_T5_T6_T7_T9_mT8_P12ihipStream_tbDpT10_ENKUlT_T0_E_clISt17integral_constantIbLb0EES1A_IbLb1EEEEDaS16_S17_EUlS16_E_NS1_11comp_targetILNS1_3genE8ELNS1_11target_archE1030ELNS1_3gpuE2ELNS1_3repE0EEENS1_30default_config_static_selectorELNS0_4arch9wavefront6targetE0EEEvT1_, .Lfunc_end285-_ZN7rocprim17ROCPRIM_400000_NS6detail17trampoline_kernelINS0_14default_configENS1_25partition_config_selectorILNS1_17partition_subalgoE5ElNS0_10empty_typeEbEEZZNS1_14partition_implILS5_5ELb0ES3_mN6hipcub16HIPCUB_304000_NS21CountingInputIteratorIllEEPS6_NSA_22TransformInputIteratorIbN2at6native12_GLOBAL__N_19NonZeroOpIlEEPKllEENS0_5tupleIJPlS6_EEENSN_IJSD_SD_EEES6_PiJS6_EEE10hipError_tPvRmT3_T4_T5_T6_T7_T9_mT8_P12ihipStream_tbDpT10_ENKUlT_T0_E_clISt17integral_constantIbLb0EES1A_IbLb1EEEEDaS16_S17_EUlS16_E_NS1_11comp_targetILNS1_3genE8ELNS1_11target_archE1030ELNS1_3gpuE2ELNS1_3repE0EEENS1_30default_config_static_selectorELNS0_4arch9wavefront6targetE0EEEvT1_
                                        ; -- End function
	.section	.AMDGPU.csdata,"",@progbits
; Kernel info:
; codeLenInByte = 0
; NumSgprs: 0
; NumVgprs: 0
; ScratchSize: 0
; MemoryBound: 0
; FloatMode: 240
; IeeeMode: 1
; LDSByteSize: 0 bytes/workgroup (compile time only)
; SGPRBlocks: 0
; VGPRBlocks: 0
; NumSGPRsForWavesPerEU: 1
; NumVGPRsForWavesPerEU: 1
; Occupancy: 16
; WaveLimiterHint : 0
; COMPUTE_PGM_RSRC2:SCRATCH_EN: 0
; COMPUTE_PGM_RSRC2:USER_SGPR: 15
; COMPUTE_PGM_RSRC2:TRAP_HANDLER: 0
; COMPUTE_PGM_RSRC2:TGID_X_EN: 1
; COMPUTE_PGM_RSRC2:TGID_Y_EN: 0
; COMPUTE_PGM_RSRC2:TGID_Z_EN: 0
; COMPUTE_PGM_RSRC2:TIDIG_COMP_CNT: 0
	.section	.text._ZN7rocprim17ROCPRIM_400000_NS6detail17trampoline_kernelINS0_14default_configENS1_22reduce_config_selectorIiEEZNS1_11reduce_implILb1ES3_PiS7_iN6hipcub16HIPCUB_304000_NS6detail34convert_binary_result_type_wrapperINS9_3SumENS9_22TransformInputIteratorIbN2at6native12_GLOBAL__N_19NonZeroOpIsEEPKslEEiEEEE10hipError_tPvRmT1_T2_T3_mT4_P12ihipStream_tbEUlT_E0_NS1_11comp_targetILNS1_3genE0ELNS1_11target_archE4294967295ELNS1_3gpuE0ELNS1_3repE0EEENS1_30default_config_static_selectorELNS0_4arch9wavefront6targetE0EEEvSQ_,"axG",@progbits,_ZN7rocprim17ROCPRIM_400000_NS6detail17trampoline_kernelINS0_14default_configENS1_22reduce_config_selectorIiEEZNS1_11reduce_implILb1ES3_PiS7_iN6hipcub16HIPCUB_304000_NS6detail34convert_binary_result_type_wrapperINS9_3SumENS9_22TransformInputIteratorIbN2at6native12_GLOBAL__N_19NonZeroOpIsEEPKslEEiEEEE10hipError_tPvRmT1_T2_T3_mT4_P12ihipStream_tbEUlT_E0_NS1_11comp_targetILNS1_3genE0ELNS1_11target_archE4294967295ELNS1_3gpuE0ELNS1_3repE0EEENS1_30default_config_static_selectorELNS0_4arch9wavefront6targetE0EEEvSQ_,comdat
	.globl	_ZN7rocprim17ROCPRIM_400000_NS6detail17trampoline_kernelINS0_14default_configENS1_22reduce_config_selectorIiEEZNS1_11reduce_implILb1ES3_PiS7_iN6hipcub16HIPCUB_304000_NS6detail34convert_binary_result_type_wrapperINS9_3SumENS9_22TransformInputIteratorIbN2at6native12_GLOBAL__N_19NonZeroOpIsEEPKslEEiEEEE10hipError_tPvRmT1_T2_T3_mT4_P12ihipStream_tbEUlT_E0_NS1_11comp_targetILNS1_3genE0ELNS1_11target_archE4294967295ELNS1_3gpuE0ELNS1_3repE0EEENS1_30default_config_static_selectorELNS0_4arch9wavefront6targetE0EEEvSQ_ ; -- Begin function _ZN7rocprim17ROCPRIM_400000_NS6detail17trampoline_kernelINS0_14default_configENS1_22reduce_config_selectorIiEEZNS1_11reduce_implILb1ES3_PiS7_iN6hipcub16HIPCUB_304000_NS6detail34convert_binary_result_type_wrapperINS9_3SumENS9_22TransformInputIteratorIbN2at6native12_GLOBAL__N_19NonZeroOpIsEEPKslEEiEEEE10hipError_tPvRmT1_T2_T3_mT4_P12ihipStream_tbEUlT_E0_NS1_11comp_targetILNS1_3genE0ELNS1_11target_archE4294967295ELNS1_3gpuE0ELNS1_3repE0EEENS1_30default_config_static_selectorELNS0_4arch9wavefront6targetE0EEEvSQ_
	.p2align	8
	.type	_ZN7rocprim17ROCPRIM_400000_NS6detail17trampoline_kernelINS0_14default_configENS1_22reduce_config_selectorIiEEZNS1_11reduce_implILb1ES3_PiS7_iN6hipcub16HIPCUB_304000_NS6detail34convert_binary_result_type_wrapperINS9_3SumENS9_22TransformInputIteratorIbN2at6native12_GLOBAL__N_19NonZeroOpIsEEPKslEEiEEEE10hipError_tPvRmT1_T2_T3_mT4_P12ihipStream_tbEUlT_E0_NS1_11comp_targetILNS1_3genE0ELNS1_11target_archE4294967295ELNS1_3gpuE0ELNS1_3repE0EEENS1_30default_config_static_selectorELNS0_4arch9wavefront6targetE0EEEvSQ_,@function
_ZN7rocprim17ROCPRIM_400000_NS6detail17trampoline_kernelINS0_14default_configENS1_22reduce_config_selectorIiEEZNS1_11reduce_implILb1ES3_PiS7_iN6hipcub16HIPCUB_304000_NS6detail34convert_binary_result_type_wrapperINS9_3SumENS9_22TransformInputIteratorIbN2at6native12_GLOBAL__N_19NonZeroOpIsEEPKslEEiEEEE10hipError_tPvRmT1_T2_T3_mT4_P12ihipStream_tbEUlT_E0_NS1_11comp_targetILNS1_3genE0ELNS1_11target_archE4294967295ELNS1_3gpuE0ELNS1_3repE0EEENS1_30default_config_static_selectorELNS0_4arch9wavefront6targetE0EEEvSQ_: ; @_ZN7rocprim17ROCPRIM_400000_NS6detail17trampoline_kernelINS0_14default_configENS1_22reduce_config_selectorIiEEZNS1_11reduce_implILb1ES3_PiS7_iN6hipcub16HIPCUB_304000_NS6detail34convert_binary_result_type_wrapperINS9_3SumENS9_22TransformInputIteratorIbN2at6native12_GLOBAL__N_19NonZeroOpIsEEPKslEEiEEEE10hipError_tPvRmT1_T2_T3_mT4_P12ihipStream_tbEUlT_E0_NS1_11comp_targetILNS1_3genE0ELNS1_11target_archE4294967295ELNS1_3gpuE0ELNS1_3repE0EEENS1_30default_config_static_selectorELNS0_4arch9wavefront6targetE0EEEvSQ_
; %bb.0:
	.section	.rodata,"a",@progbits
	.p2align	6, 0x0
	.amdhsa_kernel _ZN7rocprim17ROCPRIM_400000_NS6detail17trampoline_kernelINS0_14default_configENS1_22reduce_config_selectorIiEEZNS1_11reduce_implILb1ES3_PiS7_iN6hipcub16HIPCUB_304000_NS6detail34convert_binary_result_type_wrapperINS9_3SumENS9_22TransformInputIteratorIbN2at6native12_GLOBAL__N_19NonZeroOpIsEEPKslEEiEEEE10hipError_tPvRmT1_T2_T3_mT4_P12ihipStream_tbEUlT_E0_NS1_11comp_targetILNS1_3genE0ELNS1_11target_archE4294967295ELNS1_3gpuE0ELNS1_3repE0EEENS1_30default_config_static_selectorELNS0_4arch9wavefront6targetE0EEEvSQ_
		.amdhsa_group_segment_fixed_size 0
		.amdhsa_private_segment_fixed_size 0
		.amdhsa_kernarg_size 56
		.amdhsa_user_sgpr_count 15
		.amdhsa_user_sgpr_dispatch_ptr 0
		.amdhsa_user_sgpr_queue_ptr 0
		.amdhsa_user_sgpr_kernarg_segment_ptr 1
		.amdhsa_user_sgpr_dispatch_id 0
		.amdhsa_user_sgpr_private_segment_size 0
		.amdhsa_wavefront_size32 1
		.amdhsa_uses_dynamic_stack 0
		.amdhsa_enable_private_segment 0
		.amdhsa_system_sgpr_workgroup_id_x 1
		.amdhsa_system_sgpr_workgroup_id_y 0
		.amdhsa_system_sgpr_workgroup_id_z 0
		.amdhsa_system_sgpr_workgroup_info 0
		.amdhsa_system_vgpr_workitem_id 0
		.amdhsa_next_free_vgpr 1
		.amdhsa_next_free_sgpr 1
		.amdhsa_reserve_vcc 0
		.amdhsa_float_round_mode_32 0
		.amdhsa_float_round_mode_16_64 0
		.amdhsa_float_denorm_mode_32 3
		.amdhsa_float_denorm_mode_16_64 3
		.amdhsa_dx10_clamp 1
		.amdhsa_ieee_mode 1
		.amdhsa_fp16_overflow 0
		.amdhsa_workgroup_processor_mode 1
		.amdhsa_memory_ordered 1
		.amdhsa_forward_progress 0
		.amdhsa_shared_vgpr_count 0
		.amdhsa_exception_fp_ieee_invalid_op 0
		.amdhsa_exception_fp_denorm_src 0
		.amdhsa_exception_fp_ieee_div_zero 0
		.amdhsa_exception_fp_ieee_overflow 0
		.amdhsa_exception_fp_ieee_underflow 0
		.amdhsa_exception_fp_ieee_inexact 0
		.amdhsa_exception_int_div_zero 0
	.end_amdhsa_kernel
	.section	.text._ZN7rocprim17ROCPRIM_400000_NS6detail17trampoline_kernelINS0_14default_configENS1_22reduce_config_selectorIiEEZNS1_11reduce_implILb1ES3_PiS7_iN6hipcub16HIPCUB_304000_NS6detail34convert_binary_result_type_wrapperINS9_3SumENS9_22TransformInputIteratorIbN2at6native12_GLOBAL__N_19NonZeroOpIsEEPKslEEiEEEE10hipError_tPvRmT1_T2_T3_mT4_P12ihipStream_tbEUlT_E0_NS1_11comp_targetILNS1_3genE0ELNS1_11target_archE4294967295ELNS1_3gpuE0ELNS1_3repE0EEENS1_30default_config_static_selectorELNS0_4arch9wavefront6targetE0EEEvSQ_,"axG",@progbits,_ZN7rocprim17ROCPRIM_400000_NS6detail17trampoline_kernelINS0_14default_configENS1_22reduce_config_selectorIiEEZNS1_11reduce_implILb1ES3_PiS7_iN6hipcub16HIPCUB_304000_NS6detail34convert_binary_result_type_wrapperINS9_3SumENS9_22TransformInputIteratorIbN2at6native12_GLOBAL__N_19NonZeroOpIsEEPKslEEiEEEE10hipError_tPvRmT1_T2_T3_mT4_P12ihipStream_tbEUlT_E0_NS1_11comp_targetILNS1_3genE0ELNS1_11target_archE4294967295ELNS1_3gpuE0ELNS1_3repE0EEENS1_30default_config_static_selectorELNS0_4arch9wavefront6targetE0EEEvSQ_,comdat
.Lfunc_end286:
	.size	_ZN7rocprim17ROCPRIM_400000_NS6detail17trampoline_kernelINS0_14default_configENS1_22reduce_config_selectorIiEEZNS1_11reduce_implILb1ES3_PiS7_iN6hipcub16HIPCUB_304000_NS6detail34convert_binary_result_type_wrapperINS9_3SumENS9_22TransformInputIteratorIbN2at6native12_GLOBAL__N_19NonZeroOpIsEEPKslEEiEEEE10hipError_tPvRmT1_T2_T3_mT4_P12ihipStream_tbEUlT_E0_NS1_11comp_targetILNS1_3genE0ELNS1_11target_archE4294967295ELNS1_3gpuE0ELNS1_3repE0EEENS1_30default_config_static_selectorELNS0_4arch9wavefront6targetE0EEEvSQ_, .Lfunc_end286-_ZN7rocprim17ROCPRIM_400000_NS6detail17trampoline_kernelINS0_14default_configENS1_22reduce_config_selectorIiEEZNS1_11reduce_implILb1ES3_PiS7_iN6hipcub16HIPCUB_304000_NS6detail34convert_binary_result_type_wrapperINS9_3SumENS9_22TransformInputIteratorIbN2at6native12_GLOBAL__N_19NonZeroOpIsEEPKslEEiEEEE10hipError_tPvRmT1_T2_T3_mT4_P12ihipStream_tbEUlT_E0_NS1_11comp_targetILNS1_3genE0ELNS1_11target_archE4294967295ELNS1_3gpuE0ELNS1_3repE0EEENS1_30default_config_static_selectorELNS0_4arch9wavefront6targetE0EEEvSQ_
                                        ; -- End function
	.section	.AMDGPU.csdata,"",@progbits
; Kernel info:
; codeLenInByte = 0
; NumSgprs: 0
; NumVgprs: 0
; ScratchSize: 0
; MemoryBound: 0
; FloatMode: 240
; IeeeMode: 1
; LDSByteSize: 0 bytes/workgroup (compile time only)
; SGPRBlocks: 0
; VGPRBlocks: 0
; NumSGPRsForWavesPerEU: 1
; NumVGPRsForWavesPerEU: 1
; Occupancy: 16
; WaveLimiterHint : 0
; COMPUTE_PGM_RSRC2:SCRATCH_EN: 0
; COMPUTE_PGM_RSRC2:USER_SGPR: 15
; COMPUTE_PGM_RSRC2:TRAP_HANDLER: 0
; COMPUTE_PGM_RSRC2:TGID_X_EN: 1
; COMPUTE_PGM_RSRC2:TGID_Y_EN: 0
; COMPUTE_PGM_RSRC2:TGID_Z_EN: 0
; COMPUTE_PGM_RSRC2:TIDIG_COMP_CNT: 0
	.section	.text._ZN7rocprim17ROCPRIM_400000_NS6detail17trampoline_kernelINS0_14default_configENS1_22reduce_config_selectorIiEEZNS1_11reduce_implILb1ES3_PiS7_iN6hipcub16HIPCUB_304000_NS6detail34convert_binary_result_type_wrapperINS9_3SumENS9_22TransformInputIteratorIbN2at6native12_GLOBAL__N_19NonZeroOpIsEEPKslEEiEEEE10hipError_tPvRmT1_T2_T3_mT4_P12ihipStream_tbEUlT_E0_NS1_11comp_targetILNS1_3genE5ELNS1_11target_archE942ELNS1_3gpuE9ELNS1_3repE0EEENS1_30default_config_static_selectorELNS0_4arch9wavefront6targetE0EEEvSQ_,"axG",@progbits,_ZN7rocprim17ROCPRIM_400000_NS6detail17trampoline_kernelINS0_14default_configENS1_22reduce_config_selectorIiEEZNS1_11reduce_implILb1ES3_PiS7_iN6hipcub16HIPCUB_304000_NS6detail34convert_binary_result_type_wrapperINS9_3SumENS9_22TransformInputIteratorIbN2at6native12_GLOBAL__N_19NonZeroOpIsEEPKslEEiEEEE10hipError_tPvRmT1_T2_T3_mT4_P12ihipStream_tbEUlT_E0_NS1_11comp_targetILNS1_3genE5ELNS1_11target_archE942ELNS1_3gpuE9ELNS1_3repE0EEENS1_30default_config_static_selectorELNS0_4arch9wavefront6targetE0EEEvSQ_,comdat
	.globl	_ZN7rocprim17ROCPRIM_400000_NS6detail17trampoline_kernelINS0_14default_configENS1_22reduce_config_selectorIiEEZNS1_11reduce_implILb1ES3_PiS7_iN6hipcub16HIPCUB_304000_NS6detail34convert_binary_result_type_wrapperINS9_3SumENS9_22TransformInputIteratorIbN2at6native12_GLOBAL__N_19NonZeroOpIsEEPKslEEiEEEE10hipError_tPvRmT1_T2_T3_mT4_P12ihipStream_tbEUlT_E0_NS1_11comp_targetILNS1_3genE5ELNS1_11target_archE942ELNS1_3gpuE9ELNS1_3repE0EEENS1_30default_config_static_selectorELNS0_4arch9wavefront6targetE0EEEvSQ_ ; -- Begin function _ZN7rocprim17ROCPRIM_400000_NS6detail17trampoline_kernelINS0_14default_configENS1_22reduce_config_selectorIiEEZNS1_11reduce_implILb1ES3_PiS7_iN6hipcub16HIPCUB_304000_NS6detail34convert_binary_result_type_wrapperINS9_3SumENS9_22TransformInputIteratorIbN2at6native12_GLOBAL__N_19NonZeroOpIsEEPKslEEiEEEE10hipError_tPvRmT1_T2_T3_mT4_P12ihipStream_tbEUlT_E0_NS1_11comp_targetILNS1_3genE5ELNS1_11target_archE942ELNS1_3gpuE9ELNS1_3repE0EEENS1_30default_config_static_selectorELNS0_4arch9wavefront6targetE0EEEvSQ_
	.p2align	8
	.type	_ZN7rocprim17ROCPRIM_400000_NS6detail17trampoline_kernelINS0_14default_configENS1_22reduce_config_selectorIiEEZNS1_11reduce_implILb1ES3_PiS7_iN6hipcub16HIPCUB_304000_NS6detail34convert_binary_result_type_wrapperINS9_3SumENS9_22TransformInputIteratorIbN2at6native12_GLOBAL__N_19NonZeroOpIsEEPKslEEiEEEE10hipError_tPvRmT1_T2_T3_mT4_P12ihipStream_tbEUlT_E0_NS1_11comp_targetILNS1_3genE5ELNS1_11target_archE942ELNS1_3gpuE9ELNS1_3repE0EEENS1_30default_config_static_selectorELNS0_4arch9wavefront6targetE0EEEvSQ_,@function
_ZN7rocprim17ROCPRIM_400000_NS6detail17trampoline_kernelINS0_14default_configENS1_22reduce_config_selectorIiEEZNS1_11reduce_implILb1ES3_PiS7_iN6hipcub16HIPCUB_304000_NS6detail34convert_binary_result_type_wrapperINS9_3SumENS9_22TransformInputIteratorIbN2at6native12_GLOBAL__N_19NonZeroOpIsEEPKslEEiEEEE10hipError_tPvRmT1_T2_T3_mT4_P12ihipStream_tbEUlT_E0_NS1_11comp_targetILNS1_3genE5ELNS1_11target_archE942ELNS1_3gpuE9ELNS1_3repE0EEENS1_30default_config_static_selectorELNS0_4arch9wavefront6targetE0EEEvSQ_: ; @_ZN7rocprim17ROCPRIM_400000_NS6detail17trampoline_kernelINS0_14default_configENS1_22reduce_config_selectorIiEEZNS1_11reduce_implILb1ES3_PiS7_iN6hipcub16HIPCUB_304000_NS6detail34convert_binary_result_type_wrapperINS9_3SumENS9_22TransformInputIteratorIbN2at6native12_GLOBAL__N_19NonZeroOpIsEEPKslEEiEEEE10hipError_tPvRmT1_T2_T3_mT4_P12ihipStream_tbEUlT_E0_NS1_11comp_targetILNS1_3genE5ELNS1_11target_archE942ELNS1_3gpuE9ELNS1_3repE0EEENS1_30default_config_static_selectorELNS0_4arch9wavefront6targetE0EEEvSQ_
; %bb.0:
	.section	.rodata,"a",@progbits
	.p2align	6, 0x0
	.amdhsa_kernel _ZN7rocprim17ROCPRIM_400000_NS6detail17trampoline_kernelINS0_14default_configENS1_22reduce_config_selectorIiEEZNS1_11reduce_implILb1ES3_PiS7_iN6hipcub16HIPCUB_304000_NS6detail34convert_binary_result_type_wrapperINS9_3SumENS9_22TransformInputIteratorIbN2at6native12_GLOBAL__N_19NonZeroOpIsEEPKslEEiEEEE10hipError_tPvRmT1_T2_T3_mT4_P12ihipStream_tbEUlT_E0_NS1_11comp_targetILNS1_3genE5ELNS1_11target_archE942ELNS1_3gpuE9ELNS1_3repE0EEENS1_30default_config_static_selectorELNS0_4arch9wavefront6targetE0EEEvSQ_
		.amdhsa_group_segment_fixed_size 0
		.amdhsa_private_segment_fixed_size 0
		.amdhsa_kernarg_size 56
		.amdhsa_user_sgpr_count 15
		.amdhsa_user_sgpr_dispatch_ptr 0
		.amdhsa_user_sgpr_queue_ptr 0
		.amdhsa_user_sgpr_kernarg_segment_ptr 1
		.amdhsa_user_sgpr_dispatch_id 0
		.amdhsa_user_sgpr_private_segment_size 0
		.amdhsa_wavefront_size32 1
		.amdhsa_uses_dynamic_stack 0
		.amdhsa_enable_private_segment 0
		.amdhsa_system_sgpr_workgroup_id_x 1
		.amdhsa_system_sgpr_workgroup_id_y 0
		.amdhsa_system_sgpr_workgroup_id_z 0
		.amdhsa_system_sgpr_workgroup_info 0
		.amdhsa_system_vgpr_workitem_id 0
		.amdhsa_next_free_vgpr 1
		.amdhsa_next_free_sgpr 1
		.amdhsa_reserve_vcc 0
		.amdhsa_float_round_mode_32 0
		.amdhsa_float_round_mode_16_64 0
		.amdhsa_float_denorm_mode_32 3
		.amdhsa_float_denorm_mode_16_64 3
		.amdhsa_dx10_clamp 1
		.amdhsa_ieee_mode 1
		.amdhsa_fp16_overflow 0
		.amdhsa_workgroup_processor_mode 1
		.amdhsa_memory_ordered 1
		.amdhsa_forward_progress 0
		.amdhsa_shared_vgpr_count 0
		.amdhsa_exception_fp_ieee_invalid_op 0
		.amdhsa_exception_fp_denorm_src 0
		.amdhsa_exception_fp_ieee_div_zero 0
		.amdhsa_exception_fp_ieee_overflow 0
		.amdhsa_exception_fp_ieee_underflow 0
		.amdhsa_exception_fp_ieee_inexact 0
		.amdhsa_exception_int_div_zero 0
	.end_amdhsa_kernel
	.section	.text._ZN7rocprim17ROCPRIM_400000_NS6detail17trampoline_kernelINS0_14default_configENS1_22reduce_config_selectorIiEEZNS1_11reduce_implILb1ES3_PiS7_iN6hipcub16HIPCUB_304000_NS6detail34convert_binary_result_type_wrapperINS9_3SumENS9_22TransformInputIteratorIbN2at6native12_GLOBAL__N_19NonZeroOpIsEEPKslEEiEEEE10hipError_tPvRmT1_T2_T3_mT4_P12ihipStream_tbEUlT_E0_NS1_11comp_targetILNS1_3genE5ELNS1_11target_archE942ELNS1_3gpuE9ELNS1_3repE0EEENS1_30default_config_static_selectorELNS0_4arch9wavefront6targetE0EEEvSQ_,"axG",@progbits,_ZN7rocprim17ROCPRIM_400000_NS6detail17trampoline_kernelINS0_14default_configENS1_22reduce_config_selectorIiEEZNS1_11reduce_implILb1ES3_PiS7_iN6hipcub16HIPCUB_304000_NS6detail34convert_binary_result_type_wrapperINS9_3SumENS9_22TransformInputIteratorIbN2at6native12_GLOBAL__N_19NonZeroOpIsEEPKslEEiEEEE10hipError_tPvRmT1_T2_T3_mT4_P12ihipStream_tbEUlT_E0_NS1_11comp_targetILNS1_3genE5ELNS1_11target_archE942ELNS1_3gpuE9ELNS1_3repE0EEENS1_30default_config_static_selectorELNS0_4arch9wavefront6targetE0EEEvSQ_,comdat
.Lfunc_end287:
	.size	_ZN7rocprim17ROCPRIM_400000_NS6detail17trampoline_kernelINS0_14default_configENS1_22reduce_config_selectorIiEEZNS1_11reduce_implILb1ES3_PiS7_iN6hipcub16HIPCUB_304000_NS6detail34convert_binary_result_type_wrapperINS9_3SumENS9_22TransformInputIteratorIbN2at6native12_GLOBAL__N_19NonZeroOpIsEEPKslEEiEEEE10hipError_tPvRmT1_T2_T3_mT4_P12ihipStream_tbEUlT_E0_NS1_11comp_targetILNS1_3genE5ELNS1_11target_archE942ELNS1_3gpuE9ELNS1_3repE0EEENS1_30default_config_static_selectorELNS0_4arch9wavefront6targetE0EEEvSQ_, .Lfunc_end287-_ZN7rocprim17ROCPRIM_400000_NS6detail17trampoline_kernelINS0_14default_configENS1_22reduce_config_selectorIiEEZNS1_11reduce_implILb1ES3_PiS7_iN6hipcub16HIPCUB_304000_NS6detail34convert_binary_result_type_wrapperINS9_3SumENS9_22TransformInputIteratorIbN2at6native12_GLOBAL__N_19NonZeroOpIsEEPKslEEiEEEE10hipError_tPvRmT1_T2_T3_mT4_P12ihipStream_tbEUlT_E0_NS1_11comp_targetILNS1_3genE5ELNS1_11target_archE942ELNS1_3gpuE9ELNS1_3repE0EEENS1_30default_config_static_selectorELNS0_4arch9wavefront6targetE0EEEvSQ_
                                        ; -- End function
	.section	.AMDGPU.csdata,"",@progbits
; Kernel info:
; codeLenInByte = 0
; NumSgprs: 0
; NumVgprs: 0
; ScratchSize: 0
; MemoryBound: 0
; FloatMode: 240
; IeeeMode: 1
; LDSByteSize: 0 bytes/workgroup (compile time only)
; SGPRBlocks: 0
; VGPRBlocks: 0
; NumSGPRsForWavesPerEU: 1
; NumVGPRsForWavesPerEU: 1
; Occupancy: 16
; WaveLimiterHint : 0
; COMPUTE_PGM_RSRC2:SCRATCH_EN: 0
; COMPUTE_PGM_RSRC2:USER_SGPR: 15
; COMPUTE_PGM_RSRC2:TRAP_HANDLER: 0
; COMPUTE_PGM_RSRC2:TGID_X_EN: 1
; COMPUTE_PGM_RSRC2:TGID_Y_EN: 0
; COMPUTE_PGM_RSRC2:TGID_Z_EN: 0
; COMPUTE_PGM_RSRC2:TIDIG_COMP_CNT: 0
	.section	.text._ZN7rocprim17ROCPRIM_400000_NS6detail17trampoline_kernelINS0_14default_configENS1_22reduce_config_selectorIiEEZNS1_11reduce_implILb1ES3_PiS7_iN6hipcub16HIPCUB_304000_NS6detail34convert_binary_result_type_wrapperINS9_3SumENS9_22TransformInputIteratorIbN2at6native12_GLOBAL__N_19NonZeroOpIsEEPKslEEiEEEE10hipError_tPvRmT1_T2_T3_mT4_P12ihipStream_tbEUlT_E0_NS1_11comp_targetILNS1_3genE4ELNS1_11target_archE910ELNS1_3gpuE8ELNS1_3repE0EEENS1_30default_config_static_selectorELNS0_4arch9wavefront6targetE0EEEvSQ_,"axG",@progbits,_ZN7rocprim17ROCPRIM_400000_NS6detail17trampoline_kernelINS0_14default_configENS1_22reduce_config_selectorIiEEZNS1_11reduce_implILb1ES3_PiS7_iN6hipcub16HIPCUB_304000_NS6detail34convert_binary_result_type_wrapperINS9_3SumENS9_22TransformInputIteratorIbN2at6native12_GLOBAL__N_19NonZeroOpIsEEPKslEEiEEEE10hipError_tPvRmT1_T2_T3_mT4_P12ihipStream_tbEUlT_E0_NS1_11comp_targetILNS1_3genE4ELNS1_11target_archE910ELNS1_3gpuE8ELNS1_3repE0EEENS1_30default_config_static_selectorELNS0_4arch9wavefront6targetE0EEEvSQ_,comdat
	.globl	_ZN7rocprim17ROCPRIM_400000_NS6detail17trampoline_kernelINS0_14default_configENS1_22reduce_config_selectorIiEEZNS1_11reduce_implILb1ES3_PiS7_iN6hipcub16HIPCUB_304000_NS6detail34convert_binary_result_type_wrapperINS9_3SumENS9_22TransformInputIteratorIbN2at6native12_GLOBAL__N_19NonZeroOpIsEEPKslEEiEEEE10hipError_tPvRmT1_T2_T3_mT4_P12ihipStream_tbEUlT_E0_NS1_11comp_targetILNS1_3genE4ELNS1_11target_archE910ELNS1_3gpuE8ELNS1_3repE0EEENS1_30default_config_static_selectorELNS0_4arch9wavefront6targetE0EEEvSQ_ ; -- Begin function _ZN7rocprim17ROCPRIM_400000_NS6detail17trampoline_kernelINS0_14default_configENS1_22reduce_config_selectorIiEEZNS1_11reduce_implILb1ES3_PiS7_iN6hipcub16HIPCUB_304000_NS6detail34convert_binary_result_type_wrapperINS9_3SumENS9_22TransformInputIteratorIbN2at6native12_GLOBAL__N_19NonZeroOpIsEEPKslEEiEEEE10hipError_tPvRmT1_T2_T3_mT4_P12ihipStream_tbEUlT_E0_NS1_11comp_targetILNS1_3genE4ELNS1_11target_archE910ELNS1_3gpuE8ELNS1_3repE0EEENS1_30default_config_static_selectorELNS0_4arch9wavefront6targetE0EEEvSQ_
	.p2align	8
	.type	_ZN7rocprim17ROCPRIM_400000_NS6detail17trampoline_kernelINS0_14default_configENS1_22reduce_config_selectorIiEEZNS1_11reduce_implILb1ES3_PiS7_iN6hipcub16HIPCUB_304000_NS6detail34convert_binary_result_type_wrapperINS9_3SumENS9_22TransformInputIteratorIbN2at6native12_GLOBAL__N_19NonZeroOpIsEEPKslEEiEEEE10hipError_tPvRmT1_T2_T3_mT4_P12ihipStream_tbEUlT_E0_NS1_11comp_targetILNS1_3genE4ELNS1_11target_archE910ELNS1_3gpuE8ELNS1_3repE0EEENS1_30default_config_static_selectorELNS0_4arch9wavefront6targetE0EEEvSQ_,@function
_ZN7rocprim17ROCPRIM_400000_NS6detail17trampoline_kernelINS0_14default_configENS1_22reduce_config_selectorIiEEZNS1_11reduce_implILb1ES3_PiS7_iN6hipcub16HIPCUB_304000_NS6detail34convert_binary_result_type_wrapperINS9_3SumENS9_22TransformInputIteratorIbN2at6native12_GLOBAL__N_19NonZeroOpIsEEPKslEEiEEEE10hipError_tPvRmT1_T2_T3_mT4_P12ihipStream_tbEUlT_E0_NS1_11comp_targetILNS1_3genE4ELNS1_11target_archE910ELNS1_3gpuE8ELNS1_3repE0EEENS1_30default_config_static_selectorELNS0_4arch9wavefront6targetE0EEEvSQ_: ; @_ZN7rocprim17ROCPRIM_400000_NS6detail17trampoline_kernelINS0_14default_configENS1_22reduce_config_selectorIiEEZNS1_11reduce_implILb1ES3_PiS7_iN6hipcub16HIPCUB_304000_NS6detail34convert_binary_result_type_wrapperINS9_3SumENS9_22TransformInputIteratorIbN2at6native12_GLOBAL__N_19NonZeroOpIsEEPKslEEiEEEE10hipError_tPvRmT1_T2_T3_mT4_P12ihipStream_tbEUlT_E0_NS1_11comp_targetILNS1_3genE4ELNS1_11target_archE910ELNS1_3gpuE8ELNS1_3repE0EEENS1_30default_config_static_selectorELNS0_4arch9wavefront6targetE0EEEvSQ_
; %bb.0:
	.section	.rodata,"a",@progbits
	.p2align	6, 0x0
	.amdhsa_kernel _ZN7rocprim17ROCPRIM_400000_NS6detail17trampoline_kernelINS0_14default_configENS1_22reduce_config_selectorIiEEZNS1_11reduce_implILb1ES3_PiS7_iN6hipcub16HIPCUB_304000_NS6detail34convert_binary_result_type_wrapperINS9_3SumENS9_22TransformInputIteratorIbN2at6native12_GLOBAL__N_19NonZeroOpIsEEPKslEEiEEEE10hipError_tPvRmT1_T2_T3_mT4_P12ihipStream_tbEUlT_E0_NS1_11comp_targetILNS1_3genE4ELNS1_11target_archE910ELNS1_3gpuE8ELNS1_3repE0EEENS1_30default_config_static_selectorELNS0_4arch9wavefront6targetE0EEEvSQ_
		.amdhsa_group_segment_fixed_size 0
		.amdhsa_private_segment_fixed_size 0
		.amdhsa_kernarg_size 56
		.amdhsa_user_sgpr_count 15
		.amdhsa_user_sgpr_dispatch_ptr 0
		.amdhsa_user_sgpr_queue_ptr 0
		.amdhsa_user_sgpr_kernarg_segment_ptr 1
		.amdhsa_user_sgpr_dispatch_id 0
		.amdhsa_user_sgpr_private_segment_size 0
		.amdhsa_wavefront_size32 1
		.amdhsa_uses_dynamic_stack 0
		.amdhsa_enable_private_segment 0
		.amdhsa_system_sgpr_workgroup_id_x 1
		.amdhsa_system_sgpr_workgroup_id_y 0
		.amdhsa_system_sgpr_workgroup_id_z 0
		.amdhsa_system_sgpr_workgroup_info 0
		.amdhsa_system_vgpr_workitem_id 0
		.amdhsa_next_free_vgpr 1
		.amdhsa_next_free_sgpr 1
		.amdhsa_reserve_vcc 0
		.amdhsa_float_round_mode_32 0
		.amdhsa_float_round_mode_16_64 0
		.amdhsa_float_denorm_mode_32 3
		.amdhsa_float_denorm_mode_16_64 3
		.amdhsa_dx10_clamp 1
		.amdhsa_ieee_mode 1
		.amdhsa_fp16_overflow 0
		.amdhsa_workgroup_processor_mode 1
		.amdhsa_memory_ordered 1
		.amdhsa_forward_progress 0
		.amdhsa_shared_vgpr_count 0
		.amdhsa_exception_fp_ieee_invalid_op 0
		.amdhsa_exception_fp_denorm_src 0
		.amdhsa_exception_fp_ieee_div_zero 0
		.amdhsa_exception_fp_ieee_overflow 0
		.amdhsa_exception_fp_ieee_underflow 0
		.amdhsa_exception_fp_ieee_inexact 0
		.amdhsa_exception_int_div_zero 0
	.end_amdhsa_kernel
	.section	.text._ZN7rocprim17ROCPRIM_400000_NS6detail17trampoline_kernelINS0_14default_configENS1_22reduce_config_selectorIiEEZNS1_11reduce_implILb1ES3_PiS7_iN6hipcub16HIPCUB_304000_NS6detail34convert_binary_result_type_wrapperINS9_3SumENS9_22TransformInputIteratorIbN2at6native12_GLOBAL__N_19NonZeroOpIsEEPKslEEiEEEE10hipError_tPvRmT1_T2_T3_mT4_P12ihipStream_tbEUlT_E0_NS1_11comp_targetILNS1_3genE4ELNS1_11target_archE910ELNS1_3gpuE8ELNS1_3repE0EEENS1_30default_config_static_selectorELNS0_4arch9wavefront6targetE0EEEvSQ_,"axG",@progbits,_ZN7rocprim17ROCPRIM_400000_NS6detail17trampoline_kernelINS0_14default_configENS1_22reduce_config_selectorIiEEZNS1_11reduce_implILb1ES3_PiS7_iN6hipcub16HIPCUB_304000_NS6detail34convert_binary_result_type_wrapperINS9_3SumENS9_22TransformInputIteratorIbN2at6native12_GLOBAL__N_19NonZeroOpIsEEPKslEEiEEEE10hipError_tPvRmT1_T2_T3_mT4_P12ihipStream_tbEUlT_E0_NS1_11comp_targetILNS1_3genE4ELNS1_11target_archE910ELNS1_3gpuE8ELNS1_3repE0EEENS1_30default_config_static_selectorELNS0_4arch9wavefront6targetE0EEEvSQ_,comdat
.Lfunc_end288:
	.size	_ZN7rocprim17ROCPRIM_400000_NS6detail17trampoline_kernelINS0_14default_configENS1_22reduce_config_selectorIiEEZNS1_11reduce_implILb1ES3_PiS7_iN6hipcub16HIPCUB_304000_NS6detail34convert_binary_result_type_wrapperINS9_3SumENS9_22TransformInputIteratorIbN2at6native12_GLOBAL__N_19NonZeroOpIsEEPKslEEiEEEE10hipError_tPvRmT1_T2_T3_mT4_P12ihipStream_tbEUlT_E0_NS1_11comp_targetILNS1_3genE4ELNS1_11target_archE910ELNS1_3gpuE8ELNS1_3repE0EEENS1_30default_config_static_selectorELNS0_4arch9wavefront6targetE0EEEvSQ_, .Lfunc_end288-_ZN7rocprim17ROCPRIM_400000_NS6detail17trampoline_kernelINS0_14default_configENS1_22reduce_config_selectorIiEEZNS1_11reduce_implILb1ES3_PiS7_iN6hipcub16HIPCUB_304000_NS6detail34convert_binary_result_type_wrapperINS9_3SumENS9_22TransformInputIteratorIbN2at6native12_GLOBAL__N_19NonZeroOpIsEEPKslEEiEEEE10hipError_tPvRmT1_T2_T3_mT4_P12ihipStream_tbEUlT_E0_NS1_11comp_targetILNS1_3genE4ELNS1_11target_archE910ELNS1_3gpuE8ELNS1_3repE0EEENS1_30default_config_static_selectorELNS0_4arch9wavefront6targetE0EEEvSQ_
                                        ; -- End function
	.section	.AMDGPU.csdata,"",@progbits
; Kernel info:
; codeLenInByte = 0
; NumSgprs: 0
; NumVgprs: 0
; ScratchSize: 0
; MemoryBound: 0
; FloatMode: 240
; IeeeMode: 1
; LDSByteSize: 0 bytes/workgroup (compile time only)
; SGPRBlocks: 0
; VGPRBlocks: 0
; NumSGPRsForWavesPerEU: 1
; NumVGPRsForWavesPerEU: 1
; Occupancy: 16
; WaveLimiterHint : 0
; COMPUTE_PGM_RSRC2:SCRATCH_EN: 0
; COMPUTE_PGM_RSRC2:USER_SGPR: 15
; COMPUTE_PGM_RSRC2:TRAP_HANDLER: 0
; COMPUTE_PGM_RSRC2:TGID_X_EN: 1
; COMPUTE_PGM_RSRC2:TGID_Y_EN: 0
; COMPUTE_PGM_RSRC2:TGID_Z_EN: 0
; COMPUTE_PGM_RSRC2:TIDIG_COMP_CNT: 0
	.section	.text._ZN7rocprim17ROCPRIM_400000_NS6detail17trampoline_kernelINS0_14default_configENS1_22reduce_config_selectorIiEEZNS1_11reduce_implILb1ES3_PiS7_iN6hipcub16HIPCUB_304000_NS6detail34convert_binary_result_type_wrapperINS9_3SumENS9_22TransformInputIteratorIbN2at6native12_GLOBAL__N_19NonZeroOpIsEEPKslEEiEEEE10hipError_tPvRmT1_T2_T3_mT4_P12ihipStream_tbEUlT_E0_NS1_11comp_targetILNS1_3genE3ELNS1_11target_archE908ELNS1_3gpuE7ELNS1_3repE0EEENS1_30default_config_static_selectorELNS0_4arch9wavefront6targetE0EEEvSQ_,"axG",@progbits,_ZN7rocprim17ROCPRIM_400000_NS6detail17trampoline_kernelINS0_14default_configENS1_22reduce_config_selectorIiEEZNS1_11reduce_implILb1ES3_PiS7_iN6hipcub16HIPCUB_304000_NS6detail34convert_binary_result_type_wrapperINS9_3SumENS9_22TransformInputIteratorIbN2at6native12_GLOBAL__N_19NonZeroOpIsEEPKslEEiEEEE10hipError_tPvRmT1_T2_T3_mT4_P12ihipStream_tbEUlT_E0_NS1_11comp_targetILNS1_3genE3ELNS1_11target_archE908ELNS1_3gpuE7ELNS1_3repE0EEENS1_30default_config_static_selectorELNS0_4arch9wavefront6targetE0EEEvSQ_,comdat
	.globl	_ZN7rocprim17ROCPRIM_400000_NS6detail17trampoline_kernelINS0_14default_configENS1_22reduce_config_selectorIiEEZNS1_11reduce_implILb1ES3_PiS7_iN6hipcub16HIPCUB_304000_NS6detail34convert_binary_result_type_wrapperINS9_3SumENS9_22TransformInputIteratorIbN2at6native12_GLOBAL__N_19NonZeroOpIsEEPKslEEiEEEE10hipError_tPvRmT1_T2_T3_mT4_P12ihipStream_tbEUlT_E0_NS1_11comp_targetILNS1_3genE3ELNS1_11target_archE908ELNS1_3gpuE7ELNS1_3repE0EEENS1_30default_config_static_selectorELNS0_4arch9wavefront6targetE0EEEvSQ_ ; -- Begin function _ZN7rocprim17ROCPRIM_400000_NS6detail17trampoline_kernelINS0_14default_configENS1_22reduce_config_selectorIiEEZNS1_11reduce_implILb1ES3_PiS7_iN6hipcub16HIPCUB_304000_NS6detail34convert_binary_result_type_wrapperINS9_3SumENS9_22TransformInputIteratorIbN2at6native12_GLOBAL__N_19NonZeroOpIsEEPKslEEiEEEE10hipError_tPvRmT1_T2_T3_mT4_P12ihipStream_tbEUlT_E0_NS1_11comp_targetILNS1_3genE3ELNS1_11target_archE908ELNS1_3gpuE7ELNS1_3repE0EEENS1_30default_config_static_selectorELNS0_4arch9wavefront6targetE0EEEvSQ_
	.p2align	8
	.type	_ZN7rocprim17ROCPRIM_400000_NS6detail17trampoline_kernelINS0_14default_configENS1_22reduce_config_selectorIiEEZNS1_11reduce_implILb1ES3_PiS7_iN6hipcub16HIPCUB_304000_NS6detail34convert_binary_result_type_wrapperINS9_3SumENS9_22TransformInputIteratorIbN2at6native12_GLOBAL__N_19NonZeroOpIsEEPKslEEiEEEE10hipError_tPvRmT1_T2_T3_mT4_P12ihipStream_tbEUlT_E0_NS1_11comp_targetILNS1_3genE3ELNS1_11target_archE908ELNS1_3gpuE7ELNS1_3repE0EEENS1_30default_config_static_selectorELNS0_4arch9wavefront6targetE0EEEvSQ_,@function
_ZN7rocprim17ROCPRIM_400000_NS6detail17trampoline_kernelINS0_14default_configENS1_22reduce_config_selectorIiEEZNS1_11reduce_implILb1ES3_PiS7_iN6hipcub16HIPCUB_304000_NS6detail34convert_binary_result_type_wrapperINS9_3SumENS9_22TransformInputIteratorIbN2at6native12_GLOBAL__N_19NonZeroOpIsEEPKslEEiEEEE10hipError_tPvRmT1_T2_T3_mT4_P12ihipStream_tbEUlT_E0_NS1_11comp_targetILNS1_3genE3ELNS1_11target_archE908ELNS1_3gpuE7ELNS1_3repE0EEENS1_30default_config_static_selectorELNS0_4arch9wavefront6targetE0EEEvSQ_: ; @_ZN7rocprim17ROCPRIM_400000_NS6detail17trampoline_kernelINS0_14default_configENS1_22reduce_config_selectorIiEEZNS1_11reduce_implILb1ES3_PiS7_iN6hipcub16HIPCUB_304000_NS6detail34convert_binary_result_type_wrapperINS9_3SumENS9_22TransformInputIteratorIbN2at6native12_GLOBAL__N_19NonZeroOpIsEEPKslEEiEEEE10hipError_tPvRmT1_T2_T3_mT4_P12ihipStream_tbEUlT_E0_NS1_11comp_targetILNS1_3genE3ELNS1_11target_archE908ELNS1_3gpuE7ELNS1_3repE0EEENS1_30default_config_static_selectorELNS0_4arch9wavefront6targetE0EEEvSQ_
; %bb.0:
	.section	.rodata,"a",@progbits
	.p2align	6, 0x0
	.amdhsa_kernel _ZN7rocprim17ROCPRIM_400000_NS6detail17trampoline_kernelINS0_14default_configENS1_22reduce_config_selectorIiEEZNS1_11reduce_implILb1ES3_PiS7_iN6hipcub16HIPCUB_304000_NS6detail34convert_binary_result_type_wrapperINS9_3SumENS9_22TransformInputIteratorIbN2at6native12_GLOBAL__N_19NonZeroOpIsEEPKslEEiEEEE10hipError_tPvRmT1_T2_T3_mT4_P12ihipStream_tbEUlT_E0_NS1_11comp_targetILNS1_3genE3ELNS1_11target_archE908ELNS1_3gpuE7ELNS1_3repE0EEENS1_30default_config_static_selectorELNS0_4arch9wavefront6targetE0EEEvSQ_
		.amdhsa_group_segment_fixed_size 0
		.amdhsa_private_segment_fixed_size 0
		.amdhsa_kernarg_size 56
		.amdhsa_user_sgpr_count 15
		.amdhsa_user_sgpr_dispatch_ptr 0
		.amdhsa_user_sgpr_queue_ptr 0
		.amdhsa_user_sgpr_kernarg_segment_ptr 1
		.amdhsa_user_sgpr_dispatch_id 0
		.amdhsa_user_sgpr_private_segment_size 0
		.amdhsa_wavefront_size32 1
		.amdhsa_uses_dynamic_stack 0
		.amdhsa_enable_private_segment 0
		.amdhsa_system_sgpr_workgroup_id_x 1
		.amdhsa_system_sgpr_workgroup_id_y 0
		.amdhsa_system_sgpr_workgroup_id_z 0
		.amdhsa_system_sgpr_workgroup_info 0
		.amdhsa_system_vgpr_workitem_id 0
		.amdhsa_next_free_vgpr 1
		.amdhsa_next_free_sgpr 1
		.amdhsa_reserve_vcc 0
		.amdhsa_float_round_mode_32 0
		.amdhsa_float_round_mode_16_64 0
		.amdhsa_float_denorm_mode_32 3
		.amdhsa_float_denorm_mode_16_64 3
		.amdhsa_dx10_clamp 1
		.amdhsa_ieee_mode 1
		.amdhsa_fp16_overflow 0
		.amdhsa_workgroup_processor_mode 1
		.amdhsa_memory_ordered 1
		.amdhsa_forward_progress 0
		.amdhsa_shared_vgpr_count 0
		.amdhsa_exception_fp_ieee_invalid_op 0
		.amdhsa_exception_fp_denorm_src 0
		.amdhsa_exception_fp_ieee_div_zero 0
		.amdhsa_exception_fp_ieee_overflow 0
		.amdhsa_exception_fp_ieee_underflow 0
		.amdhsa_exception_fp_ieee_inexact 0
		.amdhsa_exception_int_div_zero 0
	.end_amdhsa_kernel
	.section	.text._ZN7rocprim17ROCPRIM_400000_NS6detail17trampoline_kernelINS0_14default_configENS1_22reduce_config_selectorIiEEZNS1_11reduce_implILb1ES3_PiS7_iN6hipcub16HIPCUB_304000_NS6detail34convert_binary_result_type_wrapperINS9_3SumENS9_22TransformInputIteratorIbN2at6native12_GLOBAL__N_19NonZeroOpIsEEPKslEEiEEEE10hipError_tPvRmT1_T2_T3_mT4_P12ihipStream_tbEUlT_E0_NS1_11comp_targetILNS1_3genE3ELNS1_11target_archE908ELNS1_3gpuE7ELNS1_3repE0EEENS1_30default_config_static_selectorELNS0_4arch9wavefront6targetE0EEEvSQ_,"axG",@progbits,_ZN7rocprim17ROCPRIM_400000_NS6detail17trampoline_kernelINS0_14default_configENS1_22reduce_config_selectorIiEEZNS1_11reduce_implILb1ES3_PiS7_iN6hipcub16HIPCUB_304000_NS6detail34convert_binary_result_type_wrapperINS9_3SumENS9_22TransformInputIteratorIbN2at6native12_GLOBAL__N_19NonZeroOpIsEEPKslEEiEEEE10hipError_tPvRmT1_T2_T3_mT4_P12ihipStream_tbEUlT_E0_NS1_11comp_targetILNS1_3genE3ELNS1_11target_archE908ELNS1_3gpuE7ELNS1_3repE0EEENS1_30default_config_static_selectorELNS0_4arch9wavefront6targetE0EEEvSQ_,comdat
.Lfunc_end289:
	.size	_ZN7rocprim17ROCPRIM_400000_NS6detail17trampoline_kernelINS0_14default_configENS1_22reduce_config_selectorIiEEZNS1_11reduce_implILb1ES3_PiS7_iN6hipcub16HIPCUB_304000_NS6detail34convert_binary_result_type_wrapperINS9_3SumENS9_22TransformInputIteratorIbN2at6native12_GLOBAL__N_19NonZeroOpIsEEPKslEEiEEEE10hipError_tPvRmT1_T2_T3_mT4_P12ihipStream_tbEUlT_E0_NS1_11comp_targetILNS1_3genE3ELNS1_11target_archE908ELNS1_3gpuE7ELNS1_3repE0EEENS1_30default_config_static_selectorELNS0_4arch9wavefront6targetE0EEEvSQ_, .Lfunc_end289-_ZN7rocprim17ROCPRIM_400000_NS6detail17trampoline_kernelINS0_14default_configENS1_22reduce_config_selectorIiEEZNS1_11reduce_implILb1ES3_PiS7_iN6hipcub16HIPCUB_304000_NS6detail34convert_binary_result_type_wrapperINS9_3SumENS9_22TransformInputIteratorIbN2at6native12_GLOBAL__N_19NonZeroOpIsEEPKslEEiEEEE10hipError_tPvRmT1_T2_T3_mT4_P12ihipStream_tbEUlT_E0_NS1_11comp_targetILNS1_3genE3ELNS1_11target_archE908ELNS1_3gpuE7ELNS1_3repE0EEENS1_30default_config_static_selectorELNS0_4arch9wavefront6targetE0EEEvSQ_
                                        ; -- End function
	.section	.AMDGPU.csdata,"",@progbits
; Kernel info:
; codeLenInByte = 0
; NumSgprs: 0
; NumVgprs: 0
; ScratchSize: 0
; MemoryBound: 0
; FloatMode: 240
; IeeeMode: 1
; LDSByteSize: 0 bytes/workgroup (compile time only)
; SGPRBlocks: 0
; VGPRBlocks: 0
; NumSGPRsForWavesPerEU: 1
; NumVGPRsForWavesPerEU: 1
; Occupancy: 16
; WaveLimiterHint : 0
; COMPUTE_PGM_RSRC2:SCRATCH_EN: 0
; COMPUTE_PGM_RSRC2:USER_SGPR: 15
; COMPUTE_PGM_RSRC2:TRAP_HANDLER: 0
; COMPUTE_PGM_RSRC2:TGID_X_EN: 1
; COMPUTE_PGM_RSRC2:TGID_Y_EN: 0
; COMPUTE_PGM_RSRC2:TGID_Z_EN: 0
; COMPUTE_PGM_RSRC2:TIDIG_COMP_CNT: 0
	.section	.text._ZN7rocprim17ROCPRIM_400000_NS6detail17trampoline_kernelINS0_14default_configENS1_22reduce_config_selectorIiEEZNS1_11reduce_implILb1ES3_PiS7_iN6hipcub16HIPCUB_304000_NS6detail34convert_binary_result_type_wrapperINS9_3SumENS9_22TransformInputIteratorIbN2at6native12_GLOBAL__N_19NonZeroOpIsEEPKslEEiEEEE10hipError_tPvRmT1_T2_T3_mT4_P12ihipStream_tbEUlT_E0_NS1_11comp_targetILNS1_3genE2ELNS1_11target_archE906ELNS1_3gpuE6ELNS1_3repE0EEENS1_30default_config_static_selectorELNS0_4arch9wavefront6targetE0EEEvSQ_,"axG",@progbits,_ZN7rocprim17ROCPRIM_400000_NS6detail17trampoline_kernelINS0_14default_configENS1_22reduce_config_selectorIiEEZNS1_11reduce_implILb1ES3_PiS7_iN6hipcub16HIPCUB_304000_NS6detail34convert_binary_result_type_wrapperINS9_3SumENS9_22TransformInputIteratorIbN2at6native12_GLOBAL__N_19NonZeroOpIsEEPKslEEiEEEE10hipError_tPvRmT1_T2_T3_mT4_P12ihipStream_tbEUlT_E0_NS1_11comp_targetILNS1_3genE2ELNS1_11target_archE906ELNS1_3gpuE6ELNS1_3repE0EEENS1_30default_config_static_selectorELNS0_4arch9wavefront6targetE0EEEvSQ_,comdat
	.globl	_ZN7rocprim17ROCPRIM_400000_NS6detail17trampoline_kernelINS0_14default_configENS1_22reduce_config_selectorIiEEZNS1_11reduce_implILb1ES3_PiS7_iN6hipcub16HIPCUB_304000_NS6detail34convert_binary_result_type_wrapperINS9_3SumENS9_22TransformInputIteratorIbN2at6native12_GLOBAL__N_19NonZeroOpIsEEPKslEEiEEEE10hipError_tPvRmT1_T2_T3_mT4_P12ihipStream_tbEUlT_E0_NS1_11comp_targetILNS1_3genE2ELNS1_11target_archE906ELNS1_3gpuE6ELNS1_3repE0EEENS1_30default_config_static_selectorELNS0_4arch9wavefront6targetE0EEEvSQ_ ; -- Begin function _ZN7rocprim17ROCPRIM_400000_NS6detail17trampoline_kernelINS0_14default_configENS1_22reduce_config_selectorIiEEZNS1_11reduce_implILb1ES3_PiS7_iN6hipcub16HIPCUB_304000_NS6detail34convert_binary_result_type_wrapperINS9_3SumENS9_22TransformInputIteratorIbN2at6native12_GLOBAL__N_19NonZeroOpIsEEPKslEEiEEEE10hipError_tPvRmT1_T2_T3_mT4_P12ihipStream_tbEUlT_E0_NS1_11comp_targetILNS1_3genE2ELNS1_11target_archE906ELNS1_3gpuE6ELNS1_3repE0EEENS1_30default_config_static_selectorELNS0_4arch9wavefront6targetE0EEEvSQ_
	.p2align	8
	.type	_ZN7rocprim17ROCPRIM_400000_NS6detail17trampoline_kernelINS0_14default_configENS1_22reduce_config_selectorIiEEZNS1_11reduce_implILb1ES3_PiS7_iN6hipcub16HIPCUB_304000_NS6detail34convert_binary_result_type_wrapperINS9_3SumENS9_22TransformInputIteratorIbN2at6native12_GLOBAL__N_19NonZeroOpIsEEPKslEEiEEEE10hipError_tPvRmT1_T2_T3_mT4_P12ihipStream_tbEUlT_E0_NS1_11comp_targetILNS1_3genE2ELNS1_11target_archE906ELNS1_3gpuE6ELNS1_3repE0EEENS1_30default_config_static_selectorELNS0_4arch9wavefront6targetE0EEEvSQ_,@function
_ZN7rocprim17ROCPRIM_400000_NS6detail17trampoline_kernelINS0_14default_configENS1_22reduce_config_selectorIiEEZNS1_11reduce_implILb1ES3_PiS7_iN6hipcub16HIPCUB_304000_NS6detail34convert_binary_result_type_wrapperINS9_3SumENS9_22TransformInputIteratorIbN2at6native12_GLOBAL__N_19NonZeroOpIsEEPKslEEiEEEE10hipError_tPvRmT1_T2_T3_mT4_P12ihipStream_tbEUlT_E0_NS1_11comp_targetILNS1_3genE2ELNS1_11target_archE906ELNS1_3gpuE6ELNS1_3repE0EEENS1_30default_config_static_selectorELNS0_4arch9wavefront6targetE0EEEvSQ_: ; @_ZN7rocprim17ROCPRIM_400000_NS6detail17trampoline_kernelINS0_14default_configENS1_22reduce_config_selectorIiEEZNS1_11reduce_implILb1ES3_PiS7_iN6hipcub16HIPCUB_304000_NS6detail34convert_binary_result_type_wrapperINS9_3SumENS9_22TransformInputIteratorIbN2at6native12_GLOBAL__N_19NonZeroOpIsEEPKslEEiEEEE10hipError_tPvRmT1_T2_T3_mT4_P12ihipStream_tbEUlT_E0_NS1_11comp_targetILNS1_3genE2ELNS1_11target_archE906ELNS1_3gpuE6ELNS1_3repE0EEENS1_30default_config_static_selectorELNS0_4arch9wavefront6targetE0EEEvSQ_
; %bb.0:
	.section	.rodata,"a",@progbits
	.p2align	6, 0x0
	.amdhsa_kernel _ZN7rocprim17ROCPRIM_400000_NS6detail17trampoline_kernelINS0_14default_configENS1_22reduce_config_selectorIiEEZNS1_11reduce_implILb1ES3_PiS7_iN6hipcub16HIPCUB_304000_NS6detail34convert_binary_result_type_wrapperINS9_3SumENS9_22TransformInputIteratorIbN2at6native12_GLOBAL__N_19NonZeroOpIsEEPKslEEiEEEE10hipError_tPvRmT1_T2_T3_mT4_P12ihipStream_tbEUlT_E0_NS1_11comp_targetILNS1_3genE2ELNS1_11target_archE906ELNS1_3gpuE6ELNS1_3repE0EEENS1_30default_config_static_selectorELNS0_4arch9wavefront6targetE0EEEvSQ_
		.amdhsa_group_segment_fixed_size 0
		.amdhsa_private_segment_fixed_size 0
		.amdhsa_kernarg_size 56
		.amdhsa_user_sgpr_count 15
		.amdhsa_user_sgpr_dispatch_ptr 0
		.amdhsa_user_sgpr_queue_ptr 0
		.amdhsa_user_sgpr_kernarg_segment_ptr 1
		.amdhsa_user_sgpr_dispatch_id 0
		.amdhsa_user_sgpr_private_segment_size 0
		.amdhsa_wavefront_size32 1
		.amdhsa_uses_dynamic_stack 0
		.amdhsa_enable_private_segment 0
		.amdhsa_system_sgpr_workgroup_id_x 1
		.amdhsa_system_sgpr_workgroup_id_y 0
		.amdhsa_system_sgpr_workgroup_id_z 0
		.amdhsa_system_sgpr_workgroup_info 0
		.amdhsa_system_vgpr_workitem_id 0
		.amdhsa_next_free_vgpr 1
		.amdhsa_next_free_sgpr 1
		.amdhsa_reserve_vcc 0
		.amdhsa_float_round_mode_32 0
		.amdhsa_float_round_mode_16_64 0
		.amdhsa_float_denorm_mode_32 3
		.amdhsa_float_denorm_mode_16_64 3
		.amdhsa_dx10_clamp 1
		.amdhsa_ieee_mode 1
		.amdhsa_fp16_overflow 0
		.amdhsa_workgroup_processor_mode 1
		.amdhsa_memory_ordered 1
		.amdhsa_forward_progress 0
		.amdhsa_shared_vgpr_count 0
		.amdhsa_exception_fp_ieee_invalid_op 0
		.amdhsa_exception_fp_denorm_src 0
		.amdhsa_exception_fp_ieee_div_zero 0
		.amdhsa_exception_fp_ieee_overflow 0
		.amdhsa_exception_fp_ieee_underflow 0
		.amdhsa_exception_fp_ieee_inexact 0
		.amdhsa_exception_int_div_zero 0
	.end_amdhsa_kernel
	.section	.text._ZN7rocprim17ROCPRIM_400000_NS6detail17trampoline_kernelINS0_14default_configENS1_22reduce_config_selectorIiEEZNS1_11reduce_implILb1ES3_PiS7_iN6hipcub16HIPCUB_304000_NS6detail34convert_binary_result_type_wrapperINS9_3SumENS9_22TransformInputIteratorIbN2at6native12_GLOBAL__N_19NonZeroOpIsEEPKslEEiEEEE10hipError_tPvRmT1_T2_T3_mT4_P12ihipStream_tbEUlT_E0_NS1_11comp_targetILNS1_3genE2ELNS1_11target_archE906ELNS1_3gpuE6ELNS1_3repE0EEENS1_30default_config_static_selectorELNS0_4arch9wavefront6targetE0EEEvSQ_,"axG",@progbits,_ZN7rocprim17ROCPRIM_400000_NS6detail17trampoline_kernelINS0_14default_configENS1_22reduce_config_selectorIiEEZNS1_11reduce_implILb1ES3_PiS7_iN6hipcub16HIPCUB_304000_NS6detail34convert_binary_result_type_wrapperINS9_3SumENS9_22TransformInputIteratorIbN2at6native12_GLOBAL__N_19NonZeroOpIsEEPKslEEiEEEE10hipError_tPvRmT1_T2_T3_mT4_P12ihipStream_tbEUlT_E0_NS1_11comp_targetILNS1_3genE2ELNS1_11target_archE906ELNS1_3gpuE6ELNS1_3repE0EEENS1_30default_config_static_selectorELNS0_4arch9wavefront6targetE0EEEvSQ_,comdat
.Lfunc_end290:
	.size	_ZN7rocprim17ROCPRIM_400000_NS6detail17trampoline_kernelINS0_14default_configENS1_22reduce_config_selectorIiEEZNS1_11reduce_implILb1ES3_PiS7_iN6hipcub16HIPCUB_304000_NS6detail34convert_binary_result_type_wrapperINS9_3SumENS9_22TransformInputIteratorIbN2at6native12_GLOBAL__N_19NonZeroOpIsEEPKslEEiEEEE10hipError_tPvRmT1_T2_T3_mT4_P12ihipStream_tbEUlT_E0_NS1_11comp_targetILNS1_3genE2ELNS1_11target_archE906ELNS1_3gpuE6ELNS1_3repE0EEENS1_30default_config_static_selectorELNS0_4arch9wavefront6targetE0EEEvSQ_, .Lfunc_end290-_ZN7rocprim17ROCPRIM_400000_NS6detail17trampoline_kernelINS0_14default_configENS1_22reduce_config_selectorIiEEZNS1_11reduce_implILb1ES3_PiS7_iN6hipcub16HIPCUB_304000_NS6detail34convert_binary_result_type_wrapperINS9_3SumENS9_22TransformInputIteratorIbN2at6native12_GLOBAL__N_19NonZeroOpIsEEPKslEEiEEEE10hipError_tPvRmT1_T2_T3_mT4_P12ihipStream_tbEUlT_E0_NS1_11comp_targetILNS1_3genE2ELNS1_11target_archE906ELNS1_3gpuE6ELNS1_3repE0EEENS1_30default_config_static_selectorELNS0_4arch9wavefront6targetE0EEEvSQ_
                                        ; -- End function
	.section	.AMDGPU.csdata,"",@progbits
; Kernel info:
; codeLenInByte = 0
; NumSgprs: 0
; NumVgprs: 0
; ScratchSize: 0
; MemoryBound: 0
; FloatMode: 240
; IeeeMode: 1
; LDSByteSize: 0 bytes/workgroup (compile time only)
; SGPRBlocks: 0
; VGPRBlocks: 0
; NumSGPRsForWavesPerEU: 1
; NumVGPRsForWavesPerEU: 1
; Occupancy: 16
; WaveLimiterHint : 0
; COMPUTE_PGM_RSRC2:SCRATCH_EN: 0
; COMPUTE_PGM_RSRC2:USER_SGPR: 15
; COMPUTE_PGM_RSRC2:TRAP_HANDLER: 0
; COMPUTE_PGM_RSRC2:TGID_X_EN: 1
; COMPUTE_PGM_RSRC2:TGID_Y_EN: 0
; COMPUTE_PGM_RSRC2:TGID_Z_EN: 0
; COMPUTE_PGM_RSRC2:TIDIG_COMP_CNT: 0
	.section	.text._ZN7rocprim17ROCPRIM_400000_NS6detail17trampoline_kernelINS0_14default_configENS1_22reduce_config_selectorIiEEZNS1_11reduce_implILb1ES3_PiS7_iN6hipcub16HIPCUB_304000_NS6detail34convert_binary_result_type_wrapperINS9_3SumENS9_22TransformInputIteratorIbN2at6native12_GLOBAL__N_19NonZeroOpIsEEPKslEEiEEEE10hipError_tPvRmT1_T2_T3_mT4_P12ihipStream_tbEUlT_E0_NS1_11comp_targetILNS1_3genE10ELNS1_11target_archE1201ELNS1_3gpuE5ELNS1_3repE0EEENS1_30default_config_static_selectorELNS0_4arch9wavefront6targetE0EEEvSQ_,"axG",@progbits,_ZN7rocprim17ROCPRIM_400000_NS6detail17trampoline_kernelINS0_14default_configENS1_22reduce_config_selectorIiEEZNS1_11reduce_implILb1ES3_PiS7_iN6hipcub16HIPCUB_304000_NS6detail34convert_binary_result_type_wrapperINS9_3SumENS9_22TransformInputIteratorIbN2at6native12_GLOBAL__N_19NonZeroOpIsEEPKslEEiEEEE10hipError_tPvRmT1_T2_T3_mT4_P12ihipStream_tbEUlT_E0_NS1_11comp_targetILNS1_3genE10ELNS1_11target_archE1201ELNS1_3gpuE5ELNS1_3repE0EEENS1_30default_config_static_selectorELNS0_4arch9wavefront6targetE0EEEvSQ_,comdat
	.globl	_ZN7rocprim17ROCPRIM_400000_NS6detail17trampoline_kernelINS0_14default_configENS1_22reduce_config_selectorIiEEZNS1_11reduce_implILb1ES3_PiS7_iN6hipcub16HIPCUB_304000_NS6detail34convert_binary_result_type_wrapperINS9_3SumENS9_22TransformInputIteratorIbN2at6native12_GLOBAL__N_19NonZeroOpIsEEPKslEEiEEEE10hipError_tPvRmT1_T2_T3_mT4_P12ihipStream_tbEUlT_E0_NS1_11comp_targetILNS1_3genE10ELNS1_11target_archE1201ELNS1_3gpuE5ELNS1_3repE0EEENS1_30default_config_static_selectorELNS0_4arch9wavefront6targetE0EEEvSQ_ ; -- Begin function _ZN7rocprim17ROCPRIM_400000_NS6detail17trampoline_kernelINS0_14default_configENS1_22reduce_config_selectorIiEEZNS1_11reduce_implILb1ES3_PiS7_iN6hipcub16HIPCUB_304000_NS6detail34convert_binary_result_type_wrapperINS9_3SumENS9_22TransformInputIteratorIbN2at6native12_GLOBAL__N_19NonZeroOpIsEEPKslEEiEEEE10hipError_tPvRmT1_T2_T3_mT4_P12ihipStream_tbEUlT_E0_NS1_11comp_targetILNS1_3genE10ELNS1_11target_archE1201ELNS1_3gpuE5ELNS1_3repE0EEENS1_30default_config_static_selectorELNS0_4arch9wavefront6targetE0EEEvSQ_
	.p2align	8
	.type	_ZN7rocprim17ROCPRIM_400000_NS6detail17trampoline_kernelINS0_14default_configENS1_22reduce_config_selectorIiEEZNS1_11reduce_implILb1ES3_PiS7_iN6hipcub16HIPCUB_304000_NS6detail34convert_binary_result_type_wrapperINS9_3SumENS9_22TransformInputIteratorIbN2at6native12_GLOBAL__N_19NonZeroOpIsEEPKslEEiEEEE10hipError_tPvRmT1_T2_T3_mT4_P12ihipStream_tbEUlT_E0_NS1_11comp_targetILNS1_3genE10ELNS1_11target_archE1201ELNS1_3gpuE5ELNS1_3repE0EEENS1_30default_config_static_selectorELNS0_4arch9wavefront6targetE0EEEvSQ_,@function
_ZN7rocprim17ROCPRIM_400000_NS6detail17trampoline_kernelINS0_14default_configENS1_22reduce_config_selectorIiEEZNS1_11reduce_implILb1ES3_PiS7_iN6hipcub16HIPCUB_304000_NS6detail34convert_binary_result_type_wrapperINS9_3SumENS9_22TransformInputIteratorIbN2at6native12_GLOBAL__N_19NonZeroOpIsEEPKslEEiEEEE10hipError_tPvRmT1_T2_T3_mT4_P12ihipStream_tbEUlT_E0_NS1_11comp_targetILNS1_3genE10ELNS1_11target_archE1201ELNS1_3gpuE5ELNS1_3repE0EEENS1_30default_config_static_selectorELNS0_4arch9wavefront6targetE0EEEvSQ_: ; @_ZN7rocprim17ROCPRIM_400000_NS6detail17trampoline_kernelINS0_14default_configENS1_22reduce_config_selectorIiEEZNS1_11reduce_implILb1ES3_PiS7_iN6hipcub16HIPCUB_304000_NS6detail34convert_binary_result_type_wrapperINS9_3SumENS9_22TransformInputIteratorIbN2at6native12_GLOBAL__N_19NonZeroOpIsEEPKslEEiEEEE10hipError_tPvRmT1_T2_T3_mT4_P12ihipStream_tbEUlT_E0_NS1_11comp_targetILNS1_3genE10ELNS1_11target_archE1201ELNS1_3gpuE5ELNS1_3repE0EEENS1_30default_config_static_selectorELNS0_4arch9wavefront6targetE0EEEvSQ_
; %bb.0:
	.section	.rodata,"a",@progbits
	.p2align	6, 0x0
	.amdhsa_kernel _ZN7rocprim17ROCPRIM_400000_NS6detail17trampoline_kernelINS0_14default_configENS1_22reduce_config_selectorIiEEZNS1_11reduce_implILb1ES3_PiS7_iN6hipcub16HIPCUB_304000_NS6detail34convert_binary_result_type_wrapperINS9_3SumENS9_22TransformInputIteratorIbN2at6native12_GLOBAL__N_19NonZeroOpIsEEPKslEEiEEEE10hipError_tPvRmT1_T2_T3_mT4_P12ihipStream_tbEUlT_E0_NS1_11comp_targetILNS1_3genE10ELNS1_11target_archE1201ELNS1_3gpuE5ELNS1_3repE0EEENS1_30default_config_static_selectorELNS0_4arch9wavefront6targetE0EEEvSQ_
		.amdhsa_group_segment_fixed_size 0
		.amdhsa_private_segment_fixed_size 0
		.amdhsa_kernarg_size 56
		.amdhsa_user_sgpr_count 15
		.amdhsa_user_sgpr_dispatch_ptr 0
		.amdhsa_user_sgpr_queue_ptr 0
		.amdhsa_user_sgpr_kernarg_segment_ptr 1
		.amdhsa_user_sgpr_dispatch_id 0
		.amdhsa_user_sgpr_private_segment_size 0
		.amdhsa_wavefront_size32 1
		.amdhsa_uses_dynamic_stack 0
		.amdhsa_enable_private_segment 0
		.amdhsa_system_sgpr_workgroup_id_x 1
		.amdhsa_system_sgpr_workgroup_id_y 0
		.amdhsa_system_sgpr_workgroup_id_z 0
		.amdhsa_system_sgpr_workgroup_info 0
		.amdhsa_system_vgpr_workitem_id 0
		.amdhsa_next_free_vgpr 1
		.amdhsa_next_free_sgpr 1
		.amdhsa_reserve_vcc 0
		.amdhsa_float_round_mode_32 0
		.amdhsa_float_round_mode_16_64 0
		.amdhsa_float_denorm_mode_32 3
		.amdhsa_float_denorm_mode_16_64 3
		.amdhsa_dx10_clamp 1
		.amdhsa_ieee_mode 1
		.amdhsa_fp16_overflow 0
		.amdhsa_workgroup_processor_mode 1
		.amdhsa_memory_ordered 1
		.amdhsa_forward_progress 0
		.amdhsa_shared_vgpr_count 0
		.amdhsa_exception_fp_ieee_invalid_op 0
		.amdhsa_exception_fp_denorm_src 0
		.amdhsa_exception_fp_ieee_div_zero 0
		.amdhsa_exception_fp_ieee_overflow 0
		.amdhsa_exception_fp_ieee_underflow 0
		.amdhsa_exception_fp_ieee_inexact 0
		.amdhsa_exception_int_div_zero 0
	.end_amdhsa_kernel
	.section	.text._ZN7rocprim17ROCPRIM_400000_NS6detail17trampoline_kernelINS0_14default_configENS1_22reduce_config_selectorIiEEZNS1_11reduce_implILb1ES3_PiS7_iN6hipcub16HIPCUB_304000_NS6detail34convert_binary_result_type_wrapperINS9_3SumENS9_22TransformInputIteratorIbN2at6native12_GLOBAL__N_19NonZeroOpIsEEPKslEEiEEEE10hipError_tPvRmT1_T2_T3_mT4_P12ihipStream_tbEUlT_E0_NS1_11comp_targetILNS1_3genE10ELNS1_11target_archE1201ELNS1_3gpuE5ELNS1_3repE0EEENS1_30default_config_static_selectorELNS0_4arch9wavefront6targetE0EEEvSQ_,"axG",@progbits,_ZN7rocprim17ROCPRIM_400000_NS6detail17trampoline_kernelINS0_14default_configENS1_22reduce_config_selectorIiEEZNS1_11reduce_implILb1ES3_PiS7_iN6hipcub16HIPCUB_304000_NS6detail34convert_binary_result_type_wrapperINS9_3SumENS9_22TransformInputIteratorIbN2at6native12_GLOBAL__N_19NonZeroOpIsEEPKslEEiEEEE10hipError_tPvRmT1_T2_T3_mT4_P12ihipStream_tbEUlT_E0_NS1_11comp_targetILNS1_3genE10ELNS1_11target_archE1201ELNS1_3gpuE5ELNS1_3repE0EEENS1_30default_config_static_selectorELNS0_4arch9wavefront6targetE0EEEvSQ_,comdat
.Lfunc_end291:
	.size	_ZN7rocprim17ROCPRIM_400000_NS6detail17trampoline_kernelINS0_14default_configENS1_22reduce_config_selectorIiEEZNS1_11reduce_implILb1ES3_PiS7_iN6hipcub16HIPCUB_304000_NS6detail34convert_binary_result_type_wrapperINS9_3SumENS9_22TransformInputIteratorIbN2at6native12_GLOBAL__N_19NonZeroOpIsEEPKslEEiEEEE10hipError_tPvRmT1_T2_T3_mT4_P12ihipStream_tbEUlT_E0_NS1_11comp_targetILNS1_3genE10ELNS1_11target_archE1201ELNS1_3gpuE5ELNS1_3repE0EEENS1_30default_config_static_selectorELNS0_4arch9wavefront6targetE0EEEvSQ_, .Lfunc_end291-_ZN7rocprim17ROCPRIM_400000_NS6detail17trampoline_kernelINS0_14default_configENS1_22reduce_config_selectorIiEEZNS1_11reduce_implILb1ES3_PiS7_iN6hipcub16HIPCUB_304000_NS6detail34convert_binary_result_type_wrapperINS9_3SumENS9_22TransformInputIteratorIbN2at6native12_GLOBAL__N_19NonZeroOpIsEEPKslEEiEEEE10hipError_tPvRmT1_T2_T3_mT4_P12ihipStream_tbEUlT_E0_NS1_11comp_targetILNS1_3genE10ELNS1_11target_archE1201ELNS1_3gpuE5ELNS1_3repE0EEENS1_30default_config_static_selectorELNS0_4arch9wavefront6targetE0EEEvSQ_
                                        ; -- End function
	.section	.AMDGPU.csdata,"",@progbits
; Kernel info:
; codeLenInByte = 0
; NumSgprs: 0
; NumVgprs: 0
; ScratchSize: 0
; MemoryBound: 0
; FloatMode: 240
; IeeeMode: 1
; LDSByteSize: 0 bytes/workgroup (compile time only)
; SGPRBlocks: 0
; VGPRBlocks: 0
; NumSGPRsForWavesPerEU: 1
; NumVGPRsForWavesPerEU: 1
; Occupancy: 16
; WaveLimiterHint : 0
; COMPUTE_PGM_RSRC2:SCRATCH_EN: 0
; COMPUTE_PGM_RSRC2:USER_SGPR: 15
; COMPUTE_PGM_RSRC2:TRAP_HANDLER: 0
; COMPUTE_PGM_RSRC2:TGID_X_EN: 1
; COMPUTE_PGM_RSRC2:TGID_Y_EN: 0
; COMPUTE_PGM_RSRC2:TGID_Z_EN: 0
; COMPUTE_PGM_RSRC2:TIDIG_COMP_CNT: 0
	.section	.text._ZN7rocprim17ROCPRIM_400000_NS6detail17trampoline_kernelINS0_14default_configENS1_22reduce_config_selectorIiEEZNS1_11reduce_implILb1ES3_PiS7_iN6hipcub16HIPCUB_304000_NS6detail34convert_binary_result_type_wrapperINS9_3SumENS9_22TransformInputIteratorIbN2at6native12_GLOBAL__N_19NonZeroOpIsEEPKslEEiEEEE10hipError_tPvRmT1_T2_T3_mT4_P12ihipStream_tbEUlT_E0_NS1_11comp_targetILNS1_3genE10ELNS1_11target_archE1200ELNS1_3gpuE4ELNS1_3repE0EEENS1_30default_config_static_selectorELNS0_4arch9wavefront6targetE0EEEvSQ_,"axG",@progbits,_ZN7rocprim17ROCPRIM_400000_NS6detail17trampoline_kernelINS0_14default_configENS1_22reduce_config_selectorIiEEZNS1_11reduce_implILb1ES3_PiS7_iN6hipcub16HIPCUB_304000_NS6detail34convert_binary_result_type_wrapperINS9_3SumENS9_22TransformInputIteratorIbN2at6native12_GLOBAL__N_19NonZeroOpIsEEPKslEEiEEEE10hipError_tPvRmT1_T2_T3_mT4_P12ihipStream_tbEUlT_E0_NS1_11comp_targetILNS1_3genE10ELNS1_11target_archE1200ELNS1_3gpuE4ELNS1_3repE0EEENS1_30default_config_static_selectorELNS0_4arch9wavefront6targetE0EEEvSQ_,comdat
	.globl	_ZN7rocprim17ROCPRIM_400000_NS6detail17trampoline_kernelINS0_14default_configENS1_22reduce_config_selectorIiEEZNS1_11reduce_implILb1ES3_PiS7_iN6hipcub16HIPCUB_304000_NS6detail34convert_binary_result_type_wrapperINS9_3SumENS9_22TransformInputIteratorIbN2at6native12_GLOBAL__N_19NonZeroOpIsEEPKslEEiEEEE10hipError_tPvRmT1_T2_T3_mT4_P12ihipStream_tbEUlT_E0_NS1_11comp_targetILNS1_3genE10ELNS1_11target_archE1200ELNS1_3gpuE4ELNS1_3repE0EEENS1_30default_config_static_selectorELNS0_4arch9wavefront6targetE0EEEvSQ_ ; -- Begin function _ZN7rocprim17ROCPRIM_400000_NS6detail17trampoline_kernelINS0_14default_configENS1_22reduce_config_selectorIiEEZNS1_11reduce_implILb1ES3_PiS7_iN6hipcub16HIPCUB_304000_NS6detail34convert_binary_result_type_wrapperINS9_3SumENS9_22TransformInputIteratorIbN2at6native12_GLOBAL__N_19NonZeroOpIsEEPKslEEiEEEE10hipError_tPvRmT1_T2_T3_mT4_P12ihipStream_tbEUlT_E0_NS1_11comp_targetILNS1_3genE10ELNS1_11target_archE1200ELNS1_3gpuE4ELNS1_3repE0EEENS1_30default_config_static_selectorELNS0_4arch9wavefront6targetE0EEEvSQ_
	.p2align	8
	.type	_ZN7rocprim17ROCPRIM_400000_NS6detail17trampoline_kernelINS0_14default_configENS1_22reduce_config_selectorIiEEZNS1_11reduce_implILb1ES3_PiS7_iN6hipcub16HIPCUB_304000_NS6detail34convert_binary_result_type_wrapperINS9_3SumENS9_22TransformInputIteratorIbN2at6native12_GLOBAL__N_19NonZeroOpIsEEPKslEEiEEEE10hipError_tPvRmT1_T2_T3_mT4_P12ihipStream_tbEUlT_E0_NS1_11comp_targetILNS1_3genE10ELNS1_11target_archE1200ELNS1_3gpuE4ELNS1_3repE0EEENS1_30default_config_static_selectorELNS0_4arch9wavefront6targetE0EEEvSQ_,@function
_ZN7rocprim17ROCPRIM_400000_NS6detail17trampoline_kernelINS0_14default_configENS1_22reduce_config_selectorIiEEZNS1_11reduce_implILb1ES3_PiS7_iN6hipcub16HIPCUB_304000_NS6detail34convert_binary_result_type_wrapperINS9_3SumENS9_22TransformInputIteratorIbN2at6native12_GLOBAL__N_19NonZeroOpIsEEPKslEEiEEEE10hipError_tPvRmT1_T2_T3_mT4_P12ihipStream_tbEUlT_E0_NS1_11comp_targetILNS1_3genE10ELNS1_11target_archE1200ELNS1_3gpuE4ELNS1_3repE0EEENS1_30default_config_static_selectorELNS0_4arch9wavefront6targetE0EEEvSQ_: ; @_ZN7rocprim17ROCPRIM_400000_NS6detail17trampoline_kernelINS0_14default_configENS1_22reduce_config_selectorIiEEZNS1_11reduce_implILb1ES3_PiS7_iN6hipcub16HIPCUB_304000_NS6detail34convert_binary_result_type_wrapperINS9_3SumENS9_22TransformInputIteratorIbN2at6native12_GLOBAL__N_19NonZeroOpIsEEPKslEEiEEEE10hipError_tPvRmT1_T2_T3_mT4_P12ihipStream_tbEUlT_E0_NS1_11comp_targetILNS1_3genE10ELNS1_11target_archE1200ELNS1_3gpuE4ELNS1_3repE0EEENS1_30default_config_static_selectorELNS0_4arch9wavefront6targetE0EEEvSQ_
; %bb.0:
	.section	.rodata,"a",@progbits
	.p2align	6, 0x0
	.amdhsa_kernel _ZN7rocprim17ROCPRIM_400000_NS6detail17trampoline_kernelINS0_14default_configENS1_22reduce_config_selectorIiEEZNS1_11reduce_implILb1ES3_PiS7_iN6hipcub16HIPCUB_304000_NS6detail34convert_binary_result_type_wrapperINS9_3SumENS9_22TransformInputIteratorIbN2at6native12_GLOBAL__N_19NonZeroOpIsEEPKslEEiEEEE10hipError_tPvRmT1_T2_T3_mT4_P12ihipStream_tbEUlT_E0_NS1_11comp_targetILNS1_3genE10ELNS1_11target_archE1200ELNS1_3gpuE4ELNS1_3repE0EEENS1_30default_config_static_selectorELNS0_4arch9wavefront6targetE0EEEvSQ_
		.amdhsa_group_segment_fixed_size 0
		.amdhsa_private_segment_fixed_size 0
		.amdhsa_kernarg_size 56
		.amdhsa_user_sgpr_count 15
		.amdhsa_user_sgpr_dispatch_ptr 0
		.amdhsa_user_sgpr_queue_ptr 0
		.amdhsa_user_sgpr_kernarg_segment_ptr 1
		.amdhsa_user_sgpr_dispatch_id 0
		.amdhsa_user_sgpr_private_segment_size 0
		.amdhsa_wavefront_size32 1
		.amdhsa_uses_dynamic_stack 0
		.amdhsa_enable_private_segment 0
		.amdhsa_system_sgpr_workgroup_id_x 1
		.amdhsa_system_sgpr_workgroup_id_y 0
		.amdhsa_system_sgpr_workgroup_id_z 0
		.amdhsa_system_sgpr_workgroup_info 0
		.amdhsa_system_vgpr_workitem_id 0
		.amdhsa_next_free_vgpr 1
		.amdhsa_next_free_sgpr 1
		.amdhsa_reserve_vcc 0
		.amdhsa_float_round_mode_32 0
		.amdhsa_float_round_mode_16_64 0
		.amdhsa_float_denorm_mode_32 3
		.amdhsa_float_denorm_mode_16_64 3
		.amdhsa_dx10_clamp 1
		.amdhsa_ieee_mode 1
		.amdhsa_fp16_overflow 0
		.amdhsa_workgroup_processor_mode 1
		.amdhsa_memory_ordered 1
		.amdhsa_forward_progress 0
		.amdhsa_shared_vgpr_count 0
		.amdhsa_exception_fp_ieee_invalid_op 0
		.amdhsa_exception_fp_denorm_src 0
		.amdhsa_exception_fp_ieee_div_zero 0
		.amdhsa_exception_fp_ieee_overflow 0
		.amdhsa_exception_fp_ieee_underflow 0
		.amdhsa_exception_fp_ieee_inexact 0
		.amdhsa_exception_int_div_zero 0
	.end_amdhsa_kernel
	.section	.text._ZN7rocprim17ROCPRIM_400000_NS6detail17trampoline_kernelINS0_14default_configENS1_22reduce_config_selectorIiEEZNS1_11reduce_implILb1ES3_PiS7_iN6hipcub16HIPCUB_304000_NS6detail34convert_binary_result_type_wrapperINS9_3SumENS9_22TransformInputIteratorIbN2at6native12_GLOBAL__N_19NonZeroOpIsEEPKslEEiEEEE10hipError_tPvRmT1_T2_T3_mT4_P12ihipStream_tbEUlT_E0_NS1_11comp_targetILNS1_3genE10ELNS1_11target_archE1200ELNS1_3gpuE4ELNS1_3repE0EEENS1_30default_config_static_selectorELNS0_4arch9wavefront6targetE0EEEvSQ_,"axG",@progbits,_ZN7rocprim17ROCPRIM_400000_NS6detail17trampoline_kernelINS0_14default_configENS1_22reduce_config_selectorIiEEZNS1_11reduce_implILb1ES3_PiS7_iN6hipcub16HIPCUB_304000_NS6detail34convert_binary_result_type_wrapperINS9_3SumENS9_22TransformInputIteratorIbN2at6native12_GLOBAL__N_19NonZeroOpIsEEPKslEEiEEEE10hipError_tPvRmT1_T2_T3_mT4_P12ihipStream_tbEUlT_E0_NS1_11comp_targetILNS1_3genE10ELNS1_11target_archE1200ELNS1_3gpuE4ELNS1_3repE0EEENS1_30default_config_static_selectorELNS0_4arch9wavefront6targetE0EEEvSQ_,comdat
.Lfunc_end292:
	.size	_ZN7rocprim17ROCPRIM_400000_NS6detail17trampoline_kernelINS0_14default_configENS1_22reduce_config_selectorIiEEZNS1_11reduce_implILb1ES3_PiS7_iN6hipcub16HIPCUB_304000_NS6detail34convert_binary_result_type_wrapperINS9_3SumENS9_22TransformInputIteratorIbN2at6native12_GLOBAL__N_19NonZeroOpIsEEPKslEEiEEEE10hipError_tPvRmT1_T2_T3_mT4_P12ihipStream_tbEUlT_E0_NS1_11comp_targetILNS1_3genE10ELNS1_11target_archE1200ELNS1_3gpuE4ELNS1_3repE0EEENS1_30default_config_static_selectorELNS0_4arch9wavefront6targetE0EEEvSQ_, .Lfunc_end292-_ZN7rocprim17ROCPRIM_400000_NS6detail17trampoline_kernelINS0_14default_configENS1_22reduce_config_selectorIiEEZNS1_11reduce_implILb1ES3_PiS7_iN6hipcub16HIPCUB_304000_NS6detail34convert_binary_result_type_wrapperINS9_3SumENS9_22TransformInputIteratorIbN2at6native12_GLOBAL__N_19NonZeroOpIsEEPKslEEiEEEE10hipError_tPvRmT1_T2_T3_mT4_P12ihipStream_tbEUlT_E0_NS1_11comp_targetILNS1_3genE10ELNS1_11target_archE1200ELNS1_3gpuE4ELNS1_3repE0EEENS1_30default_config_static_selectorELNS0_4arch9wavefront6targetE0EEEvSQ_
                                        ; -- End function
	.section	.AMDGPU.csdata,"",@progbits
; Kernel info:
; codeLenInByte = 0
; NumSgprs: 0
; NumVgprs: 0
; ScratchSize: 0
; MemoryBound: 0
; FloatMode: 240
; IeeeMode: 1
; LDSByteSize: 0 bytes/workgroup (compile time only)
; SGPRBlocks: 0
; VGPRBlocks: 0
; NumSGPRsForWavesPerEU: 1
; NumVGPRsForWavesPerEU: 1
; Occupancy: 16
; WaveLimiterHint : 0
; COMPUTE_PGM_RSRC2:SCRATCH_EN: 0
; COMPUTE_PGM_RSRC2:USER_SGPR: 15
; COMPUTE_PGM_RSRC2:TRAP_HANDLER: 0
; COMPUTE_PGM_RSRC2:TGID_X_EN: 1
; COMPUTE_PGM_RSRC2:TGID_Y_EN: 0
; COMPUTE_PGM_RSRC2:TGID_Z_EN: 0
; COMPUTE_PGM_RSRC2:TIDIG_COMP_CNT: 0
	.section	.text._ZN7rocprim17ROCPRIM_400000_NS6detail17trampoline_kernelINS0_14default_configENS1_22reduce_config_selectorIiEEZNS1_11reduce_implILb1ES3_PiS7_iN6hipcub16HIPCUB_304000_NS6detail34convert_binary_result_type_wrapperINS9_3SumENS9_22TransformInputIteratorIbN2at6native12_GLOBAL__N_19NonZeroOpIsEEPKslEEiEEEE10hipError_tPvRmT1_T2_T3_mT4_P12ihipStream_tbEUlT_E0_NS1_11comp_targetILNS1_3genE9ELNS1_11target_archE1100ELNS1_3gpuE3ELNS1_3repE0EEENS1_30default_config_static_selectorELNS0_4arch9wavefront6targetE0EEEvSQ_,"axG",@progbits,_ZN7rocprim17ROCPRIM_400000_NS6detail17trampoline_kernelINS0_14default_configENS1_22reduce_config_selectorIiEEZNS1_11reduce_implILb1ES3_PiS7_iN6hipcub16HIPCUB_304000_NS6detail34convert_binary_result_type_wrapperINS9_3SumENS9_22TransformInputIteratorIbN2at6native12_GLOBAL__N_19NonZeroOpIsEEPKslEEiEEEE10hipError_tPvRmT1_T2_T3_mT4_P12ihipStream_tbEUlT_E0_NS1_11comp_targetILNS1_3genE9ELNS1_11target_archE1100ELNS1_3gpuE3ELNS1_3repE0EEENS1_30default_config_static_selectorELNS0_4arch9wavefront6targetE0EEEvSQ_,comdat
	.globl	_ZN7rocprim17ROCPRIM_400000_NS6detail17trampoline_kernelINS0_14default_configENS1_22reduce_config_selectorIiEEZNS1_11reduce_implILb1ES3_PiS7_iN6hipcub16HIPCUB_304000_NS6detail34convert_binary_result_type_wrapperINS9_3SumENS9_22TransformInputIteratorIbN2at6native12_GLOBAL__N_19NonZeroOpIsEEPKslEEiEEEE10hipError_tPvRmT1_T2_T3_mT4_P12ihipStream_tbEUlT_E0_NS1_11comp_targetILNS1_3genE9ELNS1_11target_archE1100ELNS1_3gpuE3ELNS1_3repE0EEENS1_30default_config_static_selectorELNS0_4arch9wavefront6targetE0EEEvSQ_ ; -- Begin function _ZN7rocprim17ROCPRIM_400000_NS6detail17trampoline_kernelINS0_14default_configENS1_22reduce_config_selectorIiEEZNS1_11reduce_implILb1ES3_PiS7_iN6hipcub16HIPCUB_304000_NS6detail34convert_binary_result_type_wrapperINS9_3SumENS9_22TransformInputIteratorIbN2at6native12_GLOBAL__N_19NonZeroOpIsEEPKslEEiEEEE10hipError_tPvRmT1_T2_T3_mT4_P12ihipStream_tbEUlT_E0_NS1_11comp_targetILNS1_3genE9ELNS1_11target_archE1100ELNS1_3gpuE3ELNS1_3repE0EEENS1_30default_config_static_selectorELNS0_4arch9wavefront6targetE0EEEvSQ_
	.p2align	8
	.type	_ZN7rocprim17ROCPRIM_400000_NS6detail17trampoline_kernelINS0_14default_configENS1_22reduce_config_selectorIiEEZNS1_11reduce_implILb1ES3_PiS7_iN6hipcub16HIPCUB_304000_NS6detail34convert_binary_result_type_wrapperINS9_3SumENS9_22TransformInputIteratorIbN2at6native12_GLOBAL__N_19NonZeroOpIsEEPKslEEiEEEE10hipError_tPvRmT1_T2_T3_mT4_P12ihipStream_tbEUlT_E0_NS1_11comp_targetILNS1_3genE9ELNS1_11target_archE1100ELNS1_3gpuE3ELNS1_3repE0EEENS1_30default_config_static_selectorELNS0_4arch9wavefront6targetE0EEEvSQ_,@function
_ZN7rocprim17ROCPRIM_400000_NS6detail17trampoline_kernelINS0_14default_configENS1_22reduce_config_selectorIiEEZNS1_11reduce_implILb1ES3_PiS7_iN6hipcub16HIPCUB_304000_NS6detail34convert_binary_result_type_wrapperINS9_3SumENS9_22TransformInputIteratorIbN2at6native12_GLOBAL__N_19NonZeroOpIsEEPKslEEiEEEE10hipError_tPvRmT1_T2_T3_mT4_P12ihipStream_tbEUlT_E0_NS1_11comp_targetILNS1_3genE9ELNS1_11target_archE1100ELNS1_3gpuE3ELNS1_3repE0EEENS1_30default_config_static_selectorELNS0_4arch9wavefront6targetE0EEEvSQ_: ; @_ZN7rocprim17ROCPRIM_400000_NS6detail17trampoline_kernelINS0_14default_configENS1_22reduce_config_selectorIiEEZNS1_11reduce_implILb1ES3_PiS7_iN6hipcub16HIPCUB_304000_NS6detail34convert_binary_result_type_wrapperINS9_3SumENS9_22TransformInputIteratorIbN2at6native12_GLOBAL__N_19NonZeroOpIsEEPKslEEiEEEE10hipError_tPvRmT1_T2_T3_mT4_P12ihipStream_tbEUlT_E0_NS1_11comp_targetILNS1_3genE9ELNS1_11target_archE1100ELNS1_3gpuE3ELNS1_3repE0EEENS1_30default_config_static_selectorELNS0_4arch9wavefront6targetE0EEEvSQ_
; %bb.0:
	s_mov_b32 s16, s15
	s_clause 0x1
	s_load_b256 s[4:11], s[0:1], 0x0
	s_load_b128 s[12:15], s[0:1], 0x20
	s_mov_b32 s3, 0
	v_lshlrev_b32_e32 v10, 2, v0
	v_mbcnt_lo_u32_b32 v9, -1, 0
	s_mov_b32 s17, s3
	s_waitcnt lgkmcnt(0)
	s_lshl_b64 s[6:7], s[6:7], 2
	s_delay_alu instid0(SALU_CYCLE_1) | instskip(SKIP_4) | instid1(SALU_CYCLE_1)
	s_add_u32 s18, s4, s6
	s_addc_u32 s19, s5, s7
	s_lshl_b32 s2, s16, 11
	s_lshr_b64 s[6:7], s[8:9], 11
	s_lshl_b64 s[4:5], s[2:3], 2
	s_add_u32 s18, s18, s4
	s_addc_u32 s19, s19, s5
	s_cmp_lg_u64 s[6:7], s[16:17]
	s_cbranch_scc0 .LBB293_6
; %bb.1:
	v_add_co_u32 v1, s3, s18, v10
	s_clause 0x1
	global_load_b32 v3, v10, s[18:19]
	global_load_b32 v4, v10, s[18:19] offset:1024
	v_add_co_ci_u32_e64 v2, null, s19, 0, s3
	v_add_co_u32 v1, vcc_lo, 0x1000, v1
	s_mov_b32 s3, exec_lo
	s_delay_alu instid0(VALU_DEP_2)
	v_add_co_ci_u32_e32 v2, vcc_lo, 0, v2, vcc_lo
	s_clause 0x5
	global_load_b32 v5, v10, s[18:19] offset:2048
	global_load_b32 v6, v10, s[18:19] offset:3072
	global_load_b32 v7, v[1:2], off
	global_load_b32 v8, v[1:2], off offset:1024
	global_load_b32 v11, v[1:2], off offset:2048
	global_load_b32 v1, v[1:2], off offset:3072
	s_waitcnt vmcnt(6)
	v_dual_mov_b32 v3, 0 :: v_dual_add_nc_u32 v2, v4, v3
	s_waitcnt vmcnt(4)
	s_delay_alu instid0(VALU_DEP_1) | instskip(SKIP_1) | instid1(VALU_DEP_1)
	v_add3_u32 v2, v2, v5, v6
	s_waitcnt vmcnt(2)
	v_add3_u32 v2, v2, v7, v8
	s_waitcnt vmcnt(0)
	s_delay_alu instid0(VALU_DEP_1) | instskip(NEXT) | instid1(VALU_DEP_1)
	v_add3_u32 v1, v2, v11, v1
	v_mov_b32_dpp v2, v1 quad_perm:[1,0,3,2] row_mask:0xf bank_mask:0xf
	s_delay_alu instid0(VALU_DEP_1) | instskip(NEXT) | instid1(VALU_DEP_1)
	v_add_nc_u32_e32 v1, v2, v1
	v_mov_b32_dpp v2, v1 quad_perm:[2,3,0,1] row_mask:0xf bank_mask:0xf
	s_delay_alu instid0(VALU_DEP_1) | instskip(NEXT) | instid1(VALU_DEP_1)
	v_add_nc_u32_e32 v1, v1, v2
	v_mov_b32_dpp v2, v1 row_ror:4 row_mask:0xf bank_mask:0xf
	s_delay_alu instid0(VALU_DEP_1) | instskip(NEXT) | instid1(VALU_DEP_1)
	v_add_nc_u32_e32 v1, v1, v2
	v_mov_b32_dpp v2, v1 row_ror:8 row_mask:0xf bank_mask:0xf
	s_delay_alu instid0(VALU_DEP_1)
	v_add_nc_u32_e32 v1, v1, v2
	ds_swizzle_b32 v2, v1 offset:swizzle(BROADCAST,32,15)
	s_waitcnt lgkmcnt(0)
	v_add_nc_u32_e32 v1, v1, v2
	ds_bpermute_b32 v1, v3, v1 offset:124
	v_cmpx_eq_u32_e32 0, v9
	s_cbranch_execz .LBB293_3
; %bb.2:
	v_lshrrev_b32_e32 v2, 3, v0
	s_delay_alu instid0(VALU_DEP_1)
	v_and_b32_e32 v2, 28, v2
	s_waitcnt lgkmcnt(0)
	ds_store_b32 v2, v1
.LBB293_3:
	s_or_b32 exec_lo, exec_lo, s3
	s_delay_alu instid0(SALU_CYCLE_1)
	s_mov_b32 s3, exec_lo
	s_waitcnt lgkmcnt(0)
	s_barrier
	buffer_gl0_inv
	v_cmpx_gt_u32_e32 32, v0
	s_cbranch_execz .LBB293_5
; %bb.4:
	v_and_b32_e32 v1, 7, v9
	s_delay_alu instid0(VALU_DEP_1) | instskip(SKIP_4) | instid1(VALU_DEP_2)
	v_lshlrev_b32_e32 v2, 2, v1
	v_cmp_ne_u32_e32 vcc_lo, 7, v1
	ds_load_b32 v2, v2
	v_add_co_ci_u32_e32 v3, vcc_lo, 0, v9, vcc_lo
	v_cmp_gt_u32_e32 vcc_lo, 6, v1
	v_lshlrev_b32_e32 v3, 2, v3
	v_cndmask_b32_e64 v4, 0, 1, vcc_lo
	v_cmp_gt_u32_e32 vcc_lo, 4, v1
	s_delay_alu instid0(VALU_DEP_2) | instskip(SKIP_1) | instid1(VALU_DEP_2)
	v_lshlrev_b32_e32 v4, 1, v4
	v_cndmask_b32_e64 v1, 0, 1, vcc_lo
	v_add_lshl_u32 v4, v4, v9, 2
	s_delay_alu instid0(VALU_DEP_2)
	v_lshlrev_b32_e32 v1, 2, v1
	s_waitcnt lgkmcnt(0)
	ds_bpermute_b32 v3, v3, v2
	v_add_lshl_u32 v1, v1, v9, 2
	s_waitcnt lgkmcnt(0)
	v_add_nc_u32_e32 v2, v3, v2
	ds_bpermute_b32 v3, v4, v2
	s_waitcnt lgkmcnt(0)
	v_add_nc_u32_e32 v2, v3, v2
	ds_bpermute_b32 v1, v1, v2
	s_waitcnt lgkmcnt(0)
	v_add_nc_u32_e32 v1, v1, v2
.LBB293_5:
	s_or_b32 exec_lo, exec_lo, s3
	s_branch .LBB293_28
.LBB293_6:
                                        ; implicit-def: $vgpr1
	s_cbranch_execz .LBB293_28
; %bb.7:
	s_sub_i32 s20, s8, s2
	s_mov_b32 s2, exec_lo
                                        ; implicit-def: $vgpr1_vgpr2_vgpr3_vgpr4_vgpr5_vgpr6_vgpr7_vgpr8
	v_cmpx_gt_u32_e64 s20, v0
	s_cbranch_execz .LBB293_9
; %bb.8:
	global_load_b32 v1, v10, s[18:19]
.LBB293_9:
	s_or_b32 exec_lo, exec_lo, s2
	v_or_b32_e32 v11, 0x100, v0
	s_delay_alu instid0(VALU_DEP_1)
	v_cmp_gt_u32_e32 vcc_lo, s20, v11
	s_and_saveexec_b32 s2, vcc_lo
	s_cbranch_execz .LBB293_11
; %bb.10:
	global_load_b32 v2, v10, s[18:19] offset:1024
.LBB293_11:
	s_or_b32 exec_lo, exec_lo, s2
	v_or_b32_e32 v11, 0x200, v0
	s_delay_alu instid0(VALU_DEP_1) | instskip(NEXT) | instid1(VALU_DEP_1)
	v_cmp_gt_u32_e64 s2, s20, v11
	s_and_saveexec_b32 s3, s2
	s_cbranch_execz .LBB293_13
; %bb.12:
	global_load_b32 v3, v10, s[18:19] offset:2048
.LBB293_13:
	s_or_b32 exec_lo, exec_lo, s3
	v_or_b32_e32 v11, 0x300, v0
	s_delay_alu instid0(VALU_DEP_1) | instskip(NEXT) | instid1(VALU_DEP_1)
	v_cmp_gt_u32_e64 s3, s20, v11
	s_and_saveexec_b32 s4, s3
	;; [unrolled: 9-line block ×3, first 2 shown]
	s_cbranch_execz .LBB293_17
; %bb.16:
	v_lshlrev_b32_e32 v5, 2, v10
	global_load_b32 v5, v5, s[18:19]
.LBB293_17:
	s_or_b32 exec_lo, exec_lo, s5
	v_or_b32_e32 v10, 0x500, v0
	s_delay_alu instid0(VALU_DEP_1) | instskip(NEXT) | instid1(VALU_DEP_1)
	v_cmp_gt_u32_e64 s5, s20, v10
	s_and_saveexec_b32 s6, s5
	s_cbranch_execz .LBB293_19
; %bb.18:
	v_lshlrev_b32_e32 v6, 2, v10
	global_load_b32 v6, v6, s[18:19]
.LBB293_19:
	s_or_b32 exec_lo, exec_lo, s6
	v_or_b32_e32 v10, 0x600, v0
	s_delay_alu instid0(VALU_DEP_1) | instskip(NEXT) | instid1(VALU_DEP_1)
	v_cmp_gt_u32_e64 s6, s20, v10
	s_and_saveexec_b32 s7, s6
	s_cbranch_execz .LBB293_21
; %bb.20:
	v_lshlrev_b32_e32 v7, 2, v10
	global_load_b32 v7, v7, s[18:19]
.LBB293_21:
	s_or_b32 exec_lo, exec_lo, s7
	v_or_b32_e32 v10, 0x700, v0
	s_delay_alu instid0(VALU_DEP_1) | instskip(NEXT) | instid1(VALU_DEP_1)
	v_cmp_gt_u32_e64 s7, s20, v10
	s_and_saveexec_b32 s21, s7
	s_cbranch_execz .LBB293_23
; %bb.22:
	v_lshlrev_b32_e32 v8, 2, v10
	global_load_b32 v8, v8, s[18:19]
.LBB293_23:
	s_or_b32 exec_lo, exec_lo, s21
	s_waitcnt vmcnt(0)
	v_cndmask_b32_e32 v2, 0, v2, vcc_lo
	v_cndmask_b32_e64 v3, 0, v3, s2
	v_cndmask_b32_e64 v4, 0, v4, s3
	v_cmp_ne_u32_e32 vcc_lo, 31, v9
	s_min_u32 s2, s20, 0x100
	v_add_nc_u32_e32 v1, v2, v1
	v_cndmask_b32_e64 v2, 0, v5, s4
	v_cndmask_b32_e64 v5, 0, v6, s5
	;; [unrolled: 1-line block ×3, first 2 shown]
	s_mov_b32 s3, exec_lo
	v_add3_u32 v1, v1, v3, v4
	v_cndmask_b32_e64 v3, 0, v8, s7
	v_add_co_ci_u32_e32 v4, vcc_lo, 0, v9, vcc_lo
	v_cmp_gt_u32_e32 vcc_lo, 30, v9
	s_delay_alu instid0(VALU_DEP_4) | instskip(NEXT) | instid1(VALU_DEP_3)
	v_add3_u32 v1, v1, v2, v5
	v_lshlrev_b32_e32 v2, 2, v4
	v_add_nc_u32_e32 v4, 1, v9
	v_cndmask_b32_e64 v5, 0, 1, vcc_lo
	s_delay_alu instid0(VALU_DEP_4) | instskip(SKIP_1) | instid1(VALU_DEP_3)
	v_add3_u32 v1, v1, v6, v3
	v_and_b32_e32 v3, 0xe0, v0
	v_lshlrev_b32_e32 v5, 1, v5
	ds_bpermute_b32 v2, v2, v1
	v_sub_nc_u32_e64 v3, s2, v3 clamp
	s_delay_alu instid0(VALU_DEP_1) | instskip(SKIP_4) | instid1(VALU_DEP_2)
	v_cmp_lt_u32_e32 vcc_lo, v4, v3
	v_add_lshl_u32 v4, v5, v9, 2
	s_waitcnt lgkmcnt(0)
	v_dual_cndmask_b32 v2, 0, v2 :: v_dual_add_nc_u32 v5, 2, v9
	v_cmp_gt_u32_e32 vcc_lo, 28, v9
	v_add_nc_u32_e32 v1, v1, v2
	ds_bpermute_b32 v2, v4, v1
	v_cndmask_b32_e64 v4, 0, 1, vcc_lo
	v_cmp_lt_u32_e32 vcc_lo, v5, v3
	v_add_nc_u32_e32 v5, 4, v9
	s_delay_alu instid0(VALU_DEP_3) | instskip(NEXT) | instid1(VALU_DEP_1)
	v_lshlrev_b32_e32 v4, 2, v4
	v_add_lshl_u32 v4, v4, v9, 2
	s_waitcnt lgkmcnt(0)
	v_cndmask_b32_e32 v2, 0, v2, vcc_lo
	v_cmp_gt_u32_e32 vcc_lo, 24, v9
	s_delay_alu instid0(VALU_DEP_2) | instskip(SKIP_4) | instid1(VALU_DEP_3)
	v_add_nc_u32_e32 v1, v1, v2
	ds_bpermute_b32 v2, v4, v1
	v_cndmask_b32_e64 v4, 0, 1, vcc_lo
	v_cmp_lt_u32_e32 vcc_lo, v5, v3
	v_add_nc_u32_e32 v5, 8, v9
	v_lshlrev_b32_e32 v4, 3, v4
	s_delay_alu instid0(VALU_DEP_1) | instskip(SKIP_3) | instid1(VALU_DEP_2)
	v_add_lshl_u32 v4, v4, v9, 2
	s_waitcnt lgkmcnt(0)
	v_cndmask_b32_e32 v2, 0, v2, vcc_lo
	v_cmp_gt_u32_e32 vcc_lo, 16, v9
	v_add_nc_u32_e32 v1, v1, v2
	ds_bpermute_b32 v2, v4, v1
	v_cndmask_b32_e64 v4, 0, 1, vcc_lo
	v_cmp_lt_u32_e32 vcc_lo, v5, v3
	s_delay_alu instid0(VALU_DEP_2) | instskip(NEXT) | instid1(VALU_DEP_1)
	v_lshlrev_b32_e32 v4, 4, v4
	v_add_lshl_u32 v4, v4, v9, 2
	s_waitcnt lgkmcnt(0)
	v_cndmask_b32_e32 v2, 0, v2, vcc_lo
	s_delay_alu instid0(VALU_DEP_1) | instskip(SKIP_2) | instid1(VALU_DEP_1)
	v_add_nc_u32_e32 v1, v1, v2
	ds_bpermute_b32 v2, v4, v1
	v_add_nc_u32_e32 v4, 16, v9
	v_cmp_lt_u32_e32 vcc_lo, v4, v3
	s_waitcnt lgkmcnt(0)
	v_cndmask_b32_e32 v2, 0, v2, vcc_lo
	s_delay_alu instid0(VALU_DEP_1)
	v_add_nc_u32_e32 v1, v1, v2
	v_cmpx_eq_u32_e32 0, v9
	s_cbranch_execz .LBB293_25
; %bb.24:
	v_lshrrev_b32_e32 v2, 3, v0
	s_delay_alu instid0(VALU_DEP_1)
	v_and_b32_e32 v2, 28, v2
	ds_store_b32 v2, v1 offset:32
.LBB293_25:
	s_or_b32 exec_lo, exec_lo, s3
	s_delay_alu instid0(SALU_CYCLE_1)
	s_mov_b32 s3, exec_lo
	s_waitcnt lgkmcnt(0)
	s_barrier
	buffer_gl0_inv
	v_cmpx_gt_u32_e32 8, v0
	s_cbranch_execz .LBB293_27
; %bb.26:
	v_lshlrev_b32_e32 v1, 2, v9
	v_and_b32_e32 v2, 7, v9
	s_add_i32 s2, s2, 31
	s_delay_alu instid0(SALU_CYCLE_1)
	s_lshr_b32 s2, s2, 5
	ds_load_b32 v1, v1 offset:32
	v_cmp_ne_u32_e32 vcc_lo, 7, v2
	v_add_nc_u32_e32 v5, 1, v2
	v_add_co_ci_u32_e32 v3, vcc_lo, 0, v9, vcc_lo
	v_cmp_gt_u32_e32 vcc_lo, 6, v2
	s_delay_alu instid0(VALU_DEP_2) | instskip(SKIP_2) | instid1(VALU_DEP_2)
	v_lshlrev_b32_e32 v3, 2, v3
	v_cndmask_b32_e64 v4, 0, 1, vcc_lo
	v_cmp_gt_u32_e32 vcc_lo, s2, v5
	v_lshlrev_b32_e32 v4, 1, v4
	s_waitcnt lgkmcnt(0)
	ds_bpermute_b32 v3, v3, v1
	v_add_lshl_u32 v4, v4, v9, 2
	s_waitcnt lgkmcnt(0)
	v_cndmask_b32_e32 v3, 0, v3, vcc_lo
	v_cmp_gt_u32_e32 vcc_lo, 4, v2
	s_delay_alu instid0(VALU_DEP_2) | instskip(SKIP_4) | instid1(VALU_DEP_2)
	v_add_nc_u32_e32 v1, v3, v1
	v_cndmask_b32_e64 v5, 0, 1, vcc_lo
	ds_bpermute_b32 v3, v4, v1
	v_add_nc_u32_e32 v4, 2, v2
	v_add_nc_u32_e32 v2, 4, v2
	v_cmp_gt_u32_e32 vcc_lo, s2, v4
	s_waitcnt lgkmcnt(0)
	v_dual_cndmask_b32 v3, 0, v3 :: v_dual_lshlrev_b32 v4, 2, v5
	s_delay_alu instid0(VALU_DEP_3) | instskip(NEXT) | instid1(VALU_DEP_2)
	v_cmp_gt_u32_e32 vcc_lo, s2, v2
	v_add_nc_u32_e32 v1, v1, v3
	s_delay_alu instid0(VALU_DEP_3) | instskip(SKIP_3) | instid1(VALU_DEP_1)
	v_add_lshl_u32 v3, v4, v9, 2
	ds_bpermute_b32 v3, v3, v1
	s_waitcnt lgkmcnt(0)
	v_cndmask_b32_e32 v2, 0, v3, vcc_lo
	v_add_nc_u32_e32 v1, v1, v2
.LBB293_27:
	s_or_b32 exec_lo, exec_lo, s3
.LBB293_28:
	s_load_b32 s0, s[0:1], 0x30
	s_mov_b32 s1, exec_lo
	v_cmpx_eq_u32_e32 0, v0
	s_cbranch_execz .LBB293_30
; %bb.29:
	s_mul_i32 s1, s14, s13
	s_mul_hi_u32 s2, s14, s12
	s_mul_i32 s3, s15, s12
	s_add_i32 s1, s2, s1
	s_mul_i32 s2, s14, s12
	s_add_i32 s3, s1, s3
	s_delay_alu instid0(SALU_CYCLE_1) | instskip(NEXT) | instid1(SALU_CYCLE_1)
	s_lshl_b64 s[2:3], s[2:3], 2
	s_add_u32 s2, s10, s2
	s_addc_u32 s3, s11, s3
	s_cmp_eq_u64 s[8:9], 0
	s_cselect_b32 s1, -1, 0
	s_waitcnt lgkmcnt(0)
	v_cndmask_b32_e64 v0, v1, s0, s1
	s_lshl_b64 s[0:1], s[16:17], 2
	v_mov_b32_e32 v1, 0
	s_add_u32 s0, s2, s0
	s_addc_u32 s1, s3, s1
	global_store_b32 v1, v0, s[0:1]
.LBB293_30:
	s_nop 0
	s_sendmsg sendmsg(MSG_DEALLOC_VGPRS)
	s_endpgm
	.section	.rodata,"a",@progbits
	.p2align	6, 0x0
	.amdhsa_kernel _ZN7rocprim17ROCPRIM_400000_NS6detail17trampoline_kernelINS0_14default_configENS1_22reduce_config_selectorIiEEZNS1_11reduce_implILb1ES3_PiS7_iN6hipcub16HIPCUB_304000_NS6detail34convert_binary_result_type_wrapperINS9_3SumENS9_22TransformInputIteratorIbN2at6native12_GLOBAL__N_19NonZeroOpIsEEPKslEEiEEEE10hipError_tPvRmT1_T2_T3_mT4_P12ihipStream_tbEUlT_E0_NS1_11comp_targetILNS1_3genE9ELNS1_11target_archE1100ELNS1_3gpuE3ELNS1_3repE0EEENS1_30default_config_static_selectorELNS0_4arch9wavefront6targetE0EEEvSQ_
		.amdhsa_group_segment_fixed_size 64
		.amdhsa_private_segment_fixed_size 0
		.amdhsa_kernarg_size 56
		.amdhsa_user_sgpr_count 15
		.amdhsa_user_sgpr_dispatch_ptr 0
		.amdhsa_user_sgpr_queue_ptr 0
		.amdhsa_user_sgpr_kernarg_segment_ptr 1
		.amdhsa_user_sgpr_dispatch_id 0
		.amdhsa_user_sgpr_private_segment_size 0
		.amdhsa_wavefront_size32 1
		.amdhsa_uses_dynamic_stack 0
		.amdhsa_enable_private_segment 0
		.amdhsa_system_sgpr_workgroup_id_x 1
		.amdhsa_system_sgpr_workgroup_id_y 0
		.amdhsa_system_sgpr_workgroup_id_z 0
		.amdhsa_system_sgpr_workgroup_info 0
		.amdhsa_system_vgpr_workitem_id 0
		.amdhsa_next_free_vgpr 12
		.amdhsa_next_free_sgpr 22
		.amdhsa_reserve_vcc 1
		.amdhsa_float_round_mode_32 0
		.amdhsa_float_round_mode_16_64 0
		.amdhsa_float_denorm_mode_32 3
		.amdhsa_float_denorm_mode_16_64 3
		.amdhsa_dx10_clamp 1
		.amdhsa_ieee_mode 1
		.amdhsa_fp16_overflow 0
		.amdhsa_workgroup_processor_mode 1
		.amdhsa_memory_ordered 1
		.amdhsa_forward_progress 0
		.amdhsa_shared_vgpr_count 0
		.amdhsa_exception_fp_ieee_invalid_op 0
		.amdhsa_exception_fp_denorm_src 0
		.amdhsa_exception_fp_ieee_div_zero 0
		.amdhsa_exception_fp_ieee_overflow 0
		.amdhsa_exception_fp_ieee_underflow 0
		.amdhsa_exception_fp_ieee_inexact 0
		.amdhsa_exception_int_div_zero 0
	.end_amdhsa_kernel
	.section	.text._ZN7rocprim17ROCPRIM_400000_NS6detail17trampoline_kernelINS0_14default_configENS1_22reduce_config_selectorIiEEZNS1_11reduce_implILb1ES3_PiS7_iN6hipcub16HIPCUB_304000_NS6detail34convert_binary_result_type_wrapperINS9_3SumENS9_22TransformInputIteratorIbN2at6native12_GLOBAL__N_19NonZeroOpIsEEPKslEEiEEEE10hipError_tPvRmT1_T2_T3_mT4_P12ihipStream_tbEUlT_E0_NS1_11comp_targetILNS1_3genE9ELNS1_11target_archE1100ELNS1_3gpuE3ELNS1_3repE0EEENS1_30default_config_static_selectorELNS0_4arch9wavefront6targetE0EEEvSQ_,"axG",@progbits,_ZN7rocprim17ROCPRIM_400000_NS6detail17trampoline_kernelINS0_14default_configENS1_22reduce_config_selectorIiEEZNS1_11reduce_implILb1ES3_PiS7_iN6hipcub16HIPCUB_304000_NS6detail34convert_binary_result_type_wrapperINS9_3SumENS9_22TransformInputIteratorIbN2at6native12_GLOBAL__N_19NonZeroOpIsEEPKslEEiEEEE10hipError_tPvRmT1_T2_T3_mT4_P12ihipStream_tbEUlT_E0_NS1_11comp_targetILNS1_3genE9ELNS1_11target_archE1100ELNS1_3gpuE3ELNS1_3repE0EEENS1_30default_config_static_selectorELNS0_4arch9wavefront6targetE0EEEvSQ_,comdat
.Lfunc_end293:
	.size	_ZN7rocprim17ROCPRIM_400000_NS6detail17trampoline_kernelINS0_14default_configENS1_22reduce_config_selectorIiEEZNS1_11reduce_implILb1ES3_PiS7_iN6hipcub16HIPCUB_304000_NS6detail34convert_binary_result_type_wrapperINS9_3SumENS9_22TransformInputIteratorIbN2at6native12_GLOBAL__N_19NonZeroOpIsEEPKslEEiEEEE10hipError_tPvRmT1_T2_T3_mT4_P12ihipStream_tbEUlT_E0_NS1_11comp_targetILNS1_3genE9ELNS1_11target_archE1100ELNS1_3gpuE3ELNS1_3repE0EEENS1_30default_config_static_selectorELNS0_4arch9wavefront6targetE0EEEvSQ_, .Lfunc_end293-_ZN7rocprim17ROCPRIM_400000_NS6detail17trampoline_kernelINS0_14default_configENS1_22reduce_config_selectorIiEEZNS1_11reduce_implILb1ES3_PiS7_iN6hipcub16HIPCUB_304000_NS6detail34convert_binary_result_type_wrapperINS9_3SumENS9_22TransformInputIteratorIbN2at6native12_GLOBAL__N_19NonZeroOpIsEEPKslEEiEEEE10hipError_tPvRmT1_T2_T3_mT4_P12ihipStream_tbEUlT_E0_NS1_11comp_targetILNS1_3genE9ELNS1_11target_archE1100ELNS1_3gpuE3ELNS1_3repE0EEENS1_30default_config_static_selectorELNS0_4arch9wavefront6targetE0EEEvSQ_
                                        ; -- End function
	.section	.AMDGPU.csdata,"",@progbits
; Kernel info:
; codeLenInByte = 1664
; NumSgprs: 24
; NumVgprs: 12
; ScratchSize: 0
; MemoryBound: 0
; FloatMode: 240
; IeeeMode: 1
; LDSByteSize: 64 bytes/workgroup (compile time only)
; SGPRBlocks: 2
; VGPRBlocks: 1
; NumSGPRsForWavesPerEU: 24
; NumVGPRsForWavesPerEU: 12
; Occupancy: 16
; WaveLimiterHint : 1
; COMPUTE_PGM_RSRC2:SCRATCH_EN: 0
; COMPUTE_PGM_RSRC2:USER_SGPR: 15
; COMPUTE_PGM_RSRC2:TRAP_HANDLER: 0
; COMPUTE_PGM_RSRC2:TGID_X_EN: 1
; COMPUTE_PGM_RSRC2:TGID_Y_EN: 0
; COMPUTE_PGM_RSRC2:TGID_Z_EN: 0
; COMPUTE_PGM_RSRC2:TIDIG_COMP_CNT: 0
	.section	.text._ZN7rocprim17ROCPRIM_400000_NS6detail17trampoline_kernelINS0_14default_configENS1_22reduce_config_selectorIiEEZNS1_11reduce_implILb1ES3_PiS7_iN6hipcub16HIPCUB_304000_NS6detail34convert_binary_result_type_wrapperINS9_3SumENS9_22TransformInputIteratorIbN2at6native12_GLOBAL__N_19NonZeroOpIsEEPKslEEiEEEE10hipError_tPvRmT1_T2_T3_mT4_P12ihipStream_tbEUlT_E0_NS1_11comp_targetILNS1_3genE8ELNS1_11target_archE1030ELNS1_3gpuE2ELNS1_3repE0EEENS1_30default_config_static_selectorELNS0_4arch9wavefront6targetE0EEEvSQ_,"axG",@progbits,_ZN7rocprim17ROCPRIM_400000_NS6detail17trampoline_kernelINS0_14default_configENS1_22reduce_config_selectorIiEEZNS1_11reduce_implILb1ES3_PiS7_iN6hipcub16HIPCUB_304000_NS6detail34convert_binary_result_type_wrapperINS9_3SumENS9_22TransformInputIteratorIbN2at6native12_GLOBAL__N_19NonZeroOpIsEEPKslEEiEEEE10hipError_tPvRmT1_T2_T3_mT4_P12ihipStream_tbEUlT_E0_NS1_11comp_targetILNS1_3genE8ELNS1_11target_archE1030ELNS1_3gpuE2ELNS1_3repE0EEENS1_30default_config_static_selectorELNS0_4arch9wavefront6targetE0EEEvSQ_,comdat
	.globl	_ZN7rocprim17ROCPRIM_400000_NS6detail17trampoline_kernelINS0_14default_configENS1_22reduce_config_selectorIiEEZNS1_11reduce_implILb1ES3_PiS7_iN6hipcub16HIPCUB_304000_NS6detail34convert_binary_result_type_wrapperINS9_3SumENS9_22TransformInputIteratorIbN2at6native12_GLOBAL__N_19NonZeroOpIsEEPKslEEiEEEE10hipError_tPvRmT1_T2_T3_mT4_P12ihipStream_tbEUlT_E0_NS1_11comp_targetILNS1_3genE8ELNS1_11target_archE1030ELNS1_3gpuE2ELNS1_3repE0EEENS1_30default_config_static_selectorELNS0_4arch9wavefront6targetE0EEEvSQ_ ; -- Begin function _ZN7rocprim17ROCPRIM_400000_NS6detail17trampoline_kernelINS0_14default_configENS1_22reduce_config_selectorIiEEZNS1_11reduce_implILb1ES3_PiS7_iN6hipcub16HIPCUB_304000_NS6detail34convert_binary_result_type_wrapperINS9_3SumENS9_22TransformInputIteratorIbN2at6native12_GLOBAL__N_19NonZeroOpIsEEPKslEEiEEEE10hipError_tPvRmT1_T2_T3_mT4_P12ihipStream_tbEUlT_E0_NS1_11comp_targetILNS1_3genE8ELNS1_11target_archE1030ELNS1_3gpuE2ELNS1_3repE0EEENS1_30default_config_static_selectorELNS0_4arch9wavefront6targetE0EEEvSQ_
	.p2align	8
	.type	_ZN7rocprim17ROCPRIM_400000_NS6detail17trampoline_kernelINS0_14default_configENS1_22reduce_config_selectorIiEEZNS1_11reduce_implILb1ES3_PiS7_iN6hipcub16HIPCUB_304000_NS6detail34convert_binary_result_type_wrapperINS9_3SumENS9_22TransformInputIteratorIbN2at6native12_GLOBAL__N_19NonZeroOpIsEEPKslEEiEEEE10hipError_tPvRmT1_T2_T3_mT4_P12ihipStream_tbEUlT_E0_NS1_11comp_targetILNS1_3genE8ELNS1_11target_archE1030ELNS1_3gpuE2ELNS1_3repE0EEENS1_30default_config_static_selectorELNS0_4arch9wavefront6targetE0EEEvSQ_,@function
_ZN7rocprim17ROCPRIM_400000_NS6detail17trampoline_kernelINS0_14default_configENS1_22reduce_config_selectorIiEEZNS1_11reduce_implILb1ES3_PiS7_iN6hipcub16HIPCUB_304000_NS6detail34convert_binary_result_type_wrapperINS9_3SumENS9_22TransformInputIteratorIbN2at6native12_GLOBAL__N_19NonZeroOpIsEEPKslEEiEEEE10hipError_tPvRmT1_T2_T3_mT4_P12ihipStream_tbEUlT_E0_NS1_11comp_targetILNS1_3genE8ELNS1_11target_archE1030ELNS1_3gpuE2ELNS1_3repE0EEENS1_30default_config_static_selectorELNS0_4arch9wavefront6targetE0EEEvSQ_: ; @_ZN7rocprim17ROCPRIM_400000_NS6detail17trampoline_kernelINS0_14default_configENS1_22reduce_config_selectorIiEEZNS1_11reduce_implILb1ES3_PiS7_iN6hipcub16HIPCUB_304000_NS6detail34convert_binary_result_type_wrapperINS9_3SumENS9_22TransformInputIteratorIbN2at6native12_GLOBAL__N_19NonZeroOpIsEEPKslEEiEEEE10hipError_tPvRmT1_T2_T3_mT4_P12ihipStream_tbEUlT_E0_NS1_11comp_targetILNS1_3genE8ELNS1_11target_archE1030ELNS1_3gpuE2ELNS1_3repE0EEENS1_30default_config_static_selectorELNS0_4arch9wavefront6targetE0EEEvSQ_
; %bb.0:
	.section	.rodata,"a",@progbits
	.p2align	6, 0x0
	.amdhsa_kernel _ZN7rocprim17ROCPRIM_400000_NS6detail17trampoline_kernelINS0_14default_configENS1_22reduce_config_selectorIiEEZNS1_11reduce_implILb1ES3_PiS7_iN6hipcub16HIPCUB_304000_NS6detail34convert_binary_result_type_wrapperINS9_3SumENS9_22TransformInputIteratorIbN2at6native12_GLOBAL__N_19NonZeroOpIsEEPKslEEiEEEE10hipError_tPvRmT1_T2_T3_mT4_P12ihipStream_tbEUlT_E0_NS1_11comp_targetILNS1_3genE8ELNS1_11target_archE1030ELNS1_3gpuE2ELNS1_3repE0EEENS1_30default_config_static_selectorELNS0_4arch9wavefront6targetE0EEEvSQ_
		.amdhsa_group_segment_fixed_size 0
		.amdhsa_private_segment_fixed_size 0
		.amdhsa_kernarg_size 56
		.amdhsa_user_sgpr_count 15
		.amdhsa_user_sgpr_dispatch_ptr 0
		.amdhsa_user_sgpr_queue_ptr 0
		.amdhsa_user_sgpr_kernarg_segment_ptr 1
		.amdhsa_user_sgpr_dispatch_id 0
		.amdhsa_user_sgpr_private_segment_size 0
		.amdhsa_wavefront_size32 1
		.amdhsa_uses_dynamic_stack 0
		.amdhsa_enable_private_segment 0
		.amdhsa_system_sgpr_workgroup_id_x 1
		.amdhsa_system_sgpr_workgroup_id_y 0
		.amdhsa_system_sgpr_workgroup_id_z 0
		.amdhsa_system_sgpr_workgroup_info 0
		.amdhsa_system_vgpr_workitem_id 0
		.amdhsa_next_free_vgpr 1
		.amdhsa_next_free_sgpr 1
		.amdhsa_reserve_vcc 0
		.amdhsa_float_round_mode_32 0
		.amdhsa_float_round_mode_16_64 0
		.amdhsa_float_denorm_mode_32 3
		.amdhsa_float_denorm_mode_16_64 3
		.amdhsa_dx10_clamp 1
		.amdhsa_ieee_mode 1
		.amdhsa_fp16_overflow 0
		.amdhsa_workgroup_processor_mode 1
		.amdhsa_memory_ordered 1
		.amdhsa_forward_progress 0
		.amdhsa_shared_vgpr_count 0
		.amdhsa_exception_fp_ieee_invalid_op 0
		.amdhsa_exception_fp_denorm_src 0
		.amdhsa_exception_fp_ieee_div_zero 0
		.amdhsa_exception_fp_ieee_overflow 0
		.amdhsa_exception_fp_ieee_underflow 0
		.amdhsa_exception_fp_ieee_inexact 0
		.amdhsa_exception_int_div_zero 0
	.end_amdhsa_kernel
	.section	.text._ZN7rocprim17ROCPRIM_400000_NS6detail17trampoline_kernelINS0_14default_configENS1_22reduce_config_selectorIiEEZNS1_11reduce_implILb1ES3_PiS7_iN6hipcub16HIPCUB_304000_NS6detail34convert_binary_result_type_wrapperINS9_3SumENS9_22TransformInputIteratorIbN2at6native12_GLOBAL__N_19NonZeroOpIsEEPKslEEiEEEE10hipError_tPvRmT1_T2_T3_mT4_P12ihipStream_tbEUlT_E0_NS1_11comp_targetILNS1_3genE8ELNS1_11target_archE1030ELNS1_3gpuE2ELNS1_3repE0EEENS1_30default_config_static_selectorELNS0_4arch9wavefront6targetE0EEEvSQ_,"axG",@progbits,_ZN7rocprim17ROCPRIM_400000_NS6detail17trampoline_kernelINS0_14default_configENS1_22reduce_config_selectorIiEEZNS1_11reduce_implILb1ES3_PiS7_iN6hipcub16HIPCUB_304000_NS6detail34convert_binary_result_type_wrapperINS9_3SumENS9_22TransformInputIteratorIbN2at6native12_GLOBAL__N_19NonZeroOpIsEEPKslEEiEEEE10hipError_tPvRmT1_T2_T3_mT4_P12ihipStream_tbEUlT_E0_NS1_11comp_targetILNS1_3genE8ELNS1_11target_archE1030ELNS1_3gpuE2ELNS1_3repE0EEENS1_30default_config_static_selectorELNS0_4arch9wavefront6targetE0EEEvSQ_,comdat
.Lfunc_end294:
	.size	_ZN7rocprim17ROCPRIM_400000_NS6detail17trampoline_kernelINS0_14default_configENS1_22reduce_config_selectorIiEEZNS1_11reduce_implILb1ES3_PiS7_iN6hipcub16HIPCUB_304000_NS6detail34convert_binary_result_type_wrapperINS9_3SumENS9_22TransformInputIteratorIbN2at6native12_GLOBAL__N_19NonZeroOpIsEEPKslEEiEEEE10hipError_tPvRmT1_T2_T3_mT4_P12ihipStream_tbEUlT_E0_NS1_11comp_targetILNS1_3genE8ELNS1_11target_archE1030ELNS1_3gpuE2ELNS1_3repE0EEENS1_30default_config_static_selectorELNS0_4arch9wavefront6targetE0EEEvSQ_, .Lfunc_end294-_ZN7rocprim17ROCPRIM_400000_NS6detail17trampoline_kernelINS0_14default_configENS1_22reduce_config_selectorIiEEZNS1_11reduce_implILb1ES3_PiS7_iN6hipcub16HIPCUB_304000_NS6detail34convert_binary_result_type_wrapperINS9_3SumENS9_22TransformInputIteratorIbN2at6native12_GLOBAL__N_19NonZeroOpIsEEPKslEEiEEEE10hipError_tPvRmT1_T2_T3_mT4_P12ihipStream_tbEUlT_E0_NS1_11comp_targetILNS1_3genE8ELNS1_11target_archE1030ELNS1_3gpuE2ELNS1_3repE0EEENS1_30default_config_static_selectorELNS0_4arch9wavefront6targetE0EEEvSQ_
                                        ; -- End function
	.section	.AMDGPU.csdata,"",@progbits
; Kernel info:
; codeLenInByte = 0
; NumSgprs: 0
; NumVgprs: 0
; ScratchSize: 0
; MemoryBound: 0
; FloatMode: 240
; IeeeMode: 1
; LDSByteSize: 0 bytes/workgroup (compile time only)
; SGPRBlocks: 0
; VGPRBlocks: 0
; NumSGPRsForWavesPerEU: 1
; NumVGPRsForWavesPerEU: 1
; Occupancy: 16
; WaveLimiterHint : 0
; COMPUTE_PGM_RSRC2:SCRATCH_EN: 0
; COMPUTE_PGM_RSRC2:USER_SGPR: 15
; COMPUTE_PGM_RSRC2:TRAP_HANDLER: 0
; COMPUTE_PGM_RSRC2:TGID_X_EN: 1
; COMPUTE_PGM_RSRC2:TGID_Y_EN: 0
; COMPUTE_PGM_RSRC2:TGID_Z_EN: 0
; COMPUTE_PGM_RSRC2:TIDIG_COMP_CNT: 0
	.section	.text._ZN7rocprim17ROCPRIM_400000_NS6detail17trampoline_kernelINS0_14default_configENS1_22reduce_config_selectorIiEEZNS1_11reduce_implILb1ES3_PiS7_iN6hipcub16HIPCUB_304000_NS6detail34convert_binary_result_type_wrapperINS9_3SumENS9_22TransformInputIteratorIbN2at6native12_GLOBAL__N_19NonZeroOpIsEEPKslEEiEEEE10hipError_tPvRmT1_T2_T3_mT4_P12ihipStream_tbEUlT_E1_NS1_11comp_targetILNS1_3genE0ELNS1_11target_archE4294967295ELNS1_3gpuE0ELNS1_3repE0EEENS1_30default_config_static_selectorELNS0_4arch9wavefront6targetE0EEEvSQ_,"axG",@progbits,_ZN7rocprim17ROCPRIM_400000_NS6detail17trampoline_kernelINS0_14default_configENS1_22reduce_config_selectorIiEEZNS1_11reduce_implILb1ES3_PiS7_iN6hipcub16HIPCUB_304000_NS6detail34convert_binary_result_type_wrapperINS9_3SumENS9_22TransformInputIteratorIbN2at6native12_GLOBAL__N_19NonZeroOpIsEEPKslEEiEEEE10hipError_tPvRmT1_T2_T3_mT4_P12ihipStream_tbEUlT_E1_NS1_11comp_targetILNS1_3genE0ELNS1_11target_archE4294967295ELNS1_3gpuE0ELNS1_3repE0EEENS1_30default_config_static_selectorELNS0_4arch9wavefront6targetE0EEEvSQ_,comdat
	.globl	_ZN7rocprim17ROCPRIM_400000_NS6detail17trampoline_kernelINS0_14default_configENS1_22reduce_config_selectorIiEEZNS1_11reduce_implILb1ES3_PiS7_iN6hipcub16HIPCUB_304000_NS6detail34convert_binary_result_type_wrapperINS9_3SumENS9_22TransformInputIteratorIbN2at6native12_GLOBAL__N_19NonZeroOpIsEEPKslEEiEEEE10hipError_tPvRmT1_T2_T3_mT4_P12ihipStream_tbEUlT_E1_NS1_11comp_targetILNS1_3genE0ELNS1_11target_archE4294967295ELNS1_3gpuE0ELNS1_3repE0EEENS1_30default_config_static_selectorELNS0_4arch9wavefront6targetE0EEEvSQ_ ; -- Begin function _ZN7rocprim17ROCPRIM_400000_NS6detail17trampoline_kernelINS0_14default_configENS1_22reduce_config_selectorIiEEZNS1_11reduce_implILb1ES3_PiS7_iN6hipcub16HIPCUB_304000_NS6detail34convert_binary_result_type_wrapperINS9_3SumENS9_22TransformInputIteratorIbN2at6native12_GLOBAL__N_19NonZeroOpIsEEPKslEEiEEEE10hipError_tPvRmT1_T2_T3_mT4_P12ihipStream_tbEUlT_E1_NS1_11comp_targetILNS1_3genE0ELNS1_11target_archE4294967295ELNS1_3gpuE0ELNS1_3repE0EEENS1_30default_config_static_selectorELNS0_4arch9wavefront6targetE0EEEvSQ_
	.p2align	8
	.type	_ZN7rocprim17ROCPRIM_400000_NS6detail17trampoline_kernelINS0_14default_configENS1_22reduce_config_selectorIiEEZNS1_11reduce_implILb1ES3_PiS7_iN6hipcub16HIPCUB_304000_NS6detail34convert_binary_result_type_wrapperINS9_3SumENS9_22TransformInputIteratorIbN2at6native12_GLOBAL__N_19NonZeroOpIsEEPKslEEiEEEE10hipError_tPvRmT1_T2_T3_mT4_P12ihipStream_tbEUlT_E1_NS1_11comp_targetILNS1_3genE0ELNS1_11target_archE4294967295ELNS1_3gpuE0ELNS1_3repE0EEENS1_30default_config_static_selectorELNS0_4arch9wavefront6targetE0EEEvSQ_,@function
_ZN7rocprim17ROCPRIM_400000_NS6detail17trampoline_kernelINS0_14default_configENS1_22reduce_config_selectorIiEEZNS1_11reduce_implILb1ES3_PiS7_iN6hipcub16HIPCUB_304000_NS6detail34convert_binary_result_type_wrapperINS9_3SumENS9_22TransformInputIteratorIbN2at6native12_GLOBAL__N_19NonZeroOpIsEEPKslEEiEEEE10hipError_tPvRmT1_T2_T3_mT4_P12ihipStream_tbEUlT_E1_NS1_11comp_targetILNS1_3genE0ELNS1_11target_archE4294967295ELNS1_3gpuE0ELNS1_3repE0EEENS1_30default_config_static_selectorELNS0_4arch9wavefront6targetE0EEEvSQ_: ; @_ZN7rocprim17ROCPRIM_400000_NS6detail17trampoline_kernelINS0_14default_configENS1_22reduce_config_selectorIiEEZNS1_11reduce_implILb1ES3_PiS7_iN6hipcub16HIPCUB_304000_NS6detail34convert_binary_result_type_wrapperINS9_3SumENS9_22TransformInputIteratorIbN2at6native12_GLOBAL__N_19NonZeroOpIsEEPKslEEiEEEE10hipError_tPvRmT1_T2_T3_mT4_P12ihipStream_tbEUlT_E1_NS1_11comp_targetILNS1_3genE0ELNS1_11target_archE4294967295ELNS1_3gpuE0ELNS1_3repE0EEENS1_30default_config_static_selectorELNS0_4arch9wavefront6targetE0EEEvSQ_
; %bb.0:
	.section	.rodata,"a",@progbits
	.p2align	6, 0x0
	.amdhsa_kernel _ZN7rocprim17ROCPRIM_400000_NS6detail17trampoline_kernelINS0_14default_configENS1_22reduce_config_selectorIiEEZNS1_11reduce_implILb1ES3_PiS7_iN6hipcub16HIPCUB_304000_NS6detail34convert_binary_result_type_wrapperINS9_3SumENS9_22TransformInputIteratorIbN2at6native12_GLOBAL__N_19NonZeroOpIsEEPKslEEiEEEE10hipError_tPvRmT1_T2_T3_mT4_P12ihipStream_tbEUlT_E1_NS1_11comp_targetILNS1_3genE0ELNS1_11target_archE4294967295ELNS1_3gpuE0ELNS1_3repE0EEENS1_30default_config_static_selectorELNS0_4arch9wavefront6targetE0EEEvSQ_
		.amdhsa_group_segment_fixed_size 0
		.amdhsa_private_segment_fixed_size 0
		.amdhsa_kernarg_size 40
		.amdhsa_user_sgpr_count 15
		.amdhsa_user_sgpr_dispatch_ptr 0
		.amdhsa_user_sgpr_queue_ptr 0
		.amdhsa_user_sgpr_kernarg_segment_ptr 1
		.amdhsa_user_sgpr_dispatch_id 0
		.amdhsa_user_sgpr_private_segment_size 0
		.amdhsa_wavefront_size32 1
		.amdhsa_uses_dynamic_stack 0
		.amdhsa_enable_private_segment 0
		.amdhsa_system_sgpr_workgroup_id_x 1
		.amdhsa_system_sgpr_workgroup_id_y 0
		.amdhsa_system_sgpr_workgroup_id_z 0
		.amdhsa_system_sgpr_workgroup_info 0
		.amdhsa_system_vgpr_workitem_id 0
		.amdhsa_next_free_vgpr 1
		.amdhsa_next_free_sgpr 1
		.amdhsa_reserve_vcc 0
		.amdhsa_float_round_mode_32 0
		.amdhsa_float_round_mode_16_64 0
		.amdhsa_float_denorm_mode_32 3
		.amdhsa_float_denorm_mode_16_64 3
		.amdhsa_dx10_clamp 1
		.amdhsa_ieee_mode 1
		.amdhsa_fp16_overflow 0
		.amdhsa_workgroup_processor_mode 1
		.amdhsa_memory_ordered 1
		.amdhsa_forward_progress 0
		.amdhsa_shared_vgpr_count 0
		.amdhsa_exception_fp_ieee_invalid_op 0
		.amdhsa_exception_fp_denorm_src 0
		.amdhsa_exception_fp_ieee_div_zero 0
		.amdhsa_exception_fp_ieee_overflow 0
		.amdhsa_exception_fp_ieee_underflow 0
		.amdhsa_exception_fp_ieee_inexact 0
		.amdhsa_exception_int_div_zero 0
	.end_amdhsa_kernel
	.section	.text._ZN7rocprim17ROCPRIM_400000_NS6detail17trampoline_kernelINS0_14default_configENS1_22reduce_config_selectorIiEEZNS1_11reduce_implILb1ES3_PiS7_iN6hipcub16HIPCUB_304000_NS6detail34convert_binary_result_type_wrapperINS9_3SumENS9_22TransformInputIteratorIbN2at6native12_GLOBAL__N_19NonZeroOpIsEEPKslEEiEEEE10hipError_tPvRmT1_T2_T3_mT4_P12ihipStream_tbEUlT_E1_NS1_11comp_targetILNS1_3genE0ELNS1_11target_archE4294967295ELNS1_3gpuE0ELNS1_3repE0EEENS1_30default_config_static_selectorELNS0_4arch9wavefront6targetE0EEEvSQ_,"axG",@progbits,_ZN7rocprim17ROCPRIM_400000_NS6detail17trampoline_kernelINS0_14default_configENS1_22reduce_config_selectorIiEEZNS1_11reduce_implILb1ES3_PiS7_iN6hipcub16HIPCUB_304000_NS6detail34convert_binary_result_type_wrapperINS9_3SumENS9_22TransformInputIteratorIbN2at6native12_GLOBAL__N_19NonZeroOpIsEEPKslEEiEEEE10hipError_tPvRmT1_T2_T3_mT4_P12ihipStream_tbEUlT_E1_NS1_11comp_targetILNS1_3genE0ELNS1_11target_archE4294967295ELNS1_3gpuE0ELNS1_3repE0EEENS1_30default_config_static_selectorELNS0_4arch9wavefront6targetE0EEEvSQ_,comdat
.Lfunc_end295:
	.size	_ZN7rocprim17ROCPRIM_400000_NS6detail17trampoline_kernelINS0_14default_configENS1_22reduce_config_selectorIiEEZNS1_11reduce_implILb1ES3_PiS7_iN6hipcub16HIPCUB_304000_NS6detail34convert_binary_result_type_wrapperINS9_3SumENS9_22TransformInputIteratorIbN2at6native12_GLOBAL__N_19NonZeroOpIsEEPKslEEiEEEE10hipError_tPvRmT1_T2_T3_mT4_P12ihipStream_tbEUlT_E1_NS1_11comp_targetILNS1_3genE0ELNS1_11target_archE4294967295ELNS1_3gpuE0ELNS1_3repE0EEENS1_30default_config_static_selectorELNS0_4arch9wavefront6targetE0EEEvSQ_, .Lfunc_end295-_ZN7rocprim17ROCPRIM_400000_NS6detail17trampoline_kernelINS0_14default_configENS1_22reduce_config_selectorIiEEZNS1_11reduce_implILb1ES3_PiS7_iN6hipcub16HIPCUB_304000_NS6detail34convert_binary_result_type_wrapperINS9_3SumENS9_22TransformInputIteratorIbN2at6native12_GLOBAL__N_19NonZeroOpIsEEPKslEEiEEEE10hipError_tPvRmT1_T2_T3_mT4_P12ihipStream_tbEUlT_E1_NS1_11comp_targetILNS1_3genE0ELNS1_11target_archE4294967295ELNS1_3gpuE0ELNS1_3repE0EEENS1_30default_config_static_selectorELNS0_4arch9wavefront6targetE0EEEvSQ_
                                        ; -- End function
	.section	.AMDGPU.csdata,"",@progbits
; Kernel info:
; codeLenInByte = 0
; NumSgprs: 0
; NumVgprs: 0
; ScratchSize: 0
; MemoryBound: 0
; FloatMode: 240
; IeeeMode: 1
; LDSByteSize: 0 bytes/workgroup (compile time only)
; SGPRBlocks: 0
; VGPRBlocks: 0
; NumSGPRsForWavesPerEU: 1
; NumVGPRsForWavesPerEU: 1
; Occupancy: 16
; WaveLimiterHint : 0
; COMPUTE_PGM_RSRC2:SCRATCH_EN: 0
; COMPUTE_PGM_RSRC2:USER_SGPR: 15
; COMPUTE_PGM_RSRC2:TRAP_HANDLER: 0
; COMPUTE_PGM_RSRC2:TGID_X_EN: 1
; COMPUTE_PGM_RSRC2:TGID_Y_EN: 0
; COMPUTE_PGM_RSRC2:TGID_Z_EN: 0
; COMPUTE_PGM_RSRC2:TIDIG_COMP_CNT: 0
	.section	.text._ZN7rocprim17ROCPRIM_400000_NS6detail17trampoline_kernelINS0_14default_configENS1_22reduce_config_selectorIiEEZNS1_11reduce_implILb1ES3_PiS7_iN6hipcub16HIPCUB_304000_NS6detail34convert_binary_result_type_wrapperINS9_3SumENS9_22TransformInputIteratorIbN2at6native12_GLOBAL__N_19NonZeroOpIsEEPKslEEiEEEE10hipError_tPvRmT1_T2_T3_mT4_P12ihipStream_tbEUlT_E1_NS1_11comp_targetILNS1_3genE5ELNS1_11target_archE942ELNS1_3gpuE9ELNS1_3repE0EEENS1_30default_config_static_selectorELNS0_4arch9wavefront6targetE0EEEvSQ_,"axG",@progbits,_ZN7rocprim17ROCPRIM_400000_NS6detail17trampoline_kernelINS0_14default_configENS1_22reduce_config_selectorIiEEZNS1_11reduce_implILb1ES3_PiS7_iN6hipcub16HIPCUB_304000_NS6detail34convert_binary_result_type_wrapperINS9_3SumENS9_22TransformInputIteratorIbN2at6native12_GLOBAL__N_19NonZeroOpIsEEPKslEEiEEEE10hipError_tPvRmT1_T2_T3_mT4_P12ihipStream_tbEUlT_E1_NS1_11comp_targetILNS1_3genE5ELNS1_11target_archE942ELNS1_3gpuE9ELNS1_3repE0EEENS1_30default_config_static_selectorELNS0_4arch9wavefront6targetE0EEEvSQ_,comdat
	.globl	_ZN7rocprim17ROCPRIM_400000_NS6detail17trampoline_kernelINS0_14default_configENS1_22reduce_config_selectorIiEEZNS1_11reduce_implILb1ES3_PiS7_iN6hipcub16HIPCUB_304000_NS6detail34convert_binary_result_type_wrapperINS9_3SumENS9_22TransformInputIteratorIbN2at6native12_GLOBAL__N_19NonZeroOpIsEEPKslEEiEEEE10hipError_tPvRmT1_T2_T3_mT4_P12ihipStream_tbEUlT_E1_NS1_11comp_targetILNS1_3genE5ELNS1_11target_archE942ELNS1_3gpuE9ELNS1_3repE0EEENS1_30default_config_static_selectorELNS0_4arch9wavefront6targetE0EEEvSQ_ ; -- Begin function _ZN7rocprim17ROCPRIM_400000_NS6detail17trampoline_kernelINS0_14default_configENS1_22reduce_config_selectorIiEEZNS1_11reduce_implILb1ES3_PiS7_iN6hipcub16HIPCUB_304000_NS6detail34convert_binary_result_type_wrapperINS9_3SumENS9_22TransformInputIteratorIbN2at6native12_GLOBAL__N_19NonZeroOpIsEEPKslEEiEEEE10hipError_tPvRmT1_T2_T3_mT4_P12ihipStream_tbEUlT_E1_NS1_11comp_targetILNS1_3genE5ELNS1_11target_archE942ELNS1_3gpuE9ELNS1_3repE0EEENS1_30default_config_static_selectorELNS0_4arch9wavefront6targetE0EEEvSQ_
	.p2align	8
	.type	_ZN7rocprim17ROCPRIM_400000_NS6detail17trampoline_kernelINS0_14default_configENS1_22reduce_config_selectorIiEEZNS1_11reduce_implILb1ES3_PiS7_iN6hipcub16HIPCUB_304000_NS6detail34convert_binary_result_type_wrapperINS9_3SumENS9_22TransformInputIteratorIbN2at6native12_GLOBAL__N_19NonZeroOpIsEEPKslEEiEEEE10hipError_tPvRmT1_T2_T3_mT4_P12ihipStream_tbEUlT_E1_NS1_11comp_targetILNS1_3genE5ELNS1_11target_archE942ELNS1_3gpuE9ELNS1_3repE0EEENS1_30default_config_static_selectorELNS0_4arch9wavefront6targetE0EEEvSQ_,@function
_ZN7rocprim17ROCPRIM_400000_NS6detail17trampoline_kernelINS0_14default_configENS1_22reduce_config_selectorIiEEZNS1_11reduce_implILb1ES3_PiS7_iN6hipcub16HIPCUB_304000_NS6detail34convert_binary_result_type_wrapperINS9_3SumENS9_22TransformInputIteratorIbN2at6native12_GLOBAL__N_19NonZeroOpIsEEPKslEEiEEEE10hipError_tPvRmT1_T2_T3_mT4_P12ihipStream_tbEUlT_E1_NS1_11comp_targetILNS1_3genE5ELNS1_11target_archE942ELNS1_3gpuE9ELNS1_3repE0EEENS1_30default_config_static_selectorELNS0_4arch9wavefront6targetE0EEEvSQ_: ; @_ZN7rocprim17ROCPRIM_400000_NS6detail17trampoline_kernelINS0_14default_configENS1_22reduce_config_selectorIiEEZNS1_11reduce_implILb1ES3_PiS7_iN6hipcub16HIPCUB_304000_NS6detail34convert_binary_result_type_wrapperINS9_3SumENS9_22TransformInputIteratorIbN2at6native12_GLOBAL__N_19NonZeroOpIsEEPKslEEiEEEE10hipError_tPvRmT1_T2_T3_mT4_P12ihipStream_tbEUlT_E1_NS1_11comp_targetILNS1_3genE5ELNS1_11target_archE942ELNS1_3gpuE9ELNS1_3repE0EEENS1_30default_config_static_selectorELNS0_4arch9wavefront6targetE0EEEvSQ_
; %bb.0:
	.section	.rodata,"a",@progbits
	.p2align	6, 0x0
	.amdhsa_kernel _ZN7rocprim17ROCPRIM_400000_NS6detail17trampoline_kernelINS0_14default_configENS1_22reduce_config_selectorIiEEZNS1_11reduce_implILb1ES3_PiS7_iN6hipcub16HIPCUB_304000_NS6detail34convert_binary_result_type_wrapperINS9_3SumENS9_22TransformInputIteratorIbN2at6native12_GLOBAL__N_19NonZeroOpIsEEPKslEEiEEEE10hipError_tPvRmT1_T2_T3_mT4_P12ihipStream_tbEUlT_E1_NS1_11comp_targetILNS1_3genE5ELNS1_11target_archE942ELNS1_3gpuE9ELNS1_3repE0EEENS1_30default_config_static_selectorELNS0_4arch9wavefront6targetE0EEEvSQ_
		.amdhsa_group_segment_fixed_size 0
		.amdhsa_private_segment_fixed_size 0
		.amdhsa_kernarg_size 40
		.amdhsa_user_sgpr_count 15
		.amdhsa_user_sgpr_dispatch_ptr 0
		.amdhsa_user_sgpr_queue_ptr 0
		.amdhsa_user_sgpr_kernarg_segment_ptr 1
		.amdhsa_user_sgpr_dispatch_id 0
		.amdhsa_user_sgpr_private_segment_size 0
		.amdhsa_wavefront_size32 1
		.amdhsa_uses_dynamic_stack 0
		.amdhsa_enable_private_segment 0
		.amdhsa_system_sgpr_workgroup_id_x 1
		.amdhsa_system_sgpr_workgroup_id_y 0
		.amdhsa_system_sgpr_workgroup_id_z 0
		.amdhsa_system_sgpr_workgroup_info 0
		.amdhsa_system_vgpr_workitem_id 0
		.amdhsa_next_free_vgpr 1
		.amdhsa_next_free_sgpr 1
		.amdhsa_reserve_vcc 0
		.amdhsa_float_round_mode_32 0
		.amdhsa_float_round_mode_16_64 0
		.amdhsa_float_denorm_mode_32 3
		.amdhsa_float_denorm_mode_16_64 3
		.amdhsa_dx10_clamp 1
		.amdhsa_ieee_mode 1
		.amdhsa_fp16_overflow 0
		.amdhsa_workgroup_processor_mode 1
		.amdhsa_memory_ordered 1
		.amdhsa_forward_progress 0
		.amdhsa_shared_vgpr_count 0
		.amdhsa_exception_fp_ieee_invalid_op 0
		.amdhsa_exception_fp_denorm_src 0
		.amdhsa_exception_fp_ieee_div_zero 0
		.amdhsa_exception_fp_ieee_overflow 0
		.amdhsa_exception_fp_ieee_underflow 0
		.amdhsa_exception_fp_ieee_inexact 0
		.amdhsa_exception_int_div_zero 0
	.end_amdhsa_kernel
	.section	.text._ZN7rocprim17ROCPRIM_400000_NS6detail17trampoline_kernelINS0_14default_configENS1_22reduce_config_selectorIiEEZNS1_11reduce_implILb1ES3_PiS7_iN6hipcub16HIPCUB_304000_NS6detail34convert_binary_result_type_wrapperINS9_3SumENS9_22TransformInputIteratorIbN2at6native12_GLOBAL__N_19NonZeroOpIsEEPKslEEiEEEE10hipError_tPvRmT1_T2_T3_mT4_P12ihipStream_tbEUlT_E1_NS1_11comp_targetILNS1_3genE5ELNS1_11target_archE942ELNS1_3gpuE9ELNS1_3repE0EEENS1_30default_config_static_selectorELNS0_4arch9wavefront6targetE0EEEvSQ_,"axG",@progbits,_ZN7rocprim17ROCPRIM_400000_NS6detail17trampoline_kernelINS0_14default_configENS1_22reduce_config_selectorIiEEZNS1_11reduce_implILb1ES3_PiS7_iN6hipcub16HIPCUB_304000_NS6detail34convert_binary_result_type_wrapperINS9_3SumENS9_22TransformInputIteratorIbN2at6native12_GLOBAL__N_19NonZeroOpIsEEPKslEEiEEEE10hipError_tPvRmT1_T2_T3_mT4_P12ihipStream_tbEUlT_E1_NS1_11comp_targetILNS1_3genE5ELNS1_11target_archE942ELNS1_3gpuE9ELNS1_3repE0EEENS1_30default_config_static_selectorELNS0_4arch9wavefront6targetE0EEEvSQ_,comdat
.Lfunc_end296:
	.size	_ZN7rocprim17ROCPRIM_400000_NS6detail17trampoline_kernelINS0_14default_configENS1_22reduce_config_selectorIiEEZNS1_11reduce_implILb1ES3_PiS7_iN6hipcub16HIPCUB_304000_NS6detail34convert_binary_result_type_wrapperINS9_3SumENS9_22TransformInputIteratorIbN2at6native12_GLOBAL__N_19NonZeroOpIsEEPKslEEiEEEE10hipError_tPvRmT1_T2_T3_mT4_P12ihipStream_tbEUlT_E1_NS1_11comp_targetILNS1_3genE5ELNS1_11target_archE942ELNS1_3gpuE9ELNS1_3repE0EEENS1_30default_config_static_selectorELNS0_4arch9wavefront6targetE0EEEvSQ_, .Lfunc_end296-_ZN7rocprim17ROCPRIM_400000_NS6detail17trampoline_kernelINS0_14default_configENS1_22reduce_config_selectorIiEEZNS1_11reduce_implILb1ES3_PiS7_iN6hipcub16HIPCUB_304000_NS6detail34convert_binary_result_type_wrapperINS9_3SumENS9_22TransformInputIteratorIbN2at6native12_GLOBAL__N_19NonZeroOpIsEEPKslEEiEEEE10hipError_tPvRmT1_T2_T3_mT4_P12ihipStream_tbEUlT_E1_NS1_11comp_targetILNS1_3genE5ELNS1_11target_archE942ELNS1_3gpuE9ELNS1_3repE0EEENS1_30default_config_static_selectorELNS0_4arch9wavefront6targetE0EEEvSQ_
                                        ; -- End function
	.section	.AMDGPU.csdata,"",@progbits
; Kernel info:
; codeLenInByte = 0
; NumSgprs: 0
; NumVgprs: 0
; ScratchSize: 0
; MemoryBound: 0
; FloatMode: 240
; IeeeMode: 1
; LDSByteSize: 0 bytes/workgroup (compile time only)
; SGPRBlocks: 0
; VGPRBlocks: 0
; NumSGPRsForWavesPerEU: 1
; NumVGPRsForWavesPerEU: 1
; Occupancy: 16
; WaveLimiterHint : 0
; COMPUTE_PGM_RSRC2:SCRATCH_EN: 0
; COMPUTE_PGM_RSRC2:USER_SGPR: 15
; COMPUTE_PGM_RSRC2:TRAP_HANDLER: 0
; COMPUTE_PGM_RSRC2:TGID_X_EN: 1
; COMPUTE_PGM_RSRC2:TGID_Y_EN: 0
; COMPUTE_PGM_RSRC2:TGID_Z_EN: 0
; COMPUTE_PGM_RSRC2:TIDIG_COMP_CNT: 0
	.section	.text._ZN7rocprim17ROCPRIM_400000_NS6detail17trampoline_kernelINS0_14default_configENS1_22reduce_config_selectorIiEEZNS1_11reduce_implILb1ES3_PiS7_iN6hipcub16HIPCUB_304000_NS6detail34convert_binary_result_type_wrapperINS9_3SumENS9_22TransformInputIteratorIbN2at6native12_GLOBAL__N_19NonZeroOpIsEEPKslEEiEEEE10hipError_tPvRmT1_T2_T3_mT4_P12ihipStream_tbEUlT_E1_NS1_11comp_targetILNS1_3genE4ELNS1_11target_archE910ELNS1_3gpuE8ELNS1_3repE0EEENS1_30default_config_static_selectorELNS0_4arch9wavefront6targetE0EEEvSQ_,"axG",@progbits,_ZN7rocprim17ROCPRIM_400000_NS6detail17trampoline_kernelINS0_14default_configENS1_22reduce_config_selectorIiEEZNS1_11reduce_implILb1ES3_PiS7_iN6hipcub16HIPCUB_304000_NS6detail34convert_binary_result_type_wrapperINS9_3SumENS9_22TransformInputIteratorIbN2at6native12_GLOBAL__N_19NonZeroOpIsEEPKslEEiEEEE10hipError_tPvRmT1_T2_T3_mT4_P12ihipStream_tbEUlT_E1_NS1_11comp_targetILNS1_3genE4ELNS1_11target_archE910ELNS1_3gpuE8ELNS1_3repE0EEENS1_30default_config_static_selectorELNS0_4arch9wavefront6targetE0EEEvSQ_,comdat
	.globl	_ZN7rocprim17ROCPRIM_400000_NS6detail17trampoline_kernelINS0_14default_configENS1_22reduce_config_selectorIiEEZNS1_11reduce_implILb1ES3_PiS7_iN6hipcub16HIPCUB_304000_NS6detail34convert_binary_result_type_wrapperINS9_3SumENS9_22TransformInputIteratorIbN2at6native12_GLOBAL__N_19NonZeroOpIsEEPKslEEiEEEE10hipError_tPvRmT1_T2_T3_mT4_P12ihipStream_tbEUlT_E1_NS1_11comp_targetILNS1_3genE4ELNS1_11target_archE910ELNS1_3gpuE8ELNS1_3repE0EEENS1_30default_config_static_selectorELNS0_4arch9wavefront6targetE0EEEvSQ_ ; -- Begin function _ZN7rocprim17ROCPRIM_400000_NS6detail17trampoline_kernelINS0_14default_configENS1_22reduce_config_selectorIiEEZNS1_11reduce_implILb1ES3_PiS7_iN6hipcub16HIPCUB_304000_NS6detail34convert_binary_result_type_wrapperINS9_3SumENS9_22TransformInputIteratorIbN2at6native12_GLOBAL__N_19NonZeroOpIsEEPKslEEiEEEE10hipError_tPvRmT1_T2_T3_mT4_P12ihipStream_tbEUlT_E1_NS1_11comp_targetILNS1_3genE4ELNS1_11target_archE910ELNS1_3gpuE8ELNS1_3repE0EEENS1_30default_config_static_selectorELNS0_4arch9wavefront6targetE0EEEvSQ_
	.p2align	8
	.type	_ZN7rocprim17ROCPRIM_400000_NS6detail17trampoline_kernelINS0_14default_configENS1_22reduce_config_selectorIiEEZNS1_11reduce_implILb1ES3_PiS7_iN6hipcub16HIPCUB_304000_NS6detail34convert_binary_result_type_wrapperINS9_3SumENS9_22TransformInputIteratorIbN2at6native12_GLOBAL__N_19NonZeroOpIsEEPKslEEiEEEE10hipError_tPvRmT1_T2_T3_mT4_P12ihipStream_tbEUlT_E1_NS1_11comp_targetILNS1_3genE4ELNS1_11target_archE910ELNS1_3gpuE8ELNS1_3repE0EEENS1_30default_config_static_selectorELNS0_4arch9wavefront6targetE0EEEvSQ_,@function
_ZN7rocprim17ROCPRIM_400000_NS6detail17trampoline_kernelINS0_14default_configENS1_22reduce_config_selectorIiEEZNS1_11reduce_implILb1ES3_PiS7_iN6hipcub16HIPCUB_304000_NS6detail34convert_binary_result_type_wrapperINS9_3SumENS9_22TransformInputIteratorIbN2at6native12_GLOBAL__N_19NonZeroOpIsEEPKslEEiEEEE10hipError_tPvRmT1_T2_T3_mT4_P12ihipStream_tbEUlT_E1_NS1_11comp_targetILNS1_3genE4ELNS1_11target_archE910ELNS1_3gpuE8ELNS1_3repE0EEENS1_30default_config_static_selectorELNS0_4arch9wavefront6targetE0EEEvSQ_: ; @_ZN7rocprim17ROCPRIM_400000_NS6detail17trampoline_kernelINS0_14default_configENS1_22reduce_config_selectorIiEEZNS1_11reduce_implILb1ES3_PiS7_iN6hipcub16HIPCUB_304000_NS6detail34convert_binary_result_type_wrapperINS9_3SumENS9_22TransformInputIteratorIbN2at6native12_GLOBAL__N_19NonZeroOpIsEEPKslEEiEEEE10hipError_tPvRmT1_T2_T3_mT4_P12ihipStream_tbEUlT_E1_NS1_11comp_targetILNS1_3genE4ELNS1_11target_archE910ELNS1_3gpuE8ELNS1_3repE0EEENS1_30default_config_static_selectorELNS0_4arch9wavefront6targetE0EEEvSQ_
; %bb.0:
	.section	.rodata,"a",@progbits
	.p2align	6, 0x0
	.amdhsa_kernel _ZN7rocprim17ROCPRIM_400000_NS6detail17trampoline_kernelINS0_14default_configENS1_22reduce_config_selectorIiEEZNS1_11reduce_implILb1ES3_PiS7_iN6hipcub16HIPCUB_304000_NS6detail34convert_binary_result_type_wrapperINS9_3SumENS9_22TransformInputIteratorIbN2at6native12_GLOBAL__N_19NonZeroOpIsEEPKslEEiEEEE10hipError_tPvRmT1_T2_T3_mT4_P12ihipStream_tbEUlT_E1_NS1_11comp_targetILNS1_3genE4ELNS1_11target_archE910ELNS1_3gpuE8ELNS1_3repE0EEENS1_30default_config_static_selectorELNS0_4arch9wavefront6targetE0EEEvSQ_
		.amdhsa_group_segment_fixed_size 0
		.amdhsa_private_segment_fixed_size 0
		.amdhsa_kernarg_size 40
		.amdhsa_user_sgpr_count 15
		.amdhsa_user_sgpr_dispatch_ptr 0
		.amdhsa_user_sgpr_queue_ptr 0
		.amdhsa_user_sgpr_kernarg_segment_ptr 1
		.amdhsa_user_sgpr_dispatch_id 0
		.amdhsa_user_sgpr_private_segment_size 0
		.amdhsa_wavefront_size32 1
		.amdhsa_uses_dynamic_stack 0
		.amdhsa_enable_private_segment 0
		.amdhsa_system_sgpr_workgroup_id_x 1
		.amdhsa_system_sgpr_workgroup_id_y 0
		.amdhsa_system_sgpr_workgroup_id_z 0
		.amdhsa_system_sgpr_workgroup_info 0
		.amdhsa_system_vgpr_workitem_id 0
		.amdhsa_next_free_vgpr 1
		.amdhsa_next_free_sgpr 1
		.amdhsa_reserve_vcc 0
		.amdhsa_float_round_mode_32 0
		.amdhsa_float_round_mode_16_64 0
		.amdhsa_float_denorm_mode_32 3
		.amdhsa_float_denorm_mode_16_64 3
		.amdhsa_dx10_clamp 1
		.amdhsa_ieee_mode 1
		.amdhsa_fp16_overflow 0
		.amdhsa_workgroup_processor_mode 1
		.amdhsa_memory_ordered 1
		.amdhsa_forward_progress 0
		.amdhsa_shared_vgpr_count 0
		.amdhsa_exception_fp_ieee_invalid_op 0
		.amdhsa_exception_fp_denorm_src 0
		.amdhsa_exception_fp_ieee_div_zero 0
		.amdhsa_exception_fp_ieee_overflow 0
		.amdhsa_exception_fp_ieee_underflow 0
		.amdhsa_exception_fp_ieee_inexact 0
		.amdhsa_exception_int_div_zero 0
	.end_amdhsa_kernel
	.section	.text._ZN7rocprim17ROCPRIM_400000_NS6detail17trampoline_kernelINS0_14default_configENS1_22reduce_config_selectorIiEEZNS1_11reduce_implILb1ES3_PiS7_iN6hipcub16HIPCUB_304000_NS6detail34convert_binary_result_type_wrapperINS9_3SumENS9_22TransformInputIteratorIbN2at6native12_GLOBAL__N_19NonZeroOpIsEEPKslEEiEEEE10hipError_tPvRmT1_T2_T3_mT4_P12ihipStream_tbEUlT_E1_NS1_11comp_targetILNS1_3genE4ELNS1_11target_archE910ELNS1_3gpuE8ELNS1_3repE0EEENS1_30default_config_static_selectorELNS0_4arch9wavefront6targetE0EEEvSQ_,"axG",@progbits,_ZN7rocprim17ROCPRIM_400000_NS6detail17trampoline_kernelINS0_14default_configENS1_22reduce_config_selectorIiEEZNS1_11reduce_implILb1ES3_PiS7_iN6hipcub16HIPCUB_304000_NS6detail34convert_binary_result_type_wrapperINS9_3SumENS9_22TransformInputIteratorIbN2at6native12_GLOBAL__N_19NonZeroOpIsEEPKslEEiEEEE10hipError_tPvRmT1_T2_T3_mT4_P12ihipStream_tbEUlT_E1_NS1_11comp_targetILNS1_3genE4ELNS1_11target_archE910ELNS1_3gpuE8ELNS1_3repE0EEENS1_30default_config_static_selectorELNS0_4arch9wavefront6targetE0EEEvSQ_,comdat
.Lfunc_end297:
	.size	_ZN7rocprim17ROCPRIM_400000_NS6detail17trampoline_kernelINS0_14default_configENS1_22reduce_config_selectorIiEEZNS1_11reduce_implILb1ES3_PiS7_iN6hipcub16HIPCUB_304000_NS6detail34convert_binary_result_type_wrapperINS9_3SumENS9_22TransformInputIteratorIbN2at6native12_GLOBAL__N_19NonZeroOpIsEEPKslEEiEEEE10hipError_tPvRmT1_T2_T3_mT4_P12ihipStream_tbEUlT_E1_NS1_11comp_targetILNS1_3genE4ELNS1_11target_archE910ELNS1_3gpuE8ELNS1_3repE0EEENS1_30default_config_static_selectorELNS0_4arch9wavefront6targetE0EEEvSQ_, .Lfunc_end297-_ZN7rocprim17ROCPRIM_400000_NS6detail17trampoline_kernelINS0_14default_configENS1_22reduce_config_selectorIiEEZNS1_11reduce_implILb1ES3_PiS7_iN6hipcub16HIPCUB_304000_NS6detail34convert_binary_result_type_wrapperINS9_3SumENS9_22TransformInputIteratorIbN2at6native12_GLOBAL__N_19NonZeroOpIsEEPKslEEiEEEE10hipError_tPvRmT1_T2_T3_mT4_P12ihipStream_tbEUlT_E1_NS1_11comp_targetILNS1_3genE4ELNS1_11target_archE910ELNS1_3gpuE8ELNS1_3repE0EEENS1_30default_config_static_selectorELNS0_4arch9wavefront6targetE0EEEvSQ_
                                        ; -- End function
	.section	.AMDGPU.csdata,"",@progbits
; Kernel info:
; codeLenInByte = 0
; NumSgprs: 0
; NumVgprs: 0
; ScratchSize: 0
; MemoryBound: 0
; FloatMode: 240
; IeeeMode: 1
; LDSByteSize: 0 bytes/workgroup (compile time only)
; SGPRBlocks: 0
; VGPRBlocks: 0
; NumSGPRsForWavesPerEU: 1
; NumVGPRsForWavesPerEU: 1
; Occupancy: 16
; WaveLimiterHint : 0
; COMPUTE_PGM_RSRC2:SCRATCH_EN: 0
; COMPUTE_PGM_RSRC2:USER_SGPR: 15
; COMPUTE_PGM_RSRC2:TRAP_HANDLER: 0
; COMPUTE_PGM_RSRC2:TGID_X_EN: 1
; COMPUTE_PGM_RSRC2:TGID_Y_EN: 0
; COMPUTE_PGM_RSRC2:TGID_Z_EN: 0
; COMPUTE_PGM_RSRC2:TIDIG_COMP_CNT: 0
	.section	.text._ZN7rocprim17ROCPRIM_400000_NS6detail17trampoline_kernelINS0_14default_configENS1_22reduce_config_selectorIiEEZNS1_11reduce_implILb1ES3_PiS7_iN6hipcub16HIPCUB_304000_NS6detail34convert_binary_result_type_wrapperINS9_3SumENS9_22TransformInputIteratorIbN2at6native12_GLOBAL__N_19NonZeroOpIsEEPKslEEiEEEE10hipError_tPvRmT1_T2_T3_mT4_P12ihipStream_tbEUlT_E1_NS1_11comp_targetILNS1_3genE3ELNS1_11target_archE908ELNS1_3gpuE7ELNS1_3repE0EEENS1_30default_config_static_selectorELNS0_4arch9wavefront6targetE0EEEvSQ_,"axG",@progbits,_ZN7rocprim17ROCPRIM_400000_NS6detail17trampoline_kernelINS0_14default_configENS1_22reduce_config_selectorIiEEZNS1_11reduce_implILb1ES3_PiS7_iN6hipcub16HIPCUB_304000_NS6detail34convert_binary_result_type_wrapperINS9_3SumENS9_22TransformInputIteratorIbN2at6native12_GLOBAL__N_19NonZeroOpIsEEPKslEEiEEEE10hipError_tPvRmT1_T2_T3_mT4_P12ihipStream_tbEUlT_E1_NS1_11comp_targetILNS1_3genE3ELNS1_11target_archE908ELNS1_3gpuE7ELNS1_3repE0EEENS1_30default_config_static_selectorELNS0_4arch9wavefront6targetE0EEEvSQ_,comdat
	.globl	_ZN7rocprim17ROCPRIM_400000_NS6detail17trampoline_kernelINS0_14default_configENS1_22reduce_config_selectorIiEEZNS1_11reduce_implILb1ES3_PiS7_iN6hipcub16HIPCUB_304000_NS6detail34convert_binary_result_type_wrapperINS9_3SumENS9_22TransformInputIteratorIbN2at6native12_GLOBAL__N_19NonZeroOpIsEEPKslEEiEEEE10hipError_tPvRmT1_T2_T3_mT4_P12ihipStream_tbEUlT_E1_NS1_11comp_targetILNS1_3genE3ELNS1_11target_archE908ELNS1_3gpuE7ELNS1_3repE0EEENS1_30default_config_static_selectorELNS0_4arch9wavefront6targetE0EEEvSQ_ ; -- Begin function _ZN7rocprim17ROCPRIM_400000_NS6detail17trampoline_kernelINS0_14default_configENS1_22reduce_config_selectorIiEEZNS1_11reduce_implILb1ES3_PiS7_iN6hipcub16HIPCUB_304000_NS6detail34convert_binary_result_type_wrapperINS9_3SumENS9_22TransformInputIteratorIbN2at6native12_GLOBAL__N_19NonZeroOpIsEEPKslEEiEEEE10hipError_tPvRmT1_T2_T3_mT4_P12ihipStream_tbEUlT_E1_NS1_11comp_targetILNS1_3genE3ELNS1_11target_archE908ELNS1_3gpuE7ELNS1_3repE0EEENS1_30default_config_static_selectorELNS0_4arch9wavefront6targetE0EEEvSQ_
	.p2align	8
	.type	_ZN7rocprim17ROCPRIM_400000_NS6detail17trampoline_kernelINS0_14default_configENS1_22reduce_config_selectorIiEEZNS1_11reduce_implILb1ES3_PiS7_iN6hipcub16HIPCUB_304000_NS6detail34convert_binary_result_type_wrapperINS9_3SumENS9_22TransformInputIteratorIbN2at6native12_GLOBAL__N_19NonZeroOpIsEEPKslEEiEEEE10hipError_tPvRmT1_T2_T3_mT4_P12ihipStream_tbEUlT_E1_NS1_11comp_targetILNS1_3genE3ELNS1_11target_archE908ELNS1_3gpuE7ELNS1_3repE0EEENS1_30default_config_static_selectorELNS0_4arch9wavefront6targetE0EEEvSQ_,@function
_ZN7rocprim17ROCPRIM_400000_NS6detail17trampoline_kernelINS0_14default_configENS1_22reduce_config_selectorIiEEZNS1_11reduce_implILb1ES3_PiS7_iN6hipcub16HIPCUB_304000_NS6detail34convert_binary_result_type_wrapperINS9_3SumENS9_22TransformInputIteratorIbN2at6native12_GLOBAL__N_19NonZeroOpIsEEPKslEEiEEEE10hipError_tPvRmT1_T2_T3_mT4_P12ihipStream_tbEUlT_E1_NS1_11comp_targetILNS1_3genE3ELNS1_11target_archE908ELNS1_3gpuE7ELNS1_3repE0EEENS1_30default_config_static_selectorELNS0_4arch9wavefront6targetE0EEEvSQ_: ; @_ZN7rocprim17ROCPRIM_400000_NS6detail17trampoline_kernelINS0_14default_configENS1_22reduce_config_selectorIiEEZNS1_11reduce_implILb1ES3_PiS7_iN6hipcub16HIPCUB_304000_NS6detail34convert_binary_result_type_wrapperINS9_3SumENS9_22TransformInputIteratorIbN2at6native12_GLOBAL__N_19NonZeroOpIsEEPKslEEiEEEE10hipError_tPvRmT1_T2_T3_mT4_P12ihipStream_tbEUlT_E1_NS1_11comp_targetILNS1_3genE3ELNS1_11target_archE908ELNS1_3gpuE7ELNS1_3repE0EEENS1_30default_config_static_selectorELNS0_4arch9wavefront6targetE0EEEvSQ_
; %bb.0:
	.section	.rodata,"a",@progbits
	.p2align	6, 0x0
	.amdhsa_kernel _ZN7rocprim17ROCPRIM_400000_NS6detail17trampoline_kernelINS0_14default_configENS1_22reduce_config_selectorIiEEZNS1_11reduce_implILb1ES3_PiS7_iN6hipcub16HIPCUB_304000_NS6detail34convert_binary_result_type_wrapperINS9_3SumENS9_22TransformInputIteratorIbN2at6native12_GLOBAL__N_19NonZeroOpIsEEPKslEEiEEEE10hipError_tPvRmT1_T2_T3_mT4_P12ihipStream_tbEUlT_E1_NS1_11comp_targetILNS1_3genE3ELNS1_11target_archE908ELNS1_3gpuE7ELNS1_3repE0EEENS1_30default_config_static_selectorELNS0_4arch9wavefront6targetE0EEEvSQ_
		.amdhsa_group_segment_fixed_size 0
		.amdhsa_private_segment_fixed_size 0
		.amdhsa_kernarg_size 40
		.amdhsa_user_sgpr_count 15
		.amdhsa_user_sgpr_dispatch_ptr 0
		.amdhsa_user_sgpr_queue_ptr 0
		.amdhsa_user_sgpr_kernarg_segment_ptr 1
		.amdhsa_user_sgpr_dispatch_id 0
		.amdhsa_user_sgpr_private_segment_size 0
		.amdhsa_wavefront_size32 1
		.amdhsa_uses_dynamic_stack 0
		.amdhsa_enable_private_segment 0
		.amdhsa_system_sgpr_workgroup_id_x 1
		.amdhsa_system_sgpr_workgroup_id_y 0
		.amdhsa_system_sgpr_workgroup_id_z 0
		.amdhsa_system_sgpr_workgroup_info 0
		.amdhsa_system_vgpr_workitem_id 0
		.amdhsa_next_free_vgpr 1
		.amdhsa_next_free_sgpr 1
		.amdhsa_reserve_vcc 0
		.amdhsa_float_round_mode_32 0
		.amdhsa_float_round_mode_16_64 0
		.amdhsa_float_denorm_mode_32 3
		.amdhsa_float_denorm_mode_16_64 3
		.amdhsa_dx10_clamp 1
		.amdhsa_ieee_mode 1
		.amdhsa_fp16_overflow 0
		.amdhsa_workgroup_processor_mode 1
		.amdhsa_memory_ordered 1
		.amdhsa_forward_progress 0
		.amdhsa_shared_vgpr_count 0
		.amdhsa_exception_fp_ieee_invalid_op 0
		.amdhsa_exception_fp_denorm_src 0
		.amdhsa_exception_fp_ieee_div_zero 0
		.amdhsa_exception_fp_ieee_overflow 0
		.amdhsa_exception_fp_ieee_underflow 0
		.amdhsa_exception_fp_ieee_inexact 0
		.amdhsa_exception_int_div_zero 0
	.end_amdhsa_kernel
	.section	.text._ZN7rocprim17ROCPRIM_400000_NS6detail17trampoline_kernelINS0_14default_configENS1_22reduce_config_selectorIiEEZNS1_11reduce_implILb1ES3_PiS7_iN6hipcub16HIPCUB_304000_NS6detail34convert_binary_result_type_wrapperINS9_3SumENS9_22TransformInputIteratorIbN2at6native12_GLOBAL__N_19NonZeroOpIsEEPKslEEiEEEE10hipError_tPvRmT1_T2_T3_mT4_P12ihipStream_tbEUlT_E1_NS1_11comp_targetILNS1_3genE3ELNS1_11target_archE908ELNS1_3gpuE7ELNS1_3repE0EEENS1_30default_config_static_selectorELNS0_4arch9wavefront6targetE0EEEvSQ_,"axG",@progbits,_ZN7rocprim17ROCPRIM_400000_NS6detail17trampoline_kernelINS0_14default_configENS1_22reduce_config_selectorIiEEZNS1_11reduce_implILb1ES3_PiS7_iN6hipcub16HIPCUB_304000_NS6detail34convert_binary_result_type_wrapperINS9_3SumENS9_22TransformInputIteratorIbN2at6native12_GLOBAL__N_19NonZeroOpIsEEPKslEEiEEEE10hipError_tPvRmT1_T2_T3_mT4_P12ihipStream_tbEUlT_E1_NS1_11comp_targetILNS1_3genE3ELNS1_11target_archE908ELNS1_3gpuE7ELNS1_3repE0EEENS1_30default_config_static_selectorELNS0_4arch9wavefront6targetE0EEEvSQ_,comdat
.Lfunc_end298:
	.size	_ZN7rocprim17ROCPRIM_400000_NS6detail17trampoline_kernelINS0_14default_configENS1_22reduce_config_selectorIiEEZNS1_11reduce_implILb1ES3_PiS7_iN6hipcub16HIPCUB_304000_NS6detail34convert_binary_result_type_wrapperINS9_3SumENS9_22TransformInputIteratorIbN2at6native12_GLOBAL__N_19NonZeroOpIsEEPKslEEiEEEE10hipError_tPvRmT1_T2_T3_mT4_P12ihipStream_tbEUlT_E1_NS1_11comp_targetILNS1_3genE3ELNS1_11target_archE908ELNS1_3gpuE7ELNS1_3repE0EEENS1_30default_config_static_selectorELNS0_4arch9wavefront6targetE0EEEvSQ_, .Lfunc_end298-_ZN7rocprim17ROCPRIM_400000_NS6detail17trampoline_kernelINS0_14default_configENS1_22reduce_config_selectorIiEEZNS1_11reduce_implILb1ES3_PiS7_iN6hipcub16HIPCUB_304000_NS6detail34convert_binary_result_type_wrapperINS9_3SumENS9_22TransformInputIteratorIbN2at6native12_GLOBAL__N_19NonZeroOpIsEEPKslEEiEEEE10hipError_tPvRmT1_T2_T3_mT4_P12ihipStream_tbEUlT_E1_NS1_11comp_targetILNS1_3genE3ELNS1_11target_archE908ELNS1_3gpuE7ELNS1_3repE0EEENS1_30default_config_static_selectorELNS0_4arch9wavefront6targetE0EEEvSQ_
                                        ; -- End function
	.section	.AMDGPU.csdata,"",@progbits
; Kernel info:
; codeLenInByte = 0
; NumSgprs: 0
; NumVgprs: 0
; ScratchSize: 0
; MemoryBound: 0
; FloatMode: 240
; IeeeMode: 1
; LDSByteSize: 0 bytes/workgroup (compile time only)
; SGPRBlocks: 0
; VGPRBlocks: 0
; NumSGPRsForWavesPerEU: 1
; NumVGPRsForWavesPerEU: 1
; Occupancy: 16
; WaveLimiterHint : 0
; COMPUTE_PGM_RSRC2:SCRATCH_EN: 0
; COMPUTE_PGM_RSRC2:USER_SGPR: 15
; COMPUTE_PGM_RSRC2:TRAP_HANDLER: 0
; COMPUTE_PGM_RSRC2:TGID_X_EN: 1
; COMPUTE_PGM_RSRC2:TGID_Y_EN: 0
; COMPUTE_PGM_RSRC2:TGID_Z_EN: 0
; COMPUTE_PGM_RSRC2:TIDIG_COMP_CNT: 0
	.section	.text._ZN7rocprim17ROCPRIM_400000_NS6detail17trampoline_kernelINS0_14default_configENS1_22reduce_config_selectorIiEEZNS1_11reduce_implILb1ES3_PiS7_iN6hipcub16HIPCUB_304000_NS6detail34convert_binary_result_type_wrapperINS9_3SumENS9_22TransformInputIteratorIbN2at6native12_GLOBAL__N_19NonZeroOpIsEEPKslEEiEEEE10hipError_tPvRmT1_T2_T3_mT4_P12ihipStream_tbEUlT_E1_NS1_11comp_targetILNS1_3genE2ELNS1_11target_archE906ELNS1_3gpuE6ELNS1_3repE0EEENS1_30default_config_static_selectorELNS0_4arch9wavefront6targetE0EEEvSQ_,"axG",@progbits,_ZN7rocprim17ROCPRIM_400000_NS6detail17trampoline_kernelINS0_14default_configENS1_22reduce_config_selectorIiEEZNS1_11reduce_implILb1ES3_PiS7_iN6hipcub16HIPCUB_304000_NS6detail34convert_binary_result_type_wrapperINS9_3SumENS9_22TransformInputIteratorIbN2at6native12_GLOBAL__N_19NonZeroOpIsEEPKslEEiEEEE10hipError_tPvRmT1_T2_T3_mT4_P12ihipStream_tbEUlT_E1_NS1_11comp_targetILNS1_3genE2ELNS1_11target_archE906ELNS1_3gpuE6ELNS1_3repE0EEENS1_30default_config_static_selectorELNS0_4arch9wavefront6targetE0EEEvSQ_,comdat
	.globl	_ZN7rocprim17ROCPRIM_400000_NS6detail17trampoline_kernelINS0_14default_configENS1_22reduce_config_selectorIiEEZNS1_11reduce_implILb1ES3_PiS7_iN6hipcub16HIPCUB_304000_NS6detail34convert_binary_result_type_wrapperINS9_3SumENS9_22TransformInputIteratorIbN2at6native12_GLOBAL__N_19NonZeroOpIsEEPKslEEiEEEE10hipError_tPvRmT1_T2_T3_mT4_P12ihipStream_tbEUlT_E1_NS1_11comp_targetILNS1_3genE2ELNS1_11target_archE906ELNS1_3gpuE6ELNS1_3repE0EEENS1_30default_config_static_selectorELNS0_4arch9wavefront6targetE0EEEvSQ_ ; -- Begin function _ZN7rocprim17ROCPRIM_400000_NS6detail17trampoline_kernelINS0_14default_configENS1_22reduce_config_selectorIiEEZNS1_11reduce_implILb1ES3_PiS7_iN6hipcub16HIPCUB_304000_NS6detail34convert_binary_result_type_wrapperINS9_3SumENS9_22TransformInputIteratorIbN2at6native12_GLOBAL__N_19NonZeroOpIsEEPKslEEiEEEE10hipError_tPvRmT1_T2_T3_mT4_P12ihipStream_tbEUlT_E1_NS1_11comp_targetILNS1_3genE2ELNS1_11target_archE906ELNS1_3gpuE6ELNS1_3repE0EEENS1_30default_config_static_selectorELNS0_4arch9wavefront6targetE0EEEvSQ_
	.p2align	8
	.type	_ZN7rocprim17ROCPRIM_400000_NS6detail17trampoline_kernelINS0_14default_configENS1_22reduce_config_selectorIiEEZNS1_11reduce_implILb1ES3_PiS7_iN6hipcub16HIPCUB_304000_NS6detail34convert_binary_result_type_wrapperINS9_3SumENS9_22TransformInputIteratorIbN2at6native12_GLOBAL__N_19NonZeroOpIsEEPKslEEiEEEE10hipError_tPvRmT1_T2_T3_mT4_P12ihipStream_tbEUlT_E1_NS1_11comp_targetILNS1_3genE2ELNS1_11target_archE906ELNS1_3gpuE6ELNS1_3repE0EEENS1_30default_config_static_selectorELNS0_4arch9wavefront6targetE0EEEvSQ_,@function
_ZN7rocprim17ROCPRIM_400000_NS6detail17trampoline_kernelINS0_14default_configENS1_22reduce_config_selectorIiEEZNS1_11reduce_implILb1ES3_PiS7_iN6hipcub16HIPCUB_304000_NS6detail34convert_binary_result_type_wrapperINS9_3SumENS9_22TransformInputIteratorIbN2at6native12_GLOBAL__N_19NonZeroOpIsEEPKslEEiEEEE10hipError_tPvRmT1_T2_T3_mT4_P12ihipStream_tbEUlT_E1_NS1_11comp_targetILNS1_3genE2ELNS1_11target_archE906ELNS1_3gpuE6ELNS1_3repE0EEENS1_30default_config_static_selectorELNS0_4arch9wavefront6targetE0EEEvSQ_: ; @_ZN7rocprim17ROCPRIM_400000_NS6detail17trampoline_kernelINS0_14default_configENS1_22reduce_config_selectorIiEEZNS1_11reduce_implILb1ES3_PiS7_iN6hipcub16HIPCUB_304000_NS6detail34convert_binary_result_type_wrapperINS9_3SumENS9_22TransformInputIteratorIbN2at6native12_GLOBAL__N_19NonZeroOpIsEEPKslEEiEEEE10hipError_tPvRmT1_T2_T3_mT4_P12ihipStream_tbEUlT_E1_NS1_11comp_targetILNS1_3genE2ELNS1_11target_archE906ELNS1_3gpuE6ELNS1_3repE0EEENS1_30default_config_static_selectorELNS0_4arch9wavefront6targetE0EEEvSQ_
; %bb.0:
	.section	.rodata,"a",@progbits
	.p2align	6, 0x0
	.amdhsa_kernel _ZN7rocprim17ROCPRIM_400000_NS6detail17trampoline_kernelINS0_14default_configENS1_22reduce_config_selectorIiEEZNS1_11reduce_implILb1ES3_PiS7_iN6hipcub16HIPCUB_304000_NS6detail34convert_binary_result_type_wrapperINS9_3SumENS9_22TransformInputIteratorIbN2at6native12_GLOBAL__N_19NonZeroOpIsEEPKslEEiEEEE10hipError_tPvRmT1_T2_T3_mT4_P12ihipStream_tbEUlT_E1_NS1_11comp_targetILNS1_3genE2ELNS1_11target_archE906ELNS1_3gpuE6ELNS1_3repE0EEENS1_30default_config_static_selectorELNS0_4arch9wavefront6targetE0EEEvSQ_
		.amdhsa_group_segment_fixed_size 0
		.amdhsa_private_segment_fixed_size 0
		.amdhsa_kernarg_size 40
		.amdhsa_user_sgpr_count 15
		.amdhsa_user_sgpr_dispatch_ptr 0
		.amdhsa_user_sgpr_queue_ptr 0
		.amdhsa_user_sgpr_kernarg_segment_ptr 1
		.amdhsa_user_sgpr_dispatch_id 0
		.amdhsa_user_sgpr_private_segment_size 0
		.amdhsa_wavefront_size32 1
		.amdhsa_uses_dynamic_stack 0
		.amdhsa_enable_private_segment 0
		.amdhsa_system_sgpr_workgroup_id_x 1
		.amdhsa_system_sgpr_workgroup_id_y 0
		.amdhsa_system_sgpr_workgroup_id_z 0
		.amdhsa_system_sgpr_workgroup_info 0
		.amdhsa_system_vgpr_workitem_id 0
		.amdhsa_next_free_vgpr 1
		.amdhsa_next_free_sgpr 1
		.amdhsa_reserve_vcc 0
		.amdhsa_float_round_mode_32 0
		.amdhsa_float_round_mode_16_64 0
		.amdhsa_float_denorm_mode_32 3
		.amdhsa_float_denorm_mode_16_64 3
		.amdhsa_dx10_clamp 1
		.amdhsa_ieee_mode 1
		.amdhsa_fp16_overflow 0
		.amdhsa_workgroup_processor_mode 1
		.amdhsa_memory_ordered 1
		.amdhsa_forward_progress 0
		.amdhsa_shared_vgpr_count 0
		.amdhsa_exception_fp_ieee_invalid_op 0
		.amdhsa_exception_fp_denorm_src 0
		.amdhsa_exception_fp_ieee_div_zero 0
		.amdhsa_exception_fp_ieee_overflow 0
		.amdhsa_exception_fp_ieee_underflow 0
		.amdhsa_exception_fp_ieee_inexact 0
		.amdhsa_exception_int_div_zero 0
	.end_amdhsa_kernel
	.section	.text._ZN7rocprim17ROCPRIM_400000_NS6detail17trampoline_kernelINS0_14default_configENS1_22reduce_config_selectorIiEEZNS1_11reduce_implILb1ES3_PiS7_iN6hipcub16HIPCUB_304000_NS6detail34convert_binary_result_type_wrapperINS9_3SumENS9_22TransformInputIteratorIbN2at6native12_GLOBAL__N_19NonZeroOpIsEEPKslEEiEEEE10hipError_tPvRmT1_T2_T3_mT4_P12ihipStream_tbEUlT_E1_NS1_11comp_targetILNS1_3genE2ELNS1_11target_archE906ELNS1_3gpuE6ELNS1_3repE0EEENS1_30default_config_static_selectorELNS0_4arch9wavefront6targetE0EEEvSQ_,"axG",@progbits,_ZN7rocprim17ROCPRIM_400000_NS6detail17trampoline_kernelINS0_14default_configENS1_22reduce_config_selectorIiEEZNS1_11reduce_implILb1ES3_PiS7_iN6hipcub16HIPCUB_304000_NS6detail34convert_binary_result_type_wrapperINS9_3SumENS9_22TransformInputIteratorIbN2at6native12_GLOBAL__N_19NonZeroOpIsEEPKslEEiEEEE10hipError_tPvRmT1_T2_T3_mT4_P12ihipStream_tbEUlT_E1_NS1_11comp_targetILNS1_3genE2ELNS1_11target_archE906ELNS1_3gpuE6ELNS1_3repE0EEENS1_30default_config_static_selectorELNS0_4arch9wavefront6targetE0EEEvSQ_,comdat
.Lfunc_end299:
	.size	_ZN7rocprim17ROCPRIM_400000_NS6detail17trampoline_kernelINS0_14default_configENS1_22reduce_config_selectorIiEEZNS1_11reduce_implILb1ES3_PiS7_iN6hipcub16HIPCUB_304000_NS6detail34convert_binary_result_type_wrapperINS9_3SumENS9_22TransformInputIteratorIbN2at6native12_GLOBAL__N_19NonZeroOpIsEEPKslEEiEEEE10hipError_tPvRmT1_T2_T3_mT4_P12ihipStream_tbEUlT_E1_NS1_11comp_targetILNS1_3genE2ELNS1_11target_archE906ELNS1_3gpuE6ELNS1_3repE0EEENS1_30default_config_static_selectorELNS0_4arch9wavefront6targetE0EEEvSQ_, .Lfunc_end299-_ZN7rocprim17ROCPRIM_400000_NS6detail17trampoline_kernelINS0_14default_configENS1_22reduce_config_selectorIiEEZNS1_11reduce_implILb1ES3_PiS7_iN6hipcub16HIPCUB_304000_NS6detail34convert_binary_result_type_wrapperINS9_3SumENS9_22TransformInputIteratorIbN2at6native12_GLOBAL__N_19NonZeroOpIsEEPKslEEiEEEE10hipError_tPvRmT1_T2_T3_mT4_P12ihipStream_tbEUlT_E1_NS1_11comp_targetILNS1_3genE2ELNS1_11target_archE906ELNS1_3gpuE6ELNS1_3repE0EEENS1_30default_config_static_selectorELNS0_4arch9wavefront6targetE0EEEvSQ_
                                        ; -- End function
	.section	.AMDGPU.csdata,"",@progbits
; Kernel info:
; codeLenInByte = 0
; NumSgprs: 0
; NumVgprs: 0
; ScratchSize: 0
; MemoryBound: 0
; FloatMode: 240
; IeeeMode: 1
; LDSByteSize: 0 bytes/workgroup (compile time only)
; SGPRBlocks: 0
; VGPRBlocks: 0
; NumSGPRsForWavesPerEU: 1
; NumVGPRsForWavesPerEU: 1
; Occupancy: 16
; WaveLimiterHint : 0
; COMPUTE_PGM_RSRC2:SCRATCH_EN: 0
; COMPUTE_PGM_RSRC2:USER_SGPR: 15
; COMPUTE_PGM_RSRC2:TRAP_HANDLER: 0
; COMPUTE_PGM_RSRC2:TGID_X_EN: 1
; COMPUTE_PGM_RSRC2:TGID_Y_EN: 0
; COMPUTE_PGM_RSRC2:TGID_Z_EN: 0
; COMPUTE_PGM_RSRC2:TIDIG_COMP_CNT: 0
	.section	.text._ZN7rocprim17ROCPRIM_400000_NS6detail17trampoline_kernelINS0_14default_configENS1_22reduce_config_selectorIiEEZNS1_11reduce_implILb1ES3_PiS7_iN6hipcub16HIPCUB_304000_NS6detail34convert_binary_result_type_wrapperINS9_3SumENS9_22TransformInputIteratorIbN2at6native12_GLOBAL__N_19NonZeroOpIsEEPKslEEiEEEE10hipError_tPvRmT1_T2_T3_mT4_P12ihipStream_tbEUlT_E1_NS1_11comp_targetILNS1_3genE10ELNS1_11target_archE1201ELNS1_3gpuE5ELNS1_3repE0EEENS1_30default_config_static_selectorELNS0_4arch9wavefront6targetE0EEEvSQ_,"axG",@progbits,_ZN7rocprim17ROCPRIM_400000_NS6detail17trampoline_kernelINS0_14default_configENS1_22reduce_config_selectorIiEEZNS1_11reduce_implILb1ES3_PiS7_iN6hipcub16HIPCUB_304000_NS6detail34convert_binary_result_type_wrapperINS9_3SumENS9_22TransformInputIteratorIbN2at6native12_GLOBAL__N_19NonZeroOpIsEEPKslEEiEEEE10hipError_tPvRmT1_T2_T3_mT4_P12ihipStream_tbEUlT_E1_NS1_11comp_targetILNS1_3genE10ELNS1_11target_archE1201ELNS1_3gpuE5ELNS1_3repE0EEENS1_30default_config_static_selectorELNS0_4arch9wavefront6targetE0EEEvSQ_,comdat
	.globl	_ZN7rocprim17ROCPRIM_400000_NS6detail17trampoline_kernelINS0_14default_configENS1_22reduce_config_selectorIiEEZNS1_11reduce_implILb1ES3_PiS7_iN6hipcub16HIPCUB_304000_NS6detail34convert_binary_result_type_wrapperINS9_3SumENS9_22TransformInputIteratorIbN2at6native12_GLOBAL__N_19NonZeroOpIsEEPKslEEiEEEE10hipError_tPvRmT1_T2_T3_mT4_P12ihipStream_tbEUlT_E1_NS1_11comp_targetILNS1_3genE10ELNS1_11target_archE1201ELNS1_3gpuE5ELNS1_3repE0EEENS1_30default_config_static_selectorELNS0_4arch9wavefront6targetE0EEEvSQ_ ; -- Begin function _ZN7rocprim17ROCPRIM_400000_NS6detail17trampoline_kernelINS0_14default_configENS1_22reduce_config_selectorIiEEZNS1_11reduce_implILb1ES3_PiS7_iN6hipcub16HIPCUB_304000_NS6detail34convert_binary_result_type_wrapperINS9_3SumENS9_22TransformInputIteratorIbN2at6native12_GLOBAL__N_19NonZeroOpIsEEPKslEEiEEEE10hipError_tPvRmT1_T2_T3_mT4_P12ihipStream_tbEUlT_E1_NS1_11comp_targetILNS1_3genE10ELNS1_11target_archE1201ELNS1_3gpuE5ELNS1_3repE0EEENS1_30default_config_static_selectorELNS0_4arch9wavefront6targetE0EEEvSQ_
	.p2align	8
	.type	_ZN7rocprim17ROCPRIM_400000_NS6detail17trampoline_kernelINS0_14default_configENS1_22reduce_config_selectorIiEEZNS1_11reduce_implILb1ES3_PiS7_iN6hipcub16HIPCUB_304000_NS6detail34convert_binary_result_type_wrapperINS9_3SumENS9_22TransformInputIteratorIbN2at6native12_GLOBAL__N_19NonZeroOpIsEEPKslEEiEEEE10hipError_tPvRmT1_T2_T3_mT4_P12ihipStream_tbEUlT_E1_NS1_11comp_targetILNS1_3genE10ELNS1_11target_archE1201ELNS1_3gpuE5ELNS1_3repE0EEENS1_30default_config_static_selectorELNS0_4arch9wavefront6targetE0EEEvSQ_,@function
_ZN7rocprim17ROCPRIM_400000_NS6detail17trampoline_kernelINS0_14default_configENS1_22reduce_config_selectorIiEEZNS1_11reduce_implILb1ES3_PiS7_iN6hipcub16HIPCUB_304000_NS6detail34convert_binary_result_type_wrapperINS9_3SumENS9_22TransformInputIteratorIbN2at6native12_GLOBAL__N_19NonZeroOpIsEEPKslEEiEEEE10hipError_tPvRmT1_T2_T3_mT4_P12ihipStream_tbEUlT_E1_NS1_11comp_targetILNS1_3genE10ELNS1_11target_archE1201ELNS1_3gpuE5ELNS1_3repE0EEENS1_30default_config_static_selectorELNS0_4arch9wavefront6targetE0EEEvSQ_: ; @_ZN7rocprim17ROCPRIM_400000_NS6detail17trampoline_kernelINS0_14default_configENS1_22reduce_config_selectorIiEEZNS1_11reduce_implILb1ES3_PiS7_iN6hipcub16HIPCUB_304000_NS6detail34convert_binary_result_type_wrapperINS9_3SumENS9_22TransformInputIteratorIbN2at6native12_GLOBAL__N_19NonZeroOpIsEEPKslEEiEEEE10hipError_tPvRmT1_T2_T3_mT4_P12ihipStream_tbEUlT_E1_NS1_11comp_targetILNS1_3genE10ELNS1_11target_archE1201ELNS1_3gpuE5ELNS1_3repE0EEENS1_30default_config_static_selectorELNS0_4arch9wavefront6targetE0EEEvSQ_
; %bb.0:
	.section	.rodata,"a",@progbits
	.p2align	6, 0x0
	.amdhsa_kernel _ZN7rocprim17ROCPRIM_400000_NS6detail17trampoline_kernelINS0_14default_configENS1_22reduce_config_selectorIiEEZNS1_11reduce_implILb1ES3_PiS7_iN6hipcub16HIPCUB_304000_NS6detail34convert_binary_result_type_wrapperINS9_3SumENS9_22TransformInputIteratorIbN2at6native12_GLOBAL__N_19NonZeroOpIsEEPKslEEiEEEE10hipError_tPvRmT1_T2_T3_mT4_P12ihipStream_tbEUlT_E1_NS1_11comp_targetILNS1_3genE10ELNS1_11target_archE1201ELNS1_3gpuE5ELNS1_3repE0EEENS1_30default_config_static_selectorELNS0_4arch9wavefront6targetE0EEEvSQ_
		.amdhsa_group_segment_fixed_size 0
		.amdhsa_private_segment_fixed_size 0
		.amdhsa_kernarg_size 40
		.amdhsa_user_sgpr_count 15
		.amdhsa_user_sgpr_dispatch_ptr 0
		.amdhsa_user_sgpr_queue_ptr 0
		.amdhsa_user_sgpr_kernarg_segment_ptr 1
		.amdhsa_user_sgpr_dispatch_id 0
		.amdhsa_user_sgpr_private_segment_size 0
		.amdhsa_wavefront_size32 1
		.amdhsa_uses_dynamic_stack 0
		.amdhsa_enable_private_segment 0
		.amdhsa_system_sgpr_workgroup_id_x 1
		.amdhsa_system_sgpr_workgroup_id_y 0
		.amdhsa_system_sgpr_workgroup_id_z 0
		.amdhsa_system_sgpr_workgroup_info 0
		.amdhsa_system_vgpr_workitem_id 0
		.amdhsa_next_free_vgpr 1
		.amdhsa_next_free_sgpr 1
		.amdhsa_reserve_vcc 0
		.amdhsa_float_round_mode_32 0
		.amdhsa_float_round_mode_16_64 0
		.amdhsa_float_denorm_mode_32 3
		.amdhsa_float_denorm_mode_16_64 3
		.amdhsa_dx10_clamp 1
		.amdhsa_ieee_mode 1
		.amdhsa_fp16_overflow 0
		.amdhsa_workgroup_processor_mode 1
		.amdhsa_memory_ordered 1
		.amdhsa_forward_progress 0
		.amdhsa_shared_vgpr_count 0
		.amdhsa_exception_fp_ieee_invalid_op 0
		.amdhsa_exception_fp_denorm_src 0
		.amdhsa_exception_fp_ieee_div_zero 0
		.amdhsa_exception_fp_ieee_overflow 0
		.amdhsa_exception_fp_ieee_underflow 0
		.amdhsa_exception_fp_ieee_inexact 0
		.amdhsa_exception_int_div_zero 0
	.end_amdhsa_kernel
	.section	.text._ZN7rocprim17ROCPRIM_400000_NS6detail17trampoline_kernelINS0_14default_configENS1_22reduce_config_selectorIiEEZNS1_11reduce_implILb1ES3_PiS7_iN6hipcub16HIPCUB_304000_NS6detail34convert_binary_result_type_wrapperINS9_3SumENS9_22TransformInputIteratorIbN2at6native12_GLOBAL__N_19NonZeroOpIsEEPKslEEiEEEE10hipError_tPvRmT1_T2_T3_mT4_P12ihipStream_tbEUlT_E1_NS1_11comp_targetILNS1_3genE10ELNS1_11target_archE1201ELNS1_3gpuE5ELNS1_3repE0EEENS1_30default_config_static_selectorELNS0_4arch9wavefront6targetE0EEEvSQ_,"axG",@progbits,_ZN7rocprim17ROCPRIM_400000_NS6detail17trampoline_kernelINS0_14default_configENS1_22reduce_config_selectorIiEEZNS1_11reduce_implILb1ES3_PiS7_iN6hipcub16HIPCUB_304000_NS6detail34convert_binary_result_type_wrapperINS9_3SumENS9_22TransformInputIteratorIbN2at6native12_GLOBAL__N_19NonZeroOpIsEEPKslEEiEEEE10hipError_tPvRmT1_T2_T3_mT4_P12ihipStream_tbEUlT_E1_NS1_11comp_targetILNS1_3genE10ELNS1_11target_archE1201ELNS1_3gpuE5ELNS1_3repE0EEENS1_30default_config_static_selectorELNS0_4arch9wavefront6targetE0EEEvSQ_,comdat
.Lfunc_end300:
	.size	_ZN7rocprim17ROCPRIM_400000_NS6detail17trampoline_kernelINS0_14default_configENS1_22reduce_config_selectorIiEEZNS1_11reduce_implILb1ES3_PiS7_iN6hipcub16HIPCUB_304000_NS6detail34convert_binary_result_type_wrapperINS9_3SumENS9_22TransformInputIteratorIbN2at6native12_GLOBAL__N_19NonZeroOpIsEEPKslEEiEEEE10hipError_tPvRmT1_T2_T3_mT4_P12ihipStream_tbEUlT_E1_NS1_11comp_targetILNS1_3genE10ELNS1_11target_archE1201ELNS1_3gpuE5ELNS1_3repE0EEENS1_30default_config_static_selectorELNS0_4arch9wavefront6targetE0EEEvSQ_, .Lfunc_end300-_ZN7rocprim17ROCPRIM_400000_NS6detail17trampoline_kernelINS0_14default_configENS1_22reduce_config_selectorIiEEZNS1_11reduce_implILb1ES3_PiS7_iN6hipcub16HIPCUB_304000_NS6detail34convert_binary_result_type_wrapperINS9_3SumENS9_22TransformInputIteratorIbN2at6native12_GLOBAL__N_19NonZeroOpIsEEPKslEEiEEEE10hipError_tPvRmT1_T2_T3_mT4_P12ihipStream_tbEUlT_E1_NS1_11comp_targetILNS1_3genE10ELNS1_11target_archE1201ELNS1_3gpuE5ELNS1_3repE0EEENS1_30default_config_static_selectorELNS0_4arch9wavefront6targetE0EEEvSQ_
                                        ; -- End function
	.section	.AMDGPU.csdata,"",@progbits
; Kernel info:
; codeLenInByte = 0
; NumSgprs: 0
; NumVgprs: 0
; ScratchSize: 0
; MemoryBound: 0
; FloatMode: 240
; IeeeMode: 1
; LDSByteSize: 0 bytes/workgroup (compile time only)
; SGPRBlocks: 0
; VGPRBlocks: 0
; NumSGPRsForWavesPerEU: 1
; NumVGPRsForWavesPerEU: 1
; Occupancy: 16
; WaveLimiterHint : 0
; COMPUTE_PGM_RSRC2:SCRATCH_EN: 0
; COMPUTE_PGM_RSRC2:USER_SGPR: 15
; COMPUTE_PGM_RSRC2:TRAP_HANDLER: 0
; COMPUTE_PGM_RSRC2:TGID_X_EN: 1
; COMPUTE_PGM_RSRC2:TGID_Y_EN: 0
; COMPUTE_PGM_RSRC2:TGID_Z_EN: 0
; COMPUTE_PGM_RSRC2:TIDIG_COMP_CNT: 0
	.section	.text._ZN7rocprim17ROCPRIM_400000_NS6detail17trampoline_kernelINS0_14default_configENS1_22reduce_config_selectorIiEEZNS1_11reduce_implILb1ES3_PiS7_iN6hipcub16HIPCUB_304000_NS6detail34convert_binary_result_type_wrapperINS9_3SumENS9_22TransformInputIteratorIbN2at6native12_GLOBAL__N_19NonZeroOpIsEEPKslEEiEEEE10hipError_tPvRmT1_T2_T3_mT4_P12ihipStream_tbEUlT_E1_NS1_11comp_targetILNS1_3genE10ELNS1_11target_archE1200ELNS1_3gpuE4ELNS1_3repE0EEENS1_30default_config_static_selectorELNS0_4arch9wavefront6targetE0EEEvSQ_,"axG",@progbits,_ZN7rocprim17ROCPRIM_400000_NS6detail17trampoline_kernelINS0_14default_configENS1_22reduce_config_selectorIiEEZNS1_11reduce_implILb1ES3_PiS7_iN6hipcub16HIPCUB_304000_NS6detail34convert_binary_result_type_wrapperINS9_3SumENS9_22TransformInputIteratorIbN2at6native12_GLOBAL__N_19NonZeroOpIsEEPKslEEiEEEE10hipError_tPvRmT1_T2_T3_mT4_P12ihipStream_tbEUlT_E1_NS1_11comp_targetILNS1_3genE10ELNS1_11target_archE1200ELNS1_3gpuE4ELNS1_3repE0EEENS1_30default_config_static_selectorELNS0_4arch9wavefront6targetE0EEEvSQ_,comdat
	.globl	_ZN7rocprim17ROCPRIM_400000_NS6detail17trampoline_kernelINS0_14default_configENS1_22reduce_config_selectorIiEEZNS1_11reduce_implILb1ES3_PiS7_iN6hipcub16HIPCUB_304000_NS6detail34convert_binary_result_type_wrapperINS9_3SumENS9_22TransformInputIteratorIbN2at6native12_GLOBAL__N_19NonZeroOpIsEEPKslEEiEEEE10hipError_tPvRmT1_T2_T3_mT4_P12ihipStream_tbEUlT_E1_NS1_11comp_targetILNS1_3genE10ELNS1_11target_archE1200ELNS1_3gpuE4ELNS1_3repE0EEENS1_30default_config_static_selectorELNS0_4arch9wavefront6targetE0EEEvSQ_ ; -- Begin function _ZN7rocprim17ROCPRIM_400000_NS6detail17trampoline_kernelINS0_14default_configENS1_22reduce_config_selectorIiEEZNS1_11reduce_implILb1ES3_PiS7_iN6hipcub16HIPCUB_304000_NS6detail34convert_binary_result_type_wrapperINS9_3SumENS9_22TransformInputIteratorIbN2at6native12_GLOBAL__N_19NonZeroOpIsEEPKslEEiEEEE10hipError_tPvRmT1_T2_T3_mT4_P12ihipStream_tbEUlT_E1_NS1_11comp_targetILNS1_3genE10ELNS1_11target_archE1200ELNS1_3gpuE4ELNS1_3repE0EEENS1_30default_config_static_selectorELNS0_4arch9wavefront6targetE0EEEvSQ_
	.p2align	8
	.type	_ZN7rocprim17ROCPRIM_400000_NS6detail17trampoline_kernelINS0_14default_configENS1_22reduce_config_selectorIiEEZNS1_11reduce_implILb1ES3_PiS7_iN6hipcub16HIPCUB_304000_NS6detail34convert_binary_result_type_wrapperINS9_3SumENS9_22TransformInputIteratorIbN2at6native12_GLOBAL__N_19NonZeroOpIsEEPKslEEiEEEE10hipError_tPvRmT1_T2_T3_mT4_P12ihipStream_tbEUlT_E1_NS1_11comp_targetILNS1_3genE10ELNS1_11target_archE1200ELNS1_3gpuE4ELNS1_3repE0EEENS1_30default_config_static_selectorELNS0_4arch9wavefront6targetE0EEEvSQ_,@function
_ZN7rocprim17ROCPRIM_400000_NS6detail17trampoline_kernelINS0_14default_configENS1_22reduce_config_selectorIiEEZNS1_11reduce_implILb1ES3_PiS7_iN6hipcub16HIPCUB_304000_NS6detail34convert_binary_result_type_wrapperINS9_3SumENS9_22TransformInputIteratorIbN2at6native12_GLOBAL__N_19NonZeroOpIsEEPKslEEiEEEE10hipError_tPvRmT1_T2_T3_mT4_P12ihipStream_tbEUlT_E1_NS1_11comp_targetILNS1_3genE10ELNS1_11target_archE1200ELNS1_3gpuE4ELNS1_3repE0EEENS1_30default_config_static_selectorELNS0_4arch9wavefront6targetE0EEEvSQ_: ; @_ZN7rocprim17ROCPRIM_400000_NS6detail17trampoline_kernelINS0_14default_configENS1_22reduce_config_selectorIiEEZNS1_11reduce_implILb1ES3_PiS7_iN6hipcub16HIPCUB_304000_NS6detail34convert_binary_result_type_wrapperINS9_3SumENS9_22TransformInputIteratorIbN2at6native12_GLOBAL__N_19NonZeroOpIsEEPKslEEiEEEE10hipError_tPvRmT1_T2_T3_mT4_P12ihipStream_tbEUlT_E1_NS1_11comp_targetILNS1_3genE10ELNS1_11target_archE1200ELNS1_3gpuE4ELNS1_3repE0EEENS1_30default_config_static_selectorELNS0_4arch9wavefront6targetE0EEEvSQ_
; %bb.0:
	.section	.rodata,"a",@progbits
	.p2align	6, 0x0
	.amdhsa_kernel _ZN7rocprim17ROCPRIM_400000_NS6detail17trampoline_kernelINS0_14default_configENS1_22reduce_config_selectorIiEEZNS1_11reduce_implILb1ES3_PiS7_iN6hipcub16HIPCUB_304000_NS6detail34convert_binary_result_type_wrapperINS9_3SumENS9_22TransformInputIteratorIbN2at6native12_GLOBAL__N_19NonZeroOpIsEEPKslEEiEEEE10hipError_tPvRmT1_T2_T3_mT4_P12ihipStream_tbEUlT_E1_NS1_11comp_targetILNS1_3genE10ELNS1_11target_archE1200ELNS1_3gpuE4ELNS1_3repE0EEENS1_30default_config_static_selectorELNS0_4arch9wavefront6targetE0EEEvSQ_
		.amdhsa_group_segment_fixed_size 0
		.amdhsa_private_segment_fixed_size 0
		.amdhsa_kernarg_size 40
		.amdhsa_user_sgpr_count 15
		.amdhsa_user_sgpr_dispatch_ptr 0
		.amdhsa_user_sgpr_queue_ptr 0
		.amdhsa_user_sgpr_kernarg_segment_ptr 1
		.amdhsa_user_sgpr_dispatch_id 0
		.amdhsa_user_sgpr_private_segment_size 0
		.amdhsa_wavefront_size32 1
		.amdhsa_uses_dynamic_stack 0
		.amdhsa_enable_private_segment 0
		.amdhsa_system_sgpr_workgroup_id_x 1
		.amdhsa_system_sgpr_workgroup_id_y 0
		.amdhsa_system_sgpr_workgroup_id_z 0
		.amdhsa_system_sgpr_workgroup_info 0
		.amdhsa_system_vgpr_workitem_id 0
		.amdhsa_next_free_vgpr 1
		.amdhsa_next_free_sgpr 1
		.amdhsa_reserve_vcc 0
		.amdhsa_float_round_mode_32 0
		.amdhsa_float_round_mode_16_64 0
		.amdhsa_float_denorm_mode_32 3
		.amdhsa_float_denorm_mode_16_64 3
		.amdhsa_dx10_clamp 1
		.amdhsa_ieee_mode 1
		.amdhsa_fp16_overflow 0
		.amdhsa_workgroup_processor_mode 1
		.amdhsa_memory_ordered 1
		.amdhsa_forward_progress 0
		.amdhsa_shared_vgpr_count 0
		.amdhsa_exception_fp_ieee_invalid_op 0
		.amdhsa_exception_fp_denorm_src 0
		.amdhsa_exception_fp_ieee_div_zero 0
		.amdhsa_exception_fp_ieee_overflow 0
		.amdhsa_exception_fp_ieee_underflow 0
		.amdhsa_exception_fp_ieee_inexact 0
		.amdhsa_exception_int_div_zero 0
	.end_amdhsa_kernel
	.section	.text._ZN7rocprim17ROCPRIM_400000_NS6detail17trampoline_kernelINS0_14default_configENS1_22reduce_config_selectorIiEEZNS1_11reduce_implILb1ES3_PiS7_iN6hipcub16HIPCUB_304000_NS6detail34convert_binary_result_type_wrapperINS9_3SumENS9_22TransformInputIteratorIbN2at6native12_GLOBAL__N_19NonZeroOpIsEEPKslEEiEEEE10hipError_tPvRmT1_T2_T3_mT4_P12ihipStream_tbEUlT_E1_NS1_11comp_targetILNS1_3genE10ELNS1_11target_archE1200ELNS1_3gpuE4ELNS1_3repE0EEENS1_30default_config_static_selectorELNS0_4arch9wavefront6targetE0EEEvSQ_,"axG",@progbits,_ZN7rocprim17ROCPRIM_400000_NS6detail17trampoline_kernelINS0_14default_configENS1_22reduce_config_selectorIiEEZNS1_11reduce_implILb1ES3_PiS7_iN6hipcub16HIPCUB_304000_NS6detail34convert_binary_result_type_wrapperINS9_3SumENS9_22TransformInputIteratorIbN2at6native12_GLOBAL__N_19NonZeroOpIsEEPKslEEiEEEE10hipError_tPvRmT1_T2_T3_mT4_P12ihipStream_tbEUlT_E1_NS1_11comp_targetILNS1_3genE10ELNS1_11target_archE1200ELNS1_3gpuE4ELNS1_3repE0EEENS1_30default_config_static_selectorELNS0_4arch9wavefront6targetE0EEEvSQ_,comdat
.Lfunc_end301:
	.size	_ZN7rocprim17ROCPRIM_400000_NS6detail17trampoline_kernelINS0_14default_configENS1_22reduce_config_selectorIiEEZNS1_11reduce_implILb1ES3_PiS7_iN6hipcub16HIPCUB_304000_NS6detail34convert_binary_result_type_wrapperINS9_3SumENS9_22TransformInputIteratorIbN2at6native12_GLOBAL__N_19NonZeroOpIsEEPKslEEiEEEE10hipError_tPvRmT1_T2_T3_mT4_P12ihipStream_tbEUlT_E1_NS1_11comp_targetILNS1_3genE10ELNS1_11target_archE1200ELNS1_3gpuE4ELNS1_3repE0EEENS1_30default_config_static_selectorELNS0_4arch9wavefront6targetE0EEEvSQ_, .Lfunc_end301-_ZN7rocprim17ROCPRIM_400000_NS6detail17trampoline_kernelINS0_14default_configENS1_22reduce_config_selectorIiEEZNS1_11reduce_implILb1ES3_PiS7_iN6hipcub16HIPCUB_304000_NS6detail34convert_binary_result_type_wrapperINS9_3SumENS9_22TransformInputIteratorIbN2at6native12_GLOBAL__N_19NonZeroOpIsEEPKslEEiEEEE10hipError_tPvRmT1_T2_T3_mT4_P12ihipStream_tbEUlT_E1_NS1_11comp_targetILNS1_3genE10ELNS1_11target_archE1200ELNS1_3gpuE4ELNS1_3repE0EEENS1_30default_config_static_selectorELNS0_4arch9wavefront6targetE0EEEvSQ_
                                        ; -- End function
	.section	.AMDGPU.csdata,"",@progbits
; Kernel info:
; codeLenInByte = 0
; NumSgprs: 0
; NumVgprs: 0
; ScratchSize: 0
; MemoryBound: 0
; FloatMode: 240
; IeeeMode: 1
; LDSByteSize: 0 bytes/workgroup (compile time only)
; SGPRBlocks: 0
; VGPRBlocks: 0
; NumSGPRsForWavesPerEU: 1
; NumVGPRsForWavesPerEU: 1
; Occupancy: 16
; WaveLimiterHint : 0
; COMPUTE_PGM_RSRC2:SCRATCH_EN: 0
; COMPUTE_PGM_RSRC2:USER_SGPR: 15
; COMPUTE_PGM_RSRC2:TRAP_HANDLER: 0
; COMPUTE_PGM_RSRC2:TGID_X_EN: 1
; COMPUTE_PGM_RSRC2:TGID_Y_EN: 0
; COMPUTE_PGM_RSRC2:TGID_Z_EN: 0
; COMPUTE_PGM_RSRC2:TIDIG_COMP_CNT: 0
	.section	.text._ZN7rocprim17ROCPRIM_400000_NS6detail17trampoline_kernelINS0_14default_configENS1_22reduce_config_selectorIiEEZNS1_11reduce_implILb1ES3_PiS7_iN6hipcub16HIPCUB_304000_NS6detail34convert_binary_result_type_wrapperINS9_3SumENS9_22TransformInputIteratorIbN2at6native12_GLOBAL__N_19NonZeroOpIsEEPKslEEiEEEE10hipError_tPvRmT1_T2_T3_mT4_P12ihipStream_tbEUlT_E1_NS1_11comp_targetILNS1_3genE9ELNS1_11target_archE1100ELNS1_3gpuE3ELNS1_3repE0EEENS1_30default_config_static_selectorELNS0_4arch9wavefront6targetE0EEEvSQ_,"axG",@progbits,_ZN7rocprim17ROCPRIM_400000_NS6detail17trampoline_kernelINS0_14default_configENS1_22reduce_config_selectorIiEEZNS1_11reduce_implILb1ES3_PiS7_iN6hipcub16HIPCUB_304000_NS6detail34convert_binary_result_type_wrapperINS9_3SumENS9_22TransformInputIteratorIbN2at6native12_GLOBAL__N_19NonZeroOpIsEEPKslEEiEEEE10hipError_tPvRmT1_T2_T3_mT4_P12ihipStream_tbEUlT_E1_NS1_11comp_targetILNS1_3genE9ELNS1_11target_archE1100ELNS1_3gpuE3ELNS1_3repE0EEENS1_30default_config_static_selectorELNS0_4arch9wavefront6targetE0EEEvSQ_,comdat
	.globl	_ZN7rocprim17ROCPRIM_400000_NS6detail17trampoline_kernelINS0_14default_configENS1_22reduce_config_selectorIiEEZNS1_11reduce_implILb1ES3_PiS7_iN6hipcub16HIPCUB_304000_NS6detail34convert_binary_result_type_wrapperINS9_3SumENS9_22TransformInputIteratorIbN2at6native12_GLOBAL__N_19NonZeroOpIsEEPKslEEiEEEE10hipError_tPvRmT1_T2_T3_mT4_P12ihipStream_tbEUlT_E1_NS1_11comp_targetILNS1_3genE9ELNS1_11target_archE1100ELNS1_3gpuE3ELNS1_3repE0EEENS1_30default_config_static_selectorELNS0_4arch9wavefront6targetE0EEEvSQ_ ; -- Begin function _ZN7rocprim17ROCPRIM_400000_NS6detail17trampoline_kernelINS0_14default_configENS1_22reduce_config_selectorIiEEZNS1_11reduce_implILb1ES3_PiS7_iN6hipcub16HIPCUB_304000_NS6detail34convert_binary_result_type_wrapperINS9_3SumENS9_22TransformInputIteratorIbN2at6native12_GLOBAL__N_19NonZeroOpIsEEPKslEEiEEEE10hipError_tPvRmT1_T2_T3_mT4_P12ihipStream_tbEUlT_E1_NS1_11comp_targetILNS1_3genE9ELNS1_11target_archE1100ELNS1_3gpuE3ELNS1_3repE0EEENS1_30default_config_static_selectorELNS0_4arch9wavefront6targetE0EEEvSQ_
	.p2align	8
	.type	_ZN7rocprim17ROCPRIM_400000_NS6detail17trampoline_kernelINS0_14default_configENS1_22reduce_config_selectorIiEEZNS1_11reduce_implILb1ES3_PiS7_iN6hipcub16HIPCUB_304000_NS6detail34convert_binary_result_type_wrapperINS9_3SumENS9_22TransformInputIteratorIbN2at6native12_GLOBAL__N_19NonZeroOpIsEEPKslEEiEEEE10hipError_tPvRmT1_T2_T3_mT4_P12ihipStream_tbEUlT_E1_NS1_11comp_targetILNS1_3genE9ELNS1_11target_archE1100ELNS1_3gpuE3ELNS1_3repE0EEENS1_30default_config_static_selectorELNS0_4arch9wavefront6targetE0EEEvSQ_,@function
_ZN7rocprim17ROCPRIM_400000_NS6detail17trampoline_kernelINS0_14default_configENS1_22reduce_config_selectorIiEEZNS1_11reduce_implILb1ES3_PiS7_iN6hipcub16HIPCUB_304000_NS6detail34convert_binary_result_type_wrapperINS9_3SumENS9_22TransformInputIteratorIbN2at6native12_GLOBAL__N_19NonZeroOpIsEEPKslEEiEEEE10hipError_tPvRmT1_T2_T3_mT4_P12ihipStream_tbEUlT_E1_NS1_11comp_targetILNS1_3genE9ELNS1_11target_archE1100ELNS1_3gpuE3ELNS1_3repE0EEENS1_30default_config_static_selectorELNS0_4arch9wavefront6targetE0EEEvSQ_: ; @_ZN7rocprim17ROCPRIM_400000_NS6detail17trampoline_kernelINS0_14default_configENS1_22reduce_config_selectorIiEEZNS1_11reduce_implILb1ES3_PiS7_iN6hipcub16HIPCUB_304000_NS6detail34convert_binary_result_type_wrapperINS9_3SumENS9_22TransformInputIteratorIbN2at6native12_GLOBAL__N_19NonZeroOpIsEEPKslEEiEEEE10hipError_tPvRmT1_T2_T3_mT4_P12ihipStream_tbEUlT_E1_NS1_11comp_targetILNS1_3genE9ELNS1_11target_archE1100ELNS1_3gpuE3ELNS1_3repE0EEENS1_30default_config_static_selectorELNS0_4arch9wavefront6targetE0EEEvSQ_
; %bb.0:
	s_clause 0x1
	s_load_b32 s24, s[0:1], 0x4
	s_load_b128 s[16:19], s[0:1], 0x8
	s_mov_b32 s20, s15
	s_waitcnt lgkmcnt(0)
	s_cmp_lt_i32 s24, 8
	s_cbranch_scc1 .LBB302_11
; %bb.1:
	s_cmp_gt_i32 s24, 15
	s_cbranch_scc0 .LBB302_12
; %bb.2:
	s_cmp_gt_i32 s24, 31
	s_cbranch_scc0 .LBB302_13
; %bb.3:
	s_cmp_eq_u32 s24, 32
	s_mov_b32 s6, 0
	s_cbranch_scc0 .LBB302_14
; %bb.4:
	s_mov_b32 s21, 0
	s_lshl_b32 s4, s20, 13
	s_mov_b32 s5, s21
	s_lshr_b64 s[8:9], s[18:19], 13
	s_lshl_b64 s[2:3], s[4:5], 2
	s_delay_alu instid0(SALU_CYCLE_1)
	s_add_u32 s2, s16, s2
	s_addc_u32 s3, s17, s3
	s_cmp_lg_u64 s[8:9], s[20:21]
	s_cbranch_scc0 .LBB302_23
; %bb.5:
	v_lshlrev_b32_e32 v5, 2, v0
	s_clause 0x1
	global_load_b32 v9, v5, s[2:3]
	global_load_b32 v10, v5, s[2:3] offset:1024
	v_add_co_u32 v7, s5, s2, v5
	s_delay_alu instid0(VALU_DEP_1) | instskip(SKIP_1) | instid1(VALU_DEP_2)
	v_add_co_ci_u32_e64 v8, null, s3, 0, s5
	s_mov_b32 s5, exec_lo
	v_add_co_u32 v1, vcc_lo, 0x1000, v7
	s_delay_alu instid0(VALU_DEP_2)
	v_add_co_ci_u32_e32 v2, vcc_lo, 0, v8, vcc_lo
	s_clause 0x2
	global_load_b32 v11, v5, s[2:3] offset:2048
	global_load_b32 v12, v5, s[2:3] offset:3072
	global_load_b32 v13, v[1:2], off offset:1024
	v_add_co_u32 v3, vcc_lo, v7, 0x2000
	v_add_co_ci_u32_e32 v4, vcc_lo, 0, v8, vcc_lo
	v_add_co_u32 v5, vcc_lo, 0x2000, v7
	v_add_co_ci_u32_e32 v6, vcc_lo, 0, v8, vcc_lo
	s_clause 0x4
	global_load_b32 v14, v[3:4], off offset:-4096
	global_load_b32 v15, v[3:4], off
	global_load_b32 v16, v[1:2], off offset:2048
	global_load_b32 v17, v[1:2], off offset:3072
	;; [unrolled: 1-line block ×3, first 2 shown]
	v_add_co_u32 v1, vcc_lo, 0x3000, v7
	v_add_co_ci_u32_e32 v2, vcc_lo, 0, v8, vcc_lo
	s_clause 0x2
	global_load_b32 v19, v[5:6], off offset:2048
	global_load_b32 v20, v[5:6], off offset:3072
	;; [unrolled: 1-line block ×3, first 2 shown]
	v_add_co_u32 v3, vcc_lo, v7, 0x4000
	v_add_co_ci_u32_e32 v4, vcc_lo, 0, v8, vcc_lo
	v_add_co_u32 v5, vcc_lo, 0x4000, v7
	v_add_co_ci_u32_e32 v6, vcc_lo, 0, v8, vcc_lo
	s_clause 0x4
	global_load_b32 v22, v[3:4], off offset:-4096
	global_load_b32 v23, v[3:4], off
	global_load_b32 v24, v[1:2], off offset:2048
	global_load_b32 v25, v[1:2], off offset:3072
	;; [unrolled: 1-line block ×3, first 2 shown]
	v_add_co_u32 v1, vcc_lo, 0x5000, v7
	v_add_co_ci_u32_e32 v2, vcc_lo, 0, v8, vcc_lo
	v_add_co_u32 v3, vcc_lo, v7, 0x6000
	v_add_co_ci_u32_e32 v4, vcc_lo, 0, v8, vcc_lo
	s_clause 0x3
	global_load_b32 v27, v[5:6], off offset:2048
	global_load_b32 v28, v[5:6], off offset:3072
	global_load_b32 v29, v[3:4], off offset:-4096
	global_load_b32 v30, v[1:2], off offset:1024
	v_add_co_u32 v5, vcc_lo, 0x6000, v7
	v_add_co_ci_u32_e32 v6, vcc_lo, 0, v8, vcc_lo
	s_clause 0x3
	global_load_b32 v31, v[1:2], off offset:2048
	global_load_b32 v32, v[1:2], off offset:3072
	global_load_b32 v3, v[3:4], off
	global_load_b32 v4, v[5:6], off offset:1024
	v_add_co_u32 v1, vcc_lo, 0x7000, v7
	v_add_co_ci_u32_e32 v2, vcc_lo, 0, v8, vcc_lo
	s_clause 0x5
	global_load_b32 v7, v[5:6], off offset:2048
	global_load_b32 v5, v[5:6], off offset:3072
	global_load_b32 v6, v[1:2], off
	global_load_b32 v8, v[1:2], off offset:1024
	global_load_b32 v33, v[1:2], off offset:2048
	;; [unrolled: 1-line block ×3, first 2 shown]
	s_waitcnt vmcnt(30)
	v_add_nc_u32_e32 v2, v10, v9
	s_waitcnt vmcnt(28)
	s_delay_alu instid0(VALU_DEP_1) | instskip(SKIP_1) | instid1(VALU_DEP_1)
	v_add3_u32 v2, v2, v11, v12
	s_waitcnt vmcnt(26)
	v_add3_u32 v2, v2, v14, v13
	s_waitcnt vmcnt(23)
	s_delay_alu instid0(VALU_DEP_1) | instskip(SKIP_1) | instid1(VALU_DEP_1)
	v_add3_u32 v2, v2, v16, v17
	s_waitcnt vmcnt(22)
	v_add3_u32 v2, v2, v15, v18
	;; [unrolled: 5-line block ×6, first 2 shown]
	v_mov_b32_e32 v3, 0
	s_waitcnt vmcnt(4)
	s_delay_alu instid0(VALU_DEP_2) | instskip(SKIP_1) | instid1(VALU_DEP_1)
	v_add3_u32 v2, v2, v7, v5
	s_waitcnt vmcnt(2)
	v_add3_u32 v2, v2, v6, v8
	s_waitcnt vmcnt(0)
	s_delay_alu instid0(VALU_DEP_1) | instskip(NEXT) | instid1(VALU_DEP_1)
	v_add3_u32 v1, v2, v33, v1
	v_mov_b32_dpp v2, v1 quad_perm:[1,0,3,2] row_mask:0xf bank_mask:0xf
	s_delay_alu instid0(VALU_DEP_1) | instskip(NEXT) | instid1(VALU_DEP_1)
	v_add_nc_u32_e32 v1, v2, v1
	v_mov_b32_dpp v2, v1 quad_perm:[2,3,0,1] row_mask:0xf bank_mask:0xf
	s_delay_alu instid0(VALU_DEP_1) | instskip(NEXT) | instid1(VALU_DEP_1)
	v_add_nc_u32_e32 v1, v1, v2
	v_mov_b32_dpp v2, v1 row_ror:4 row_mask:0xf bank_mask:0xf
	s_delay_alu instid0(VALU_DEP_1) | instskip(NEXT) | instid1(VALU_DEP_1)
	v_add_nc_u32_e32 v1, v1, v2
	v_mov_b32_dpp v2, v1 row_ror:8 row_mask:0xf bank_mask:0xf
	s_delay_alu instid0(VALU_DEP_1)
	v_add_nc_u32_e32 v1, v1, v2
	ds_swizzle_b32 v2, v1 offset:swizzle(BROADCAST,32,15)
	s_waitcnt lgkmcnt(0)
	v_add_nc_u32_e32 v1, v1, v2
	v_mbcnt_lo_u32_b32 v2, -1, 0
	ds_bpermute_b32 v1, v3, v1 offset:124
	v_cmpx_eq_u32_e32 0, v2
	s_cbranch_execz .LBB302_7
; %bb.6:
	v_lshrrev_b32_e32 v3, 3, v0
	s_delay_alu instid0(VALU_DEP_1)
	v_and_b32_e32 v3, 28, v3
	s_waitcnt lgkmcnt(0)
	ds_store_b32 v3, v1 offset:96
.LBB302_7:
	s_or_b32 exec_lo, exec_lo, s5
	s_delay_alu instid0(SALU_CYCLE_1)
	s_mov_b32 s5, exec_lo
	s_waitcnt lgkmcnt(0)
	s_barrier
	buffer_gl0_inv
	v_cmpx_gt_u32_e32 32, v0
	s_cbranch_execz .LBB302_9
; %bb.8:
	v_lshl_or_b32 v1, v2, 2, 0x60
	v_and_b32_e32 v3, 7, v2
	ds_load_b32 v1, v1
	v_cmp_ne_u32_e32 vcc_lo, 7, v3
	v_add_co_ci_u32_e32 v4, vcc_lo, 0, v2, vcc_lo
	v_cmp_gt_u32_e32 vcc_lo, 6, v3
	s_delay_alu instid0(VALU_DEP_2) | instskip(SKIP_2) | instid1(VALU_DEP_2)
	v_lshlrev_b32_e32 v4, 2, v4
	v_cndmask_b32_e64 v5, 0, 1, vcc_lo
	v_cmp_gt_u32_e32 vcc_lo, 4, v3
	v_lshlrev_b32_e32 v5, 1, v5
	v_cndmask_b32_e64 v3, 0, 1, vcc_lo
	s_waitcnt lgkmcnt(0)
	ds_bpermute_b32 v4, v4, v1
	v_add_lshl_u32 v5, v5, v2, 2
	v_lshlrev_b32_e32 v3, 2, v3
	s_delay_alu instid0(VALU_DEP_1)
	v_add_lshl_u32 v2, v3, v2, 2
	s_waitcnt lgkmcnt(0)
	v_add_nc_u32_e32 v1, v4, v1
	ds_bpermute_b32 v4, v5, v1
	s_waitcnt lgkmcnt(0)
	v_add_nc_u32_e32 v1, v4, v1
	ds_bpermute_b32 v2, v2, v1
	s_waitcnt lgkmcnt(0)
	v_add_nc_u32_e32 v1, v2, v1
.LBB302_9:
	s_or_b32 exec_lo, exec_lo, s5
.LBB302_10:
	v_cmp_eq_u32_e64 s2, 0, v0
	s_and_b32 vcc_lo, exec_lo, s6
	s_cbranch_vccnz .LBB302_15
	s_branch .LBB302_93
.LBB302_11:
	s_mov_b32 s2, 0
                                        ; implicit-def: $vgpr1
	s_cbranch_execnz .LBB302_166
	s_branch .LBB302_224
.LBB302_12:
	s_mov_b32 s2, 0
                                        ; implicit-def: $vgpr1
	s_cbranch_execnz .LBB302_134
	s_branch .LBB302_142
.LBB302_13:
	s_mov_b32 s6, -1
.LBB302_14:
	s_mov_b32 s2, 0
                                        ; implicit-def: $vgpr1
	s_and_b32 vcc_lo, exec_lo, s6
	s_cbranch_vccz .LBB302_93
.LBB302_15:
	s_cmp_eq_u32 s24, 16
	s_cbranch_scc0 .LBB302_22
; %bb.16:
	s_mov_b32 s21, 0
	s_lshl_b32 s2, s20, 12
	s_mov_b32 s3, s21
	s_lshr_b64 s[6:7], s[18:19], 12
	s_lshl_b64 s[4:5], s[2:3], 2
	s_delay_alu instid0(SALU_CYCLE_1)
	s_add_u32 s22, s16, s4
	s_addc_u32 s23, s17, s5
	s_cmp_lg_u64 s[6:7], s[20:21]
	s_cbranch_scc0 .LBB302_94
; %bb.17:
	v_lshlrev_b32_e32 v5, 2, v0
	s_clause 0x1
	global_load_b32 v9, v5, s[22:23]
	global_load_b32 v10, v5, s[22:23] offset:1024
	v_add_co_u32 v7, s3, s22, v5
	s_delay_alu instid0(VALU_DEP_1) | instskip(SKIP_1) | instid1(VALU_DEP_2)
	v_add_co_ci_u32_e64 v8, null, s23, 0, s3
	s_mov_b32 s3, exec_lo
	v_add_co_u32 v1, vcc_lo, 0x1000, v7
	s_delay_alu instid0(VALU_DEP_2)
	v_add_co_ci_u32_e32 v2, vcc_lo, 0, v8, vcc_lo
	v_add_co_u32 v3, vcc_lo, v7, 0x2000
	v_add_co_ci_u32_e32 v4, vcc_lo, 0, v8, vcc_lo
	s_clause 0x3
	global_load_b32 v11, v5, s[22:23] offset:2048
	global_load_b32 v12, v5, s[22:23] offset:3072
	global_load_b32 v13, v[3:4], off offset:-4096
	global_load_b32 v14, v[1:2], off offset:1024
	v_add_co_u32 v5, vcc_lo, 0x2000, v7
	v_add_co_ci_u32_e32 v6, vcc_lo, 0, v8, vcc_lo
	s_clause 0x3
	global_load_b32 v15, v[1:2], off offset:2048
	global_load_b32 v16, v[1:2], off offset:3072
	global_load_b32 v3, v[3:4], off
	global_load_b32 v4, v[5:6], off offset:1024
	v_add_co_u32 v1, vcc_lo, 0x3000, v7
	v_add_co_ci_u32_e32 v2, vcc_lo, 0, v8, vcc_lo
	s_clause 0x5
	global_load_b32 v7, v[5:6], off offset:2048
	global_load_b32 v5, v[5:6], off offset:3072
	global_load_b32 v6, v[1:2], off
	global_load_b32 v8, v[1:2], off offset:1024
	global_load_b32 v17, v[1:2], off offset:2048
	;; [unrolled: 1-line block ×3, first 2 shown]
	s_waitcnt vmcnt(14)
	v_add_nc_u32_e32 v2, v10, v9
	s_waitcnt vmcnt(12)
	s_delay_alu instid0(VALU_DEP_1) | instskip(SKIP_1) | instid1(VALU_DEP_1)
	v_add3_u32 v2, v2, v11, v12
	s_waitcnt vmcnt(10)
	v_add3_u32 v2, v2, v13, v14
	s_waitcnt vmcnt(8)
	s_delay_alu instid0(VALU_DEP_1) | instskip(SKIP_1) | instid1(VALU_DEP_1)
	v_add3_u32 v2, v2, v15, v16
	s_waitcnt vmcnt(6)
	v_add3_u32 v2, v2, v3, v4
	v_mov_b32_e32 v3, 0
	s_waitcnt vmcnt(4)
	s_delay_alu instid0(VALU_DEP_2) | instskip(SKIP_1) | instid1(VALU_DEP_1)
	v_add3_u32 v2, v2, v7, v5
	s_waitcnt vmcnt(2)
	v_add3_u32 v2, v2, v6, v8
	s_waitcnt vmcnt(0)
	s_delay_alu instid0(VALU_DEP_1) | instskip(NEXT) | instid1(VALU_DEP_1)
	v_add3_u32 v1, v2, v17, v1
	v_mov_b32_dpp v2, v1 quad_perm:[1,0,3,2] row_mask:0xf bank_mask:0xf
	s_delay_alu instid0(VALU_DEP_1) | instskip(NEXT) | instid1(VALU_DEP_1)
	v_add_nc_u32_e32 v1, v2, v1
	v_mov_b32_dpp v2, v1 quad_perm:[2,3,0,1] row_mask:0xf bank_mask:0xf
	s_delay_alu instid0(VALU_DEP_1) | instskip(NEXT) | instid1(VALU_DEP_1)
	v_add_nc_u32_e32 v1, v1, v2
	v_mov_b32_dpp v2, v1 row_ror:4 row_mask:0xf bank_mask:0xf
	s_delay_alu instid0(VALU_DEP_1) | instskip(NEXT) | instid1(VALU_DEP_1)
	v_add_nc_u32_e32 v1, v1, v2
	v_mov_b32_dpp v2, v1 row_ror:8 row_mask:0xf bank_mask:0xf
	s_delay_alu instid0(VALU_DEP_1)
	v_add_nc_u32_e32 v1, v1, v2
	ds_swizzle_b32 v2, v1 offset:swizzle(BROADCAST,32,15)
	s_waitcnt lgkmcnt(0)
	v_add_nc_u32_e32 v1, v1, v2
	v_mbcnt_lo_u32_b32 v2, -1, 0
	ds_bpermute_b32 v1, v3, v1 offset:124
	v_cmpx_eq_u32_e32 0, v2
	s_cbranch_execz .LBB302_19
; %bb.18:
	v_lshrrev_b32_e32 v3, 3, v0
	s_delay_alu instid0(VALU_DEP_1)
	v_and_b32_e32 v3, 28, v3
	s_waitcnt lgkmcnt(0)
	ds_store_b32 v3, v1
.LBB302_19:
	s_or_b32 exec_lo, exec_lo, s3
	s_delay_alu instid0(SALU_CYCLE_1)
	s_mov_b32 s3, exec_lo
	s_waitcnt lgkmcnt(0)
	s_barrier
	buffer_gl0_inv
	v_cmpx_gt_u32_e32 32, v0
	s_cbranch_execz .LBB302_21
; %bb.20:
	v_and_b32_e32 v1, 7, v2
	s_delay_alu instid0(VALU_DEP_1) | instskip(SKIP_4) | instid1(VALU_DEP_2)
	v_lshlrev_b32_e32 v3, 2, v1
	v_cmp_ne_u32_e32 vcc_lo, 7, v1
	ds_load_b32 v3, v3
	v_add_co_ci_u32_e32 v4, vcc_lo, 0, v2, vcc_lo
	v_cmp_gt_u32_e32 vcc_lo, 6, v1
	v_lshlrev_b32_e32 v4, 2, v4
	v_cndmask_b32_e64 v5, 0, 1, vcc_lo
	v_cmp_gt_u32_e32 vcc_lo, 4, v1
	s_delay_alu instid0(VALU_DEP_2) | instskip(SKIP_1) | instid1(VALU_DEP_2)
	v_lshlrev_b32_e32 v5, 1, v5
	v_cndmask_b32_e64 v1, 0, 1, vcc_lo
	v_add_lshl_u32 v5, v5, v2, 2
	s_delay_alu instid0(VALU_DEP_2)
	v_lshlrev_b32_e32 v1, 2, v1
	s_waitcnt lgkmcnt(0)
	ds_bpermute_b32 v4, v4, v3
	v_add_lshl_u32 v1, v1, v2, 2
	s_waitcnt lgkmcnt(0)
	v_add_nc_u32_e32 v3, v4, v3
	ds_bpermute_b32 v4, v5, v3
	s_waitcnt lgkmcnt(0)
	v_add_nc_u32_e32 v3, v4, v3
	ds_bpermute_b32 v1, v1, v3
	s_waitcnt lgkmcnt(0)
	v_add_nc_u32_e32 v1, v1, v3
.LBB302_21:
	s_or_b32 exec_lo, exec_lo, s3
	s_mov_b32 s3, 0
	s_branch .LBB302_95
.LBB302_22:
                                        ; implicit-def: $vgpr1
	s_branch .LBB302_142
.LBB302_23:
                                        ; implicit-def: $vgpr1
	s_cbranch_execz .LBB302_10
; %bb.24:
	s_sub_i32 s4, s18, s4
	s_mov_b32 s5, exec_lo
                                        ; implicit-def: $vgpr1
	v_cmpx_gt_u32_e64 s4, v0
	s_cbranch_execz .LBB302_26
; %bb.25:
	v_lshlrev_b32_e32 v1, 2, v0
	global_load_b32 v1, v1, s[2:3]
.LBB302_26:
	s_or_b32 exec_lo, exec_lo, s5
	v_or_b32_e32 v3, 0x100, v0
	v_mov_b32_e32 v2, 0
	s_delay_alu instid0(VALU_DEP_2)
	v_cmp_gt_u32_e32 vcc_lo, s4, v3
	v_mov_b32_e32 v3, 0
	s_and_saveexec_b32 s5, vcc_lo
	s_cbranch_execz .LBB302_28
; %bb.27:
	v_lshlrev_b32_e32 v3, 2, v0
	global_load_b32 v3, v3, s[2:3] offset:1024
.LBB302_28:
	s_or_b32 exec_lo, exec_lo, s5
	v_or_b32_e32 v4, 0x200, v0
	s_mov_b32 s5, exec_lo
	s_delay_alu instid0(VALU_DEP_1)
	v_cmpx_gt_u32_e64 s4, v4
	s_cbranch_execz .LBB302_30
; %bb.29:
	v_lshlrev_b32_e32 v2, 2, v0
	global_load_b32 v2, v2, s[2:3] offset:2048
.LBB302_30:
	s_or_b32 exec_lo, exec_lo, s5
	v_or_b32_e32 v5, 0x300, v0
	v_mov_b32_e32 v4, 0
	s_delay_alu instid0(VALU_DEP_2)
	v_cmp_gt_u32_e32 vcc_lo, s4, v5
	v_mov_b32_e32 v5, 0
	s_and_saveexec_b32 s5, vcc_lo
	s_cbranch_execz .LBB302_32
; %bb.31:
	v_lshlrev_b32_e32 v5, 2, v0
	global_load_b32 v5, v5, s[2:3] offset:3072
.LBB302_32:
	s_or_b32 exec_lo, exec_lo, s5
	v_or_b32_e32 v6, 0x400, v0
	s_mov_b32 s5, exec_lo
	s_delay_alu instid0(VALU_DEP_1)
	v_cmpx_gt_u32_e64 s4, v6
	s_cbranch_execz .LBB302_34
; %bb.33:
	v_lshlrev_b32_e32 v4, 2, v6
	global_load_b32 v4, v4, s[2:3]
.LBB302_34:
	s_or_b32 exec_lo, exec_lo, s5
	v_or_b32_e32 v8, 0x500, v0
	v_dual_mov_b32 v6, 0 :: v_dual_mov_b32 v7, 0
	s_mov_b32 s5, exec_lo
	s_delay_alu instid0(VALU_DEP_2)
	v_cmpx_gt_u32_e64 s4, v8
	s_cbranch_execz .LBB302_36
; %bb.35:
	v_lshlrev_b32_e32 v7, 2, v8
	global_load_b32 v7, v7, s[2:3]
.LBB302_36:
	s_or_b32 exec_lo, exec_lo, s5
	v_or_b32_e32 v8, 0x600, v0
	s_mov_b32 s5, exec_lo
	s_delay_alu instid0(VALU_DEP_1)
	v_cmpx_gt_u32_e64 s4, v8
	s_cbranch_execz .LBB302_38
; %bb.37:
	v_lshlrev_b32_e32 v6, 2, v8
	global_load_b32 v6, v6, s[2:3]
.LBB302_38:
	s_or_b32 exec_lo, exec_lo, s5
	v_or_b32_e32 v10, 0x700, v0
	v_dual_mov_b32 v8, 0 :: v_dual_mov_b32 v9, 0
	s_mov_b32 s5, exec_lo
	s_delay_alu instid0(VALU_DEP_2)
	v_cmpx_gt_u32_e64 s4, v10
	s_cbranch_execz .LBB302_40
; %bb.39:
	v_lshlrev_b32_e32 v9, 2, v10
	global_load_b32 v9, v9, s[2:3]
.LBB302_40:
	;; [unrolled: 21-line block ×13, first 2 shown]
	s_or_b32 exec_lo, exec_lo, s5
	v_or_b32_e32 v32, 0x1e00, v0
	s_mov_b32 s5, exec_lo
	s_delay_alu instid0(VALU_DEP_1)
	v_cmpx_gt_u32_e64 s4, v32
	s_cbranch_execz .LBB302_86
; %bb.85:
	v_lshlrev_b32_e32 v30, 2, v32
	global_load_b32 v30, v30, s[2:3]
.LBB302_86:
	s_or_b32 exec_lo, exec_lo, s5
	v_or_b32_e32 v33, 0x1f00, v0
	v_mov_b32_e32 v32, 0
	s_mov_b32 s5, exec_lo
	s_delay_alu instid0(VALU_DEP_2)
	v_cmpx_gt_u32_e64 s4, v33
	s_cbranch_execz .LBB302_88
; %bb.87:
	v_lshlrev_b32_e32 v32, 2, v33
	global_load_b32 v32, v32, s[2:3]
.LBB302_88:
	s_or_b32 exec_lo, exec_lo, s5
	s_waitcnt vmcnt(0)
	v_add_nc_u32_e32 v1, v3, v1
	s_min_u32 s2, s4, 0x100
	s_mov_b32 s3, exec_lo
	s_delay_alu instid0(VALU_DEP_1) | instskip(SKIP_1) | instid1(VALU_DEP_2)
	v_add3_u32 v1, v1, v2, v5
	v_mbcnt_lo_u32_b32 v2, -1, 0
	v_add3_u32 v1, v1, v4, v7
	s_delay_alu instid0(VALU_DEP_2) | instskip(NEXT) | instid1(VALU_DEP_2)
	v_cmp_ne_u32_e32 vcc_lo, 31, v2
	v_add3_u32 v1, v1, v6, v9
	v_add_co_ci_u32_e32 v3, vcc_lo, 0, v2, vcc_lo
	v_cmp_gt_u32_e32 vcc_lo, 30, v2
	v_add_nc_u32_e32 v6, 1, v2
	s_delay_alu instid0(VALU_DEP_4) | instskip(NEXT) | instid1(VALU_DEP_4)
	v_add3_u32 v1, v1, v8, v11
	v_lshlrev_b32_e32 v3, 2, v3
	v_cndmask_b32_e64 v5, 0, 1, vcc_lo
	s_delay_alu instid0(VALU_DEP_3) | instskip(NEXT) | instid1(VALU_DEP_2)
	v_add3_u32 v1, v1, v10, v13
	v_lshlrev_b32_e32 v5, 1, v5
	s_delay_alu instid0(VALU_DEP_2) | instskip(NEXT) | instid1(VALU_DEP_2)
	v_add3_u32 v1, v1, v12, v15
	v_add_lshl_u32 v5, v5, v2, 2
	s_delay_alu instid0(VALU_DEP_2) | instskip(NEXT) | instid1(VALU_DEP_1)
	v_add3_u32 v1, v1, v14, v17
	v_add3_u32 v1, v1, v16, v19
	s_delay_alu instid0(VALU_DEP_1) | instskip(NEXT) | instid1(VALU_DEP_1)
	v_add3_u32 v1, v1, v18, v21
	v_add3_u32 v1, v1, v20, v23
	s_delay_alu instid0(VALU_DEP_1) | instskip(NEXT) | instid1(VALU_DEP_1)
	v_add3_u32 v1, v1, v22, v25
	v_add3_u32 v1, v1, v24, v27
	s_delay_alu instid0(VALU_DEP_1) | instskip(NEXT) | instid1(VALU_DEP_1)
	v_add3_u32 v1, v1, v26, v29
	v_add3_u32 v1, v1, v28, v31
	s_delay_alu instid0(VALU_DEP_1) | instskip(SKIP_2) | instid1(VALU_DEP_1)
	v_add3_u32 v1, v1, v30, v32
	ds_bpermute_b32 v3, v3, v1
	v_and_b32_e32 v4, 0xe0, v0
	v_sub_nc_u32_e64 v4, s2, v4 clamp
	s_delay_alu instid0(VALU_DEP_1) | instskip(SKIP_3) | instid1(VALU_DEP_2)
	v_cmp_lt_u32_e32 vcc_lo, v6, v4
	s_waitcnt lgkmcnt(0)
	v_dual_cndmask_b32 v3, 0, v3 :: v_dual_add_nc_u32 v6, 2, v2
	v_cmp_gt_u32_e32 vcc_lo, 28, v2
	v_add_nc_u32_e32 v1, v3, v1
	ds_bpermute_b32 v3, v5, v1
	v_cndmask_b32_e64 v5, 0, 1, vcc_lo
	v_cmp_lt_u32_e32 vcc_lo, v6, v4
	v_add_nc_u32_e32 v6, 4, v2
	s_delay_alu instid0(VALU_DEP_3) | instskip(NEXT) | instid1(VALU_DEP_1)
	v_lshlrev_b32_e32 v5, 2, v5
	v_add_lshl_u32 v5, v5, v2, 2
	s_waitcnt lgkmcnt(0)
	v_cndmask_b32_e32 v3, 0, v3, vcc_lo
	v_cmp_gt_u32_e32 vcc_lo, 24, v2
	s_delay_alu instid0(VALU_DEP_2) | instskip(SKIP_4) | instid1(VALU_DEP_3)
	v_add_nc_u32_e32 v1, v1, v3
	ds_bpermute_b32 v3, v5, v1
	v_cndmask_b32_e64 v5, 0, 1, vcc_lo
	v_cmp_lt_u32_e32 vcc_lo, v6, v4
	v_add_nc_u32_e32 v6, 8, v2
	v_lshlrev_b32_e32 v5, 3, v5
	s_delay_alu instid0(VALU_DEP_1) | instskip(SKIP_3) | instid1(VALU_DEP_2)
	v_add_lshl_u32 v5, v5, v2, 2
	s_waitcnt lgkmcnt(0)
	v_cndmask_b32_e32 v3, 0, v3, vcc_lo
	v_cmp_gt_u32_e32 vcc_lo, 16, v2
	v_add_nc_u32_e32 v1, v1, v3
	ds_bpermute_b32 v3, v5, v1
	v_cndmask_b32_e64 v5, 0, 1, vcc_lo
	v_cmp_lt_u32_e32 vcc_lo, v6, v4
	s_delay_alu instid0(VALU_DEP_2) | instskip(NEXT) | instid1(VALU_DEP_1)
	v_lshlrev_b32_e32 v5, 4, v5
	v_add_lshl_u32 v5, v5, v2, 2
	s_waitcnt lgkmcnt(0)
	v_cndmask_b32_e32 v3, 0, v3, vcc_lo
	s_delay_alu instid0(VALU_DEP_1) | instskip(SKIP_2) | instid1(VALU_DEP_1)
	v_add_nc_u32_e32 v1, v1, v3
	ds_bpermute_b32 v3, v5, v1
	v_add_nc_u32_e32 v5, 16, v2
	v_cmp_lt_u32_e32 vcc_lo, v5, v4
	s_waitcnt lgkmcnt(0)
	v_cndmask_b32_e32 v3, 0, v3, vcc_lo
	s_delay_alu instid0(VALU_DEP_1)
	v_add_nc_u32_e32 v1, v1, v3
	v_cmpx_eq_u32_e32 0, v2
	s_cbranch_execz .LBB302_90
; %bb.89:
	v_lshrrev_b32_e32 v3, 3, v0
	s_delay_alu instid0(VALU_DEP_1)
	v_and_b32_e32 v3, 28, v3
	ds_store_b32 v3, v1 offset:192
.LBB302_90:
	s_or_b32 exec_lo, exec_lo, s3
	s_delay_alu instid0(SALU_CYCLE_1)
	s_mov_b32 s3, exec_lo
	s_waitcnt lgkmcnt(0)
	s_barrier
	buffer_gl0_inv
	v_cmpx_gt_u32_e32 8, v0
	s_cbranch_execz .LBB302_92
; %bb.91:
	v_and_b32_e32 v3, 7, v2
	s_add_i32 s2, s2, 31
	s_delay_alu instid0(SALU_CYCLE_1) | instskip(NEXT) | instid1(VALU_DEP_1)
	s_lshr_b32 s2, s2, 5
	v_cmp_ne_u32_e32 vcc_lo, 7, v3
	v_add_nc_u32_e32 v6, 1, v3
	v_add_co_ci_u32_e32 v4, vcc_lo, 0, v2, vcc_lo
	v_cmp_gt_u32_e32 vcc_lo, 6, v3
	s_delay_alu instid0(VALU_DEP_2) | instskip(SKIP_3) | instid1(VALU_DEP_3)
	v_lshlrev_b32_e32 v4, 2, v4
	v_cndmask_b32_e64 v5, 0, 1, vcc_lo
	v_cmp_gt_u32_e32 vcc_lo, s2, v6
	v_lshlrev_b32_e32 v1, 2, v2
	v_lshlrev_b32_e32 v5, 1, v5
	ds_load_b32 v1, v1 offset:192
	v_add_lshl_u32 v5, v5, v2, 2
	s_waitcnt lgkmcnt(0)
	ds_bpermute_b32 v4, v4, v1
	s_waitcnt lgkmcnt(0)
	v_cndmask_b32_e32 v4, 0, v4, vcc_lo
	v_cmp_gt_u32_e32 vcc_lo, 4, v3
	s_delay_alu instid0(VALU_DEP_2) | instskip(SKIP_3) | instid1(VALU_DEP_1)
	v_add_nc_u32_e32 v1, v4, v1
	v_cndmask_b32_e64 v6, 0, 1, vcc_lo
	ds_bpermute_b32 v4, v5, v1
	v_add_nc_u32_e32 v5, 2, v3
	v_cmp_gt_u32_e32 vcc_lo, s2, v5
	v_lshlrev_b32_e32 v5, 2, v6
	s_delay_alu instid0(VALU_DEP_1) | instskip(SKIP_2) | instid1(VALU_DEP_1)
	v_add_lshl_u32 v2, v5, v2, 2
	s_waitcnt lgkmcnt(0)
	v_dual_cndmask_b32 v4, 0, v4 :: v_dual_add_nc_u32 v3, 4, v3
	v_add_nc_u32_e32 v1, v1, v4
	s_delay_alu instid0(VALU_DEP_2) | instskip(SKIP_3) | instid1(VALU_DEP_1)
	v_cmp_gt_u32_e32 vcc_lo, s2, v3
	ds_bpermute_b32 v2, v2, v1
	s_waitcnt lgkmcnt(0)
	v_cndmask_b32_e32 v2, 0, v2, vcc_lo
	v_add_nc_u32_e32 v1, v1, v2
.LBB302_92:
	s_or_b32 exec_lo, exec_lo, s3
	v_cmp_eq_u32_e64 s2, 0, v0
	s_and_b32 vcc_lo, exec_lo, s6
	s_cbranch_vccnz .LBB302_15
.LBB302_93:
	s_branch .LBB302_142
.LBB302_94:
	s_mov_b32 s3, -1
                                        ; implicit-def: $vgpr1
.LBB302_95:
	s_delay_alu instid0(SALU_CYCLE_1)
	s_and_b32 vcc_lo, exec_lo, s3
	s_cbranch_vccz .LBB302_133
; %bb.96:
	s_sub_i32 s25, s18, s2
	s_mov_b32 s2, exec_lo
                                        ; implicit-def: $vgpr1_vgpr2_vgpr3_vgpr4_vgpr5_vgpr6_vgpr7_vgpr8_vgpr9_vgpr10_vgpr11_vgpr12_vgpr13_vgpr14_vgpr15_vgpr16
	v_cmpx_gt_u32_e64 s25, v0
	s_cbranch_execz .LBB302_98
; %bb.97:
	v_lshlrev_b32_e32 v1, 2, v0
	global_load_b32 v1, v1, s[22:23]
.LBB302_98:
	s_or_b32 exec_lo, exec_lo, s2
	v_or_b32_e32 v17, 0x100, v0
	s_delay_alu instid0(VALU_DEP_1)
	v_cmp_gt_u32_e32 vcc_lo, s25, v17
	s_and_saveexec_b32 s2, vcc_lo
	s_cbranch_execz .LBB302_100
; %bb.99:
	v_lshlrev_b32_e32 v2, 2, v0
	global_load_b32 v2, v2, s[22:23] offset:1024
.LBB302_100:
	s_or_b32 exec_lo, exec_lo, s2
	v_or_b32_e32 v17, 0x200, v0
	s_delay_alu instid0(VALU_DEP_1) | instskip(NEXT) | instid1(VALU_DEP_1)
	v_cmp_gt_u32_e64 s2, s25, v17
	s_and_saveexec_b32 s3, s2
	s_cbranch_execz .LBB302_102
; %bb.101:
	v_lshlrev_b32_e32 v3, 2, v0
	global_load_b32 v3, v3, s[22:23] offset:2048
.LBB302_102:
	s_or_b32 exec_lo, exec_lo, s3
	v_or_b32_e32 v17, 0x300, v0
	s_delay_alu instid0(VALU_DEP_1) | instskip(NEXT) | instid1(VALU_DEP_1)
	v_cmp_gt_u32_e64 s3, s25, v17
	s_and_saveexec_b32 s4, s3
	;; [unrolled: 10-line block ×3, first 2 shown]
	s_cbranch_execz .LBB302_106
; %bb.105:
	v_lshlrev_b32_e32 v5, 2, v17
	global_load_b32 v5, v5, s[22:23]
.LBB302_106:
	s_or_b32 exec_lo, exec_lo, s5
	v_or_b32_e32 v17, 0x500, v0
	s_delay_alu instid0(VALU_DEP_1) | instskip(NEXT) | instid1(VALU_DEP_1)
	v_cmp_gt_u32_e64 s5, s25, v17
	s_and_saveexec_b32 s6, s5
	s_cbranch_execz .LBB302_108
; %bb.107:
	v_lshlrev_b32_e32 v6, 2, v17
	global_load_b32 v6, v6, s[22:23]
.LBB302_108:
	s_or_b32 exec_lo, exec_lo, s6
	v_or_b32_e32 v17, 0x600, v0
	s_delay_alu instid0(VALU_DEP_1) | instskip(NEXT) | instid1(VALU_DEP_1)
	v_cmp_gt_u32_e64 s6, s25, v17
	s_and_saveexec_b32 s7, s6
	;; [unrolled: 10-line block ×11, first 2 shown]
	s_cbranch_execz .LBB302_128
; %bb.127:
	v_lshlrev_b32_e32 v16, 2, v17
	global_load_b32 v16, v16, s[22:23]
.LBB302_128:
	s_or_b32 exec_lo, exec_lo, s26
	s_waitcnt vmcnt(0)
	v_cndmask_b32_e32 v2, 0, v2, vcc_lo
	v_cndmask_b32_e64 v3, 0, v3, s2
	v_cndmask_b32_e64 v4, 0, v4, s3
	s_min_u32 s2, s25, 0x100
	s_mov_b32 s3, exec_lo
	v_add_nc_u32_e32 v1, v2, v1
	v_cndmask_b32_e64 v2, 0, v5, s4
	v_cndmask_b32_e64 v5, 0, v6, s5
	;; [unrolled: 1-line block ×3, first 2 shown]
	s_delay_alu instid0(VALU_DEP_4) | instskip(SKIP_3) | instid1(VALU_DEP_4)
	v_add3_u32 v1, v1, v3, v4
	v_cndmask_b32_e64 v3, 0, v7, s6
	v_cndmask_b32_e64 v4, 0, v8, s7
	;; [unrolled: 1-line block ×3, first 2 shown]
	v_add3_u32 v1, v1, v2, v5
	v_cndmask_b32_e64 v2, 0, v9, s8
	v_cndmask_b32_e64 v5, 0, v10, s9
	s_delay_alu instid0(VALU_DEP_3) | instskip(SKIP_2) | instid1(VALU_DEP_3)
	v_add3_u32 v1, v1, v3, v4
	v_cndmask_b32_e64 v3, 0, v11, s10
	v_cndmask_b32_e64 v4, 0, v12, s11
	v_add3_u32 v1, v1, v2, v5
	v_mbcnt_lo_u32_b32 v2, -1, 0
	v_cndmask_b32_e64 v5, 0, v13, s12
	s_delay_alu instid0(VALU_DEP_3) | instskip(NEXT) | instid1(VALU_DEP_3)
	v_add3_u32 v1, v1, v3, v4
	v_cmp_ne_u32_e32 vcc_lo, 31, v2
	v_cndmask_b32_e64 v3, 0, v16, s15
	s_delay_alu instid0(VALU_DEP_3) | instskip(SKIP_3) | instid1(VALU_DEP_4)
	v_add3_u32 v1, v1, v5, v6
	v_add_co_ci_u32_e32 v4, vcc_lo, 0, v2, vcc_lo
	v_cmp_gt_u32_e32 vcc_lo, 30, v2
	v_add_nc_u32_e32 v6, 1, v2
	v_add3_u32 v1, v1, v7, v3
	s_delay_alu instid0(VALU_DEP_4) | instskip(SKIP_4) | instid1(VALU_DEP_2)
	v_lshlrev_b32_e32 v4, 2, v4
	v_cndmask_b32_e64 v5, 0, 1, vcc_lo
	ds_bpermute_b32 v3, v4, v1
	v_and_b32_e32 v4, 0xe0, v0
	v_lshlrev_b32_e32 v5, 1, v5
	v_sub_nc_u32_e64 v4, s2, v4 clamp
	s_delay_alu instid0(VALU_DEP_2) | instskip(NEXT) | instid1(VALU_DEP_2)
	v_add_lshl_u32 v5, v5, v2, 2
	v_cmp_lt_u32_e32 vcc_lo, v6, v4
	s_waitcnt lgkmcnt(0)
	v_dual_cndmask_b32 v3, 0, v3 :: v_dual_add_nc_u32 v6, 2, v2
	v_cmp_gt_u32_e32 vcc_lo, 28, v2
	s_delay_alu instid0(VALU_DEP_2) | instskip(SKIP_4) | instid1(VALU_DEP_3)
	v_add_nc_u32_e32 v1, v1, v3
	ds_bpermute_b32 v3, v5, v1
	v_cndmask_b32_e64 v5, 0, 1, vcc_lo
	v_cmp_lt_u32_e32 vcc_lo, v6, v4
	v_add_nc_u32_e32 v6, 4, v2
	v_lshlrev_b32_e32 v5, 2, v5
	s_delay_alu instid0(VALU_DEP_1) | instskip(SKIP_3) | instid1(VALU_DEP_2)
	v_add_lshl_u32 v5, v5, v2, 2
	s_waitcnt lgkmcnt(0)
	v_cndmask_b32_e32 v3, 0, v3, vcc_lo
	v_cmp_gt_u32_e32 vcc_lo, 24, v2
	v_add_nc_u32_e32 v1, v1, v3
	ds_bpermute_b32 v3, v5, v1
	v_cndmask_b32_e64 v5, 0, 1, vcc_lo
	v_cmp_lt_u32_e32 vcc_lo, v6, v4
	v_add_nc_u32_e32 v6, 8, v2
	s_delay_alu instid0(VALU_DEP_3) | instskip(NEXT) | instid1(VALU_DEP_1)
	v_lshlrev_b32_e32 v5, 3, v5
	v_add_lshl_u32 v5, v5, v2, 2
	s_waitcnt lgkmcnt(0)
	v_cndmask_b32_e32 v3, 0, v3, vcc_lo
	v_cmp_gt_u32_e32 vcc_lo, 16, v2
	s_delay_alu instid0(VALU_DEP_2) | instskip(SKIP_3) | instid1(VALU_DEP_2)
	v_add_nc_u32_e32 v1, v1, v3
	ds_bpermute_b32 v3, v5, v1
	v_cndmask_b32_e64 v5, 0, 1, vcc_lo
	v_cmp_lt_u32_e32 vcc_lo, v6, v4
	v_lshlrev_b32_e32 v5, 4, v5
	s_delay_alu instid0(VALU_DEP_1) | instskip(SKIP_2) | instid1(VALU_DEP_1)
	v_add_lshl_u32 v5, v5, v2, 2
	s_waitcnt lgkmcnt(0)
	v_cndmask_b32_e32 v3, 0, v3, vcc_lo
	v_add_nc_u32_e32 v1, v1, v3
	ds_bpermute_b32 v3, v5, v1
	v_add_nc_u32_e32 v5, 16, v2
	s_delay_alu instid0(VALU_DEP_1) | instskip(SKIP_2) | instid1(VALU_DEP_1)
	v_cmp_lt_u32_e32 vcc_lo, v5, v4
	s_waitcnt lgkmcnt(0)
	v_cndmask_b32_e32 v3, 0, v3, vcc_lo
	v_add_nc_u32_e32 v1, v1, v3
	v_cmpx_eq_u32_e32 0, v2
	s_cbranch_execz .LBB302_130
; %bb.129:
	v_lshrrev_b32_e32 v3, 3, v0
	s_delay_alu instid0(VALU_DEP_1)
	v_and_b32_e32 v3, 28, v3
	ds_store_b32 v3, v1 offset:192
.LBB302_130:
	s_or_b32 exec_lo, exec_lo, s3
	s_delay_alu instid0(SALU_CYCLE_1)
	s_mov_b32 s3, exec_lo
	s_waitcnt lgkmcnt(0)
	s_barrier
	buffer_gl0_inv
	v_cmpx_gt_u32_e32 8, v0
	s_cbranch_execz .LBB302_132
; %bb.131:
	v_and_b32_e32 v3, 7, v2
	s_add_i32 s2, s2, 31
	s_delay_alu instid0(SALU_CYCLE_1) | instskip(NEXT) | instid1(VALU_DEP_1)
	s_lshr_b32 s2, s2, 5
	v_cmp_ne_u32_e32 vcc_lo, 7, v3
	v_add_nc_u32_e32 v6, 1, v3
	v_add_co_ci_u32_e32 v4, vcc_lo, 0, v2, vcc_lo
	v_cmp_gt_u32_e32 vcc_lo, 6, v3
	s_delay_alu instid0(VALU_DEP_2) | instskip(SKIP_3) | instid1(VALU_DEP_3)
	v_lshlrev_b32_e32 v4, 2, v4
	v_cndmask_b32_e64 v5, 0, 1, vcc_lo
	v_cmp_gt_u32_e32 vcc_lo, s2, v6
	v_lshlrev_b32_e32 v1, 2, v2
	v_lshlrev_b32_e32 v5, 1, v5
	ds_load_b32 v1, v1 offset:192
	v_add_lshl_u32 v5, v5, v2, 2
	s_waitcnt lgkmcnt(0)
	ds_bpermute_b32 v4, v4, v1
	s_waitcnt lgkmcnt(0)
	v_cndmask_b32_e32 v4, 0, v4, vcc_lo
	v_cmp_gt_u32_e32 vcc_lo, 4, v3
	s_delay_alu instid0(VALU_DEP_2) | instskip(SKIP_3) | instid1(VALU_DEP_1)
	v_add_nc_u32_e32 v1, v4, v1
	v_cndmask_b32_e64 v6, 0, 1, vcc_lo
	ds_bpermute_b32 v4, v5, v1
	v_add_nc_u32_e32 v5, 2, v3
	v_cmp_gt_u32_e32 vcc_lo, s2, v5
	v_lshlrev_b32_e32 v5, 2, v6
	s_delay_alu instid0(VALU_DEP_1) | instskip(SKIP_2) | instid1(VALU_DEP_1)
	v_add_lshl_u32 v2, v5, v2, 2
	s_waitcnt lgkmcnt(0)
	v_dual_cndmask_b32 v4, 0, v4 :: v_dual_add_nc_u32 v3, 4, v3
	v_add_nc_u32_e32 v1, v1, v4
	s_delay_alu instid0(VALU_DEP_2) | instskip(SKIP_3) | instid1(VALU_DEP_1)
	v_cmp_gt_u32_e32 vcc_lo, s2, v3
	ds_bpermute_b32 v2, v2, v1
	s_waitcnt lgkmcnt(0)
	v_cndmask_b32_e32 v2, 0, v2, vcc_lo
	v_add_nc_u32_e32 v1, v1, v2
.LBB302_132:
	s_or_b32 exec_lo, exec_lo, s3
.LBB302_133:
	v_cmp_eq_u32_e64 s2, 0, v0
	s_branch .LBB302_142
.LBB302_134:
	s_cmp_eq_u32 s24, 8
	s_cbranch_scc0 .LBB302_141
; %bb.135:
	s_mov_b32 s21, 0
	s_lshl_b32 s2, s20, 11
	s_mov_b32 s3, s21
	s_lshr_b64 s[6:7], s[18:19], 11
	s_lshl_b64 s[4:5], s[2:3], 2
	s_delay_alu instid0(SALU_CYCLE_1)
	s_add_u32 s8, s16, s4
	s_addc_u32 s9, s17, s5
	s_cmp_lg_u64 s[6:7], s[20:21]
	s_cbranch_scc0 .LBB302_143
; %bb.136:
	v_lshlrev_b32_e32 v3, 2, v0
	s_clause 0x1
	global_load_b32 v4, v3, s[8:9]
	global_load_b32 v5, v3, s[8:9] offset:1024
	v_add_co_u32 v1, s3, s8, v3
	s_delay_alu instid0(VALU_DEP_1) | instskip(SKIP_1) | instid1(VALU_DEP_2)
	v_add_co_ci_u32_e64 v2, null, s9, 0, s3
	s_mov_b32 s3, exec_lo
	v_add_co_u32 v1, vcc_lo, 0x1000, v1
	s_delay_alu instid0(VALU_DEP_2)
	v_add_co_ci_u32_e32 v2, vcc_lo, 0, v2, vcc_lo
	s_clause 0x5
	global_load_b32 v6, v3, s[8:9] offset:2048
	global_load_b32 v3, v3, s[8:9] offset:3072
	global_load_b32 v7, v[1:2], off
	global_load_b32 v8, v[1:2], off offset:1024
	global_load_b32 v9, v[1:2], off offset:2048
	;; [unrolled: 1-line block ×3, first 2 shown]
	s_waitcnt vmcnt(6)
	v_add_nc_u32_e32 v2, v5, v4
	s_waitcnt vmcnt(4)
	s_delay_alu instid0(VALU_DEP_1) | instskip(SKIP_2) | instid1(VALU_DEP_2)
	v_add3_u32 v2, v2, v6, v3
	v_mov_b32_e32 v3, 0
	s_waitcnt vmcnt(2)
	v_add3_u32 v2, v2, v7, v8
	s_waitcnt vmcnt(0)
	s_delay_alu instid0(VALU_DEP_1) | instskip(NEXT) | instid1(VALU_DEP_1)
	v_add3_u32 v1, v2, v9, v1
	v_mov_b32_dpp v2, v1 quad_perm:[1,0,3,2] row_mask:0xf bank_mask:0xf
	s_delay_alu instid0(VALU_DEP_1) | instskip(NEXT) | instid1(VALU_DEP_1)
	v_add_nc_u32_e32 v1, v2, v1
	v_mov_b32_dpp v2, v1 quad_perm:[2,3,0,1] row_mask:0xf bank_mask:0xf
	s_delay_alu instid0(VALU_DEP_1) | instskip(NEXT) | instid1(VALU_DEP_1)
	v_add_nc_u32_e32 v1, v1, v2
	v_mov_b32_dpp v2, v1 row_ror:4 row_mask:0xf bank_mask:0xf
	s_delay_alu instid0(VALU_DEP_1) | instskip(NEXT) | instid1(VALU_DEP_1)
	v_add_nc_u32_e32 v1, v1, v2
	v_mov_b32_dpp v2, v1 row_ror:8 row_mask:0xf bank_mask:0xf
	s_delay_alu instid0(VALU_DEP_1)
	v_add_nc_u32_e32 v1, v1, v2
	ds_swizzle_b32 v2, v1 offset:swizzle(BROADCAST,32,15)
	s_waitcnt lgkmcnt(0)
	v_add_nc_u32_e32 v1, v1, v2
	v_mbcnt_lo_u32_b32 v2, -1, 0
	ds_bpermute_b32 v1, v3, v1 offset:124
	v_cmpx_eq_u32_e32 0, v2
	s_cbranch_execz .LBB302_138
; %bb.137:
	v_lshrrev_b32_e32 v3, 3, v0
	s_delay_alu instid0(VALU_DEP_1)
	v_and_b32_e32 v3, 28, v3
	s_waitcnt lgkmcnt(0)
	ds_store_b32 v3, v1 offset:160
.LBB302_138:
	s_or_b32 exec_lo, exec_lo, s3
	s_delay_alu instid0(SALU_CYCLE_1)
	s_mov_b32 s3, exec_lo
	s_waitcnt lgkmcnt(0)
	s_barrier
	buffer_gl0_inv
	v_cmpx_gt_u32_e32 32, v0
	s_cbranch_execz .LBB302_140
; %bb.139:
	v_and_b32_e32 v1, 7, v2
	s_delay_alu instid0(VALU_DEP_1) | instskip(SKIP_4) | instid1(VALU_DEP_2)
	v_lshlrev_b32_e32 v3, 2, v1
	v_cmp_ne_u32_e32 vcc_lo, 7, v1
	ds_load_b32 v3, v3 offset:160
	v_add_co_ci_u32_e32 v4, vcc_lo, 0, v2, vcc_lo
	v_cmp_gt_u32_e32 vcc_lo, 6, v1
	v_lshlrev_b32_e32 v4, 2, v4
	v_cndmask_b32_e64 v5, 0, 1, vcc_lo
	v_cmp_gt_u32_e32 vcc_lo, 4, v1
	s_delay_alu instid0(VALU_DEP_2) | instskip(SKIP_1) | instid1(VALU_DEP_2)
	v_lshlrev_b32_e32 v5, 1, v5
	v_cndmask_b32_e64 v1, 0, 1, vcc_lo
	v_add_lshl_u32 v5, v5, v2, 2
	s_delay_alu instid0(VALU_DEP_2)
	v_lshlrev_b32_e32 v1, 2, v1
	s_waitcnt lgkmcnt(0)
	ds_bpermute_b32 v4, v4, v3
	v_add_lshl_u32 v1, v1, v2, 2
	s_waitcnt lgkmcnt(0)
	v_add_nc_u32_e32 v3, v4, v3
	ds_bpermute_b32 v4, v5, v3
	s_waitcnt lgkmcnt(0)
	v_add_nc_u32_e32 v3, v4, v3
	ds_bpermute_b32 v1, v1, v3
	s_waitcnt lgkmcnt(0)
	v_add_nc_u32_e32 v1, v1, v3
.LBB302_140:
	s_or_b32 exec_lo, exec_lo, s3
	s_branch .LBB302_165
.LBB302_141:
                                        ; implicit-def: $vgpr1
.LBB302_142:
	s_branch .LBB302_224
.LBB302_143:
                                        ; implicit-def: $vgpr1
	s_cbranch_execz .LBB302_165
; %bb.144:
	s_sub_i32 s10, s18, s2
	s_mov_b32 s2, exec_lo
                                        ; implicit-def: $vgpr1_vgpr2_vgpr3_vgpr4_vgpr5_vgpr6_vgpr7_vgpr8
	v_cmpx_gt_u32_e64 s10, v0
	s_cbranch_execz .LBB302_146
; %bb.145:
	v_lshlrev_b32_e32 v1, 2, v0
	global_load_b32 v1, v1, s[8:9]
.LBB302_146:
	s_or_b32 exec_lo, exec_lo, s2
	v_or_b32_e32 v9, 0x100, v0
	s_delay_alu instid0(VALU_DEP_1)
	v_cmp_gt_u32_e32 vcc_lo, s10, v9
	s_and_saveexec_b32 s2, vcc_lo
	s_cbranch_execz .LBB302_148
; %bb.147:
	v_lshlrev_b32_e32 v2, 2, v0
	global_load_b32 v2, v2, s[8:9] offset:1024
.LBB302_148:
	s_or_b32 exec_lo, exec_lo, s2
	v_or_b32_e32 v9, 0x200, v0
	s_delay_alu instid0(VALU_DEP_1) | instskip(NEXT) | instid1(VALU_DEP_1)
	v_cmp_gt_u32_e64 s2, s10, v9
	s_and_saveexec_b32 s3, s2
	s_cbranch_execz .LBB302_150
; %bb.149:
	v_lshlrev_b32_e32 v3, 2, v0
	global_load_b32 v3, v3, s[8:9] offset:2048
.LBB302_150:
	s_or_b32 exec_lo, exec_lo, s3
	v_or_b32_e32 v9, 0x300, v0
	s_delay_alu instid0(VALU_DEP_1) | instskip(NEXT) | instid1(VALU_DEP_1)
	v_cmp_gt_u32_e64 s3, s10, v9
	s_and_saveexec_b32 s4, s3
	s_cbranch_execz .LBB302_152
; %bb.151:
	v_lshlrev_b32_e32 v4, 2, v0
	global_load_b32 v4, v4, s[8:9] offset:3072
.LBB302_152:
	s_or_b32 exec_lo, exec_lo, s4
	v_or_b32_e32 v9, 0x400, v0
	s_delay_alu instid0(VALU_DEP_1) | instskip(NEXT) | instid1(VALU_DEP_1)
	v_cmp_gt_u32_e64 s4, s10, v9
	s_and_saveexec_b32 s5, s4
	s_cbranch_execz .LBB302_154
; %bb.153:
	v_lshlrev_b32_e32 v5, 2, v9
	global_load_b32 v5, v5, s[8:9]
.LBB302_154:
	s_or_b32 exec_lo, exec_lo, s5
	v_or_b32_e32 v9, 0x500, v0
	s_delay_alu instid0(VALU_DEP_1) | instskip(NEXT) | instid1(VALU_DEP_1)
	v_cmp_gt_u32_e64 s5, s10, v9
	s_and_saveexec_b32 s6, s5
	s_cbranch_execz .LBB302_156
; %bb.155:
	v_lshlrev_b32_e32 v6, 2, v9
	global_load_b32 v6, v6, s[8:9]
.LBB302_156:
	s_or_b32 exec_lo, exec_lo, s6
	v_or_b32_e32 v9, 0x600, v0
	s_delay_alu instid0(VALU_DEP_1) | instskip(NEXT) | instid1(VALU_DEP_1)
	v_cmp_gt_u32_e64 s6, s10, v9
	s_and_saveexec_b32 s7, s6
	;; [unrolled: 10-line block ×3, first 2 shown]
	s_cbranch_execz .LBB302_160
; %bb.159:
	v_lshlrev_b32_e32 v8, 2, v9
	global_load_b32 v8, v8, s[8:9]
.LBB302_160:
	s_or_b32 exec_lo, exec_lo, s11
	s_waitcnt vmcnt(0)
	v_cndmask_b32_e32 v2, 0, v2, vcc_lo
	v_cndmask_b32_e64 v3, 0, v3, s2
	v_cndmask_b32_e64 v4, 0, v4, s3
	;; [unrolled: 1-line block ×4, first 2 shown]
	v_add_nc_u32_e32 v1, v2, v1
	v_mbcnt_lo_u32_b32 v2, -1, 0
	v_cndmask_b32_e64 v7, 0, v7, s6
	s_min_u32 s2, s10, 0x100
	s_mov_b32 s3, exec_lo
	v_add3_u32 v1, v1, v3, v4
	v_cmp_ne_u32_e32 vcc_lo, 31, v2
	v_cndmask_b32_e64 v3, 0, v8, s7
	s_delay_alu instid0(VALU_DEP_3) | instskip(SKIP_3) | instid1(VALU_DEP_4)
	v_add3_u32 v1, v1, v5, v6
	v_add_co_ci_u32_e32 v4, vcc_lo, 0, v2, vcc_lo
	v_cmp_gt_u32_e32 vcc_lo, 30, v2
	v_add_nc_u32_e32 v6, 1, v2
	v_add3_u32 v1, v1, v7, v3
	s_delay_alu instid0(VALU_DEP_4) | instskip(SKIP_4) | instid1(VALU_DEP_2)
	v_lshlrev_b32_e32 v4, 2, v4
	v_cndmask_b32_e64 v5, 0, 1, vcc_lo
	ds_bpermute_b32 v3, v4, v1
	v_and_b32_e32 v4, 0xe0, v0
	v_lshlrev_b32_e32 v5, 1, v5
	v_sub_nc_u32_e64 v4, s2, v4 clamp
	s_delay_alu instid0(VALU_DEP_2) | instskip(NEXT) | instid1(VALU_DEP_2)
	v_add_lshl_u32 v5, v5, v2, 2
	v_cmp_lt_u32_e32 vcc_lo, v6, v4
	s_waitcnt lgkmcnt(0)
	v_dual_cndmask_b32 v3, 0, v3 :: v_dual_add_nc_u32 v6, 2, v2
	v_cmp_gt_u32_e32 vcc_lo, 28, v2
	s_delay_alu instid0(VALU_DEP_2) | instskip(SKIP_4) | instid1(VALU_DEP_3)
	v_add_nc_u32_e32 v1, v1, v3
	ds_bpermute_b32 v3, v5, v1
	v_cndmask_b32_e64 v5, 0, 1, vcc_lo
	v_cmp_lt_u32_e32 vcc_lo, v6, v4
	v_add_nc_u32_e32 v6, 4, v2
	v_lshlrev_b32_e32 v5, 2, v5
	s_delay_alu instid0(VALU_DEP_1) | instskip(SKIP_3) | instid1(VALU_DEP_2)
	v_add_lshl_u32 v5, v5, v2, 2
	s_waitcnt lgkmcnt(0)
	v_cndmask_b32_e32 v3, 0, v3, vcc_lo
	v_cmp_gt_u32_e32 vcc_lo, 24, v2
	v_add_nc_u32_e32 v1, v1, v3
	ds_bpermute_b32 v3, v5, v1
	v_cndmask_b32_e64 v5, 0, 1, vcc_lo
	v_cmp_lt_u32_e32 vcc_lo, v6, v4
	v_add_nc_u32_e32 v6, 8, v2
	s_delay_alu instid0(VALU_DEP_3) | instskip(NEXT) | instid1(VALU_DEP_1)
	v_lshlrev_b32_e32 v5, 3, v5
	v_add_lshl_u32 v5, v5, v2, 2
	s_waitcnt lgkmcnt(0)
	v_cndmask_b32_e32 v3, 0, v3, vcc_lo
	v_cmp_gt_u32_e32 vcc_lo, 16, v2
	s_delay_alu instid0(VALU_DEP_2) | instskip(SKIP_3) | instid1(VALU_DEP_2)
	v_add_nc_u32_e32 v1, v1, v3
	ds_bpermute_b32 v3, v5, v1
	v_cndmask_b32_e64 v5, 0, 1, vcc_lo
	v_cmp_lt_u32_e32 vcc_lo, v6, v4
	v_lshlrev_b32_e32 v5, 4, v5
	s_delay_alu instid0(VALU_DEP_1) | instskip(SKIP_2) | instid1(VALU_DEP_1)
	v_add_lshl_u32 v5, v5, v2, 2
	s_waitcnt lgkmcnt(0)
	v_cndmask_b32_e32 v3, 0, v3, vcc_lo
	v_add_nc_u32_e32 v1, v1, v3
	ds_bpermute_b32 v3, v5, v1
	v_add_nc_u32_e32 v5, 16, v2
	s_delay_alu instid0(VALU_DEP_1) | instskip(SKIP_2) | instid1(VALU_DEP_1)
	v_cmp_lt_u32_e32 vcc_lo, v5, v4
	s_waitcnt lgkmcnt(0)
	v_cndmask_b32_e32 v3, 0, v3, vcc_lo
	v_add_nc_u32_e32 v1, v1, v3
	v_cmpx_eq_u32_e32 0, v2
	s_cbranch_execz .LBB302_162
; %bb.161:
	v_lshrrev_b32_e32 v3, 3, v0
	s_delay_alu instid0(VALU_DEP_1)
	v_and_b32_e32 v3, 28, v3
	ds_store_b32 v3, v1 offset:192
.LBB302_162:
	s_or_b32 exec_lo, exec_lo, s3
	s_delay_alu instid0(SALU_CYCLE_1)
	s_mov_b32 s3, exec_lo
	s_waitcnt lgkmcnt(0)
	s_barrier
	buffer_gl0_inv
	v_cmpx_gt_u32_e32 8, v0
	s_cbranch_execz .LBB302_164
; %bb.163:
	v_and_b32_e32 v3, 7, v2
	s_add_i32 s2, s2, 31
	s_delay_alu instid0(SALU_CYCLE_1) | instskip(NEXT) | instid1(VALU_DEP_1)
	s_lshr_b32 s2, s2, 5
	v_cmp_ne_u32_e32 vcc_lo, 7, v3
	v_add_nc_u32_e32 v6, 1, v3
	v_add_co_ci_u32_e32 v4, vcc_lo, 0, v2, vcc_lo
	v_cmp_gt_u32_e32 vcc_lo, 6, v3
	s_delay_alu instid0(VALU_DEP_2) | instskip(SKIP_3) | instid1(VALU_DEP_3)
	v_lshlrev_b32_e32 v4, 2, v4
	v_cndmask_b32_e64 v5, 0, 1, vcc_lo
	v_cmp_gt_u32_e32 vcc_lo, s2, v6
	v_lshlrev_b32_e32 v1, 2, v2
	v_lshlrev_b32_e32 v5, 1, v5
	ds_load_b32 v1, v1 offset:192
	v_add_lshl_u32 v5, v5, v2, 2
	s_waitcnt lgkmcnt(0)
	ds_bpermute_b32 v4, v4, v1
	s_waitcnt lgkmcnt(0)
	v_cndmask_b32_e32 v4, 0, v4, vcc_lo
	v_cmp_gt_u32_e32 vcc_lo, 4, v3
	s_delay_alu instid0(VALU_DEP_2) | instskip(SKIP_3) | instid1(VALU_DEP_1)
	v_add_nc_u32_e32 v1, v4, v1
	v_cndmask_b32_e64 v6, 0, 1, vcc_lo
	ds_bpermute_b32 v4, v5, v1
	v_add_nc_u32_e32 v5, 2, v3
	v_cmp_gt_u32_e32 vcc_lo, s2, v5
	v_lshlrev_b32_e32 v5, 2, v6
	s_delay_alu instid0(VALU_DEP_1) | instskip(SKIP_2) | instid1(VALU_DEP_1)
	v_add_lshl_u32 v2, v5, v2, 2
	s_waitcnt lgkmcnt(0)
	v_dual_cndmask_b32 v4, 0, v4 :: v_dual_add_nc_u32 v3, 4, v3
	v_add_nc_u32_e32 v1, v1, v4
	s_delay_alu instid0(VALU_DEP_2) | instskip(SKIP_3) | instid1(VALU_DEP_1)
	v_cmp_gt_u32_e32 vcc_lo, s2, v3
	ds_bpermute_b32 v2, v2, v1
	s_waitcnt lgkmcnt(0)
	v_cndmask_b32_e32 v2, 0, v2, vcc_lo
	v_add_nc_u32_e32 v1, v1, v2
.LBB302_164:
	s_or_b32 exec_lo, exec_lo, s3
.LBB302_165:
	v_cmp_eq_u32_e64 s2, 0, v0
	s_branch .LBB302_224
.LBB302_166:
	s_cmp_gt_i32 s24, 1
	s_cbranch_scc0 .LBB302_175
; %bb.167:
	s_cmp_gt_i32 s24, 3
	s_cbranch_scc0 .LBB302_176
; %bb.168:
	s_cmp_eq_u32 s24, 4
	s_cbranch_scc0 .LBB302_177
; %bb.169:
	s_mov_b32 s21, 0
	s_lshl_b32 s2, s20, 10
	s_mov_b32 s3, s21
	s_lshr_b64 s[6:7], s[18:19], 10
	s_lshl_b64 s[4:5], s[2:3], 2
	s_delay_alu instid0(SALU_CYCLE_1)
	s_add_u32 s4, s16, s4
	s_addc_u32 s5, s17, s5
	s_cmp_lg_u64 s[6:7], s[20:21]
	s_cbranch_scc0 .LBB302_179
; %bb.170:
	v_lshlrev_b32_e32 v1, 2, v0
	s_mov_b32 s3, exec_lo
	s_clause 0x3
	global_load_b32 v2, v1, s[4:5]
	global_load_b32 v3, v1, s[4:5] offset:1024
	global_load_b32 v4, v1, s[4:5] offset:2048
	;; [unrolled: 1-line block ×3, first 2 shown]
	s_waitcnt vmcnt(2)
	v_add_nc_u32_e32 v2, v3, v2
	s_waitcnt vmcnt(0)
	s_delay_alu instid0(VALU_DEP_1) | instskip(NEXT) | instid1(VALU_DEP_1)
	v_add3_u32 v1, v2, v4, v1
	v_mov_b32_dpp v2, v1 quad_perm:[1,0,3,2] row_mask:0xf bank_mask:0xf
	s_delay_alu instid0(VALU_DEP_1) | instskip(NEXT) | instid1(VALU_DEP_1)
	v_add_nc_u32_e32 v1, v2, v1
	v_mov_b32_dpp v2, v1 quad_perm:[2,3,0,1] row_mask:0xf bank_mask:0xf
	s_delay_alu instid0(VALU_DEP_1) | instskip(NEXT) | instid1(VALU_DEP_1)
	v_add_nc_u32_e32 v1, v1, v2
	v_mov_b32_dpp v2, v1 row_ror:4 row_mask:0xf bank_mask:0xf
	s_delay_alu instid0(VALU_DEP_1) | instskip(NEXT) | instid1(VALU_DEP_1)
	v_add_nc_u32_e32 v1, v1, v2
	v_mov_b32_dpp v2, v1 row_ror:8 row_mask:0xf bank_mask:0xf
	s_delay_alu instid0(VALU_DEP_1)
	v_add_nc_u32_e32 v1, v1, v2
	ds_swizzle_b32 v2, v1 offset:swizzle(BROADCAST,32,15)
	s_waitcnt lgkmcnt(0)
	v_dual_mov_b32 v2, 0 :: v_dual_add_nc_u32 v1, v1, v2
	ds_bpermute_b32 v1, v2, v1 offset:124
	v_mbcnt_lo_u32_b32 v2, -1, 0
	s_delay_alu instid0(VALU_DEP_1)
	v_cmpx_eq_u32_e32 0, v2
	s_cbranch_execz .LBB302_172
; %bb.171:
	v_lshrrev_b32_e32 v3, 3, v0
	s_delay_alu instid0(VALU_DEP_1)
	v_and_b32_e32 v3, 28, v3
	s_waitcnt lgkmcnt(0)
	ds_store_b32 v3, v1 offset:128
.LBB302_172:
	s_or_b32 exec_lo, exec_lo, s3
	s_delay_alu instid0(SALU_CYCLE_1)
	s_mov_b32 s3, exec_lo
	s_waitcnt lgkmcnt(0)
	s_barrier
	buffer_gl0_inv
	v_cmpx_gt_u32_e32 32, v0
	s_cbranch_execz .LBB302_174
; %bb.173:
	v_and_b32_e32 v1, 7, v2
	s_delay_alu instid0(VALU_DEP_1) | instskip(SKIP_4) | instid1(VALU_DEP_2)
	v_lshlrev_b32_e32 v3, 2, v1
	v_cmp_ne_u32_e32 vcc_lo, 7, v1
	ds_load_b32 v3, v3 offset:128
	v_add_co_ci_u32_e32 v4, vcc_lo, 0, v2, vcc_lo
	v_cmp_gt_u32_e32 vcc_lo, 6, v1
	v_lshlrev_b32_e32 v4, 2, v4
	v_cndmask_b32_e64 v5, 0, 1, vcc_lo
	v_cmp_gt_u32_e32 vcc_lo, 4, v1
	s_delay_alu instid0(VALU_DEP_2) | instskip(SKIP_1) | instid1(VALU_DEP_2)
	v_lshlrev_b32_e32 v5, 1, v5
	v_cndmask_b32_e64 v1, 0, 1, vcc_lo
	v_add_lshl_u32 v5, v5, v2, 2
	s_delay_alu instid0(VALU_DEP_2)
	v_lshlrev_b32_e32 v1, 2, v1
	s_waitcnt lgkmcnt(0)
	ds_bpermute_b32 v4, v4, v3
	v_add_lshl_u32 v1, v1, v2, 2
	s_waitcnt lgkmcnt(0)
	v_add_nc_u32_e32 v3, v4, v3
	ds_bpermute_b32 v4, v5, v3
	s_waitcnt lgkmcnt(0)
	v_add_nc_u32_e32 v3, v4, v3
	ds_bpermute_b32 v1, v1, v3
	s_waitcnt lgkmcnt(0)
	v_add_nc_u32_e32 v1, v1, v3
.LBB302_174:
	s_or_b32 exec_lo, exec_lo, s3
	s_mov_b32 s3, 0
	s_branch .LBB302_180
.LBB302_175:
                                        ; implicit-def: $vgpr1
	s_cbranch_execnz .LBB302_215
	s_branch .LBB302_224
.LBB302_176:
                                        ; implicit-def: $vgpr1
	s_cbranch_execz .LBB302_178
	s_branch .LBB302_195
.LBB302_177:
                                        ; implicit-def: $vgpr1
.LBB302_178:
	s_branch .LBB302_224
.LBB302_179:
	s_mov_b32 s3, -1
                                        ; implicit-def: $vgpr1
.LBB302_180:
	s_delay_alu instid0(SALU_CYCLE_1)
	s_and_b32 vcc_lo, exec_lo, s3
	s_cbranch_vccz .LBB302_194
; %bb.181:
	s_sub_i32 s6, s18, s2
	s_mov_b32 s2, exec_lo
                                        ; implicit-def: $vgpr1_vgpr2_vgpr3_vgpr4
	v_cmpx_gt_u32_e64 s6, v0
	s_cbranch_execz .LBB302_183
; %bb.182:
	v_lshlrev_b32_e32 v1, 2, v0
	global_load_b32 v1, v1, s[4:5]
.LBB302_183:
	s_or_b32 exec_lo, exec_lo, s2
	v_or_b32_e32 v5, 0x100, v0
	s_delay_alu instid0(VALU_DEP_1)
	v_cmp_gt_u32_e32 vcc_lo, s6, v5
	s_and_saveexec_b32 s2, vcc_lo
	s_cbranch_execz .LBB302_185
; %bb.184:
	v_lshlrev_b32_e32 v2, 2, v0
	global_load_b32 v2, v2, s[4:5] offset:1024
.LBB302_185:
	s_or_b32 exec_lo, exec_lo, s2
	v_or_b32_e32 v5, 0x200, v0
	s_delay_alu instid0(VALU_DEP_1) | instskip(NEXT) | instid1(VALU_DEP_1)
	v_cmp_gt_u32_e64 s2, s6, v5
	s_and_saveexec_b32 s3, s2
	s_cbranch_execz .LBB302_187
; %bb.186:
	v_lshlrev_b32_e32 v3, 2, v0
	global_load_b32 v3, v3, s[4:5] offset:2048
.LBB302_187:
	s_or_b32 exec_lo, exec_lo, s3
	v_or_b32_e32 v5, 0x300, v0
	s_delay_alu instid0(VALU_DEP_1) | instskip(NEXT) | instid1(VALU_DEP_1)
	v_cmp_gt_u32_e64 s3, s6, v5
	s_and_saveexec_b32 s7, s3
	s_cbranch_execz .LBB302_189
; %bb.188:
	v_lshlrev_b32_e32 v4, 2, v0
	global_load_b32 v4, v4, s[4:5] offset:3072
.LBB302_189:
	s_or_b32 exec_lo, exec_lo, s7
	s_waitcnt vmcnt(0)
	v_cndmask_b32_e32 v5, 0, v2, vcc_lo
	v_mbcnt_lo_u32_b32 v2, -1, 0
	v_cndmask_b32_e64 v3, 0, v3, s2
	v_cndmask_b32_e64 v4, 0, v4, s3
	s_min_u32 s2, s6, 0x100
	v_add_nc_u32_e32 v1, v5, v1
	v_cmp_ne_u32_e32 vcc_lo, 31, v2
	s_mov_b32 s3, exec_lo
	s_delay_alu instid0(VALU_DEP_2) | instskip(SKIP_3) | instid1(VALU_DEP_3)
	v_add3_u32 v1, v1, v3, v4
	v_and_b32_e32 v4, 0xe0, v0
	v_add_co_ci_u32_e32 v5, vcc_lo, 0, v2, vcc_lo
	v_cmp_gt_u32_e32 vcc_lo, 30, v2
	v_sub_nc_u32_e64 v4, s2, v4 clamp
	s_delay_alu instid0(VALU_DEP_3) | instskip(SKIP_4) | instid1(VALU_DEP_2)
	v_lshlrev_b32_e32 v3, 2, v5
	v_cndmask_b32_e64 v5, 0, 1, vcc_lo
	ds_bpermute_b32 v3, v3, v1
	v_add_nc_u32_e32 v6, 1, v2
	v_lshlrev_b32_e32 v5, 1, v5
	v_cmp_lt_u32_e32 vcc_lo, v6, v4
	s_delay_alu instid0(VALU_DEP_2) | instskip(SKIP_3) | instid1(VALU_DEP_2)
	v_add_lshl_u32 v5, v5, v2, 2
	s_waitcnt lgkmcnt(0)
	v_cndmask_b32_e32 v3, 0, v3, vcc_lo
	v_cmp_gt_u32_e32 vcc_lo, 28, v2
	v_add_nc_u32_e32 v1, v3, v1
	ds_bpermute_b32 v3, v5, v1
	v_add_nc_u32_e32 v6, 2, v2
	v_cndmask_b32_e64 v5, 0, 1, vcc_lo
	s_delay_alu instid0(VALU_DEP_2) | instskip(NEXT) | instid1(VALU_DEP_2)
	v_cmp_lt_u32_e32 vcc_lo, v6, v4
	v_lshlrev_b32_e32 v5, 2, v5
	s_delay_alu instid0(VALU_DEP_1) | instskip(SKIP_3) | instid1(VALU_DEP_2)
	v_add_lshl_u32 v5, v5, v2, 2
	s_waitcnt lgkmcnt(0)
	v_cndmask_b32_e32 v3, 0, v3, vcc_lo
	v_cmp_gt_u32_e32 vcc_lo, 24, v2
	v_add_nc_u32_e32 v1, v1, v3
	ds_bpermute_b32 v3, v5, v1
	v_add_nc_u32_e32 v6, 4, v2
	v_cndmask_b32_e64 v5, 0, 1, vcc_lo
	s_delay_alu instid0(VALU_DEP_2) | instskip(NEXT) | instid1(VALU_DEP_2)
	v_cmp_lt_u32_e32 vcc_lo, v6, v4
	v_lshlrev_b32_e32 v5, 3, v5
	s_delay_alu instid0(VALU_DEP_1) | instskip(SKIP_3) | instid1(VALU_DEP_2)
	v_add_lshl_u32 v5, v5, v2, 2
	s_waitcnt lgkmcnt(0)
	v_cndmask_b32_e32 v3, 0, v3, vcc_lo
	v_cmp_gt_u32_e32 vcc_lo, 16, v2
	v_add_nc_u32_e32 v1, v1, v3
	ds_bpermute_b32 v3, v5, v1
	v_add_nc_u32_e32 v6, 8, v2
	v_cndmask_b32_e64 v5, 0, 1, vcc_lo
	s_delay_alu instid0(VALU_DEP_2) | instskip(NEXT) | instid1(VALU_DEP_2)
	v_cmp_lt_u32_e32 vcc_lo, v6, v4
	v_lshlrev_b32_e32 v5, 4, v5
	s_delay_alu instid0(VALU_DEP_1) | instskip(SKIP_2) | instid1(VALU_DEP_1)
	v_add_lshl_u32 v5, v5, v2, 2
	s_waitcnt lgkmcnt(0)
	v_cndmask_b32_e32 v3, 0, v3, vcc_lo
	v_add_nc_u32_e32 v1, v1, v3
	ds_bpermute_b32 v3, v5, v1
	v_add_nc_u32_e32 v5, 16, v2
	s_delay_alu instid0(VALU_DEP_1) | instskip(SKIP_2) | instid1(VALU_DEP_1)
	v_cmp_lt_u32_e32 vcc_lo, v5, v4
	s_waitcnt lgkmcnt(0)
	v_cndmask_b32_e32 v3, 0, v3, vcc_lo
	v_add_nc_u32_e32 v1, v1, v3
	v_cmpx_eq_u32_e32 0, v2
	s_cbranch_execz .LBB302_191
; %bb.190:
	v_lshrrev_b32_e32 v3, 3, v0
	s_delay_alu instid0(VALU_DEP_1)
	v_and_b32_e32 v3, 28, v3
	ds_store_b32 v3, v1 offset:192
.LBB302_191:
	s_or_b32 exec_lo, exec_lo, s3
	s_delay_alu instid0(SALU_CYCLE_1)
	s_mov_b32 s3, exec_lo
	s_waitcnt lgkmcnt(0)
	s_barrier
	buffer_gl0_inv
	v_cmpx_gt_u32_e32 8, v0
	s_cbranch_execz .LBB302_193
; %bb.192:
	v_and_b32_e32 v3, 7, v2
	s_add_i32 s2, s2, 31
	s_delay_alu instid0(SALU_CYCLE_1) | instskip(NEXT) | instid1(VALU_DEP_1)
	s_lshr_b32 s2, s2, 5
	v_cmp_ne_u32_e32 vcc_lo, 7, v3
	v_add_nc_u32_e32 v6, 1, v3
	v_add_co_ci_u32_e32 v4, vcc_lo, 0, v2, vcc_lo
	v_cmp_gt_u32_e32 vcc_lo, 6, v3
	s_delay_alu instid0(VALU_DEP_2) | instskip(SKIP_3) | instid1(VALU_DEP_3)
	v_lshlrev_b32_e32 v4, 2, v4
	v_cndmask_b32_e64 v5, 0, 1, vcc_lo
	v_cmp_gt_u32_e32 vcc_lo, s2, v6
	v_lshlrev_b32_e32 v1, 2, v2
	v_lshlrev_b32_e32 v5, 1, v5
	ds_load_b32 v1, v1 offset:192
	v_add_lshl_u32 v5, v5, v2, 2
	s_waitcnt lgkmcnt(0)
	ds_bpermute_b32 v4, v4, v1
	s_waitcnt lgkmcnt(0)
	v_cndmask_b32_e32 v4, 0, v4, vcc_lo
	v_cmp_gt_u32_e32 vcc_lo, 4, v3
	s_delay_alu instid0(VALU_DEP_2) | instskip(SKIP_3) | instid1(VALU_DEP_1)
	v_add_nc_u32_e32 v1, v4, v1
	v_cndmask_b32_e64 v6, 0, 1, vcc_lo
	ds_bpermute_b32 v4, v5, v1
	v_add_nc_u32_e32 v5, 2, v3
	v_cmp_gt_u32_e32 vcc_lo, s2, v5
	v_lshlrev_b32_e32 v5, 2, v6
	s_delay_alu instid0(VALU_DEP_1) | instskip(SKIP_2) | instid1(VALU_DEP_1)
	v_add_lshl_u32 v2, v5, v2, 2
	s_waitcnt lgkmcnt(0)
	v_dual_cndmask_b32 v4, 0, v4 :: v_dual_add_nc_u32 v3, 4, v3
	v_add_nc_u32_e32 v1, v1, v4
	s_delay_alu instid0(VALU_DEP_2) | instskip(SKIP_3) | instid1(VALU_DEP_1)
	v_cmp_gt_u32_e32 vcc_lo, s2, v3
	ds_bpermute_b32 v2, v2, v1
	s_waitcnt lgkmcnt(0)
	v_cndmask_b32_e32 v2, 0, v2, vcc_lo
	v_add_nc_u32_e32 v1, v1, v2
.LBB302_193:
	s_or_b32 exec_lo, exec_lo, s3
.LBB302_194:
	v_cmp_eq_u32_e64 s2, 0, v0
	s_branch .LBB302_178
.LBB302_195:
	s_cmp_eq_u32 s24, 2
	s_cbranch_scc0 .LBB302_202
; %bb.196:
	s_mov_b32 s21, 0
	s_lshl_b32 s4, s20, 9
	s_mov_b32 s5, s21
	s_lshr_b64 s[6:7], s[18:19], 9
	s_lshl_b64 s[2:3], s[4:5], 2
	s_delay_alu instid0(SALU_CYCLE_1)
	s_add_u32 s2, s16, s2
	s_addc_u32 s3, s17, s3
	s_cmp_lg_u64 s[6:7], s[20:21]
	s_cbranch_scc0 .LBB302_203
; %bb.197:
	v_lshlrev_b32_e32 v1, 2, v0
	s_mov_b32 s5, exec_lo
	s_clause 0x1
	global_load_b32 v2, v1, s[2:3]
	global_load_b32 v1, v1, s[2:3] offset:1024
	s_waitcnt vmcnt(0)
	v_add_nc_u32_e32 v1, v1, v2
	s_delay_alu instid0(VALU_DEP_1) | instskip(NEXT) | instid1(VALU_DEP_1)
	v_mov_b32_dpp v2, v1 quad_perm:[1,0,3,2] row_mask:0xf bank_mask:0xf
	v_add_nc_u32_e32 v1, v2, v1
	s_delay_alu instid0(VALU_DEP_1) | instskip(NEXT) | instid1(VALU_DEP_1)
	v_mov_b32_dpp v2, v1 quad_perm:[2,3,0,1] row_mask:0xf bank_mask:0xf
	v_add_nc_u32_e32 v1, v1, v2
	s_delay_alu instid0(VALU_DEP_1) | instskip(NEXT) | instid1(VALU_DEP_1)
	v_mov_b32_dpp v2, v1 row_ror:4 row_mask:0xf bank_mask:0xf
	v_add_nc_u32_e32 v1, v1, v2
	s_delay_alu instid0(VALU_DEP_1) | instskip(NEXT) | instid1(VALU_DEP_1)
	v_mov_b32_dpp v2, v1 row_ror:8 row_mask:0xf bank_mask:0xf
	v_add_nc_u32_e32 v1, v1, v2
	ds_swizzle_b32 v2, v1 offset:swizzle(BROADCAST,32,15)
	s_waitcnt lgkmcnt(0)
	v_dual_mov_b32 v2, 0 :: v_dual_add_nc_u32 v1, v1, v2
	ds_bpermute_b32 v1, v2, v1 offset:124
	v_mbcnt_lo_u32_b32 v2, -1, 0
	s_delay_alu instid0(VALU_DEP_1)
	v_cmpx_eq_u32_e32 0, v2
	s_cbranch_execz .LBB302_199
; %bb.198:
	v_lshrrev_b32_e32 v3, 3, v0
	s_delay_alu instid0(VALU_DEP_1)
	v_and_b32_e32 v3, 28, v3
	s_waitcnt lgkmcnt(0)
	ds_store_b32 v3, v1 offset:64
.LBB302_199:
	s_or_b32 exec_lo, exec_lo, s5
	s_delay_alu instid0(SALU_CYCLE_1)
	s_mov_b32 s5, exec_lo
	s_waitcnt lgkmcnt(0)
	s_barrier
	buffer_gl0_inv
	v_cmpx_gt_u32_e32 32, v0
	s_cbranch_execz .LBB302_201
; %bb.200:
	v_and_b32_e32 v1, 7, v2
	s_delay_alu instid0(VALU_DEP_1) | instskip(SKIP_4) | instid1(VALU_DEP_2)
	v_lshlrev_b32_e32 v3, 2, v1
	v_cmp_ne_u32_e32 vcc_lo, 7, v1
	ds_load_b32 v3, v3 offset:64
	v_add_co_ci_u32_e32 v4, vcc_lo, 0, v2, vcc_lo
	v_cmp_gt_u32_e32 vcc_lo, 6, v1
	v_lshlrev_b32_e32 v4, 2, v4
	v_cndmask_b32_e64 v5, 0, 1, vcc_lo
	v_cmp_gt_u32_e32 vcc_lo, 4, v1
	s_delay_alu instid0(VALU_DEP_2) | instskip(SKIP_1) | instid1(VALU_DEP_2)
	v_lshlrev_b32_e32 v5, 1, v5
	v_cndmask_b32_e64 v1, 0, 1, vcc_lo
	v_add_lshl_u32 v5, v5, v2, 2
	s_delay_alu instid0(VALU_DEP_2)
	v_lshlrev_b32_e32 v1, 2, v1
	s_waitcnt lgkmcnt(0)
	ds_bpermute_b32 v4, v4, v3
	v_add_lshl_u32 v1, v1, v2, 2
	s_waitcnt lgkmcnt(0)
	v_add_nc_u32_e32 v3, v4, v3
	ds_bpermute_b32 v4, v5, v3
	s_waitcnt lgkmcnt(0)
	v_add_nc_u32_e32 v3, v4, v3
	ds_bpermute_b32 v1, v1, v3
	s_waitcnt lgkmcnt(0)
	v_add_nc_u32_e32 v1, v1, v3
.LBB302_201:
	s_or_b32 exec_lo, exec_lo, s5
	s_mov_b32 s5, 0
	s_branch .LBB302_204
.LBB302_202:
                                        ; implicit-def: $vgpr1
	s_branch .LBB302_224
.LBB302_203:
	s_mov_b32 s5, -1
                                        ; implicit-def: $vgpr1
.LBB302_204:
	s_delay_alu instid0(SALU_CYCLE_1)
	s_and_b32 vcc_lo, exec_lo, s5
	s_cbranch_vccz .LBB302_214
; %bb.205:
	s_sub_i32 s4, s18, s4
	s_mov_b32 s5, exec_lo
                                        ; implicit-def: $vgpr1_vgpr2
	v_cmpx_gt_u32_e64 s4, v0
	s_cbranch_execz .LBB302_207
; %bb.206:
	v_lshlrev_b32_e32 v1, 2, v0
	global_load_b32 v1, v1, s[2:3]
.LBB302_207:
	s_or_b32 exec_lo, exec_lo, s5
	v_or_b32_e32 v3, 0x100, v0
	s_delay_alu instid0(VALU_DEP_1)
	v_cmp_gt_u32_e32 vcc_lo, s4, v3
	s_and_saveexec_b32 s5, vcc_lo
	s_cbranch_execz .LBB302_209
; %bb.208:
	v_lshlrev_b32_e32 v2, 2, v0
	global_load_b32 v2, v2, s[2:3] offset:1024
.LBB302_209:
	s_or_b32 exec_lo, exec_lo, s5
	v_mbcnt_lo_u32_b32 v3, -1, 0
	s_waitcnt vmcnt(0)
	v_cndmask_b32_e32 v2, 0, v2, vcc_lo
	s_min_u32 s2, s4, 0x100
	s_mov_b32 s3, exec_lo
	v_cmp_ne_u32_e32 vcc_lo, 31, v3
	v_add_nc_u32_e32 v6, 1, v3
	v_add_co_ci_u32_e32 v4, vcc_lo, 0, v3, vcc_lo
	v_cmp_gt_u32_e32 vcc_lo, 30, v3
	v_cndmask_b32_e64 v5, 0, 1, vcc_lo
	s_delay_alu instid0(VALU_DEP_1) | instskip(SKIP_3) | instid1(VALU_DEP_4)
	v_lshlrev_b32_e32 v5, 1, v5
	v_add_nc_u32_e32 v1, v2, v1
	v_lshlrev_b32_e32 v2, 2, v4
	v_and_b32_e32 v4, 0xe0, v0
	v_add_lshl_u32 v5, v5, v3, 2
	ds_bpermute_b32 v2, v2, v1
	v_sub_nc_u32_e64 v4, s2, v4 clamp
	s_delay_alu instid0(VALU_DEP_1) | instskip(SKIP_4) | instid1(VALU_DEP_2)
	v_cmp_lt_u32_e32 vcc_lo, v6, v4
	v_add_nc_u32_e32 v6, 2, v3
	s_waitcnt lgkmcnt(0)
	v_cndmask_b32_e32 v2, 0, v2, vcc_lo
	v_cmp_gt_u32_e32 vcc_lo, 28, v3
	v_add_nc_u32_e32 v1, v2, v1
	ds_bpermute_b32 v2, v5, v1
	v_cndmask_b32_e64 v5, 0, 1, vcc_lo
	v_cmp_lt_u32_e32 vcc_lo, v6, v4
	v_add_nc_u32_e32 v6, 4, v3
	s_delay_alu instid0(VALU_DEP_3) | instskip(NEXT) | instid1(VALU_DEP_1)
	v_lshlrev_b32_e32 v5, 2, v5
	v_add_lshl_u32 v5, v5, v3, 2
	s_waitcnt lgkmcnt(0)
	v_cndmask_b32_e32 v2, 0, v2, vcc_lo
	v_cmp_gt_u32_e32 vcc_lo, 24, v3
	s_delay_alu instid0(VALU_DEP_2) | instskip(SKIP_4) | instid1(VALU_DEP_3)
	v_add_nc_u32_e32 v1, v1, v2
	ds_bpermute_b32 v2, v5, v1
	v_cndmask_b32_e64 v5, 0, 1, vcc_lo
	v_cmp_lt_u32_e32 vcc_lo, v6, v4
	v_add_nc_u32_e32 v6, 8, v3
	v_lshlrev_b32_e32 v5, 3, v5
	s_delay_alu instid0(VALU_DEP_1) | instskip(SKIP_3) | instid1(VALU_DEP_2)
	v_add_lshl_u32 v5, v5, v3, 2
	s_waitcnt lgkmcnt(0)
	v_cndmask_b32_e32 v2, 0, v2, vcc_lo
	v_cmp_gt_u32_e32 vcc_lo, 16, v3
	v_add_nc_u32_e32 v1, v1, v2
	ds_bpermute_b32 v2, v5, v1
	v_cndmask_b32_e64 v5, 0, 1, vcc_lo
	v_cmp_lt_u32_e32 vcc_lo, v6, v4
	s_delay_alu instid0(VALU_DEP_2) | instskip(NEXT) | instid1(VALU_DEP_1)
	v_lshlrev_b32_e32 v5, 4, v5
	v_add_lshl_u32 v5, v5, v3, 2
	s_waitcnt lgkmcnt(0)
	v_cndmask_b32_e32 v2, 0, v2, vcc_lo
	s_delay_alu instid0(VALU_DEP_1) | instskip(SKIP_2) | instid1(VALU_DEP_1)
	v_add_nc_u32_e32 v1, v1, v2
	ds_bpermute_b32 v2, v5, v1
	v_add_nc_u32_e32 v5, 16, v3
	v_cmp_lt_u32_e32 vcc_lo, v5, v4
	s_waitcnt lgkmcnt(0)
	v_cndmask_b32_e32 v2, 0, v2, vcc_lo
	s_delay_alu instid0(VALU_DEP_1)
	v_add_nc_u32_e32 v1, v1, v2
	v_cmpx_eq_u32_e32 0, v3
	s_cbranch_execz .LBB302_211
; %bb.210:
	v_lshrrev_b32_e32 v2, 3, v0
	s_delay_alu instid0(VALU_DEP_1)
	v_and_b32_e32 v2, 28, v2
	ds_store_b32 v2, v1 offset:192
.LBB302_211:
	s_or_b32 exec_lo, exec_lo, s3
	s_delay_alu instid0(SALU_CYCLE_1)
	s_mov_b32 s3, exec_lo
	s_waitcnt lgkmcnt(0)
	s_barrier
	buffer_gl0_inv
	v_cmpx_gt_u32_e32 8, v0
	s_cbranch_execz .LBB302_213
; %bb.212:
	v_and_b32_e32 v2, 7, v3
	s_add_i32 s2, s2, 31
	s_delay_alu instid0(SALU_CYCLE_1) | instskip(NEXT) | instid1(VALU_DEP_1)
	s_lshr_b32 s2, s2, 5
	v_cmp_ne_u32_e32 vcc_lo, 7, v2
	v_add_nc_u32_e32 v6, 1, v2
	v_add_co_ci_u32_e32 v4, vcc_lo, 0, v3, vcc_lo
	v_cmp_gt_u32_e32 vcc_lo, 6, v2
	s_delay_alu instid0(VALU_DEP_2) | instskip(SKIP_3) | instid1(VALU_DEP_3)
	v_lshlrev_b32_e32 v4, 2, v4
	v_cndmask_b32_e64 v5, 0, 1, vcc_lo
	v_cmp_gt_u32_e32 vcc_lo, s2, v6
	v_lshlrev_b32_e32 v1, 2, v3
	v_lshlrev_b32_e32 v5, 1, v5
	ds_load_b32 v1, v1 offset:192
	v_add_lshl_u32 v5, v5, v3, 2
	s_waitcnt lgkmcnt(0)
	ds_bpermute_b32 v4, v4, v1
	s_waitcnt lgkmcnt(0)
	v_cndmask_b32_e32 v4, 0, v4, vcc_lo
	v_cmp_gt_u32_e32 vcc_lo, 4, v2
	s_delay_alu instid0(VALU_DEP_2) | instskip(SKIP_4) | instid1(VALU_DEP_2)
	v_add_nc_u32_e32 v1, v4, v1
	v_cndmask_b32_e64 v6, 0, 1, vcc_lo
	ds_bpermute_b32 v4, v5, v1
	v_add_nc_u32_e32 v5, 2, v2
	v_add_nc_u32_e32 v2, 4, v2
	v_cmp_gt_u32_e32 vcc_lo, s2, v5
	v_lshlrev_b32_e32 v5, 2, v6
	s_delay_alu instid0(VALU_DEP_1) | instskip(SKIP_3) | instid1(VALU_DEP_2)
	v_add_lshl_u32 v3, v5, v3, 2
	s_waitcnt lgkmcnt(0)
	v_cndmask_b32_e32 v4, 0, v4, vcc_lo
	v_cmp_gt_u32_e32 vcc_lo, s2, v2
	v_add_nc_u32_e32 v1, v1, v4
	ds_bpermute_b32 v3, v3, v1
	s_waitcnt lgkmcnt(0)
	v_cndmask_b32_e32 v2, 0, v3, vcc_lo
	s_delay_alu instid0(VALU_DEP_1)
	v_add_nc_u32_e32 v1, v1, v2
.LBB302_213:
	s_or_b32 exec_lo, exec_lo, s3
.LBB302_214:
	v_cmp_eq_u32_e64 s2, 0, v0
	s_branch .LBB302_224
.LBB302_215:
	s_cmp_eq_u32 s24, 1
	s_cbranch_scc0 .LBB302_223
; %bb.216:
	s_mov_b32 s3, 0
	v_mbcnt_lo_u32_b32 v2, -1, 0
	s_lshr_b64 s[4:5], s[18:19], 8
	s_mov_b32 s21, s3
	s_lshl_b32 s2, s20, 8
	s_cmp_lg_u64 s[4:5], s[20:21]
	s_cbranch_scc0 .LBB302_227
; %bb.217:
	s_lshl_b64 s[4:5], s[2:3], 2
	v_lshlrev_b32_e32 v1, 2, v0
	s_add_u32 s4, s16, s4
	s_addc_u32 s5, s17, s5
	global_load_b32 v1, v1, s[4:5]
	s_mov_b32 s4, exec_lo
	s_waitcnt vmcnt(0)
	v_mov_b32_dpp v3, v1 quad_perm:[1,0,3,2] row_mask:0xf bank_mask:0xf
	s_delay_alu instid0(VALU_DEP_1) | instskip(NEXT) | instid1(VALU_DEP_1)
	v_add_nc_u32_e32 v1, v3, v1
	v_mov_b32_dpp v3, v1 quad_perm:[2,3,0,1] row_mask:0xf bank_mask:0xf
	s_delay_alu instid0(VALU_DEP_1) | instskip(NEXT) | instid1(VALU_DEP_1)
	v_add_nc_u32_e32 v1, v1, v3
	v_mov_b32_dpp v3, v1 row_ror:4 row_mask:0xf bank_mask:0xf
	s_delay_alu instid0(VALU_DEP_1) | instskip(NEXT) | instid1(VALU_DEP_1)
	v_add_nc_u32_e32 v1, v1, v3
	v_mov_b32_dpp v3, v1 row_ror:8 row_mask:0xf bank_mask:0xf
	s_delay_alu instid0(VALU_DEP_1)
	v_add_nc_u32_e32 v1, v1, v3
	ds_swizzle_b32 v3, v1 offset:swizzle(BROADCAST,32,15)
	s_waitcnt lgkmcnt(0)
	v_add_nc_u32_e32 v1, v1, v3
	v_mov_b32_e32 v3, 0
	ds_bpermute_b32 v1, v3, v1 offset:124
	v_cmpx_eq_u32_e32 0, v2
	s_cbranch_execz .LBB302_219
; %bb.218:
	v_lshrrev_b32_e32 v3, 3, v0
	s_delay_alu instid0(VALU_DEP_1)
	v_and_b32_e32 v3, 28, v3
	s_waitcnt lgkmcnt(0)
	ds_store_b32 v3, v1 offset:32
.LBB302_219:
	s_or_b32 exec_lo, exec_lo, s4
	s_delay_alu instid0(SALU_CYCLE_1)
	s_mov_b32 s4, exec_lo
	s_waitcnt lgkmcnt(0)
	s_barrier
	buffer_gl0_inv
	v_cmpx_gt_u32_e32 32, v0
	s_cbranch_execz .LBB302_221
; %bb.220:
	v_and_b32_e32 v1, 7, v2
	s_delay_alu instid0(VALU_DEP_1) | instskip(SKIP_4) | instid1(VALU_DEP_2)
	v_lshlrev_b32_e32 v3, 2, v1
	v_cmp_ne_u32_e32 vcc_lo, 7, v1
	ds_load_b32 v3, v3 offset:32
	v_add_co_ci_u32_e32 v4, vcc_lo, 0, v2, vcc_lo
	v_cmp_gt_u32_e32 vcc_lo, 6, v1
	v_lshlrev_b32_e32 v4, 2, v4
	v_cndmask_b32_e64 v5, 0, 1, vcc_lo
	v_cmp_gt_u32_e32 vcc_lo, 4, v1
	s_delay_alu instid0(VALU_DEP_2) | instskip(SKIP_1) | instid1(VALU_DEP_2)
	v_lshlrev_b32_e32 v5, 1, v5
	v_cndmask_b32_e64 v1, 0, 1, vcc_lo
	v_add_lshl_u32 v5, v5, v2, 2
	s_delay_alu instid0(VALU_DEP_2)
	v_lshlrev_b32_e32 v1, 2, v1
	s_waitcnt lgkmcnt(0)
	ds_bpermute_b32 v4, v4, v3
	v_add_lshl_u32 v1, v1, v2, 2
	s_waitcnt lgkmcnt(0)
	v_add_nc_u32_e32 v3, v4, v3
	ds_bpermute_b32 v4, v5, v3
	s_waitcnt lgkmcnt(0)
	v_add_nc_u32_e32 v3, v4, v3
	ds_bpermute_b32 v1, v1, v3
	s_waitcnt lgkmcnt(0)
	v_add_nc_u32_e32 v1, v1, v3
.LBB302_221:
	s_or_b32 exec_lo, exec_lo, s4
.LBB302_222:
	v_cmp_eq_u32_e64 s2, 0, v0
	s_delay_alu instid0(VALU_DEP_1)
	s_and_saveexec_b32 s3, s2
	s_cbranch_execnz .LBB302_225
	s_branch .LBB302_226
.LBB302_223:
                                        ; implicit-def: $vgpr1
                                        ; implicit-def: $sgpr20_sgpr21
.LBB302_224:
	s_delay_alu instid0(VALU_DEP_1)
	s_and_saveexec_b32 s3, s2
	s_cbranch_execz .LBB302_226
.LBB302_225:
	s_clause 0x1
	s_load_b64 s[2:3], s[0:1], 0x18
	s_load_b32 s4, s[0:1], 0x20
	s_lshl_b64 s[0:1], s[20:21], 2
	s_waitcnt lgkmcnt(0)
	s_add_u32 s0, s2, s0
	s_addc_u32 s1, s3, s1
	s_cmp_lg_u64 s[18:19], 0
	s_cselect_b32 vcc_lo, -1, 0
	v_dual_cndmask_b32 v0, 0, v1 :: v_dual_mov_b32 v1, 0
	s_delay_alu instid0(VALU_DEP_1)
	v_add_nc_u32_e32 v0, s4, v0
	global_store_b32 v1, v0, s[0:1]
.LBB302_226:
	s_nop 0
	s_sendmsg sendmsg(MSG_DEALLOC_VGPRS)
	s_endpgm
.LBB302_227:
                                        ; implicit-def: $vgpr1
	s_cbranch_execz .LBB302_222
; %bb.228:
	s_sub_i32 s4, s18, s2
	s_mov_b32 s5, exec_lo
                                        ; implicit-def: $vgpr1
	v_cmpx_gt_u32_e64 s4, v0
	s_cbranch_execz .LBB302_230
; %bb.229:
	s_lshl_b64 s[2:3], s[2:3], 2
	v_lshlrev_b32_e32 v1, 2, v0
	s_add_u32 s2, s16, s2
	s_addc_u32 s3, s17, s3
	global_load_b32 v1, v1, s[2:3]
.LBB302_230:
	s_or_b32 exec_lo, exec_lo, s5
	v_cmp_ne_u32_e32 vcc_lo, 31, v2
	s_min_u32 s2, s4, 0x100
	v_add_nc_u32_e32 v5, 1, v2
	s_mov_b32 s3, exec_lo
	v_add_co_ci_u32_e32 v3, vcc_lo, 0, v2, vcc_lo
	v_cmp_gt_u32_e32 vcc_lo, 30, v2
	s_delay_alu instid0(VALU_DEP_2)
	v_lshlrev_b32_e32 v3, 2, v3
	v_cndmask_b32_e64 v6, 0, 1, vcc_lo
	s_waitcnt vmcnt(0)
	ds_bpermute_b32 v3, v3, v1
	v_and_b32_e32 v4, 0xe0, v0
	v_lshlrev_b32_e32 v6, 1, v6
	s_delay_alu instid0(VALU_DEP_2) | instskip(NEXT) | instid1(VALU_DEP_1)
	v_sub_nc_u32_e64 v4, s2, v4 clamp
	v_cmp_lt_u32_e32 vcc_lo, v5, v4
	s_delay_alu instid0(VALU_DEP_3) | instskip(SKIP_3) | instid1(VALU_DEP_2)
	v_add_lshl_u32 v5, v6, v2, 2
	s_waitcnt lgkmcnt(0)
	v_dual_cndmask_b32 v3, 0, v3 :: v_dual_add_nc_u32 v6, 2, v2
	v_cmp_gt_u32_e32 vcc_lo, 28, v2
	v_add_nc_u32_e32 v1, v3, v1
	ds_bpermute_b32 v3, v5, v1
	v_cndmask_b32_e64 v5, 0, 1, vcc_lo
	v_cmp_lt_u32_e32 vcc_lo, v6, v4
	v_add_nc_u32_e32 v6, 4, v2
	s_delay_alu instid0(VALU_DEP_3) | instskip(NEXT) | instid1(VALU_DEP_1)
	v_lshlrev_b32_e32 v5, 2, v5
	v_add_lshl_u32 v5, v5, v2, 2
	s_waitcnt lgkmcnt(0)
	v_cndmask_b32_e32 v3, 0, v3, vcc_lo
	v_cmp_gt_u32_e32 vcc_lo, 24, v2
	s_delay_alu instid0(VALU_DEP_2) | instskip(SKIP_4) | instid1(VALU_DEP_3)
	v_add_nc_u32_e32 v1, v1, v3
	ds_bpermute_b32 v3, v5, v1
	v_cndmask_b32_e64 v5, 0, 1, vcc_lo
	v_cmp_lt_u32_e32 vcc_lo, v6, v4
	v_add_nc_u32_e32 v6, 8, v2
	v_lshlrev_b32_e32 v5, 3, v5
	s_delay_alu instid0(VALU_DEP_1) | instskip(SKIP_3) | instid1(VALU_DEP_2)
	v_add_lshl_u32 v5, v5, v2, 2
	s_waitcnt lgkmcnt(0)
	v_cndmask_b32_e32 v3, 0, v3, vcc_lo
	v_cmp_gt_u32_e32 vcc_lo, 16, v2
	v_add_nc_u32_e32 v1, v1, v3
	ds_bpermute_b32 v3, v5, v1
	v_cndmask_b32_e64 v5, 0, 1, vcc_lo
	v_cmp_lt_u32_e32 vcc_lo, v6, v4
	s_delay_alu instid0(VALU_DEP_2) | instskip(NEXT) | instid1(VALU_DEP_1)
	v_lshlrev_b32_e32 v5, 4, v5
	v_add_lshl_u32 v5, v5, v2, 2
	s_waitcnt lgkmcnt(0)
	v_cndmask_b32_e32 v3, 0, v3, vcc_lo
	s_delay_alu instid0(VALU_DEP_1) | instskip(SKIP_2) | instid1(VALU_DEP_1)
	v_add_nc_u32_e32 v1, v1, v3
	ds_bpermute_b32 v3, v5, v1
	v_add_nc_u32_e32 v5, 16, v2
	v_cmp_lt_u32_e32 vcc_lo, v5, v4
	s_waitcnt lgkmcnt(0)
	v_cndmask_b32_e32 v3, 0, v3, vcc_lo
	s_delay_alu instid0(VALU_DEP_1)
	v_add_nc_u32_e32 v1, v1, v3
	v_cmpx_eq_u32_e32 0, v2
	s_cbranch_execz .LBB302_232
; %bb.231:
	v_lshrrev_b32_e32 v3, 3, v0
	s_delay_alu instid0(VALU_DEP_1)
	v_and_b32_e32 v3, 28, v3
	ds_store_b32 v3, v1 offset:192
.LBB302_232:
	s_or_b32 exec_lo, exec_lo, s3
	s_delay_alu instid0(SALU_CYCLE_1)
	s_mov_b32 s3, exec_lo
	s_waitcnt lgkmcnt(0)
	s_barrier
	buffer_gl0_inv
	v_cmpx_gt_u32_e32 8, v0
	s_cbranch_execz .LBB302_234
; %bb.233:
	v_and_b32_e32 v3, 7, v2
	s_add_i32 s2, s2, 31
	s_delay_alu instid0(SALU_CYCLE_1) | instskip(NEXT) | instid1(VALU_DEP_1)
	s_lshr_b32 s2, s2, 5
	v_cmp_ne_u32_e32 vcc_lo, 7, v3
	v_add_nc_u32_e32 v6, 1, v3
	v_add_co_ci_u32_e32 v4, vcc_lo, 0, v2, vcc_lo
	v_cmp_gt_u32_e32 vcc_lo, 6, v3
	s_delay_alu instid0(VALU_DEP_2) | instskip(SKIP_3) | instid1(VALU_DEP_3)
	v_lshlrev_b32_e32 v4, 2, v4
	v_cndmask_b32_e64 v5, 0, 1, vcc_lo
	v_cmp_gt_u32_e32 vcc_lo, s2, v6
	v_lshlrev_b32_e32 v1, 2, v2
	v_lshlrev_b32_e32 v5, 1, v5
	ds_load_b32 v1, v1 offset:192
	v_add_lshl_u32 v5, v5, v2, 2
	s_waitcnt lgkmcnt(0)
	ds_bpermute_b32 v4, v4, v1
	s_waitcnt lgkmcnt(0)
	v_cndmask_b32_e32 v4, 0, v4, vcc_lo
	v_cmp_gt_u32_e32 vcc_lo, 4, v3
	s_delay_alu instid0(VALU_DEP_2) | instskip(SKIP_3) | instid1(VALU_DEP_1)
	v_add_nc_u32_e32 v1, v4, v1
	v_cndmask_b32_e64 v6, 0, 1, vcc_lo
	ds_bpermute_b32 v4, v5, v1
	v_add_nc_u32_e32 v5, 2, v3
	v_cmp_gt_u32_e32 vcc_lo, s2, v5
	v_lshlrev_b32_e32 v5, 2, v6
	s_delay_alu instid0(VALU_DEP_1) | instskip(SKIP_2) | instid1(VALU_DEP_1)
	v_add_lshl_u32 v2, v5, v2, 2
	s_waitcnt lgkmcnt(0)
	v_dual_cndmask_b32 v4, 0, v4 :: v_dual_add_nc_u32 v3, 4, v3
	v_add_nc_u32_e32 v1, v1, v4
	s_delay_alu instid0(VALU_DEP_2) | instskip(SKIP_3) | instid1(VALU_DEP_1)
	v_cmp_gt_u32_e32 vcc_lo, s2, v3
	ds_bpermute_b32 v2, v2, v1
	s_waitcnt lgkmcnt(0)
	v_cndmask_b32_e32 v2, 0, v2, vcc_lo
	v_add_nc_u32_e32 v1, v1, v2
.LBB302_234:
	s_or_b32 exec_lo, exec_lo, s3
	v_cmp_eq_u32_e64 s2, 0, v0
	s_delay_alu instid0(VALU_DEP_1)
	s_and_saveexec_b32 s3, s2
	s_cbranch_execnz .LBB302_225
	s_branch .LBB302_226
	.section	.rodata,"a",@progbits
	.p2align	6, 0x0
	.amdhsa_kernel _ZN7rocprim17ROCPRIM_400000_NS6detail17trampoline_kernelINS0_14default_configENS1_22reduce_config_selectorIiEEZNS1_11reduce_implILb1ES3_PiS7_iN6hipcub16HIPCUB_304000_NS6detail34convert_binary_result_type_wrapperINS9_3SumENS9_22TransformInputIteratorIbN2at6native12_GLOBAL__N_19NonZeroOpIsEEPKslEEiEEEE10hipError_tPvRmT1_T2_T3_mT4_P12ihipStream_tbEUlT_E1_NS1_11comp_targetILNS1_3genE9ELNS1_11target_archE1100ELNS1_3gpuE3ELNS1_3repE0EEENS1_30default_config_static_selectorELNS0_4arch9wavefront6targetE0EEEvSQ_
		.amdhsa_group_segment_fixed_size 224
		.amdhsa_private_segment_fixed_size 0
		.amdhsa_kernarg_size 40
		.amdhsa_user_sgpr_count 15
		.amdhsa_user_sgpr_dispatch_ptr 0
		.amdhsa_user_sgpr_queue_ptr 0
		.amdhsa_user_sgpr_kernarg_segment_ptr 1
		.amdhsa_user_sgpr_dispatch_id 0
		.amdhsa_user_sgpr_private_segment_size 0
		.amdhsa_wavefront_size32 1
		.amdhsa_uses_dynamic_stack 0
		.amdhsa_enable_private_segment 0
		.amdhsa_system_sgpr_workgroup_id_x 1
		.amdhsa_system_sgpr_workgroup_id_y 0
		.amdhsa_system_sgpr_workgroup_id_z 0
		.amdhsa_system_sgpr_workgroup_info 0
		.amdhsa_system_vgpr_workitem_id 0
		.amdhsa_next_free_vgpr 34
		.amdhsa_next_free_sgpr 27
		.amdhsa_reserve_vcc 1
		.amdhsa_float_round_mode_32 0
		.amdhsa_float_round_mode_16_64 0
		.amdhsa_float_denorm_mode_32 3
		.amdhsa_float_denorm_mode_16_64 3
		.amdhsa_dx10_clamp 1
		.amdhsa_ieee_mode 1
		.amdhsa_fp16_overflow 0
		.amdhsa_workgroup_processor_mode 1
		.amdhsa_memory_ordered 1
		.amdhsa_forward_progress 0
		.amdhsa_shared_vgpr_count 0
		.amdhsa_exception_fp_ieee_invalid_op 0
		.amdhsa_exception_fp_denorm_src 0
		.amdhsa_exception_fp_ieee_div_zero 0
		.amdhsa_exception_fp_ieee_overflow 0
		.amdhsa_exception_fp_ieee_underflow 0
		.amdhsa_exception_fp_ieee_inexact 0
		.amdhsa_exception_int_div_zero 0
	.end_amdhsa_kernel
	.section	.text._ZN7rocprim17ROCPRIM_400000_NS6detail17trampoline_kernelINS0_14default_configENS1_22reduce_config_selectorIiEEZNS1_11reduce_implILb1ES3_PiS7_iN6hipcub16HIPCUB_304000_NS6detail34convert_binary_result_type_wrapperINS9_3SumENS9_22TransformInputIteratorIbN2at6native12_GLOBAL__N_19NonZeroOpIsEEPKslEEiEEEE10hipError_tPvRmT1_T2_T3_mT4_P12ihipStream_tbEUlT_E1_NS1_11comp_targetILNS1_3genE9ELNS1_11target_archE1100ELNS1_3gpuE3ELNS1_3repE0EEENS1_30default_config_static_selectorELNS0_4arch9wavefront6targetE0EEEvSQ_,"axG",@progbits,_ZN7rocprim17ROCPRIM_400000_NS6detail17trampoline_kernelINS0_14default_configENS1_22reduce_config_selectorIiEEZNS1_11reduce_implILb1ES3_PiS7_iN6hipcub16HIPCUB_304000_NS6detail34convert_binary_result_type_wrapperINS9_3SumENS9_22TransformInputIteratorIbN2at6native12_GLOBAL__N_19NonZeroOpIsEEPKslEEiEEEE10hipError_tPvRmT1_T2_T3_mT4_P12ihipStream_tbEUlT_E1_NS1_11comp_targetILNS1_3genE9ELNS1_11target_archE1100ELNS1_3gpuE3ELNS1_3repE0EEENS1_30default_config_static_selectorELNS0_4arch9wavefront6targetE0EEEvSQ_,comdat
.Lfunc_end302:
	.size	_ZN7rocprim17ROCPRIM_400000_NS6detail17trampoline_kernelINS0_14default_configENS1_22reduce_config_selectorIiEEZNS1_11reduce_implILb1ES3_PiS7_iN6hipcub16HIPCUB_304000_NS6detail34convert_binary_result_type_wrapperINS9_3SumENS9_22TransformInputIteratorIbN2at6native12_GLOBAL__N_19NonZeroOpIsEEPKslEEiEEEE10hipError_tPvRmT1_T2_T3_mT4_P12ihipStream_tbEUlT_E1_NS1_11comp_targetILNS1_3genE9ELNS1_11target_archE1100ELNS1_3gpuE3ELNS1_3repE0EEENS1_30default_config_static_selectorELNS0_4arch9wavefront6targetE0EEEvSQ_, .Lfunc_end302-_ZN7rocprim17ROCPRIM_400000_NS6detail17trampoline_kernelINS0_14default_configENS1_22reduce_config_selectorIiEEZNS1_11reduce_implILb1ES3_PiS7_iN6hipcub16HIPCUB_304000_NS6detail34convert_binary_result_type_wrapperINS9_3SumENS9_22TransformInputIteratorIbN2at6native12_GLOBAL__N_19NonZeroOpIsEEPKslEEiEEEE10hipError_tPvRmT1_T2_T3_mT4_P12ihipStream_tbEUlT_E1_NS1_11comp_targetILNS1_3genE9ELNS1_11target_archE1100ELNS1_3gpuE3ELNS1_3repE0EEENS1_30default_config_static_selectorELNS0_4arch9wavefront6targetE0EEEvSQ_
                                        ; -- End function
	.section	.AMDGPU.csdata,"",@progbits
; Kernel info:
; codeLenInByte = 10768
; NumSgprs: 29
; NumVgprs: 34
; ScratchSize: 0
; MemoryBound: 0
; FloatMode: 240
; IeeeMode: 1
; LDSByteSize: 224 bytes/workgroup (compile time only)
; SGPRBlocks: 3
; VGPRBlocks: 4
; NumSGPRsForWavesPerEU: 29
; NumVGPRsForWavesPerEU: 34
; Occupancy: 16
; WaveLimiterHint : 1
; COMPUTE_PGM_RSRC2:SCRATCH_EN: 0
; COMPUTE_PGM_RSRC2:USER_SGPR: 15
; COMPUTE_PGM_RSRC2:TRAP_HANDLER: 0
; COMPUTE_PGM_RSRC2:TGID_X_EN: 1
; COMPUTE_PGM_RSRC2:TGID_Y_EN: 0
; COMPUTE_PGM_RSRC2:TGID_Z_EN: 0
; COMPUTE_PGM_RSRC2:TIDIG_COMP_CNT: 0
	.section	.text._ZN7rocprim17ROCPRIM_400000_NS6detail17trampoline_kernelINS0_14default_configENS1_22reduce_config_selectorIiEEZNS1_11reduce_implILb1ES3_PiS7_iN6hipcub16HIPCUB_304000_NS6detail34convert_binary_result_type_wrapperINS9_3SumENS9_22TransformInputIteratorIbN2at6native12_GLOBAL__N_19NonZeroOpIsEEPKslEEiEEEE10hipError_tPvRmT1_T2_T3_mT4_P12ihipStream_tbEUlT_E1_NS1_11comp_targetILNS1_3genE8ELNS1_11target_archE1030ELNS1_3gpuE2ELNS1_3repE0EEENS1_30default_config_static_selectorELNS0_4arch9wavefront6targetE0EEEvSQ_,"axG",@progbits,_ZN7rocprim17ROCPRIM_400000_NS6detail17trampoline_kernelINS0_14default_configENS1_22reduce_config_selectorIiEEZNS1_11reduce_implILb1ES3_PiS7_iN6hipcub16HIPCUB_304000_NS6detail34convert_binary_result_type_wrapperINS9_3SumENS9_22TransformInputIteratorIbN2at6native12_GLOBAL__N_19NonZeroOpIsEEPKslEEiEEEE10hipError_tPvRmT1_T2_T3_mT4_P12ihipStream_tbEUlT_E1_NS1_11comp_targetILNS1_3genE8ELNS1_11target_archE1030ELNS1_3gpuE2ELNS1_3repE0EEENS1_30default_config_static_selectorELNS0_4arch9wavefront6targetE0EEEvSQ_,comdat
	.globl	_ZN7rocprim17ROCPRIM_400000_NS6detail17trampoline_kernelINS0_14default_configENS1_22reduce_config_selectorIiEEZNS1_11reduce_implILb1ES3_PiS7_iN6hipcub16HIPCUB_304000_NS6detail34convert_binary_result_type_wrapperINS9_3SumENS9_22TransformInputIteratorIbN2at6native12_GLOBAL__N_19NonZeroOpIsEEPKslEEiEEEE10hipError_tPvRmT1_T2_T3_mT4_P12ihipStream_tbEUlT_E1_NS1_11comp_targetILNS1_3genE8ELNS1_11target_archE1030ELNS1_3gpuE2ELNS1_3repE0EEENS1_30default_config_static_selectorELNS0_4arch9wavefront6targetE0EEEvSQ_ ; -- Begin function _ZN7rocprim17ROCPRIM_400000_NS6detail17trampoline_kernelINS0_14default_configENS1_22reduce_config_selectorIiEEZNS1_11reduce_implILb1ES3_PiS7_iN6hipcub16HIPCUB_304000_NS6detail34convert_binary_result_type_wrapperINS9_3SumENS9_22TransformInputIteratorIbN2at6native12_GLOBAL__N_19NonZeroOpIsEEPKslEEiEEEE10hipError_tPvRmT1_T2_T3_mT4_P12ihipStream_tbEUlT_E1_NS1_11comp_targetILNS1_3genE8ELNS1_11target_archE1030ELNS1_3gpuE2ELNS1_3repE0EEENS1_30default_config_static_selectorELNS0_4arch9wavefront6targetE0EEEvSQ_
	.p2align	8
	.type	_ZN7rocprim17ROCPRIM_400000_NS6detail17trampoline_kernelINS0_14default_configENS1_22reduce_config_selectorIiEEZNS1_11reduce_implILb1ES3_PiS7_iN6hipcub16HIPCUB_304000_NS6detail34convert_binary_result_type_wrapperINS9_3SumENS9_22TransformInputIteratorIbN2at6native12_GLOBAL__N_19NonZeroOpIsEEPKslEEiEEEE10hipError_tPvRmT1_T2_T3_mT4_P12ihipStream_tbEUlT_E1_NS1_11comp_targetILNS1_3genE8ELNS1_11target_archE1030ELNS1_3gpuE2ELNS1_3repE0EEENS1_30default_config_static_selectorELNS0_4arch9wavefront6targetE0EEEvSQ_,@function
_ZN7rocprim17ROCPRIM_400000_NS6detail17trampoline_kernelINS0_14default_configENS1_22reduce_config_selectorIiEEZNS1_11reduce_implILb1ES3_PiS7_iN6hipcub16HIPCUB_304000_NS6detail34convert_binary_result_type_wrapperINS9_3SumENS9_22TransformInputIteratorIbN2at6native12_GLOBAL__N_19NonZeroOpIsEEPKslEEiEEEE10hipError_tPvRmT1_T2_T3_mT4_P12ihipStream_tbEUlT_E1_NS1_11comp_targetILNS1_3genE8ELNS1_11target_archE1030ELNS1_3gpuE2ELNS1_3repE0EEENS1_30default_config_static_selectorELNS0_4arch9wavefront6targetE0EEEvSQ_: ; @_ZN7rocprim17ROCPRIM_400000_NS6detail17trampoline_kernelINS0_14default_configENS1_22reduce_config_selectorIiEEZNS1_11reduce_implILb1ES3_PiS7_iN6hipcub16HIPCUB_304000_NS6detail34convert_binary_result_type_wrapperINS9_3SumENS9_22TransformInputIteratorIbN2at6native12_GLOBAL__N_19NonZeroOpIsEEPKslEEiEEEE10hipError_tPvRmT1_T2_T3_mT4_P12ihipStream_tbEUlT_E1_NS1_11comp_targetILNS1_3genE8ELNS1_11target_archE1030ELNS1_3gpuE2ELNS1_3repE0EEENS1_30default_config_static_selectorELNS0_4arch9wavefront6targetE0EEEvSQ_
; %bb.0:
	.section	.rodata,"a",@progbits
	.p2align	6, 0x0
	.amdhsa_kernel _ZN7rocprim17ROCPRIM_400000_NS6detail17trampoline_kernelINS0_14default_configENS1_22reduce_config_selectorIiEEZNS1_11reduce_implILb1ES3_PiS7_iN6hipcub16HIPCUB_304000_NS6detail34convert_binary_result_type_wrapperINS9_3SumENS9_22TransformInputIteratorIbN2at6native12_GLOBAL__N_19NonZeroOpIsEEPKslEEiEEEE10hipError_tPvRmT1_T2_T3_mT4_P12ihipStream_tbEUlT_E1_NS1_11comp_targetILNS1_3genE8ELNS1_11target_archE1030ELNS1_3gpuE2ELNS1_3repE0EEENS1_30default_config_static_selectorELNS0_4arch9wavefront6targetE0EEEvSQ_
		.amdhsa_group_segment_fixed_size 0
		.amdhsa_private_segment_fixed_size 0
		.amdhsa_kernarg_size 40
		.amdhsa_user_sgpr_count 15
		.amdhsa_user_sgpr_dispatch_ptr 0
		.amdhsa_user_sgpr_queue_ptr 0
		.amdhsa_user_sgpr_kernarg_segment_ptr 1
		.amdhsa_user_sgpr_dispatch_id 0
		.amdhsa_user_sgpr_private_segment_size 0
		.amdhsa_wavefront_size32 1
		.amdhsa_uses_dynamic_stack 0
		.amdhsa_enable_private_segment 0
		.amdhsa_system_sgpr_workgroup_id_x 1
		.amdhsa_system_sgpr_workgroup_id_y 0
		.amdhsa_system_sgpr_workgroup_id_z 0
		.amdhsa_system_sgpr_workgroup_info 0
		.amdhsa_system_vgpr_workitem_id 0
		.amdhsa_next_free_vgpr 1
		.amdhsa_next_free_sgpr 1
		.amdhsa_reserve_vcc 0
		.amdhsa_float_round_mode_32 0
		.amdhsa_float_round_mode_16_64 0
		.amdhsa_float_denorm_mode_32 3
		.amdhsa_float_denorm_mode_16_64 3
		.amdhsa_dx10_clamp 1
		.amdhsa_ieee_mode 1
		.amdhsa_fp16_overflow 0
		.amdhsa_workgroup_processor_mode 1
		.amdhsa_memory_ordered 1
		.amdhsa_forward_progress 0
		.amdhsa_shared_vgpr_count 0
		.amdhsa_exception_fp_ieee_invalid_op 0
		.amdhsa_exception_fp_denorm_src 0
		.amdhsa_exception_fp_ieee_div_zero 0
		.amdhsa_exception_fp_ieee_overflow 0
		.amdhsa_exception_fp_ieee_underflow 0
		.amdhsa_exception_fp_ieee_inexact 0
		.amdhsa_exception_int_div_zero 0
	.end_amdhsa_kernel
	.section	.text._ZN7rocprim17ROCPRIM_400000_NS6detail17trampoline_kernelINS0_14default_configENS1_22reduce_config_selectorIiEEZNS1_11reduce_implILb1ES3_PiS7_iN6hipcub16HIPCUB_304000_NS6detail34convert_binary_result_type_wrapperINS9_3SumENS9_22TransformInputIteratorIbN2at6native12_GLOBAL__N_19NonZeroOpIsEEPKslEEiEEEE10hipError_tPvRmT1_T2_T3_mT4_P12ihipStream_tbEUlT_E1_NS1_11comp_targetILNS1_3genE8ELNS1_11target_archE1030ELNS1_3gpuE2ELNS1_3repE0EEENS1_30default_config_static_selectorELNS0_4arch9wavefront6targetE0EEEvSQ_,"axG",@progbits,_ZN7rocprim17ROCPRIM_400000_NS6detail17trampoline_kernelINS0_14default_configENS1_22reduce_config_selectorIiEEZNS1_11reduce_implILb1ES3_PiS7_iN6hipcub16HIPCUB_304000_NS6detail34convert_binary_result_type_wrapperINS9_3SumENS9_22TransformInputIteratorIbN2at6native12_GLOBAL__N_19NonZeroOpIsEEPKslEEiEEEE10hipError_tPvRmT1_T2_T3_mT4_P12ihipStream_tbEUlT_E1_NS1_11comp_targetILNS1_3genE8ELNS1_11target_archE1030ELNS1_3gpuE2ELNS1_3repE0EEENS1_30default_config_static_selectorELNS0_4arch9wavefront6targetE0EEEvSQ_,comdat
.Lfunc_end303:
	.size	_ZN7rocprim17ROCPRIM_400000_NS6detail17trampoline_kernelINS0_14default_configENS1_22reduce_config_selectorIiEEZNS1_11reduce_implILb1ES3_PiS7_iN6hipcub16HIPCUB_304000_NS6detail34convert_binary_result_type_wrapperINS9_3SumENS9_22TransformInputIteratorIbN2at6native12_GLOBAL__N_19NonZeroOpIsEEPKslEEiEEEE10hipError_tPvRmT1_T2_T3_mT4_P12ihipStream_tbEUlT_E1_NS1_11comp_targetILNS1_3genE8ELNS1_11target_archE1030ELNS1_3gpuE2ELNS1_3repE0EEENS1_30default_config_static_selectorELNS0_4arch9wavefront6targetE0EEEvSQ_, .Lfunc_end303-_ZN7rocprim17ROCPRIM_400000_NS6detail17trampoline_kernelINS0_14default_configENS1_22reduce_config_selectorIiEEZNS1_11reduce_implILb1ES3_PiS7_iN6hipcub16HIPCUB_304000_NS6detail34convert_binary_result_type_wrapperINS9_3SumENS9_22TransformInputIteratorIbN2at6native12_GLOBAL__N_19NonZeroOpIsEEPKslEEiEEEE10hipError_tPvRmT1_T2_T3_mT4_P12ihipStream_tbEUlT_E1_NS1_11comp_targetILNS1_3genE8ELNS1_11target_archE1030ELNS1_3gpuE2ELNS1_3repE0EEENS1_30default_config_static_selectorELNS0_4arch9wavefront6targetE0EEEvSQ_
                                        ; -- End function
	.section	.AMDGPU.csdata,"",@progbits
; Kernel info:
; codeLenInByte = 0
; NumSgprs: 0
; NumVgprs: 0
; ScratchSize: 0
; MemoryBound: 0
; FloatMode: 240
; IeeeMode: 1
; LDSByteSize: 0 bytes/workgroup (compile time only)
; SGPRBlocks: 0
; VGPRBlocks: 0
; NumSGPRsForWavesPerEU: 1
; NumVGPRsForWavesPerEU: 1
; Occupancy: 16
; WaveLimiterHint : 0
; COMPUTE_PGM_RSRC2:SCRATCH_EN: 0
; COMPUTE_PGM_RSRC2:USER_SGPR: 15
; COMPUTE_PGM_RSRC2:TRAP_HANDLER: 0
; COMPUTE_PGM_RSRC2:TGID_X_EN: 1
; COMPUTE_PGM_RSRC2:TGID_Y_EN: 0
; COMPUTE_PGM_RSRC2:TGID_Z_EN: 0
; COMPUTE_PGM_RSRC2:TIDIG_COMP_CNT: 0
	.section	.text._ZN7rocprim17ROCPRIM_400000_NS6detail17trampoline_kernelINS0_14default_configENS1_22reduce_config_selectorIbEEZNS1_11reduce_implILb1ES3_N6hipcub16HIPCUB_304000_NS22TransformInputIteratorIbN2at6native12_GLOBAL__N_19NonZeroOpIsEEPKslEEPiiNS8_6detail34convert_binary_result_type_wrapperINS8_3SumESH_iEEEE10hipError_tPvRmT1_T2_T3_mT4_P12ihipStream_tbEUlT_E0_NS1_11comp_targetILNS1_3genE0ELNS1_11target_archE4294967295ELNS1_3gpuE0ELNS1_3repE0EEENS1_30default_config_static_selectorELNS0_4arch9wavefront6targetE0EEEvSQ_,"axG",@progbits,_ZN7rocprim17ROCPRIM_400000_NS6detail17trampoline_kernelINS0_14default_configENS1_22reduce_config_selectorIbEEZNS1_11reduce_implILb1ES3_N6hipcub16HIPCUB_304000_NS22TransformInputIteratorIbN2at6native12_GLOBAL__N_19NonZeroOpIsEEPKslEEPiiNS8_6detail34convert_binary_result_type_wrapperINS8_3SumESH_iEEEE10hipError_tPvRmT1_T2_T3_mT4_P12ihipStream_tbEUlT_E0_NS1_11comp_targetILNS1_3genE0ELNS1_11target_archE4294967295ELNS1_3gpuE0ELNS1_3repE0EEENS1_30default_config_static_selectorELNS0_4arch9wavefront6targetE0EEEvSQ_,comdat
	.globl	_ZN7rocprim17ROCPRIM_400000_NS6detail17trampoline_kernelINS0_14default_configENS1_22reduce_config_selectorIbEEZNS1_11reduce_implILb1ES3_N6hipcub16HIPCUB_304000_NS22TransformInputIteratorIbN2at6native12_GLOBAL__N_19NonZeroOpIsEEPKslEEPiiNS8_6detail34convert_binary_result_type_wrapperINS8_3SumESH_iEEEE10hipError_tPvRmT1_T2_T3_mT4_P12ihipStream_tbEUlT_E0_NS1_11comp_targetILNS1_3genE0ELNS1_11target_archE4294967295ELNS1_3gpuE0ELNS1_3repE0EEENS1_30default_config_static_selectorELNS0_4arch9wavefront6targetE0EEEvSQ_ ; -- Begin function _ZN7rocprim17ROCPRIM_400000_NS6detail17trampoline_kernelINS0_14default_configENS1_22reduce_config_selectorIbEEZNS1_11reduce_implILb1ES3_N6hipcub16HIPCUB_304000_NS22TransformInputIteratorIbN2at6native12_GLOBAL__N_19NonZeroOpIsEEPKslEEPiiNS8_6detail34convert_binary_result_type_wrapperINS8_3SumESH_iEEEE10hipError_tPvRmT1_T2_T3_mT4_P12ihipStream_tbEUlT_E0_NS1_11comp_targetILNS1_3genE0ELNS1_11target_archE4294967295ELNS1_3gpuE0ELNS1_3repE0EEENS1_30default_config_static_selectorELNS0_4arch9wavefront6targetE0EEEvSQ_
	.p2align	8
	.type	_ZN7rocprim17ROCPRIM_400000_NS6detail17trampoline_kernelINS0_14default_configENS1_22reduce_config_selectorIbEEZNS1_11reduce_implILb1ES3_N6hipcub16HIPCUB_304000_NS22TransformInputIteratorIbN2at6native12_GLOBAL__N_19NonZeroOpIsEEPKslEEPiiNS8_6detail34convert_binary_result_type_wrapperINS8_3SumESH_iEEEE10hipError_tPvRmT1_T2_T3_mT4_P12ihipStream_tbEUlT_E0_NS1_11comp_targetILNS1_3genE0ELNS1_11target_archE4294967295ELNS1_3gpuE0ELNS1_3repE0EEENS1_30default_config_static_selectorELNS0_4arch9wavefront6targetE0EEEvSQ_,@function
_ZN7rocprim17ROCPRIM_400000_NS6detail17trampoline_kernelINS0_14default_configENS1_22reduce_config_selectorIbEEZNS1_11reduce_implILb1ES3_N6hipcub16HIPCUB_304000_NS22TransformInputIteratorIbN2at6native12_GLOBAL__N_19NonZeroOpIsEEPKslEEPiiNS8_6detail34convert_binary_result_type_wrapperINS8_3SumESH_iEEEE10hipError_tPvRmT1_T2_T3_mT4_P12ihipStream_tbEUlT_E0_NS1_11comp_targetILNS1_3genE0ELNS1_11target_archE4294967295ELNS1_3gpuE0ELNS1_3repE0EEENS1_30default_config_static_selectorELNS0_4arch9wavefront6targetE0EEEvSQ_: ; @_ZN7rocprim17ROCPRIM_400000_NS6detail17trampoline_kernelINS0_14default_configENS1_22reduce_config_selectorIbEEZNS1_11reduce_implILb1ES3_N6hipcub16HIPCUB_304000_NS22TransformInputIteratorIbN2at6native12_GLOBAL__N_19NonZeroOpIsEEPKslEEPiiNS8_6detail34convert_binary_result_type_wrapperINS8_3SumESH_iEEEE10hipError_tPvRmT1_T2_T3_mT4_P12ihipStream_tbEUlT_E0_NS1_11comp_targetILNS1_3genE0ELNS1_11target_archE4294967295ELNS1_3gpuE0ELNS1_3repE0EEENS1_30default_config_static_selectorELNS0_4arch9wavefront6targetE0EEEvSQ_
; %bb.0:
	.section	.rodata,"a",@progbits
	.p2align	6, 0x0
	.amdhsa_kernel _ZN7rocprim17ROCPRIM_400000_NS6detail17trampoline_kernelINS0_14default_configENS1_22reduce_config_selectorIbEEZNS1_11reduce_implILb1ES3_N6hipcub16HIPCUB_304000_NS22TransformInputIteratorIbN2at6native12_GLOBAL__N_19NonZeroOpIsEEPKslEEPiiNS8_6detail34convert_binary_result_type_wrapperINS8_3SumESH_iEEEE10hipError_tPvRmT1_T2_T3_mT4_P12ihipStream_tbEUlT_E0_NS1_11comp_targetILNS1_3genE0ELNS1_11target_archE4294967295ELNS1_3gpuE0ELNS1_3repE0EEENS1_30default_config_static_selectorELNS0_4arch9wavefront6targetE0EEEvSQ_
		.amdhsa_group_segment_fixed_size 0
		.amdhsa_private_segment_fixed_size 0
		.amdhsa_kernarg_size 64
		.amdhsa_user_sgpr_count 15
		.amdhsa_user_sgpr_dispatch_ptr 0
		.amdhsa_user_sgpr_queue_ptr 0
		.amdhsa_user_sgpr_kernarg_segment_ptr 1
		.amdhsa_user_sgpr_dispatch_id 0
		.amdhsa_user_sgpr_private_segment_size 0
		.amdhsa_wavefront_size32 1
		.amdhsa_uses_dynamic_stack 0
		.amdhsa_enable_private_segment 0
		.amdhsa_system_sgpr_workgroup_id_x 1
		.amdhsa_system_sgpr_workgroup_id_y 0
		.amdhsa_system_sgpr_workgroup_id_z 0
		.amdhsa_system_sgpr_workgroup_info 0
		.amdhsa_system_vgpr_workitem_id 0
		.amdhsa_next_free_vgpr 1
		.amdhsa_next_free_sgpr 1
		.amdhsa_reserve_vcc 0
		.amdhsa_float_round_mode_32 0
		.amdhsa_float_round_mode_16_64 0
		.amdhsa_float_denorm_mode_32 3
		.amdhsa_float_denorm_mode_16_64 3
		.amdhsa_dx10_clamp 1
		.amdhsa_ieee_mode 1
		.amdhsa_fp16_overflow 0
		.amdhsa_workgroup_processor_mode 1
		.amdhsa_memory_ordered 1
		.amdhsa_forward_progress 0
		.amdhsa_shared_vgpr_count 0
		.amdhsa_exception_fp_ieee_invalid_op 0
		.amdhsa_exception_fp_denorm_src 0
		.amdhsa_exception_fp_ieee_div_zero 0
		.amdhsa_exception_fp_ieee_overflow 0
		.amdhsa_exception_fp_ieee_underflow 0
		.amdhsa_exception_fp_ieee_inexact 0
		.amdhsa_exception_int_div_zero 0
	.end_amdhsa_kernel
	.section	.text._ZN7rocprim17ROCPRIM_400000_NS6detail17trampoline_kernelINS0_14default_configENS1_22reduce_config_selectorIbEEZNS1_11reduce_implILb1ES3_N6hipcub16HIPCUB_304000_NS22TransformInputIteratorIbN2at6native12_GLOBAL__N_19NonZeroOpIsEEPKslEEPiiNS8_6detail34convert_binary_result_type_wrapperINS8_3SumESH_iEEEE10hipError_tPvRmT1_T2_T3_mT4_P12ihipStream_tbEUlT_E0_NS1_11comp_targetILNS1_3genE0ELNS1_11target_archE4294967295ELNS1_3gpuE0ELNS1_3repE0EEENS1_30default_config_static_selectorELNS0_4arch9wavefront6targetE0EEEvSQ_,"axG",@progbits,_ZN7rocprim17ROCPRIM_400000_NS6detail17trampoline_kernelINS0_14default_configENS1_22reduce_config_selectorIbEEZNS1_11reduce_implILb1ES3_N6hipcub16HIPCUB_304000_NS22TransformInputIteratorIbN2at6native12_GLOBAL__N_19NonZeroOpIsEEPKslEEPiiNS8_6detail34convert_binary_result_type_wrapperINS8_3SumESH_iEEEE10hipError_tPvRmT1_T2_T3_mT4_P12ihipStream_tbEUlT_E0_NS1_11comp_targetILNS1_3genE0ELNS1_11target_archE4294967295ELNS1_3gpuE0ELNS1_3repE0EEENS1_30default_config_static_selectorELNS0_4arch9wavefront6targetE0EEEvSQ_,comdat
.Lfunc_end304:
	.size	_ZN7rocprim17ROCPRIM_400000_NS6detail17trampoline_kernelINS0_14default_configENS1_22reduce_config_selectorIbEEZNS1_11reduce_implILb1ES3_N6hipcub16HIPCUB_304000_NS22TransformInputIteratorIbN2at6native12_GLOBAL__N_19NonZeroOpIsEEPKslEEPiiNS8_6detail34convert_binary_result_type_wrapperINS8_3SumESH_iEEEE10hipError_tPvRmT1_T2_T3_mT4_P12ihipStream_tbEUlT_E0_NS1_11comp_targetILNS1_3genE0ELNS1_11target_archE4294967295ELNS1_3gpuE0ELNS1_3repE0EEENS1_30default_config_static_selectorELNS0_4arch9wavefront6targetE0EEEvSQ_, .Lfunc_end304-_ZN7rocprim17ROCPRIM_400000_NS6detail17trampoline_kernelINS0_14default_configENS1_22reduce_config_selectorIbEEZNS1_11reduce_implILb1ES3_N6hipcub16HIPCUB_304000_NS22TransformInputIteratorIbN2at6native12_GLOBAL__N_19NonZeroOpIsEEPKslEEPiiNS8_6detail34convert_binary_result_type_wrapperINS8_3SumESH_iEEEE10hipError_tPvRmT1_T2_T3_mT4_P12ihipStream_tbEUlT_E0_NS1_11comp_targetILNS1_3genE0ELNS1_11target_archE4294967295ELNS1_3gpuE0ELNS1_3repE0EEENS1_30default_config_static_selectorELNS0_4arch9wavefront6targetE0EEEvSQ_
                                        ; -- End function
	.section	.AMDGPU.csdata,"",@progbits
; Kernel info:
; codeLenInByte = 0
; NumSgprs: 0
; NumVgprs: 0
; ScratchSize: 0
; MemoryBound: 0
; FloatMode: 240
; IeeeMode: 1
; LDSByteSize: 0 bytes/workgroup (compile time only)
; SGPRBlocks: 0
; VGPRBlocks: 0
; NumSGPRsForWavesPerEU: 1
; NumVGPRsForWavesPerEU: 1
; Occupancy: 16
; WaveLimiterHint : 0
; COMPUTE_PGM_RSRC2:SCRATCH_EN: 0
; COMPUTE_PGM_RSRC2:USER_SGPR: 15
; COMPUTE_PGM_RSRC2:TRAP_HANDLER: 0
; COMPUTE_PGM_RSRC2:TGID_X_EN: 1
; COMPUTE_PGM_RSRC2:TGID_Y_EN: 0
; COMPUTE_PGM_RSRC2:TGID_Z_EN: 0
; COMPUTE_PGM_RSRC2:TIDIG_COMP_CNT: 0
	.section	.text._ZN7rocprim17ROCPRIM_400000_NS6detail17trampoline_kernelINS0_14default_configENS1_22reduce_config_selectorIbEEZNS1_11reduce_implILb1ES3_N6hipcub16HIPCUB_304000_NS22TransformInputIteratorIbN2at6native12_GLOBAL__N_19NonZeroOpIsEEPKslEEPiiNS8_6detail34convert_binary_result_type_wrapperINS8_3SumESH_iEEEE10hipError_tPvRmT1_T2_T3_mT4_P12ihipStream_tbEUlT_E0_NS1_11comp_targetILNS1_3genE5ELNS1_11target_archE942ELNS1_3gpuE9ELNS1_3repE0EEENS1_30default_config_static_selectorELNS0_4arch9wavefront6targetE0EEEvSQ_,"axG",@progbits,_ZN7rocprim17ROCPRIM_400000_NS6detail17trampoline_kernelINS0_14default_configENS1_22reduce_config_selectorIbEEZNS1_11reduce_implILb1ES3_N6hipcub16HIPCUB_304000_NS22TransformInputIteratorIbN2at6native12_GLOBAL__N_19NonZeroOpIsEEPKslEEPiiNS8_6detail34convert_binary_result_type_wrapperINS8_3SumESH_iEEEE10hipError_tPvRmT1_T2_T3_mT4_P12ihipStream_tbEUlT_E0_NS1_11comp_targetILNS1_3genE5ELNS1_11target_archE942ELNS1_3gpuE9ELNS1_3repE0EEENS1_30default_config_static_selectorELNS0_4arch9wavefront6targetE0EEEvSQ_,comdat
	.globl	_ZN7rocprim17ROCPRIM_400000_NS6detail17trampoline_kernelINS0_14default_configENS1_22reduce_config_selectorIbEEZNS1_11reduce_implILb1ES3_N6hipcub16HIPCUB_304000_NS22TransformInputIteratorIbN2at6native12_GLOBAL__N_19NonZeroOpIsEEPKslEEPiiNS8_6detail34convert_binary_result_type_wrapperINS8_3SumESH_iEEEE10hipError_tPvRmT1_T2_T3_mT4_P12ihipStream_tbEUlT_E0_NS1_11comp_targetILNS1_3genE5ELNS1_11target_archE942ELNS1_3gpuE9ELNS1_3repE0EEENS1_30default_config_static_selectorELNS0_4arch9wavefront6targetE0EEEvSQ_ ; -- Begin function _ZN7rocprim17ROCPRIM_400000_NS6detail17trampoline_kernelINS0_14default_configENS1_22reduce_config_selectorIbEEZNS1_11reduce_implILb1ES3_N6hipcub16HIPCUB_304000_NS22TransformInputIteratorIbN2at6native12_GLOBAL__N_19NonZeroOpIsEEPKslEEPiiNS8_6detail34convert_binary_result_type_wrapperINS8_3SumESH_iEEEE10hipError_tPvRmT1_T2_T3_mT4_P12ihipStream_tbEUlT_E0_NS1_11comp_targetILNS1_3genE5ELNS1_11target_archE942ELNS1_3gpuE9ELNS1_3repE0EEENS1_30default_config_static_selectorELNS0_4arch9wavefront6targetE0EEEvSQ_
	.p2align	8
	.type	_ZN7rocprim17ROCPRIM_400000_NS6detail17trampoline_kernelINS0_14default_configENS1_22reduce_config_selectorIbEEZNS1_11reduce_implILb1ES3_N6hipcub16HIPCUB_304000_NS22TransformInputIteratorIbN2at6native12_GLOBAL__N_19NonZeroOpIsEEPKslEEPiiNS8_6detail34convert_binary_result_type_wrapperINS8_3SumESH_iEEEE10hipError_tPvRmT1_T2_T3_mT4_P12ihipStream_tbEUlT_E0_NS1_11comp_targetILNS1_3genE5ELNS1_11target_archE942ELNS1_3gpuE9ELNS1_3repE0EEENS1_30default_config_static_selectorELNS0_4arch9wavefront6targetE0EEEvSQ_,@function
_ZN7rocprim17ROCPRIM_400000_NS6detail17trampoline_kernelINS0_14default_configENS1_22reduce_config_selectorIbEEZNS1_11reduce_implILb1ES3_N6hipcub16HIPCUB_304000_NS22TransformInputIteratorIbN2at6native12_GLOBAL__N_19NonZeroOpIsEEPKslEEPiiNS8_6detail34convert_binary_result_type_wrapperINS8_3SumESH_iEEEE10hipError_tPvRmT1_T2_T3_mT4_P12ihipStream_tbEUlT_E0_NS1_11comp_targetILNS1_3genE5ELNS1_11target_archE942ELNS1_3gpuE9ELNS1_3repE0EEENS1_30default_config_static_selectorELNS0_4arch9wavefront6targetE0EEEvSQ_: ; @_ZN7rocprim17ROCPRIM_400000_NS6detail17trampoline_kernelINS0_14default_configENS1_22reduce_config_selectorIbEEZNS1_11reduce_implILb1ES3_N6hipcub16HIPCUB_304000_NS22TransformInputIteratorIbN2at6native12_GLOBAL__N_19NonZeroOpIsEEPKslEEPiiNS8_6detail34convert_binary_result_type_wrapperINS8_3SumESH_iEEEE10hipError_tPvRmT1_T2_T3_mT4_P12ihipStream_tbEUlT_E0_NS1_11comp_targetILNS1_3genE5ELNS1_11target_archE942ELNS1_3gpuE9ELNS1_3repE0EEENS1_30default_config_static_selectorELNS0_4arch9wavefront6targetE0EEEvSQ_
; %bb.0:
	.section	.rodata,"a",@progbits
	.p2align	6, 0x0
	.amdhsa_kernel _ZN7rocprim17ROCPRIM_400000_NS6detail17trampoline_kernelINS0_14default_configENS1_22reduce_config_selectorIbEEZNS1_11reduce_implILb1ES3_N6hipcub16HIPCUB_304000_NS22TransformInputIteratorIbN2at6native12_GLOBAL__N_19NonZeroOpIsEEPKslEEPiiNS8_6detail34convert_binary_result_type_wrapperINS8_3SumESH_iEEEE10hipError_tPvRmT1_T2_T3_mT4_P12ihipStream_tbEUlT_E0_NS1_11comp_targetILNS1_3genE5ELNS1_11target_archE942ELNS1_3gpuE9ELNS1_3repE0EEENS1_30default_config_static_selectorELNS0_4arch9wavefront6targetE0EEEvSQ_
		.amdhsa_group_segment_fixed_size 0
		.amdhsa_private_segment_fixed_size 0
		.amdhsa_kernarg_size 64
		.amdhsa_user_sgpr_count 15
		.amdhsa_user_sgpr_dispatch_ptr 0
		.amdhsa_user_sgpr_queue_ptr 0
		.amdhsa_user_sgpr_kernarg_segment_ptr 1
		.amdhsa_user_sgpr_dispatch_id 0
		.amdhsa_user_sgpr_private_segment_size 0
		.amdhsa_wavefront_size32 1
		.amdhsa_uses_dynamic_stack 0
		.amdhsa_enable_private_segment 0
		.amdhsa_system_sgpr_workgroup_id_x 1
		.amdhsa_system_sgpr_workgroup_id_y 0
		.amdhsa_system_sgpr_workgroup_id_z 0
		.amdhsa_system_sgpr_workgroup_info 0
		.amdhsa_system_vgpr_workitem_id 0
		.amdhsa_next_free_vgpr 1
		.amdhsa_next_free_sgpr 1
		.amdhsa_reserve_vcc 0
		.amdhsa_float_round_mode_32 0
		.amdhsa_float_round_mode_16_64 0
		.amdhsa_float_denorm_mode_32 3
		.amdhsa_float_denorm_mode_16_64 3
		.amdhsa_dx10_clamp 1
		.amdhsa_ieee_mode 1
		.amdhsa_fp16_overflow 0
		.amdhsa_workgroup_processor_mode 1
		.amdhsa_memory_ordered 1
		.amdhsa_forward_progress 0
		.amdhsa_shared_vgpr_count 0
		.amdhsa_exception_fp_ieee_invalid_op 0
		.amdhsa_exception_fp_denorm_src 0
		.amdhsa_exception_fp_ieee_div_zero 0
		.amdhsa_exception_fp_ieee_overflow 0
		.amdhsa_exception_fp_ieee_underflow 0
		.amdhsa_exception_fp_ieee_inexact 0
		.amdhsa_exception_int_div_zero 0
	.end_amdhsa_kernel
	.section	.text._ZN7rocprim17ROCPRIM_400000_NS6detail17trampoline_kernelINS0_14default_configENS1_22reduce_config_selectorIbEEZNS1_11reduce_implILb1ES3_N6hipcub16HIPCUB_304000_NS22TransformInputIteratorIbN2at6native12_GLOBAL__N_19NonZeroOpIsEEPKslEEPiiNS8_6detail34convert_binary_result_type_wrapperINS8_3SumESH_iEEEE10hipError_tPvRmT1_T2_T3_mT4_P12ihipStream_tbEUlT_E0_NS1_11comp_targetILNS1_3genE5ELNS1_11target_archE942ELNS1_3gpuE9ELNS1_3repE0EEENS1_30default_config_static_selectorELNS0_4arch9wavefront6targetE0EEEvSQ_,"axG",@progbits,_ZN7rocprim17ROCPRIM_400000_NS6detail17trampoline_kernelINS0_14default_configENS1_22reduce_config_selectorIbEEZNS1_11reduce_implILb1ES3_N6hipcub16HIPCUB_304000_NS22TransformInputIteratorIbN2at6native12_GLOBAL__N_19NonZeroOpIsEEPKslEEPiiNS8_6detail34convert_binary_result_type_wrapperINS8_3SumESH_iEEEE10hipError_tPvRmT1_T2_T3_mT4_P12ihipStream_tbEUlT_E0_NS1_11comp_targetILNS1_3genE5ELNS1_11target_archE942ELNS1_3gpuE9ELNS1_3repE0EEENS1_30default_config_static_selectorELNS0_4arch9wavefront6targetE0EEEvSQ_,comdat
.Lfunc_end305:
	.size	_ZN7rocprim17ROCPRIM_400000_NS6detail17trampoline_kernelINS0_14default_configENS1_22reduce_config_selectorIbEEZNS1_11reduce_implILb1ES3_N6hipcub16HIPCUB_304000_NS22TransformInputIteratorIbN2at6native12_GLOBAL__N_19NonZeroOpIsEEPKslEEPiiNS8_6detail34convert_binary_result_type_wrapperINS8_3SumESH_iEEEE10hipError_tPvRmT1_T2_T3_mT4_P12ihipStream_tbEUlT_E0_NS1_11comp_targetILNS1_3genE5ELNS1_11target_archE942ELNS1_3gpuE9ELNS1_3repE0EEENS1_30default_config_static_selectorELNS0_4arch9wavefront6targetE0EEEvSQ_, .Lfunc_end305-_ZN7rocprim17ROCPRIM_400000_NS6detail17trampoline_kernelINS0_14default_configENS1_22reduce_config_selectorIbEEZNS1_11reduce_implILb1ES3_N6hipcub16HIPCUB_304000_NS22TransformInputIteratorIbN2at6native12_GLOBAL__N_19NonZeroOpIsEEPKslEEPiiNS8_6detail34convert_binary_result_type_wrapperINS8_3SumESH_iEEEE10hipError_tPvRmT1_T2_T3_mT4_P12ihipStream_tbEUlT_E0_NS1_11comp_targetILNS1_3genE5ELNS1_11target_archE942ELNS1_3gpuE9ELNS1_3repE0EEENS1_30default_config_static_selectorELNS0_4arch9wavefront6targetE0EEEvSQ_
                                        ; -- End function
	.section	.AMDGPU.csdata,"",@progbits
; Kernel info:
; codeLenInByte = 0
; NumSgprs: 0
; NumVgprs: 0
; ScratchSize: 0
; MemoryBound: 0
; FloatMode: 240
; IeeeMode: 1
; LDSByteSize: 0 bytes/workgroup (compile time only)
; SGPRBlocks: 0
; VGPRBlocks: 0
; NumSGPRsForWavesPerEU: 1
; NumVGPRsForWavesPerEU: 1
; Occupancy: 16
; WaveLimiterHint : 0
; COMPUTE_PGM_RSRC2:SCRATCH_EN: 0
; COMPUTE_PGM_RSRC2:USER_SGPR: 15
; COMPUTE_PGM_RSRC2:TRAP_HANDLER: 0
; COMPUTE_PGM_RSRC2:TGID_X_EN: 1
; COMPUTE_PGM_RSRC2:TGID_Y_EN: 0
; COMPUTE_PGM_RSRC2:TGID_Z_EN: 0
; COMPUTE_PGM_RSRC2:TIDIG_COMP_CNT: 0
	.section	.text._ZN7rocprim17ROCPRIM_400000_NS6detail17trampoline_kernelINS0_14default_configENS1_22reduce_config_selectorIbEEZNS1_11reduce_implILb1ES3_N6hipcub16HIPCUB_304000_NS22TransformInputIteratorIbN2at6native12_GLOBAL__N_19NonZeroOpIsEEPKslEEPiiNS8_6detail34convert_binary_result_type_wrapperINS8_3SumESH_iEEEE10hipError_tPvRmT1_T2_T3_mT4_P12ihipStream_tbEUlT_E0_NS1_11comp_targetILNS1_3genE4ELNS1_11target_archE910ELNS1_3gpuE8ELNS1_3repE0EEENS1_30default_config_static_selectorELNS0_4arch9wavefront6targetE0EEEvSQ_,"axG",@progbits,_ZN7rocprim17ROCPRIM_400000_NS6detail17trampoline_kernelINS0_14default_configENS1_22reduce_config_selectorIbEEZNS1_11reduce_implILb1ES3_N6hipcub16HIPCUB_304000_NS22TransformInputIteratorIbN2at6native12_GLOBAL__N_19NonZeroOpIsEEPKslEEPiiNS8_6detail34convert_binary_result_type_wrapperINS8_3SumESH_iEEEE10hipError_tPvRmT1_T2_T3_mT4_P12ihipStream_tbEUlT_E0_NS1_11comp_targetILNS1_3genE4ELNS1_11target_archE910ELNS1_3gpuE8ELNS1_3repE0EEENS1_30default_config_static_selectorELNS0_4arch9wavefront6targetE0EEEvSQ_,comdat
	.globl	_ZN7rocprim17ROCPRIM_400000_NS6detail17trampoline_kernelINS0_14default_configENS1_22reduce_config_selectorIbEEZNS1_11reduce_implILb1ES3_N6hipcub16HIPCUB_304000_NS22TransformInputIteratorIbN2at6native12_GLOBAL__N_19NonZeroOpIsEEPKslEEPiiNS8_6detail34convert_binary_result_type_wrapperINS8_3SumESH_iEEEE10hipError_tPvRmT1_T2_T3_mT4_P12ihipStream_tbEUlT_E0_NS1_11comp_targetILNS1_3genE4ELNS1_11target_archE910ELNS1_3gpuE8ELNS1_3repE0EEENS1_30default_config_static_selectorELNS0_4arch9wavefront6targetE0EEEvSQ_ ; -- Begin function _ZN7rocprim17ROCPRIM_400000_NS6detail17trampoline_kernelINS0_14default_configENS1_22reduce_config_selectorIbEEZNS1_11reduce_implILb1ES3_N6hipcub16HIPCUB_304000_NS22TransformInputIteratorIbN2at6native12_GLOBAL__N_19NonZeroOpIsEEPKslEEPiiNS8_6detail34convert_binary_result_type_wrapperINS8_3SumESH_iEEEE10hipError_tPvRmT1_T2_T3_mT4_P12ihipStream_tbEUlT_E0_NS1_11comp_targetILNS1_3genE4ELNS1_11target_archE910ELNS1_3gpuE8ELNS1_3repE0EEENS1_30default_config_static_selectorELNS0_4arch9wavefront6targetE0EEEvSQ_
	.p2align	8
	.type	_ZN7rocprim17ROCPRIM_400000_NS6detail17trampoline_kernelINS0_14default_configENS1_22reduce_config_selectorIbEEZNS1_11reduce_implILb1ES3_N6hipcub16HIPCUB_304000_NS22TransformInputIteratorIbN2at6native12_GLOBAL__N_19NonZeroOpIsEEPKslEEPiiNS8_6detail34convert_binary_result_type_wrapperINS8_3SumESH_iEEEE10hipError_tPvRmT1_T2_T3_mT4_P12ihipStream_tbEUlT_E0_NS1_11comp_targetILNS1_3genE4ELNS1_11target_archE910ELNS1_3gpuE8ELNS1_3repE0EEENS1_30default_config_static_selectorELNS0_4arch9wavefront6targetE0EEEvSQ_,@function
_ZN7rocprim17ROCPRIM_400000_NS6detail17trampoline_kernelINS0_14default_configENS1_22reduce_config_selectorIbEEZNS1_11reduce_implILb1ES3_N6hipcub16HIPCUB_304000_NS22TransformInputIteratorIbN2at6native12_GLOBAL__N_19NonZeroOpIsEEPKslEEPiiNS8_6detail34convert_binary_result_type_wrapperINS8_3SumESH_iEEEE10hipError_tPvRmT1_T2_T3_mT4_P12ihipStream_tbEUlT_E0_NS1_11comp_targetILNS1_3genE4ELNS1_11target_archE910ELNS1_3gpuE8ELNS1_3repE0EEENS1_30default_config_static_selectorELNS0_4arch9wavefront6targetE0EEEvSQ_: ; @_ZN7rocprim17ROCPRIM_400000_NS6detail17trampoline_kernelINS0_14default_configENS1_22reduce_config_selectorIbEEZNS1_11reduce_implILb1ES3_N6hipcub16HIPCUB_304000_NS22TransformInputIteratorIbN2at6native12_GLOBAL__N_19NonZeroOpIsEEPKslEEPiiNS8_6detail34convert_binary_result_type_wrapperINS8_3SumESH_iEEEE10hipError_tPvRmT1_T2_T3_mT4_P12ihipStream_tbEUlT_E0_NS1_11comp_targetILNS1_3genE4ELNS1_11target_archE910ELNS1_3gpuE8ELNS1_3repE0EEENS1_30default_config_static_selectorELNS0_4arch9wavefront6targetE0EEEvSQ_
; %bb.0:
	.section	.rodata,"a",@progbits
	.p2align	6, 0x0
	.amdhsa_kernel _ZN7rocprim17ROCPRIM_400000_NS6detail17trampoline_kernelINS0_14default_configENS1_22reduce_config_selectorIbEEZNS1_11reduce_implILb1ES3_N6hipcub16HIPCUB_304000_NS22TransformInputIteratorIbN2at6native12_GLOBAL__N_19NonZeroOpIsEEPKslEEPiiNS8_6detail34convert_binary_result_type_wrapperINS8_3SumESH_iEEEE10hipError_tPvRmT1_T2_T3_mT4_P12ihipStream_tbEUlT_E0_NS1_11comp_targetILNS1_3genE4ELNS1_11target_archE910ELNS1_3gpuE8ELNS1_3repE0EEENS1_30default_config_static_selectorELNS0_4arch9wavefront6targetE0EEEvSQ_
		.amdhsa_group_segment_fixed_size 0
		.amdhsa_private_segment_fixed_size 0
		.amdhsa_kernarg_size 64
		.amdhsa_user_sgpr_count 15
		.amdhsa_user_sgpr_dispatch_ptr 0
		.amdhsa_user_sgpr_queue_ptr 0
		.amdhsa_user_sgpr_kernarg_segment_ptr 1
		.amdhsa_user_sgpr_dispatch_id 0
		.amdhsa_user_sgpr_private_segment_size 0
		.amdhsa_wavefront_size32 1
		.amdhsa_uses_dynamic_stack 0
		.amdhsa_enable_private_segment 0
		.amdhsa_system_sgpr_workgroup_id_x 1
		.amdhsa_system_sgpr_workgroup_id_y 0
		.amdhsa_system_sgpr_workgroup_id_z 0
		.amdhsa_system_sgpr_workgroup_info 0
		.amdhsa_system_vgpr_workitem_id 0
		.amdhsa_next_free_vgpr 1
		.amdhsa_next_free_sgpr 1
		.amdhsa_reserve_vcc 0
		.amdhsa_float_round_mode_32 0
		.amdhsa_float_round_mode_16_64 0
		.amdhsa_float_denorm_mode_32 3
		.amdhsa_float_denorm_mode_16_64 3
		.amdhsa_dx10_clamp 1
		.amdhsa_ieee_mode 1
		.amdhsa_fp16_overflow 0
		.amdhsa_workgroup_processor_mode 1
		.amdhsa_memory_ordered 1
		.amdhsa_forward_progress 0
		.amdhsa_shared_vgpr_count 0
		.amdhsa_exception_fp_ieee_invalid_op 0
		.amdhsa_exception_fp_denorm_src 0
		.amdhsa_exception_fp_ieee_div_zero 0
		.amdhsa_exception_fp_ieee_overflow 0
		.amdhsa_exception_fp_ieee_underflow 0
		.amdhsa_exception_fp_ieee_inexact 0
		.amdhsa_exception_int_div_zero 0
	.end_amdhsa_kernel
	.section	.text._ZN7rocprim17ROCPRIM_400000_NS6detail17trampoline_kernelINS0_14default_configENS1_22reduce_config_selectorIbEEZNS1_11reduce_implILb1ES3_N6hipcub16HIPCUB_304000_NS22TransformInputIteratorIbN2at6native12_GLOBAL__N_19NonZeroOpIsEEPKslEEPiiNS8_6detail34convert_binary_result_type_wrapperINS8_3SumESH_iEEEE10hipError_tPvRmT1_T2_T3_mT4_P12ihipStream_tbEUlT_E0_NS1_11comp_targetILNS1_3genE4ELNS1_11target_archE910ELNS1_3gpuE8ELNS1_3repE0EEENS1_30default_config_static_selectorELNS0_4arch9wavefront6targetE0EEEvSQ_,"axG",@progbits,_ZN7rocprim17ROCPRIM_400000_NS6detail17trampoline_kernelINS0_14default_configENS1_22reduce_config_selectorIbEEZNS1_11reduce_implILb1ES3_N6hipcub16HIPCUB_304000_NS22TransformInputIteratorIbN2at6native12_GLOBAL__N_19NonZeroOpIsEEPKslEEPiiNS8_6detail34convert_binary_result_type_wrapperINS8_3SumESH_iEEEE10hipError_tPvRmT1_T2_T3_mT4_P12ihipStream_tbEUlT_E0_NS1_11comp_targetILNS1_3genE4ELNS1_11target_archE910ELNS1_3gpuE8ELNS1_3repE0EEENS1_30default_config_static_selectorELNS0_4arch9wavefront6targetE0EEEvSQ_,comdat
.Lfunc_end306:
	.size	_ZN7rocprim17ROCPRIM_400000_NS6detail17trampoline_kernelINS0_14default_configENS1_22reduce_config_selectorIbEEZNS1_11reduce_implILb1ES3_N6hipcub16HIPCUB_304000_NS22TransformInputIteratorIbN2at6native12_GLOBAL__N_19NonZeroOpIsEEPKslEEPiiNS8_6detail34convert_binary_result_type_wrapperINS8_3SumESH_iEEEE10hipError_tPvRmT1_T2_T3_mT4_P12ihipStream_tbEUlT_E0_NS1_11comp_targetILNS1_3genE4ELNS1_11target_archE910ELNS1_3gpuE8ELNS1_3repE0EEENS1_30default_config_static_selectorELNS0_4arch9wavefront6targetE0EEEvSQ_, .Lfunc_end306-_ZN7rocprim17ROCPRIM_400000_NS6detail17trampoline_kernelINS0_14default_configENS1_22reduce_config_selectorIbEEZNS1_11reduce_implILb1ES3_N6hipcub16HIPCUB_304000_NS22TransformInputIteratorIbN2at6native12_GLOBAL__N_19NonZeroOpIsEEPKslEEPiiNS8_6detail34convert_binary_result_type_wrapperINS8_3SumESH_iEEEE10hipError_tPvRmT1_T2_T3_mT4_P12ihipStream_tbEUlT_E0_NS1_11comp_targetILNS1_3genE4ELNS1_11target_archE910ELNS1_3gpuE8ELNS1_3repE0EEENS1_30default_config_static_selectorELNS0_4arch9wavefront6targetE0EEEvSQ_
                                        ; -- End function
	.section	.AMDGPU.csdata,"",@progbits
; Kernel info:
; codeLenInByte = 0
; NumSgprs: 0
; NumVgprs: 0
; ScratchSize: 0
; MemoryBound: 0
; FloatMode: 240
; IeeeMode: 1
; LDSByteSize: 0 bytes/workgroup (compile time only)
; SGPRBlocks: 0
; VGPRBlocks: 0
; NumSGPRsForWavesPerEU: 1
; NumVGPRsForWavesPerEU: 1
; Occupancy: 16
; WaveLimiterHint : 0
; COMPUTE_PGM_RSRC2:SCRATCH_EN: 0
; COMPUTE_PGM_RSRC2:USER_SGPR: 15
; COMPUTE_PGM_RSRC2:TRAP_HANDLER: 0
; COMPUTE_PGM_RSRC2:TGID_X_EN: 1
; COMPUTE_PGM_RSRC2:TGID_Y_EN: 0
; COMPUTE_PGM_RSRC2:TGID_Z_EN: 0
; COMPUTE_PGM_RSRC2:TIDIG_COMP_CNT: 0
	.section	.text._ZN7rocprim17ROCPRIM_400000_NS6detail17trampoline_kernelINS0_14default_configENS1_22reduce_config_selectorIbEEZNS1_11reduce_implILb1ES3_N6hipcub16HIPCUB_304000_NS22TransformInputIteratorIbN2at6native12_GLOBAL__N_19NonZeroOpIsEEPKslEEPiiNS8_6detail34convert_binary_result_type_wrapperINS8_3SumESH_iEEEE10hipError_tPvRmT1_T2_T3_mT4_P12ihipStream_tbEUlT_E0_NS1_11comp_targetILNS1_3genE3ELNS1_11target_archE908ELNS1_3gpuE7ELNS1_3repE0EEENS1_30default_config_static_selectorELNS0_4arch9wavefront6targetE0EEEvSQ_,"axG",@progbits,_ZN7rocprim17ROCPRIM_400000_NS6detail17trampoline_kernelINS0_14default_configENS1_22reduce_config_selectorIbEEZNS1_11reduce_implILb1ES3_N6hipcub16HIPCUB_304000_NS22TransformInputIteratorIbN2at6native12_GLOBAL__N_19NonZeroOpIsEEPKslEEPiiNS8_6detail34convert_binary_result_type_wrapperINS8_3SumESH_iEEEE10hipError_tPvRmT1_T2_T3_mT4_P12ihipStream_tbEUlT_E0_NS1_11comp_targetILNS1_3genE3ELNS1_11target_archE908ELNS1_3gpuE7ELNS1_3repE0EEENS1_30default_config_static_selectorELNS0_4arch9wavefront6targetE0EEEvSQ_,comdat
	.globl	_ZN7rocprim17ROCPRIM_400000_NS6detail17trampoline_kernelINS0_14default_configENS1_22reduce_config_selectorIbEEZNS1_11reduce_implILb1ES3_N6hipcub16HIPCUB_304000_NS22TransformInputIteratorIbN2at6native12_GLOBAL__N_19NonZeroOpIsEEPKslEEPiiNS8_6detail34convert_binary_result_type_wrapperINS8_3SumESH_iEEEE10hipError_tPvRmT1_T2_T3_mT4_P12ihipStream_tbEUlT_E0_NS1_11comp_targetILNS1_3genE3ELNS1_11target_archE908ELNS1_3gpuE7ELNS1_3repE0EEENS1_30default_config_static_selectorELNS0_4arch9wavefront6targetE0EEEvSQ_ ; -- Begin function _ZN7rocprim17ROCPRIM_400000_NS6detail17trampoline_kernelINS0_14default_configENS1_22reduce_config_selectorIbEEZNS1_11reduce_implILb1ES3_N6hipcub16HIPCUB_304000_NS22TransformInputIteratorIbN2at6native12_GLOBAL__N_19NonZeroOpIsEEPKslEEPiiNS8_6detail34convert_binary_result_type_wrapperINS8_3SumESH_iEEEE10hipError_tPvRmT1_T2_T3_mT4_P12ihipStream_tbEUlT_E0_NS1_11comp_targetILNS1_3genE3ELNS1_11target_archE908ELNS1_3gpuE7ELNS1_3repE0EEENS1_30default_config_static_selectorELNS0_4arch9wavefront6targetE0EEEvSQ_
	.p2align	8
	.type	_ZN7rocprim17ROCPRIM_400000_NS6detail17trampoline_kernelINS0_14default_configENS1_22reduce_config_selectorIbEEZNS1_11reduce_implILb1ES3_N6hipcub16HIPCUB_304000_NS22TransformInputIteratorIbN2at6native12_GLOBAL__N_19NonZeroOpIsEEPKslEEPiiNS8_6detail34convert_binary_result_type_wrapperINS8_3SumESH_iEEEE10hipError_tPvRmT1_T2_T3_mT4_P12ihipStream_tbEUlT_E0_NS1_11comp_targetILNS1_3genE3ELNS1_11target_archE908ELNS1_3gpuE7ELNS1_3repE0EEENS1_30default_config_static_selectorELNS0_4arch9wavefront6targetE0EEEvSQ_,@function
_ZN7rocprim17ROCPRIM_400000_NS6detail17trampoline_kernelINS0_14default_configENS1_22reduce_config_selectorIbEEZNS1_11reduce_implILb1ES3_N6hipcub16HIPCUB_304000_NS22TransformInputIteratorIbN2at6native12_GLOBAL__N_19NonZeroOpIsEEPKslEEPiiNS8_6detail34convert_binary_result_type_wrapperINS8_3SumESH_iEEEE10hipError_tPvRmT1_T2_T3_mT4_P12ihipStream_tbEUlT_E0_NS1_11comp_targetILNS1_3genE3ELNS1_11target_archE908ELNS1_3gpuE7ELNS1_3repE0EEENS1_30default_config_static_selectorELNS0_4arch9wavefront6targetE0EEEvSQ_: ; @_ZN7rocprim17ROCPRIM_400000_NS6detail17trampoline_kernelINS0_14default_configENS1_22reduce_config_selectorIbEEZNS1_11reduce_implILb1ES3_N6hipcub16HIPCUB_304000_NS22TransformInputIteratorIbN2at6native12_GLOBAL__N_19NonZeroOpIsEEPKslEEPiiNS8_6detail34convert_binary_result_type_wrapperINS8_3SumESH_iEEEE10hipError_tPvRmT1_T2_T3_mT4_P12ihipStream_tbEUlT_E0_NS1_11comp_targetILNS1_3genE3ELNS1_11target_archE908ELNS1_3gpuE7ELNS1_3repE0EEENS1_30default_config_static_selectorELNS0_4arch9wavefront6targetE0EEEvSQ_
; %bb.0:
	.section	.rodata,"a",@progbits
	.p2align	6, 0x0
	.amdhsa_kernel _ZN7rocprim17ROCPRIM_400000_NS6detail17trampoline_kernelINS0_14default_configENS1_22reduce_config_selectorIbEEZNS1_11reduce_implILb1ES3_N6hipcub16HIPCUB_304000_NS22TransformInputIteratorIbN2at6native12_GLOBAL__N_19NonZeroOpIsEEPKslEEPiiNS8_6detail34convert_binary_result_type_wrapperINS8_3SumESH_iEEEE10hipError_tPvRmT1_T2_T3_mT4_P12ihipStream_tbEUlT_E0_NS1_11comp_targetILNS1_3genE3ELNS1_11target_archE908ELNS1_3gpuE7ELNS1_3repE0EEENS1_30default_config_static_selectorELNS0_4arch9wavefront6targetE0EEEvSQ_
		.amdhsa_group_segment_fixed_size 0
		.amdhsa_private_segment_fixed_size 0
		.amdhsa_kernarg_size 64
		.amdhsa_user_sgpr_count 15
		.amdhsa_user_sgpr_dispatch_ptr 0
		.amdhsa_user_sgpr_queue_ptr 0
		.amdhsa_user_sgpr_kernarg_segment_ptr 1
		.amdhsa_user_sgpr_dispatch_id 0
		.amdhsa_user_sgpr_private_segment_size 0
		.amdhsa_wavefront_size32 1
		.amdhsa_uses_dynamic_stack 0
		.amdhsa_enable_private_segment 0
		.amdhsa_system_sgpr_workgroup_id_x 1
		.amdhsa_system_sgpr_workgroup_id_y 0
		.amdhsa_system_sgpr_workgroup_id_z 0
		.amdhsa_system_sgpr_workgroup_info 0
		.amdhsa_system_vgpr_workitem_id 0
		.amdhsa_next_free_vgpr 1
		.amdhsa_next_free_sgpr 1
		.amdhsa_reserve_vcc 0
		.amdhsa_float_round_mode_32 0
		.amdhsa_float_round_mode_16_64 0
		.amdhsa_float_denorm_mode_32 3
		.amdhsa_float_denorm_mode_16_64 3
		.amdhsa_dx10_clamp 1
		.amdhsa_ieee_mode 1
		.amdhsa_fp16_overflow 0
		.amdhsa_workgroup_processor_mode 1
		.amdhsa_memory_ordered 1
		.amdhsa_forward_progress 0
		.amdhsa_shared_vgpr_count 0
		.amdhsa_exception_fp_ieee_invalid_op 0
		.amdhsa_exception_fp_denorm_src 0
		.amdhsa_exception_fp_ieee_div_zero 0
		.amdhsa_exception_fp_ieee_overflow 0
		.amdhsa_exception_fp_ieee_underflow 0
		.amdhsa_exception_fp_ieee_inexact 0
		.amdhsa_exception_int_div_zero 0
	.end_amdhsa_kernel
	.section	.text._ZN7rocprim17ROCPRIM_400000_NS6detail17trampoline_kernelINS0_14default_configENS1_22reduce_config_selectorIbEEZNS1_11reduce_implILb1ES3_N6hipcub16HIPCUB_304000_NS22TransformInputIteratorIbN2at6native12_GLOBAL__N_19NonZeroOpIsEEPKslEEPiiNS8_6detail34convert_binary_result_type_wrapperINS8_3SumESH_iEEEE10hipError_tPvRmT1_T2_T3_mT4_P12ihipStream_tbEUlT_E0_NS1_11comp_targetILNS1_3genE3ELNS1_11target_archE908ELNS1_3gpuE7ELNS1_3repE0EEENS1_30default_config_static_selectorELNS0_4arch9wavefront6targetE0EEEvSQ_,"axG",@progbits,_ZN7rocprim17ROCPRIM_400000_NS6detail17trampoline_kernelINS0_14default_configENS1_22reduce_config_selectorIbEEZNS1_11reduce_implILb1ES3_N6hipcub16HIPCUB_304000_NS22TransformInputIteratorIbN2at6native12_GLOBAL__N_19NonZeroOpIsEEPKslEEPiiNS8_6detail34convert_binary_result_type_wrapperINS8_3SumESH_iEEEE10hipError_tPvRmT1_T2_T3_mT4_P12ihipStream_tbEUlT_E0_NS1_11comp_targetILNS1_3genE3ELNS1_11target_archE908ELNS1_3gpuE7ELNS1_3repE0EEENS1_30default_config_static_selectorELNS0_4arch9wavefront6targetE0EEEvSQ_,comdat
.Lfunc_end307:
	.size	_ZN7rocprim17ROCPRIM_400000_NS6detail17trampoline_kernelINS0_14default_configENS1_22reduce_config_selectorIbEEZNS1_11reduce_implILb1ES3_N6hipcub16HIPCUB_304000_NS22TransformInputIteratorIbN2at6native12_GLOBAL__N_19NonZeroOpIsEEPKslEEPiiNS8_6detail34convert_binary_result_type_wrapperINS8_3SumESH_iEEEE10hipError_tPvRmT1_T2_T3_mT4_P12ihipStream_tbEUlT_E0_NS1_11comp_targetILNS1_3genE3ELNS1_11target_archE908ELNS1_3gpuE7ELNS1_3repE0EEENS1_30default_config_static_selectorELNS0_4arch9wavefront6targetE0EEEvSQ_, .Lfunc_end307-_ZN7rocprim17ROCPRIM_400000_NS6detail17trampoline_kernelINS0_14default_configENS1_22reduce_config_selectorIbEEZNS1_11reduce_implILb1ES3_N6hipcub16HIPCUB_304000_NS22TransformInputIteratorIbN2at6native12_GLOBAL__N_19NonZeroOpIsEEPKslEEPiiNS8_6detail34convert_binary_result_type_wrapperINS8_3SumESH_iEEEE10hipError_tPvRmT1_T2_T3_mT4_P12ihipStream_tbEUlT_E0_NS1_11comp_targetILNS1_3genE3ELNS1_11target_archE908ELNS1_3gpuE7ELNS1_3repE0EEENS1_30default_config_static_selectorELNS0_4arch9wavefront6targetE0EEEvSQ_
                                        ; -- End function
	.section	.AMDGPU.csdata,"",@progbits
; Kernel info:
; codeLenInByte = 0
; NumSgprs: 0
; NumVgprs: 0
; ScratchSize: 0
; MemoryBound: 0
; FloatMode: 240
; IeeeMode: 1
; LDSByteSize: 0 bytes/workgroup (compile time only)
; SGPRBlocks: 0
; VGPRBlocks: 0
; NumSGPRsForWavesPerEU: 1
; NumVGPRsForWavesPerEU: 1
; Occupancy: 16
; WaveLimiterHint : 0
; COMPUTE_PGM_RSRC2:SCRATCH_EN: 0
; COMPUTE_PGM_RSRC2:USER_SGPR: 15
; COMPUTE_PGM_RSRC2:TRAP_HANDLER: 0
; COMPUTE_PGM_RSRC2:TGID_X_EN: 1
; COMPUTE_PGM_RSRC2:TGID_Y_EN: 0
; COMPUTE_PGM_RSRC2:TGID_Z_EN: 0
; COMPUTE_PGM_RSRC2:TIDIG_COMP_CNT: 0
	.section	.text._ZN7rocprim17ROCPRIM_400000_NS6detail17trampoline_kernelINS0_14default_configENS1_22reduce_config_selectorIbEEZNS1_11reduce_implILb1ES3_N6hipcub16HIPCUB_304000_NS22TransformInputIteratorIbN2at6native12_GLOBAL__N_19NonZeroOpIsEEPKslEEPiiNS8_6detail34convert_binary_result_type_wrapperINS8_3SumESH_iEEEE10hipError_tPvRmT1_T2_T3_mT4_P12ihipStream_tbEUlT_E0_NS1_11comp_targetILNS1_3genE2ELNS1_11target_archE906ELNS1_3gpuE6ELNS1_3repE0EEENS1_30default_config_static_selectorELNS0_4arch9wavefront6targetE0EEEvSQ_,"axG",@progbits,_ZN7rocprim17ROCPRIM_400000_NS6detail17trampoline_kernelINS0_14default_configENS1_22reduce_config_selectorIbEEZNS1_11reduce_implILb1ES3_N6hipcub16HIPCUB_304000_NS22TransformInputIteratorIbN2at6native12_GLOBAL__N_19NonZeroOpIsEEPKslEEPiiNS8_6detail34convert_binary_result_type_wrapperINS8_3SumESH_iEEEE10hipError_tPvRmT1_T2_T3_mT4_P12ihipStream_tbEUlT_E0_NS1_11comp_targetILNS1_3genE2ELNS1_11target_archE906ELNS1_3gpuE6ELNS1_3repE0EEENS1_30default_config_static_selectorELNS0_4arch9wavefront6targetE0EEEvSQ_,comdat
	.globl	_ZN7rocprim17ROCPRIM_400000_NS6detail17trampoline_kernelINS0_14default_configENS1_22reduce_config_selectorIbEEZNS1_11reduce_implILb1ES3_N6hipcub16HIPCUB_304000_NS22TransformInputIteratorIbN2at6native12_GLOBAL__N_19NonZeroOpIsEEPKslEEPiiNS8_6detail34convert_binary_result_type_wrapperINS8_3SumESH_iEEEE10hipError_tPvRmT1_T2_T3_mT4_P12ihipStream_tbEUlT_E0_NS1_11comp_targetILNS1_3genE2ELNS1_11target_archE906ELNS1_3gpuE6ELNS1_3repE0EEENS1_30default_config_static_selectorELNS0_4arch9wavefront6targetE0EEEvSQ_ ; -- Begin function _ZN7rocprim17ROCPRIM_400000_NS6detail17trampoline_kernelINS0_14default_configENS1_22reduce_config_selectorIbEEZNS1_11reduce_implILb1ES3_N6hipcub16HIPCUB_304000_NS22TransformInputIteratorIbN2at6native12_GLOBAL__N_19NonZeroOpIsEEPKslEEPiiNS8_6detail34convert_binary_result_type_wrapperINS8_3SumESH_iEEEE10hipError_tPvRmT1_T2_T3_mT4_P12ihipStream_tbEUlT_E0_NS1_11comp_targetILNS1_3genE2ELNS1_11target_archE906ELNS1_3gpuE6ELNS1_3repE0EEENS1_30default_config_static_selectorELNS0_4arch9wavefront6targetE0EEEvSQ_
	.p2align	8
	.type	_ZN7rocprim17ROCPRIM_400000_NS6detail17trampoline_kernelINS0_14default_configENS1_22reduce_config_selectorIbEEZNS1_11reduce_implILb1ES3_N6hipcub16HIPCUB_304000_NS22TransformInputIteratorIbN2at6native12_GLOBAL__N_19NonZeroOpIsEEPKslEEPiiNS8_6detail34convert_binary_result_type_wrapperINS8_3SumESH_iEEEE10hipError_tPvRmT1_T2_T3_mT4_P12ihipStream_tbEUlT_E0_NS1_11comp_targetILNS1_3genE2ELNS1_11target_archE906ELNS1_3gpuE6ELNS1_3repE0EEENS1_30default_config_static_selectorELNS0_4arch9wavefront6targetE0EEEvSQ_,@function
_ZN7rocprim17ROCPRIM_400000_NS6detail17trampoline_kernelINS0_14default_configENS1_22reduce_config_selectorIbEEZNS1_11reduce_implILb1ES3_N6hipcub16HIPCUB_304000_NS22TransformInputIteratorIbN2at6native12_GLOBAL__N_19NonZeroOpIsEEPKslEEPiiNS8_6detail34convert_binary_result_type_wrapperINS8_3SumESH_iEEEE10hipError_tPvRmT1_T2_T3_mT4_P12ihipStream_tbEUlT_E0_NS1_11comp_targetILNS1_3genE2ELNS1_11target_archE906ELNS1_3gpuE6ELNS1_3repE0EEENS1_30default_config_static_selectorELNS0_4arch9wavefront6targetE0EEEvSQ_: ; @_ZN7rocprim17ROCPRIM_400000_NS6detail17trampoline_kernelINS0_14default_configENS1_22reduce_config_selectorIbEEZNS1_11reduce_implILb1ES3_N6hipcub16HIPCUB_304000_NS22TransformInputIteratorIbN2at6native12_GLOBAL__N_19NonZeroOpIsEEPKslEEPiiNS8_6detail34convert_binary_result_type_wrapperINS8_3SumESH_iEEEE10hipError_tPvRmT1_T2_T3_mT4_P12ihipStream_tbEUlT_E0_NS1_11comp_targetILNS1_3genE2ELNS1_11target_archE906ELNS1_3gpuE6ELNS1_3repE0EEENS1_30default_config_static_selectorELNS0_4arch9wavefront6targetE0EEEvSQ_
; %bb.0:
	.section	.rodata,"a",@progbits
	.p2align	6, 0x0
	.amdhsa_kernel _ZN7rocprim17ROCPRIM_400000_NS6detail17trampoline_kernelINS0_14default_configENS1_22reduce_config_selectorIbEEZNS1_11reduce_implILb1ES3_N6hipcub16HIPCUB_304000_NS22TransformInputIteratorIbN2at6native12_GLOBAL__N_19NonZeroOpIsEEPKslEEPiiNS8_6detail34convert_binary_result_type_wrapperINS8_3SumESH_iEEEE10hipError_tPvRmT1_T2_T3_mT4_P12ihipStream_tbEUlT_E0_NS1_11comp_targetILNS1_3genE2ELNS1_11target_archE906ELNS1_3gpuE6ELNS1_3repE0EEENS1_30default_config_static_selectorELNS0_4arch9wavefront6targetE0EEEvSQ_
		.amdhsa_group_segment_fixed_size 0
		.amdhsa_private_segment_fixed_size 0
		.amdhsa_kernarg_size 64
		.amdhsa_user_sgpr_count 15
		.amdhsa_user_sgpr_dispatch_ptr 0
		.amdhsa_user_sgpr_queue_ptr 0
		.amdhsa_user_sgpr_kernarg_segment_ptr 1
		.amdhsa_user_sgpr_dispatch_id 0
		.amdhsa_user_sgpr_private_segment_size 0
		.amdhsa_wavefront_size32 1
		.amdhsa_uses_dynamic_stack 0
		.amdhsa_enable_private_segment 0
		.amdhsa_system_sgpr_workgroup_id_x 1
		.amdhsa_system_sgpr_workgroup_id_y 0
		.amdhsa_system_sgpr_workgroup_id_z 0
		.amdhsa_system_sgpr_workgroup_info 0
		.amdhsa_system_vgpr_workitem_id 0
		.amdhsa_next_free_vgpr 1
		.amdhsa_next_free_sgpr 1
		.amdhsa_reserve_vcc 0
		.amdhsa_float_round_mode_32 0
		.amdhsa_float_round_mode_16_64 0
		.amdhsa_float_denorm_mode_32 3
		.amdhsa_float_denorm_mode_16_64 3
		.amdhsa_dx10_clamp 1
		.amdhsa_ieee_mode 1
		.amdhsa_fp16_overflow 0
		.amdhsa_workgroup_processor_mode 1
		.amdhsa_memory_ordered 1
		.amdhsa_forward_progress 0
		.amdhsa_shared_vgpr_count 0
		.amdhsa_exception_fp_ieee_invalid_op 0
		.amdhsa_exception_fp_denorm_src 0
		.amdhsa_exception_fp_ieee_div_zero 0
		.amdhsa_exception_fp_ieee_overflow 0
		.amdhsa_exception_fp_ieee_underflow 0
		.amdhsa_exception_fp_ieee_inexact 0
		.amdhsa_exception_int_div_zero 0
	.end_amdhsa_kernel
	.section	.text._ZN7rocprim17ROCPRIM_400000_NS6detail17trampoline_kernelINS0_14default_configENS1_22reduce_config_selectorIbEEZNS1_11reduce_implILb1ES3_N6hipcub16HIPCUB_304000_NS22TransformInputIteratorIbN2at6native12_GLOBAL__N_19NonZeroOpIsEEPKslEEPiiNS8_6detail34convert_binary_result_type_wrapperINS8_3SumESH_iEEEE10hipError_tPvRmT1_T2_T3_mT4_P12ihipStream_tbEUlT_E0_NS1_11comp_targetILNS1_3genE2ELNS1_11target_archE906ELNS1_3gpuE6ELNS1_3repE0EEENS1_30default_config_static_selectorELNS0_4arch9wavefront6targetE0EEEvSQ_,"axG",@progbits,_ZN7rocprim17ROCPRIM_400000_NS6detail17trampoline_kernelINS0_14default_configENS1_22reduce_config_selectorIbEEZNS1_11reduce_implILb1ES3_N6hipcub16HIPCUB_304000_NS22TransformInputIteratorIbN2at6native12_GLOBAL__N_19NonZeroOpIsEEPKslEEPiiNS8_6detail34convert_binary_result_type_wrapperINS8_3SumESH_iEEEE10hipError_tPvRmT1_T2_T3_mT4_P12ihipStream_tbEUlT_E0_NS1_11comp_targetILNS1_3genE2ELNS1_11target_archE906ELNS1_3gpuE6ELNS1_3repE0EEENS1_30default_config_static_selectorELNS0_4arch9wavefront6targetE0EEEvSQ_,comdat
.Lfunc_end308:
	.size	_ZN7rocprim17ROCPRIM_400000_NS6detail17trampoline_kernelINS0_14default_configENS1_22reduce_config_selectorIbEEZNS1_11reduce_implILb1ES3_N6hipcub16HIPCUB_304000_NS22TransformInputIteratorIbN2at6native12_GLOBAL__N_19NonZeroOpIsEEPKslEEPiiNS8_6detail34convert_binary_result_type_wrapperINS8_3SumESH_iEEEE10hipError_tPvRmT1_T2_T3_mT4_P12ihipStream_tbEUlT_E0_NS1_11comp_targetILNS1_3genE2ELNS1_11target_archE906ELNS1_3gpuE6ELNS1_3repE0EEENS1_30default_config_static_selectorELNS0_4arch9wavefront6targetE0EEEvSQ_, .Lfunc_end308-_ZN7rocprim17ROCPRIM_400000_NS6detail17trampoline_kernelINS0_14default_configENS1_22reduce_config_selectorIbEEZNS1_11reduce_implILb1ES3_N6hipcub16HIPCUB_304000_NS22TransformInputIteratorIbN2at6native12_GLOBAL__N_19NonZeroOpIsEEPKslEEPiiNS8_6detail34convert_binary_result_type_wrapperINS8_3SumESH_iEEEE10hipError_tPvRmT1_T2_T3_mT4_P12ihipStream_tbEUlT_E0_NS1_11comp_targetILNS1_3genE2ELNS1_11target_archE906ELNS1_3gpuE6ELNS1_3repE0EEENS1_30default_config_static_selectorELNS0_4arch9wavefront6targetE0EEEvSQ_
                                        ; -- End function
	.section	.AMDGPU.csdata,"",@progbits
; Kernel info:
; codeLenInByte = 0
; NumSgprs: 0
; NumVgprs: 0
; ScratchSize: 0
; MemoryBound: 0
; FloatMode: 240
; IeeeMode: 1
; LDSByteSize: 0 bytes/workgroup (compile time only)
; SGPRBlocks: 0
; VGPRBlocks: 0
; NumSGPRsForWavesPerEU: 1
; NumVGPRsForWavesPerEU: 1
; Occupancy: 16
; WaveLimiterHint : 0
; COMPUTE_PGM_RSRC2:SCRATCH_EN: 0
; COMPUTE_PGM_RSRC2:USER_SGPR: 15
; COMPUTE_PGM_RSRC2:TRAP_HANDLER: 0
; COMPUTE_PGM_RSRC2:TGID_X_EN: 1
; COMPUTE_PGM_RSRC2:TGID_Y_EN: 0
; COMPUTE_PGM_RSRC2:TGID_Z_EN: 0
; COMPUTE_PGM_RSRC2:TIDIG_COMP_CNT: 0
	.section	.text._ZN7rocprim17ROCPRIM_400000_NS6detail17trampoline_kernelINS0_14default_configENS1_22reduce_config_selectorIbEEZNS1_11reduce_implILb1ES3_N6hipcub16HIPCUB_304000_NS22TransformInputIteratorIbN2at6native12_GLOBAL__N_19NonZeroOpIsEEPKslEEPiiNS8_6detail34convert_binary_result_type_wrapperINS8_3SumESH_iEEEE10hipError_tPvRmT1_T2_T3_mT4_P12ihipStream_tbEUlT_E0_NS1_11comp_targetILNS1_3genE10ELNS1_11target_archE1201ELNS1_3gpuE5ELNS1_3repE0EEENS1_30default_config_static_selectorELNS0_4arch9wavefront6targetE0EEEvSQ_,"axG",@progbits,_ZN7rocprim17ROCPRIM_400000_NS6detail17trampoline_kernelINS0_14default_configENS1_22reduce_config_selectorIbEEZNS1_11reduce_implILb1ES3_N6hipcub16HIPCUB_304000_NS22TransformInputIteratorIbN2at6native12_GLOBAL__N_19NonZeroOpIsEEPKslEEPiiNS8_6detail34convert_binary_result_type_wrapperINS8_3SumESH_iEEEE10hipError_tPvRmT1_T2_T3_mT4_P12ihipStream_tbEUlT_E0_NS1_11comp_targetILNS1_3genE10ELNS1_11target_archE1201ELNS1_3gpuE5ELNS1_3repE0EEENS1_30default_config_static_selectorELNS0_4arch9wavefront6targetE0EEEvSQ_,comdat
	.globl	_ZN7rocprim17ROCPRIM_400000_NS6detail17trampoline_kernelINS0_14default_configENS1_22reduce_config_selectorIbEEZNS1_11reduce_implILb1ES3_N6hipcub16HIPCUB_304000_NS22TransformInputIteratorIbN2at6native12_GLOBAL__N_19NonZeroOpIsEEPKslEEPiiNS8_6detail34convert_binary_result_type_wrapperINS8_3SumESH_iEEEE10hipError_tPvRmT1_T2_T3_mT4_P12ihipStream_tbEUlT_E0_NS1_11comp_targetILNS1_3genE10ELNS1_11target_archE1201ELNS1_3gpuE5ELNS1_3repE0EEENS1_30default_config_static_selectorELNS0_4arch9wavefront6targetE0EEEvSQ_ ; -- Begin function _ZN7rocprim17ROCPRIM_400000_NS6detail17trampoline_kernelINS0_14default_configENS1_22reduce_config_selectorIbEEZNS1_11reduce_implILb1ES3_N6hipcub16HIPCUB_304000_NS22TransformInputIteratorIbN2at6native12_GLOBAL__N_19NonZeroOpIsEEPKslEEPiiNS8_6detail34convert_binary_result_type_wrapperINS8_3SumESH_iEEEE10hipError_tPvRmT1_T2_T3_mT4_P12ihipStream_tbEUlT_E0_NS1_11comp_targetILNS1_3genE10ELNS1_11target_archE1201ELNS1_3gpuE5ELNS1_3repE0EEENS1_30default_config_static_selectorELNS0_4arch9wavefront6targetE0EEEvSQ_
	.p2align	8
	.type	_ZN7rocprim17ROCPRIM_400000_NS6detail17trampoline_kernelINS0_14default_configENS1_22reduce_config_selectorIbEEZNS1_11reduce_implILb1ES3_N6hipcub16HIPCUB_304000_NS22TransformInputIteratorIbN2at6native12_GLOBAL__N_19NonZeroOpIsEEPKslEEPiiNS8_6detail34convert_binary_result_type_wrapperINS8_3SumESH_iEEEE10hipError_tPvRmT1_T2_T3_mT4_P12ihipStream_tbEUlT_E0_NS1_11comp_targetILNS1_3genE10ELNS1_11target_archE1201ELNS1_3gpuE5ELNS1_3repE0EEENS1_30default_config_static_selectorELNS0_4arch9wavefront6targetE0EEEvSQ_,@function
_ZN7rocprim17ROCPRIM_400000_NS6detail17trampoline_kernelINS0_14default_configENS1_22reduce_config_selectorIbEEZNS1_11reduce_implILb1ES3_N6hipcub16HIPCUB_304000_NS22TransformInputIteratorIbN2at6native12_GLOBAL__N_19NonZeroOpIsEEPKslEEPiiNS8_6detail34convert_binary_result_type_wrapperINS8_3SumESH_iEEEE10hipError_tPvRmT1_T2_T3_mT4_P12ihipStream_tbEUlT_E0_NS1_11comp_targetILNS1_3genE10ELNS1_11target_archE1201ELNS1_3gpuE5ELNS1_3repE0EEENS1_30default_config_static_selectorELNS0_4arch9wavefront6targetE0EEEvSQ_: ; @_ZN7rocprim17ROCPRIM_400000_NS6detail17trampoline_kernelINS0_14default_configENS1_22reduce_config_selectorIbEEZNS1_11reduce_implILb1ES3_N6hipcub16HIPCUB_304000_NS22TransformInputIteratorIbN2at6native12_GLOBAL__N_19NonZeroOpIsEEPKslEEPiiNS8_6detail34convert_binary_result_type_wrapperINS8_3SumESH_iEEEE10hipError_tPvRmT1_T2_T3_mT4_P12ihipStream_tbEUlT_E0_NS1_11comp_targetILNS1_3genE10ELNS1_11target_archE1201ELNS1_3gpuE5ELNS1_3repE0EEENS1_30default_config_static_selectorELNS0_4arch9wavefront6targetE0EEEvSQ_
; %bb.0:
	.section	.rodata,"a",@progbits
	.p2align	6, 0x0
	.amdhsa_kernel _ZN7rocprim17ROCPRIM_400000_NS6detail17trampoline_kernelINS0_14default_configENS1_22reduce_config_selectorIbEEZNS1_11reduce_implILb1ES3_N6hipcub16HIPCUB_304000_NS22TransformInputIteratorIbN2at6native12_GLOBAL__N_19NonZeroOpIsEEPKslEEPiiNS8_6detail34convert_binary_result_type_wrapperINS8_3SumESH_iEEEE10hipError_tPvRmT1_T2_T3_mT4_P12ihipStream_tbEUlT_E0_NS1_11comp_targetILNS1_3genE10ELNS1_11target_archE1201ELNS1_3gpuE5ELNS1_3repE0EEENS1_30default_config_static_selectorELNS0_4arch9wavefront6targetE0EEEvSQ_
		.amdhsa_group_segment_fixed_size 0
		.amdhsa_private_segment_fixed_size 0
		.amdhsa_kernarg_size 64
		.amdhsa_user_sgpr_count 15
		.amdhsa_user_sgpr_dispatch_ptr 0
		.amdhsa_user_sgpr_queue_ptr 0
		.amdhsa_user_sgpr_kernarg_segment_ptr 1
		.amdhsa_user_sgpr_dispatch_id 0
		.amdhsa_user_sgpr_private_segment_size 0
		.amdhsa_wavefront_size32 1
		.amdhsa_uses_dynamic_stack 0
		.amdhsa_enable_private_segment 0
		.amdhsa_system_sgpr_workgroup_id_x 1
		.amdhsa_system_sgpr_workgroup_id_y 0
		.amdhsa_system_sgpr_workgroup_id_z 0
		.amdhsa_system_sgpr_workgroup_info 0
		.amdhsa_system_vgpr_workitem_id 0
		.amdhsa_next_free_vgpr 1
		.amdhsa_next_free_sgpr 1
		.amdhsa_reserve_vcc 0
		.amdhsa_float_round_mode_32 0
		.amdhsa_float_round_mode_16_64 0
		.amdhsa_float_denorm_mode_32 3
		.amdhsa_float_denorm_mode_16_64 3
		.amdhsa_dx10_clamp 1
		.amdhsa_ieee_mode 1
		.amdhsa_fp16_overflow 0
		.amdhsa_workgroup_processor_mode 1
		.amdhsa_memory_ordered 1
		.amdhsa_forward_progress 0
		.amdhsa_shared_vgpr_count 0
		.amdhsa_exception_fp_ieee_invalid_op 0
		.amdhsa_exception_fp_denorm_src 0
		.amdhsa_exception_fp_ieee_div_zero 0
		.amdhsa_exception_fp_ieee_overflow 0
		.amdhsa_exception_fp_ieee_underflow 0
		.amdhsa_exception_fp_ieee_inexact 0
		.amdhsa_exception_int_div_zero 0
	.end_amdhsa_kernel
	.section	.text._ZN7rocprim17ROCPRIM_400000_NS6detail17trampoline_kernelINS0_14default_configENS1_22reduce_config_selectorIbEEZNS1_11reduce_implILb1ES3_N6hipcub16HIPCUB_304000_NS22TransformInputIteratorIbN2at6native12_GLOBAL__N_19NonZeroOpIsEEPKslEEPiiNS8_6detail34convert_binary_result_type_wrapperINS8_3SumESH_iEEEE10hipError_tPvRmT1_T2_T3_mT4_P12ihipStream_tbEUlT_E0_NS1_11comp_targetILNS1_3genE10ELNS1_11target_archE1201ELNS1_3gpuE5ELNS1_3repE0EEENS1_30default_config_static_selectorELNS0_4arch9wavefront6targetE0EEEvSQ_,"axG",@progbits,_ZN7rocprim17ROCPRIM_400000_NS6detail17trampoline_kernelINS0_14default_configENS1_22reduce_config_selectorIbEEZNS1_11reduce_implILb1ES3_N6hipcub16HIPCUB_304000_NS22TransformInputIteratorIbN2at6native12_GLOBAL__N_19NonZeroOpIsEEPKslEEPiiNS8_6detail34convert_binary_result_type_wrapperINS8_3SumESH_iEEEE10hipError_tPvRmT1_T2_T3_mT4_P12ihipStream_tbEUlT_E0_NS1_11comp_targetILNS1_3genE10ELNS1_11target_archE1201ELNS1_3gpuE5ELNS1_3repE0EEENS1_30default_config_static_selectorELNS0_4arch9wavefront6targetE0EEEvSQ_,comdat
.Lfunc_end309:
	.size	_ZN7rocprim17ROCPRIM_400000_NS6detail17trampoline_kernelINS0_14default_configENS1_22reduce_config_selectorIbEEZNS1_11reduce_implILb1ES3_N6hipcub16HIPCUB_304000_NS22TransformInputIteratorIbN2at6native12_GLOBAL__N_19NonZeroOpIsEEPKslEEPiiNS8_6detail34convert_binary_result_type_wrapperINS8_3SumESH_iEEEE10hipError_tPvRmT1_T2_T3_mT4_P12ihipStream_tbEUlT_E0_NS1_11comp_targetILNS1_3genE10ELNS1_11target_archE1201ELNS1_3gpuE5ELNS1_3repE0EEENS1_30default_config_static_selectorELNS0_4arch9wavefront6targetE0EEEvSQ_, .Lfunc_end309-_ZN7rocprim17ROCPRIM_400000_NS6detail17trampoline_kernelINS0_14default_configENS1_22reduce_config_selectorIbEEZNS1_11reduce_implILb1ES3_N6hipcub16HIPCUB_304000_NS22TransformInputIteratorIbN2at6native12_GLOBAL__N_19NonZeroOpIsEEPKslEEPiiNS8_6detail34convert_binary_result_type_wrapperINS8_3SumESH_iEEEE10hipError_tPvRmT1_T2_T3_mT4_P12ihipStream_tbEUlT_E0_NS1_11comp_targetILNS1_3genE10ELNS1_11target_archE1201ELNS1_3gpuE5ELNS1_3repE0EEENS1_30default_config_static_selectorELNS0_4arch9wavefront6targetE0EEEvSQ_
                                        ; -- End function
	.section	.AMDGPU.csdata,"",@progbits
; Kernel info:
; codeLenInByte = 0
; NumSgprs: 0
; NumVgprs: 0
; ScratchSize: 0
; MemoryBound: 0
; FloatMode: 240
; IeeeMode: 1
; LDSByteSize: 0 bytes/workgroup (compile time only)
; SGPRBlocks: 0
; VGPRBlocks: 0
; NumSGPRsForWavesPerEU: 1
; NumVGPRsForWavesPerEU: 1
; Occupancy: 16
; WaveLimiterHint : 0
; COMPUTE_PGM_RSRC2:SCRATCH_EN: 0
; COMPUTE_PGM_RSRC2:USER_SGPR: 15
; COMPUTE_PGM_RSRC2:TRAP_HANDLER: 0
; COMPUTE_PGM_RSRC2:TGID_X_EN: 1
; COMPUTE_PGM_RSRC2:TGID_Y_EN: 0
; COMPUTE_PGM_RSRC2:TGID_Z_EN: 0
; COMPUTE_PGM_RSRC2:TIDIG_COMP_CNT: 0
	.section	.text._ZN7rocprim17ROCPRIM_400000_NS6detail17trampoline_kernelINS0_14default_configENS1_22reduce_config_selectorIbEEZNS1_11reduce_implILb1ES3_N6hipcub16HIPCUB_304000_NS22TransformInputIteratorIbN2at6native12_GLOBAL__N_19NonZeroOpIsEEPKslEEPiiNS8_6detail34convert_binary_result_type_wrapperINS8_3SumESH_iEEEE10hipError_tPvRmT1_T2_T3_mT4_P12ihipStream_tbEUlT_E0_NS1_11comp_targetILNS1_3genE10ELNS1_11target_archE1200ELNS1_3gpuE4ELNS1_3repE0EEENS1_30default_config_static_selectorELNS0_4arch9wavefront6targetE0EEEvSQ_,"axG",@progbits,_ZN7rocprim17ROCPRIM_400000_NS6detail17trampoline_kernelINS0_14default_configENS1_22reduce_config_selectorIbEEZNS1_11reduce_implILb1ES3_N6hipcub16HIPCUB_304000_NS22TransformInputIteratorIbN2at6native12_GLOBAL__N_19NonZeroOpIsEEPKslEEPiiNS8_6detail34convert_binary_result_type_wrapperINS8_3SumESH_iEEEE10hipError_tPvRmT1_T2_T3_mT4_P12ihipStream_tbEUlT_E0_NS1_11comp_targetILNS1_3genE10ELNS1_11target_archE1200ELNS1_3gpuE4ELNS1_3repE0EEENS1_30default_config_static_selectorELNS0_4arch9wavefront6targetE0EEEvSQ_,comdat
	.globl	_ZN7rocprim17ROCPRIM_400000_NS6detail17trampoline_kernelINS0_14default_configENS1_22reduce_config_selectorIbEEZNS1_11reduce_implILb1ES3_N6hipcub16HIPCUB_304000_NS22TransformInputIteratorIbN2at6native12_GLOBAL__N_19NonZeroOpIsEEPKslEEPiiNS8_6detail34convert_binary_result_type_wrapperINS8_3SumESH_iEEEE10hipError_tPvRmT1_T2_T3_mT4_P12ihipStream_tbEUlT_E0_NS1_11comp_targetILNS1_3genE10ELNS1_11target_archE1200ELNS1_3gpuE4ELNS1_3repE0EEENS1_30default_config_static_selectorELNS0_4arch9wavefront6targetE0EEEvSQ_ ; -- Begin function _ZN7rocprim17ROCPRIM_400000_NS6detail17trampoline_kernelINS0_14default_configENS1_22reduce_config_selectorIbEEZNS1_11reduce_implILb1ES3_N6hipcub16HIPCUB_304000_NS22TransformInputIteratorIbN2at6native12_GLOBAL__N_19NonZeroOpIsEEPKslEEPiiNS8_6detail34convert_binary_result_type_wrapperINS8_3SumESH_iEEEE10hipError_tPvRmT1_T2_T3_mT4_P12ihipStream_tbEUlT_E0_NS1_11comp_targetILNS1_3genE10ELNS1_11target_archE1200ELNS1_3gpuE4ELNS1_3repE0EEENS1_30default_config_static_selectorELNS0_4arch9wavefront6targetE0EEEvSQ_
	.p2align	8
	.type	_ZN7rocprim17ROCPRIM_400000_NS6detail17trampoline_kernelINS0_14default_configENS1_22reduce_config_selectorIbEEZNS1_11reduce_implILb1ES3_N6hipcub16HIPCUB_304000_NS22TransformInputIteratorIbN2at6native12_GLOBAL__N_19NonZeroOpIsEEPKslEEPiiNS8_6detail34convert_binary_result_type_wrapperINS8_3SumESH_iEEEE10hipError_tPvRmT1_T2_T3_mT4_P12ihipStream_tbEUlT_E0_NS1_11comp_targetILNS1_3genE10ELNS1_11target_archE1200ELNS1_3gpuE4ELNS1_3repE0EEENS1_30default_config_static_selectorELNS0_4arch9wavefront6targetE0EEEvSQ_,@function
_ZN7rocprim17ROCPRIM_400000_NS6detail17trampoline_kernelINS0_14default_configENS1_22reduce_config_selectorIbEEZNS1_11reduce_implILb1ES3_N6hipcub16HIPCUB_304000_NS22TransformInputIteratorIbN2at6native12_GLOBAL__N_19NonZeroOpIsEEPKslEEPiiNS8_6detail34convert_binary_result_type_wrapperINS8_3SumESH_iEEEE10hipError_tPvRmT1_T2_T3_mT4_P12ihipStream_tbEUlT_E0_NS1_11comp_targetILNS1_3genE10ELNS1_11target_archE1200ELNS1_3gpuE4ELNS1_3repE0EEENS1_30default_config_static_selectorELNS0_4arch9wavefront6targetE0EEEvSQ_: ; @_ZN7rocprim17ROCPRIM_400000_NS6detail17trampoline_kernelINS0_14default_configENS1_22reduce_config_selectorIbEEZNS1_11reduce_implILb1ES3_N6hipcub16HIPCUB_304000_NS22TransformInputIteratorIbN2at6native12_GLOBAL__N_19NonZeroOpIsEEPKslEEPiiNS8_6detail34convert_binary_result_type_wrapperINS8_3SumESH_iEEEE10hipError_tPvRmT1_T2_T3_mT4_P12ihipStream_tbEUlT_E0_NS1_11comp_targetILNS1_3genE10ELNS1_11target_archE1200ELNS1_3gpuE4ELNS1_3repE0EEENS1_30default_config_static_selectorELNS0_4arch9wavefront6targetE0EEEvSQ_
; %bb.0:
	.section	.rodata,"a",@progbits
	.p2align	6, 0x0
	.amdhsa_kernel _ZN7rocprim17ROCPRIM_400000_NS6detail17trampoline_kernelINS0_14default_configENS1_22reduce_config_selectorIbEEZNS1_11reduce_implILb1ES3_N6hipcub16HIPCUB_304000_NS22TransformInputIteratorIbN2at6native12_GLOBAL__N_19NonZeroOpIsEEPKslEEPiiNS8_6detail34convert_binary_result_type_wrapperINS8_3SumESH_iEEEE10hipError_tPvRmT1_T2_T3_mT4_P12ihipStream_tbEUlT_E0_NS1_11comp_targetILNS1_3genE10ELNS1_11target_archE1200ELNS1_3gpuE4ELNS1_3repE0EEENS1_30default_config_static_selectorELNS0_4arch9wavefront6targetE0EEEvSQ_
		.amdhsa_group_segment_fixed_size 0
		.amdhsa_private_segment_fixed_size 0
		.amdhsa_kernarg_size 64
		.amdhsa_user_sgpr_count 15
		.amdhsa_user_sgpr_dispatch_ptr 0
		.amdhsa_user_sgpr_queue_ptr 0
		.amdhsa_user_sgpr_kernarg_segment_ptr 1
		.amdhsa_user_sgpr_dispatch_id 0
		.amdhsa_user_sgpr_private_segment_size 0
		.amdhsa_wavefront_size32 1
		.amdhsa_uses_dynamic_stack 0
		.amdhsa_enable_private_segment 0
		.amdhsa_system_sgpr_workgroup_id_x 1
		.amdhsa_system_sgpr_workgroup_id_y 0
		.amdhsa_system_sgpr_workgroup_id_z 0
		.amdhsa_system_sgpr_workgroup_info 0
		.amdhsa_system_vgpr_workitem_id 0
		.amdhsa_next_free_vgpr 1
		.amdhsa_next_free_sgpr 1
		.amdhsa_reserve_vcc 0
		.amdhsa_float_round_mode_32 0
		.amdhsa_float_round_mode_16_64 0
		.amdhsa_float_denorm_mode_32 3
		.amdhsa_float_denorm_mode_16_64 3
		.amdhsa_dx10_clamp 1
		.amdhsa_ieee_mode 1
		.amdhsa_fp16_overflow 0
		.amdhsa_workgroup_processor_mode 1
		.amdhsa_memory_ordered 1
		.amdhsa_forward_progress 0
		.amdhsa_shared_vgpr_count 0
		.amdhsa_exception_fp_ieee_invalid_op 0
		.amdhsa_exception_fp_denorm_src 0
		.amdhsa_exception_fp_ieee_div_zero 0
		.amdhsa_exception_fp_ieee_overflow 0
		.amdhsa_exception_fp_ieee_underflow 0
		.amdhsa_exception_fp_ieee_inexact 0
		.amdhsa_exception_int_div_zero 0
	.end_amdhsa_kernel
	.section	.text._ZN7rocprim17ROCPRIM_400000_NS6detail17trampoline_kernelINS0_14default_configENS1_22reduce_config_selectorIbEEZNS1_11reduce_implILb1ES3_N6hipcub16HIPCUB_304000_NS22TransformInputIteratorIbN2at6native12_GLOBAL__N_19NonZeroOpIsEEPKslEEPiiNS8_6detail34convert_binary_result_type_wrapperINS8_3SumESH_iEEEE10hipError_tPvRmT1_T2_T3_mT4_P12ihipStream_tbEUlT_E0_NS1_11comp_targetILNS1_3genE10ELNS1_11target_archE1200ELNS1_3gpuE4ELNS1_3repE0EEENS1_30default_config_static_selectorELNS0_4arch9wavefront6targetE0EEEvSQ_,"axG",@progbits,_ZN7rocprim17ROCPRIM_400000_NS6detail17trampoline_kernelINS0_14default_configENS1_22reduce_config_selectorIbEEZNS1_11reduce_implILb1ES3_N6hipcub16HIPCUB_304000_NS22TransformInputIteratorIbN2at6native12_GLOBAL__N_19NonZeroOpIsEEPKslEEPiiNS8_6detail34convert_binary_result_type_wrapperINS8_3SumESH_iEEEE10hipError_tPvRmT1_T2_T3_mT4_P12ihipStream_tbEUlT_E0_NS1_11comp_targetILNS1_3genE10ELNS1_11target_archE1200ELNS1_3gpuE4ELNS1_3repE0EEENS1_30default_config_static_selectorELNS0_4arch9wavefront6targetE0EEEvSQ_,comdat
.Lfunc_end310:
	.size	_ZN7rocprim17ROCPRIM_400000_NS6detail17trampoline_kernelINS0_14default_configENS1_22reduce_config_selectorIbEEZNS1_11reduce_implILb1ES3_N6hipcub16HIPCUB_304000_NS22TransformInputIteratorIbN2at6native12_GLOBAL__N_19NonZeroOpIsEEPKslEEPiiNS8_6detail34convert_binary_result_type_wrapperINS8_3SumESH_iEEEE10hipError_tPvRmT1_T2_T3_mT4_P12ihipStream_tbEUlT_E0_NS1_11comp_targetILNS1_3genE10ELNS1_11target_archE1200ELNS1_3gpuE4ELNS1_3repE0EEENS1_30default_config_static_selectorELNS0_4arch9wavefront6targetE0EEEvSQ_, .Lfunc_end310-_ZN7rocprim17ROCPRIM_400000_NS6detail17trampoline_kernelINS0_14default_configENS1_22reduce_config_selectorIbEEZNS1_11reduce_implILb1ES3_N6hipcub16HIPCUB_304000_NS22TransformInputIteratorIbN2at6native12_GLOBAL__N_19NonZeroOpIsEEPKslEEPiiNS8_6detail34convert_binary_result_type_wrapperINS8_3SumESH_iEEEE10hipError_tPvRmT1_T2_T3_mT4_P12ihipStream_tbEUlT_E0_NS1_11comp_targetILNS1_3genE10ELNS1_11target_archE1200ELNS1_3gpuE4ELNS1_3repE0EEENS1_30default_config_static_selectorELNS0_4arch9wavefront6targetE0EEEvSQ_
                                        ; -- End function
	.section	.AMDGPU.csdata,"",@progbits
; Kernel info:
; codeLenInByte = 0
; NumSgprs: 0
; NumVgprs: 0
; ScratchSize: 0
; MemoryBound: 0
; FloatMode: 240
; IeeeMode: 1
; LDSByteSize: 0 bytes/workgroup (compile time only)
; SGPRBlocks: 0
; VGPRBlocks: 0
; NumSGPRsForWavesPerEU: 1
; NumVGPRsForWavesPerEU: 1
; Occupancy: 16
; WaveLimiterHint : 0
; COMPUTE_PGM_RSRC2:SCRATCH_EN: 0
; COMPUTE_PGM_RSRC2:USER_SGPR: 15
; COMPUTE_PGM_RSRC2:TRAP_HANDLER: 0
; COMPUTE_PGM_RSRC2:TGID_X_EN: 1
; COMPUTE_PGM_RSRC2:TGID_Y_EN: 0
; COMPUTE_PGM_RSRC2:TGID_Z_EN: 0
; COMPUTE_PGM_RSRC2:TIDIG_COMP_CNT: 0
	.section	.text._ZN7rocprim17ROCPRIM_400000_NS6detail17trampoline_kernelINS0_14default_configENS1_22reduce_config_selectorIbEEZNS1_11reduce_implILb1ES3_N6hipcub16HIPCUB_304000_NS22TransformInputIteratorIbN2at6native12_GLOBAL__N_19NonZeroOpIsEEPKslEEPiiNS8_6detail34convert_binary_result_type_wrapperINS8_3SumESH_iEEEE10hipError_tPvRmT1_T2_T3_mT4_P12ihipStream_tbEUlT_E0_NS1_11comp_targetILNS1_3genE9ELNS1_11target_archE1100ELNS1_3gpuE3ELNS1_3repE0EEENS1_30default_config_static_selectorELNS0_4arch9wavefront6targetE0EEEvSQ_,"axG",@progbits,_ZN7rocprim17ROCPRIM_400000_NS6detail17trampoline_kernelINS0_14default_configENS1_22reduce_config_selectorIbEEZNS1_11reduce_implILb1ES3_N6hipcub16HIPCUB_304000_NS22TransformInputIteratorIbN2at6native12_GLOBAL__N_19NonZeroOpIsEEPKslEEPiiNS8_6detail34convert_binary_result_type_wrapperINS8_3SumESH_iEEEE10hipError_tPvRmT1_T2_T3_mT4_P12ihipStream_tbEUlT_E0_NS1_11comp_targetILNS1_3genE9ELNS1_11target_archE1100ELNS1_3gpuE3ELNS1_3repE0EEENS1_30default_config_static_selectorELNS0_4arch9wavefront6targetE0EEEvSQ_,comdat
	.globl	_ZN7rocprim17ROCPRIM_400000_NS6detail17trampoline_kernelINS0_14default_configENS1_22reduce_config_selectorIbEEZNS1_11reduce_implILb1ES3_N6hipcub16HIPCUB_304000_NS22TransformInputIteratorIbN2at6native12_GLOBAL__N_19NonZeroOpIsEEPKslEEPiiNS8_6detail34convert_binary_result_type_wrapperINS8_3SumESH_iEEEE10hipError_tPvRmT1_T2_T3_mT4_P12ihipStream_tbEUlT_E0_NS1_11comp_targetILNS1_3genE9ELNS1_11target_archE1100ELNS1_3gpuE3ELNS1_3repE0EEENS1_30default_config_static_selectorELNS0_4arch9wavefront6targetE0EEEvSQ_ ; -- Begin function _ZN7rocprim17ROCPRIM_400000_NS6detail17trampoline_kernelINS0_14default_configENS1_22reduce_config_selectorIbEEZNS1_11reduce_implILb1ES3_N6hipcub16HIPCUB_304000_NS22TransformInputIteratorIbN2at6native12_GLOBAL__N_19NonZeroOpIsEEPKslEEPiiNS8_6detail34convert_binary_result_type_wrapperINS8_3SumESH_iEEEE10hipError_tPvRmT1_T2_T3_mT4_P12ihipStream_tbEUlT_E0_NS1_11comp_targetILNS1_3genE9ELNS1_11target_archE1100ELNS1_3gpuE3ELNS1_3repE0EEENS1_30default_config_static_selectorELNS0_4arch9wavefront6targetE0EEEvSQ_
	.p2align	8
	.type	_ZN7rocprim17ROCPRIM_400000_NS6detail17trampoline_kernelINS0_14default_configENS1_22reduce_config_selectorIbEEZNS1_11reduce_implILb1ES3_N6hipcub16HIPCUB_304000_NS22TransformInputIteratorIbN2at6native12_GLOBAL__N_19NonZeroOpIsEEPKslEEPiiNS8_6detail34convert_binary_result_type_wrapperINS8_3SumESH_iEEEE10hipError_tPvRmT1_T2_T3_mT4_P12ihipStream_tbEUlT_E0_NS1_11comp_targetILNS1_3genE9ELNS1_11target_archE1100ELNS1_3gpuE3ELNS1_3repE0EEENS1_30default_config_static_selectorELNS0_4arch9wavefront6targetE0EEEvSQ_,@function
_ZN7rocprim17ROCPRIM_400000_NS6detail17trampoline_kernelINS0_14default_configENS1_22reduce_config_selectorIbEEZNS1_11reduce_implILb1ES3_N6hipcub16HIPCUB_304000_NS22TransformInputIteratorIbN2at6native12_GLOBAL__N_19NonZeroOpIsEEPKslEEPiiNS8_6detail34convert_binary_result_type_wrapperINS8_3SumESH_iEEEE10hipError_tPvRmT1_T2_T3_mT4_P12ihipStream_tbEUlT_E0_NS1_11comp_targetILNS1_3genE9ELNS1_11target_archE1100ELNS1_3gpuE3ELNS1_3repE0EEENS1_30default_config_static_selectorELNS0_4arch9wavefront6targetE0EEEvSQ_: ; @_ZN7rocprim17ROCPRIM_400000_NS6detail17trampoline_kernelINS0_14default_configENS1_22reduce_config_selectorIbEEZNS1_11reduce_implILb1ES3_N6hipcub16HIPCUB_304000_NS22TransformInputIteratorIbN2at6native12_GLOBAL__N_19NonZeroOpIsEEPKslEEPiiNS8_6detail34convert_binary_result_type_wrapperINS8_3SumESH_iEEEE10hipError_tPvRmT1_T2_T3_mT4_P12ihipStream_tbEUlT_E0_NS1_11comp_targetILNS1_3genE9ELNS1_11target_archE1100ELNS1_3gpuE3ELNS1_3repE0EEENS1_30default_config_static_selectorELNS0_4arch9wavefront6targetE0EEEvSQ_
; %bb.0:
	s_clause 0x2
	s_load_b256 s[16:23], s[0:1], 0x10
	s_load_b64 s[4:5], s[0:1], 0x0
	s_load_b64 s[26:27], s[0:1], 0x30
	s_mov_b32 s3, 0
	v_lshlrev_b32_e32 v18, 1, v0
	v_mbcnt_lo_u32_b32 v17, -1, 0
	s_mov_b32 s24, s15
	s_mov_b32 s25, s3
	s_waitcnt lgkmcnt(0)
	s_lshl_b64 s[6:7], s[16:17], 1
	s_delay_alu instid0(SALU_CYCLE_1) | instskip(SKIP_4) | instid1(SALU_CYCLE_1)
	s_add_u32 s8, s4, s6
	s_addc_u32 s9, s5, s7
	s_lshl_b32 s2, s15, 11
	s_lshr_b64 s[6:7], s[18:19], 11
	s_lshl_b64 s[4:5], s[2:3], 1
	s_add_u32 s16, s8, s4
	s_addc_u32 s17, s9, s5
	s_cmp_lg_u64 s[6:7], s[24:25]
	s_cbranch_scc0 .LBB311_6
; %bb.1:
	s_clause 0xf
	global_load_u16 v1, v18, s[16:17]
	global_load_u16 v2, v18, s[16:17] offset:512
	global_load_u16 v3, v18, s[16:17] offset:256
	;; [unrolled: 1-line block ×15, first 2 shown]
	s_mov_b32 s3, exec_lo
	s_waitcnt vmcnt(15)
	v_cmp_ne_u16_e32 vcc_lo, 0, v1
	v_cndmask_b32_e64 v1, 0, 1, vcc_lo
	s_waitcnt vmcnt(14)
	v_cmp_ne_u16_e32 vcc_lo, 0, v2
	v_cndmask_b32_e64 v2, 0, 1, vcc_lo
	s_waitcnt vmcnt(13)
	v_cmp_ne_u16_e32 vcc_lo, 0, v3
	v_add_co_ci_u32_e32 v1, vcc_lo, 0, v1, vcc_lo
	s_waitcnt vmcnt(12)
	v_cmp_ne_u16_e32 vcc_lo, 0, v4
	v_cndmask_b32_e64 v3, 0, 1, vcc_lo
	s_waitcnt vmcnt(11)
	v_cmp_ne_u16_e32 vcc_lo, 0, v5
	v_add_co_ci_u32_e32 v1, vcc_lo, v1, v2, vcc_lo
	;; [unrolled: 6-line block ×7, first 2 shown]
	s_waitcnt vmcnt(0)
	v_cmp_ne_u16_e32 vcc_lo, 0, v16
	s_delay_alu instid0(VALU_DEP_2) | instskip(NEXT) | instid1(VALU_DEP_1)
	v_add_co_ci_u32_e32 v1, vcc_lo, v1, v2, vcc_lo
	v_mov_b32_dpp v2, v1 quad_perm:[1,0,3,2] row_mask:0xf bank_mask:0xf
	s_delay_alu instid0(VALU_DEP_1) | instskip(NEXT) | instid1(VALU_DEP_1)
	v_add_nc_u32_e32 v1, v1, v2
	v_mov_b32_dpp v2, v1 quad_perm:[2,3,0,1] row_mask:0xf bank_mask:0xf
	s_delay_alu instid0(VALU_DEP_1) | instskip(NEXT) | instid1(VALU_DEP_1)
	v_add_nc_u32_e32 v1, v1, v2
	v_mov_b32_dpp v2, v1 row_ror:4 row_mask:0xf bank_mask:0xf
	s_delay_alu instid0(VALU_DEP_1) | instskip(NEXT) | instid1(VALU_DEP_1)
	v_add_nc_u32_e32 v1, v1, v2
	v_mov_b32_dpp v2, v1 row_ror:8 row_mask:0xf bank_mask:0xf
	s_delay_alu instid0(VALU_DEP_1)
	v_add_nc_u32_e32 v1, v1, v2
	ds_swizzle_b32 v2, v1 offset:swizzle(BROADCAST,32,15)
	s_waitcnt lgkmcnt(0)
	v_dual_mov_b32 v2, 0 :: v_dual_add_nc_u32 v1, v1, v2
	ds_bpermute_b32 v1, v2, v1 offset:124
	v_cmpx_eq_u32_e32 0, v17
	s_cbranch_execz .LBB311_3
; %bb.2:
	v_lshrrev_b32_e32 v2, 3, v0
	s_delay_alu instid0(VALU_DEP_1)
	v_and_b32_e32 v2, 12, v2
	s_waitcnt lgkmcnt(0)
	ds_store_b32 v2, v1
.LBB311_3:
	s_or_b32 exec_lo, exec_lo, s3
	s_delay_alu instid0(SALU_CYCLE_1)
	s_mov_b32 s3, exec_lo
	s_waitcnt lgkmcnt(0)
	s_barrier
	buffer_gl0_inv
	v_cmpx_gt_u32_e32 32, v0
	s_cbranch_execz .LBB311_5
; %bb.4:
	v_and_b32_e32 v1, 3, v17
	s_delay_alu instid0(VALU_DEP_1) | instskip(SKIP_4) | instid1(VALU_DEP_2)
	v_lshlrev_b32_e32 v2, 2, v1
	v_cmp_ne_u32_e32 vcc_lo, 3, v1
	ds_load_b32 v2, v2
	v_add_co_ci_u32_e32 v3, vcc_lo, 0, v17, vcc_lo
	v_cmp_gt_u32_e32 vcc_lo, 2, v1
	v_lshlrev_b32_e32 v3, 2, v3
	v_cndmask_b32_e64 v1, 0, 1, vcc_lo
	s_delay_alu instid0(VALU_DEP_1) | instskip(NEXT) | instid1(VALU_DEP_1)
	v_lshlrev_b32_e32 v1, 1, v1
	v_add_lshl_u32 v1, v1, v17, 2
	s_waitcnt lgkmcnt(0)
	ds_bpermute_b32 v3, v3, v2
	s_waitcnt lgkmcnt(0)
	v_add_nc_u32_e32 v2, v3, v2
	ds_bpermute_b32 v1, v1, v2
	s_waitcnt lgkmcnt(0)
	v_add_nc_u32_e32 v1, v1, v2
.LBB311_5:
	s_or_b32 exec_lo, exec_lo, s3
	s_branch .LBB311_44
.LBB311_6:
                                        ; implicit-def: $vgpr1
	s_cbranch_execz .LBB311_44
; %bb.7:
	s_sub_i32 s28, s18, s2
	s_mov_b32 s2, exec_lo
                                        ; implicit-def: $vgpr1_vgpr2_vgpr3_vgpr4_vgpr5_vgpr6_vgpr7_vgpr8_vgpr9_vgpr10_vgpr11_vgpr12_vgpr13_vgpr14_vgpr15_vgpr16
	v_cmpx_gt_u32_e64 s28, v0
	s_cbranch_execz .LBB311_9
; %bb.8:
	global_load_u16 v1, v18, s[16:17]
	s_waitcnt vmcnt(0)
	v_cmp_ne_u16_e32 vcc_lo, 0, v1
	v_cndmask_b32_e64 v1, 0, 1, vcc_lo
.LBB311_9:
	s_or_b32 exec_lo, exec_lo, s2
	v_or_b32_e32 v19, 0x80, v0
	s_delay_alu instid0(VALU_DEP_1)
	v_cmp_gt_u32_e32 vcc_lo, s28, v19
	s_and_saveexec_b32 s3, vcc_lo
	s_cbranch_execz .LBB311_11
; %bb.10:
	global_load_u16 v2, v18, s[16:17] offset:256
	s_waitcnt vmcnt(0)
	v_cmp_ne_u16_e64 s2, 0, v2
	s_delay_alu instid0(VALU_DEP_1)
	v_cndmask_b32_e64 v2, 0, 1, s2
.LBB311_11:
	s_or_b32 exec_lo, exec_lo, s3
	v_or_b32_e32 v19, 0x100, v0
	s_delay_alu instid0(VALU_DEP_1) | instskip(NEXT) | instid1(VALU_DEP_1)
	v_cmp_gt_u32_e64 s2, s28, v19
	s_and_saveexec_b32 s4, s2
	s_cbranch_execz .LBB311_13
; %bb.12:
	global_load_u16 v3, v18, s[16:17] offset:512
	s_waitcnt vmcnt(0)
	v_cmp_ne_u16_e64 s3, 0, v3
	s_delay_alu instid0(VALU_DEP_1)
	v_cndmask_b32_e64 v3, 0, 1, s3
.LBB311_13:
	s_or_b32 exec_lo, exec_lo, s4
	v_or_b32_e32 v19, 0x180, v0
	s_delay_alu instid0(VALU_DEP_1) | instskip(NEXT) | instid1(VALU_DEP_1)
	v_cmp_gt_u32_e64 s3, s28, v19
	s_and_saveexec_b32 s5, s3
	;; [unrolled: 13-line block ×14, first 2 shown]
	s_cbranch_execz .LBB311_39
; %bb.38:
	global_load_u16 v16, v18, s[16:17] offset:3840
	s_waitcnt vmcnt(0)
	v_cmp_ne_u16_e64 s16, 0, v16
	s_delay_alu instid0(VALU_DEP_1)
	v_cndmask_b32_e64 v16, 0, 1, s16
.LBB311_39:
	s_or_b32 exec_lo, exec_lo, s29
	v_cndmask_b32_e32 v2, 0, v2, vcc_lo
	v_cndmask_b32_e64 v3, 0, v3, s2
	v_cndmask_b32_e64 v4, 0, v4, s3
	v_cmp_ne_u32_e32 vcc_lo, 31, v17
	s_min_u32 s2, s28, 0x80
	v_add_nc_u32_e32 v1, v2, v1
	v_cndmask_b32_e64 v2, 0, v5, s4
	v_cndmask_b32_e64 v5, 0, v6, s5
	;; [unrolled: 1-line block ×3, first 2 shown]
	s_mov_b32 s3, exec_lo
	v_add3_u32 v1, v1, v3, v4
	v_cndmask_b32_e64 v3, 0, v7, s6
	v_cndmask_b32_e64 v4, 0, v8, s7
	s_delay_alu instid0(VALU_DEP_3) | instskip(SKIP_2) | instid1(VALU_DEP_3)
	v_add3_u32 v1, v1, v2, v5
	v_cndmask_b32_e64 v2, 0, v9, s8
	v_cndmask_b32_e64 v5, 0, v10, s9
	v_add3_u32 v1, v1, v3, v4
	v_cndmask_b32_e64 v3, 0, v11, s10
	v_cndmask_b32_e64 v4, 0, v12, s11
	s_delay_alu instid0(VALU_DEP_3) | instskip(SKIP_2) | instid1(VALU_DEP_3)
	v_add3_u32 v1, v1, v2, v5
	v_cndmask_b32_e64 v2, 0, v13, s12
	v_cndmask_b32_e64 v5, 0, v14, s13
	v_add3_u32 v1, v1, v3, v4
	v_cndmask_b32_e64 v3, 0, v16, s15
	v_add_co_ci_u32_e32 v4, vcc_lo, 0, v17, vcc_lo
	v_cmp_gt_u32_e32 vcc_lo, 30, v17
	s_delay_alu instid0(VALU_DEP_4) | instskip(NEXT) | instid1(VALU_DEP_3)
	v_add3_u32 v1, v1, v2, v5
	v_lshlrev_b32_e32 v2, 2, v4
	v_add_nc_u32_e32 v4, 1, v17
	v_cndmask_b32_e64 v5, 0, 1, vcc_lo
	s_delay_alu instid0(VALU_DEP_4) | instskip(SKIP_1) | instid1(VALU_DEP_3)
	v_add3_u32 v1, v1, v6, v3
	v_and_b32_e32 v3, 0x60, v0
	v_lshlrev_b32_e32 v5, 1, v5
	ds_bpermute_b32 v2, v2, v1
	v_sub_nc_u32_e64 v3, s2, v3 clamp
	s_delay_alu instid0(VALU_DEP_1) | instskip(SKIP_4) | instid1(VALU_DEP_2)
	v_cmp_lt_u32_e32 vcc_lo, v4, v3
	v_add_lshl_u32 v4, v5, v17, 2
	s_waitcnt lgkmcnt(0)
	v_dual_cndmask_b32 v2, 0, v2 :: v_dual_add_nc_u32 v5, 2, v17
	v_cmp_gt_u32_e32 vcc_lo, 28, v17
	v_add_nc_u32_e32 v1, v1, v2
	ds_bpermute_b32 v2, v4, v1
	v_cndmask_b32_e64 v4, 0, 1, vcc_lo
	v_cmp_lt_u32_e32 vcc_lo, v5, v3
	v_add_nc_u32_e32 v5, 4, v17
	s_delay_alu instid0(VALU_DEP_3) | instskip(NEXT) | instid1(VALU_DEP_1)
	v_lshlrev_b32_e32 v4, 2, v4
	v_add_lshl_u32 v4, v4, v17, 2
	s_waitcnt lgkmcnt(0)
	v_cndmask_b32_e32 v2, 0, v2, vcc_lo
	v_cmp_gt_u32_e32 vcc_lo, 24, v17
	s_delay_alu instid0(VALU_DEP_2) | instskip(SKIP_4) | instid1(VALU_DEP_3)
	v_add_nc_u32_e32 v1, v1, v2
	ds_bpermute_b32 v2, v4, v1
	v_cndmask_b32_e64 v4, 0, 1, vcc_lo
	v_cmp_lt_u32_e32 vcc_lo, v5, v3
	v_add_nc_u32_e32 v5, 8, v17
	v_lshlrev_b32_e32 v4, 3, v4
	s_delay_alu instid0(VALU_DEP_1) | instskip(SKIP_3) | instid1(VALU_DEP_2)
	v_add_lshl_u32 v4, v4, v17, 2
	s_waitcnt lgkmcnt(0)
	v_cndmask_b32_e32 v2, 0, v2, vcc_lo
	v_cmp_gt_u32_e32 vcc_lo, 16, v17
	v_add_nc_u32_e32 v1, v1, v2
	ds_bpermute_b32 v2, v4, v1
	v_cndmask_b32_e64 v4, 0, 1, vcc_lo
	v_cmp_lt_u32_e32 vcc_lo, v5, v3
	s_delay_alu instid0(VALU_DEP_2) | instskip(NEXT) | instid1(VALU_DEP_1)
	v_lshlrev_b32_e32 v4, 4, v4
	v_add_lshl_u32 v4, v4, v17, 2
	s_waitcnt lgkmcnt(0)
	v_cndmask_b32_e32 v2, 0, v2, vcc_lo
	s_delay_alu instid0(VALU_DEP_1) | instskip(SKIP_2) | instid1(VALU_DEP_1)
	v_add_nc_u32_e32 v1, v1, v2
	ds_bpermute_b32 v2, v4, v1
	v_add_nc_u32_e32 v4, 16, v17
	v_cmp_lt_u32_e32 vcc_lo, v4, v3
	s_waitcnt lgkmcnt(0)
	v_cndmask_b32_e32 v2, 0, v2, vcc_lo
	s_delay_alu instid0(VALU_DEP_1)
	v_add_nc_u32_e32 v1, v1, v2
	v_cmpx_eq_u32_e32 0, v17
	s_cbranch_execz .LBB311_41
; %bb.40:
	v_lshrrev_b32_e32 v2, 3, v0
	s_delay_alu instid0(VALU_DEP_1)
	v_and_b32_e32 v2, 12, v2
	ds_store_b32 v2, v1 offset:16
.LBB311_41:
	s_or_b32 exec_lo, exec_lo, s3
	s_delay_alu instid0(SALU_CYCLE_1)
	s_mov_b32 s3, exec_lo
	s_waitcnt lgkmcnt(0)
	s_barrier
	buffer_gl0_inv
	v_cmpx_gt_u32_e32 4, v0
	s_cbranch_execz .LBB311_43
; %bb.42:
	v_lshlrev_b32_e32 v1, 2, v17
	v_and_b32_e32 v2, 3, v17
	s_add_i32 s2, s2, 31
	s_delay_alu instid0(SALU_CYCLE_1)
	s_lshr_b32 s2, s2, 5
	ds_load_b32 v1, v1 offset:16
	v_cmp_ne_u32_e32 vcc_lo, 3, v2
	v_add_nc_u32_e32 v4, 1, v2
	v_add_co_ci_u32_e32 v3, vcc_lo, 0, v17, vcc_lo
	v_cmp_gt_u32_e32 vcc_lo, 2, v2
	s_delay_alu instid0(VALU_DEP_2) | instskip(SKIP_2) | instid1(VALU_DEP_2)
	v_lshlrev_b32_e32 v3, 2, v3
	v_cndmask_b32_e64 v5, 0, 1, vcc_lo
	v_cmp_gt_u32_e32 vcc_lo, s2, v4
	v_lshlrev_b32_e32 v4, 1, v5
	s_waitcnt lgkmcnt(0)
	ds_bpermute_b32 v3, v3, v1
	s_waitcnt lgkmcnt(0)
	v_dual_cndmask_b32 v3, 0, v3 :: v_dual_add_nc_u32 v2, 2, v2
	s_delay_alu instid0(VALU_DEP_1) | instskip(SKIP_1) | instid1(VALU_DEP_3)
	v_add_nc_u32_e32 v1, v3, v1
	v_add_lshl_u32 v3, v4, v17, 2
	v_cmp_gt_u32_e32 vcc_lo, s2, v2
	ds_bpermute_b32 v3, v3, v1
	s_waitcnt lgkmcnt(0)
	v_cndmask_b32_e32 v2, 0, v3, vcc_lo
	s_delay_alu instid0(VALU_DEP_1)
	v_add_nc_u32_e32 v1, v1, v2
.LBB311_43:
	s_or_b32 exec_lo, exec_lo, s3
.LBB311_44:
	s_load_b32 s0, s[0:1], 0x38
	s_mov_b32 s1, exec_lo
	v_cmpx_eq_u32_e32 0, v0
	s_cbranch_execz .LBB311_46
; %bb.45:
	s_mul_i32 s1, s26, s23
	s_mul_hi_u32 s2, s26, s22
	s_mul_i32 s3, s27, s22
	s_add_i32 s1, s2, s1
	s_mul_i32 s2, s26, s22
	s_add_i32 s3, s1, s3
	s_delay_alu instid0(SALU_CYCLE_1) | instskip(NEXT) | instid1(SALU_CYCLE_1)
	s_lshl_b64 s[2:3], s[2:3], 2
	s_add_u32 s2, s20, s2
	s_addc_u32 s3, s21, s3
	s_cmp_eq_u64 s[18:19], 0
	s_cselect_b32 s1, -1, 0
	s_waitcnt lgkmcnt(0)
	v_cndmask_b32_e64 v0, v1, s0, s1
	s_lshl_b64 s[0:1], s[24:25], 2
	v_mov_b32_e32 v1, 0
	s_add_u32 s0, s2, s0
	s_addc_u32 s1, s3, s1
	global_store_b32 v1, v0, s[0:1]
.LBB311_46:
	s_nop 0
	s_sendmsg sendmsg(MSG_DEALLOC_VGPRS)
	s_endpgm
	.section	.rodata,"a",@progbits
	.p2align	6, 0x0
	.amdhsa_kernel _ZN7rocprim17ROCPRIM_400000_NS6detail17trampoline_kernelINS0_14default_configENS1_22reduce_config_selectorIbEEZNS1_11reduce_implILb1ES3_N6hipcub16HIPCUB_304000_NS22TransformInputIteratorIbN2at6native12_GLOBAL__N_19NonZeroOpIsEEPKslEEPiiNS8_6detail34convert_binary_result_type_wrapperINS8_3SumESH_iEEEE10hipError_tPvRmT1_T2_T3_mT4_P12ihipStream_tbEUlT_E0_NS1_11comp_targetILNS1_3genE9ELNS1_11target_archE1100ELNS1_3gpuE3ELNS1_3repE0EEENS1_30default_config_static_selectorELNS0_4arch9wavefront6targetE0EEEvSQ_
		.amdhsa_group_segment_fixed_size 32
		.amdhsa_private_segment_fixed_size 0
		.amdhsa_kernarg_size 64
		.amdhsa_user_sgpr_count 15
		.amdhsa_user_sgpr_dispatch_ptr 0
		.amdhsa_user_sgpr_queue_ptr 0
		.amdhsa_user_sgpr_kernarg_segment_ptr 1
		.amdhsa_user_sgpr_dispatch_id 0
		.amdhsa_user_sgpr_private_segment_size 0
		.amdhsa_wavefront_size32 1
		.amdhsa_uses_dynamic_stack 0
		.amdhsa_enable_private_segment 0
		.amdhsa_system_sgpr_workgroup_id_x 1
		.amdhsa_system_sgpr_workgroup_id_y 0
		.amdhsa_system_sgpr_workgroup_id_z 0
		.amdhsa_system_sgpr_workgroup_info 0
		.amdhsa_system_vgpr_workitem_id 0
		.amdhsa_next_free_vgpr 20
		.amdhsa_next_free_sgpr 30
		.amdhsa_reserve_vcc 1
		.amdhsa_float_round_mode_32 0
		.amdhsa_float_round_mode_16_64 0
		.amdhsa_float_denorm_mode_32 3
		.amdhsa_float_denorm_mode_16_64 3
		.amdhsa_dx10_clamp 1
		.amdhsa_ieee_mode 1
		.amdhsa_fp16_overflow 0
		.amdhsa_workgroup_processor_mode 1
		.amdhsa_memory_ordered 1
		.amdhsa_forward_progress 0
		.amdhsa_shared_vgpr_count 0
		.amdhsa_exception_fp_ieee_invalid_op 0
		.amdhsa_exception_fp_denorm_src 0
		.amdhsa_exception_fp_ieee_div_zero 0
		.amdhsa_exception_fp_ieee_overflow 0
		.amdhsa_exception_fp_ieee_underflow 0
		.amdhsa_exception_fp_ieee_inexact 0
		.amdhsa_exception_int_div_zero 0
	.end_amdhsa_kernel
	.section	.text._ZN7rocprim17ROCPRIM_400000_NS6detail17trampoline_kernelINS0_14default_configENS1_22reduce_config_selectorIbEEZNS1_11reduce_implILb1ES3_N6hipcub16HIPCUB_304000_NS22TransformInputIteratorIbN2at6native12_GLOBAL__N_19NonZeroOpIsEEPKslEEPiiNS8_6detail34convert_binary_result_type_wrapperINS8_3SumESH_iEEEE10hipError_tPvRmT1_T2_T3_mT4_P12ihipStream_tbEUlT_E0_NS1_11comp_targetILNS1_3genE9ELNS1_11target_archE1100ELNS1_3gpuE3ELNS1_3repE0EEENS1_30default_config_static_selectorELNS0_4arch9wavefront6targetE0EEEvSQ_,"axG",@progbits,_ZN7rocprim17ROCPRIM_400000_NS6detail17trampoline_kernelINS0_14default_configENS1_22reduce_config_selectorIbEEZNS1_11reduce_implILb1ES3_N6hipcub16HIPCUB_304000_NS22TransformInputIteratorIbN2at6native12_GLOBAL__N_19NonZeroOpIsEEPKslEEPiiNS8_6detail34convert_binary_result_type_wrapperINS8_3SumESH_iEEEE10hipError_tPvRmT1_T2_T3_mT4_P12ihipStream_tbEUlT_E0_NS1_11comp_targetILNS1_3genE9ELNS1_11target_archE1100ELNS1_3gpuE3ELNS1_3repE0EEENS1_30default_config_static_selectorELNS0_4arch9wavefront6targetE0EEEvSQ_,comdat
.Lfunc_end311:
	.size	_ZN7rocprim17ROCPRIM_400000_NS6detail17trampoline_kernelINS0_14default_configENS1_22reduce_config_selectorIbEEZNS1_11reduce_implILb1ES3_N6hipcub16HIPCUB_304000_NS22TransformInputIteratorIbN2at6native12_GLOBAL__N_19NonZeroOpIsEEPKslEEPiiNS8_6detail34convert_binary_result_type_wrapperINS8_3SumESH_iEEEE10hipError_tPvRmT1_T2_T3_mT4_P12ihipStream_tbEUlT_E0_NS1_11comp_targetILNS1_3genE9ELNS1_11target_archE1100ELNS1_3gpuE3ELNS1_3repE0EEENS1_30default_config_static_selectorELNS0_4arch9wavefront6targetE0EEEvSQ_, .Lfunc_end311-_ZN7rocprim17ROCPRIM_400000_NS6detail17trampoline_kernelINS0_14default_configENS1_22reduce_config_selectorIbEEZNS1_11reduce_implILb1ES3_N6hipcub16HIPCUB_304000_NS22TransformInputIteratorIbN2at6native12_GLOBAL__N_19NonZeroOpIsEEPKslEEPiiNS8_6detail34convert_binary_result_type_wrapperINS8_3SumESH_iEEEE10hipError_tPvRmT1_T2_T3_mT4_P12ihipStream_tbEUlT_E0_NS1_11comp_targetILNS1_3genE9ELNS1_11target_archE1100ELNS1_3gpuE3ELNS1_3repE0EEENS1_30default_config_static_selectorELNS0_4arch9wavefront6targetE0EEEvSQ_
                                        ; -- End function
	.section	.AMDGPU.csdata,"",@progbits
; Kernel info:
; codeLenInByte = 2552
; NumSgprs: 32
; NumVgprs: 20
; ScratchSize: 0
; MemoryBound: 0
; FloatMode: 240
; IeeeMode: 1
; LDSByteSize: 32 bytes/workgroup (compile time only)
; SGPRBlocks: 3
; VGPRBlocks: 2
; NumSGPRsForWavesPerEU: 32
; NumVGPRsForWavesPerEU: 20
; Occupancy: 16
; WaveLimiterHint : 1
; COMPUTE_PGM_RSRC2:SCRATCH_EN: 0
; COMPUTE_PGM_RSRC2:USER_SGPR: 15
; COMPUTE_PGM_RSRC2:TRAP_HANDLER: 0
; COMPUTE_PGM_RSRC2:TGID_X_EN: 1
; COMPUTE_PGM_RSRC2:TGID_Y_EN: 0
; COMPUTE_PGM_RSRC2:TGID_Z_EN: 0
; COMPUTE_PGM_RSRC2:TIDIG_COMP_CNT: 0
	.section	.text._ZN7rocprim17ROCPRIM_400000_NS6detail17trampoline_kernelINS0_14default_configENS1_22reduce_config_selectorIbEEZNS1_11reduce_implILb1ES3_N6hipcub16HIPCUB_304000_NS22TransformInputIteratorIbN2at6native12_GLOBAL__N_19NonZeroOpIsEEPKslEEPiiNS8_6detail34convert_binary_result_type_wrapperINS8_3SumESH_iEEEE10hipError_tPvRmT1_T2_T3_mT4_P12ihipStream_tbEUlT_E0_NS1_11comp_targetILNS1_3genE8ELNS1_11target_archE1030ELNS1_3gpuE2ELNS1_3repE0EEENS1_30default_config_static_selectorELNS0_4arch9wavefront6targetE0EEEvSQ_,"axG",@progbits,_ZN7rocprim17ROCPRIM_400000_NS6detail17trampoline_kernelINS0_14default_configENS1_22reduce_config_selectorIbEEZNS1_11reduce_implILb1ES3_N6hipcub16HIPCUB_304000_NS22TransformInputIteratorIbN2at6native12_GLOBAL__N_19NonZeroOpIsEEPKslEEPiiNS8_6detail34convert_binary_result_type_wrapperINS8_3SumESH_iEEEE10hipError_tPvRmT1_T2_T3_mT4_P12ihipStream_tbEUlT_E0_NS1_11comp_targetILNS1_3genE8ELNS1_11target_archE1030ELNS1_3gpuE2ELNS1_3repE0EEENS1_30default_config_static_selectorELNS0_4arch9wavefront6targetE0EEEvSQ_,comdat
	.globl	_ZN7rocprim17ROCPRIM_400000_NS6detail17trampoline_kernelINS0_14default_configENS1_22reduce_config_selectorIbEEZNS1_11reduce_implILb1ES3_N6hipcub16HIPCUB_304000_NS22TransformInputIteratorIbN2at6native12_GLOBAL__N_19NonZeroOpIsEEPKslEEPiiNS8_6detail34convert_binary_result_type_wrapperINS8_3SumESH_iEEEE10hipError_tPvRmT1_T2_T3_mT4_P12ihipStream_tbEUlT_E0_NS1_11comp_targetILNS1_3genE8ELNS1_11target_archE1030ELNS1_3gpuE2ELNS1_3repE0EEENS1_30default_config_static_selectorELNS0_4arch9wavefront6targetE0EEEvSQ_ ; -- Begin function _ZN7rocprim17ROCPRIM_400000_NS6detail17trampoline_kernelINS0_14default_configENS1_22reduce_config_selectorIbEEZNS1_11reduce_implILb1ES3_N6hipcub16HIPCUB_304000_NS22TransformInputIteratorIbN2at6native12_GLOBAL__N_19NonZeroOpIsEEPKslEEPiiNS8_6detail34convert_binary_result_type_wrapperINS8_3SumESH_iEEEE10hipError_tPvRmT1_T2_T3_mT4_P12ihipStream_tbEUlT_E0_NS1_11comp_targetILNS1_3genE8ELNS1_11target_archE1030ELNS1_3gpuE2ELNS1_3repE0EEENS1_30default_config_static_selectorELNS0_4arch9wavefront6targetE0EEEvSQ_
	.p2align	8
	.type	_ZN7rocprim17ROCPRIM_400000_NS6detail17trampoline_kernelINS0_14default_configENS1_22reduce_config_selectorIbEEZNS1_11reduce_implILb1ES3_N6hipcub16HIPCUB_304000_NS22TransformInputIteratorIbN2at6native12_GLOBAL__N_19NonZeroOpIsEEPKslEEPiiNS8_6detail34convert_binary_result_type_wrapperINS8_3SumESH_iEEEE10hipError_tPvRmT1_T2_T3_mT4_P12ihipStream_tbEUlT_E0_NS1_11comp_targetILNS1_3genE8ELNS1_11target_archE1030ELNS1_3gpuE2ELNS1_3repE0EEENS1_30default_config_static_selectorELNS0_4arch9wavefront6targetE0EEEvSQ_,@function
_ZN7rocprim17ROCPRIM_400000_NS6detail17trampoline_kernelINS0_14default_configENS1_22reduce_config_selectorIbEEZNS1_11reduce_implILb1ES3_N6hipcub16HIPCUB_304000_NS22TransformInputIteratorIbN2at6native12_GLOBAL__N_19NonZeroOpIsEEPKslEEPiiNS8_6detail34convert_binary_result_type_wrapperINS8_3SumESH_iEEEE10hipError_tPvRmT1_T2_T3_mT4_P12ihipStream_tbEUlT_E0_NS1_11comp_targetILNS1_3genE8ELNS1_11target_archE1030ELNS1_3gpuE2ELNS1_3repE0EEENS1_30default_config_static_selectorELNS0_4arch9wavefront6targetE0EEEvSQ_: ; @_ZN7rocprim17ROCPRIM_400000_NS6detail17trampoline_kernelINS0_14default_configENS1_22reduce_config_selectorIbEEZNS1_11reduce_implILb1ES3_N6hipcub16HIPCUB_304000_NS22TransformInputIteratorIbN2at6native12_GLOBAL__N_19NonZeroOpIsEEPKslEEPiiNS8_6detail34convert_binary_result_type_wrapperINS8_3SumESH_iEEEE10hipError_tPvRmT1_T2_T3_mT4_P12ihipStream_tbEUlT_E0_NS1_11comp_targetILNS1_3genE8ELNS1_11target_archE1030ELNS1_3gpuE2ELNS1_3repE0EEENS1_30default_config_static_selectorELNS0_4arch9wavefront6targetE0EEEvSQ_
; %bb.0:
	.section	.rodata,"a",@progbits
	.p2align	6, 0x0
	.amdhsa_kernel _ZN7rocprim17ROCPRIM_400000_NS6detail17trampoline_kernelINS0_14default_configENS1_22reduce_config_selectorIbEEZNS1_11reduce_implILb1ES3_N6hipcub16HIPCUB_304000_NS22TransformInputIteratorIbN2at6native12_GLOBAL__N_19NonZeroOpIsEEPKslEEPiiNS8_6detail34convert_binary_result_type_wrapperINS8_3SumESH_iEEEE10hipError_tPvRmT1_T2_T3_mT4_P12ihipStream_tbEUlT_E0_NS1_11comp_targetILNS1_3genE8ELNS1_11target_archE1030ELNS1_3gpuE2ELNS1_3repE0EEENS1_30default_config_static_selectorELNS0_4arch9wavefront6targetE0EEEvSQ_
		.amdhsa_group_segment_fixed_size 0
		.amdhsa_private_segment_fixed_size 0
		.amdhsa_kernarg_size 64
		.amdhsa_user_sgpr_count 15
		.amdhsa_user_sgpr_dispatch_ptr 0
		.amdhsa_user_sgpr_queue_ptr 0
		.amdhsa_user_sgpr_kernarg_segment_ptr 1
		.amdhsa_user_sgpr_dispatch_id 0
		.amdhsa_user_sgpr_private_segment_size 0
		.amdhsa_wavefront_size32 1
		.amdhsa_uses_dynamic_stack 0
		.amdhsa_enable_private_segment 0
		.amdhsa_system_sgpr_workgroup_id_x 1
		.amdhsa_system_sgpr_workgroup_id_y 0
		.amdhsa_system_sgpr_workgroup_id_z 0
		.amdhsa_system_sgpr_workgroup_info 0
		.amdhsa_system_vgpr_workitem_id 0
		.amdhsa_next_free_vgpr 1
		.amdhsa_next_free_sgpr 1
		.amdhsa_reserve_vcc 0
		.amdhsa_float_round_mode_32 0
		.amdhsa_float_round_mode_16_64 0
		.amdhsa_float_denorm_mode_32 3
		.amdhsa_float_denorm_mode_16_64 3
		.amdhsa_dx10_clamp 1
		.amdhsa_ieee_mode 1
		.amdhsa_fp16_overflow 0
		.amdhsa_workgroup_processor_mode 1
		.amdhsa_memory_ordered 1
		.amdhsa_forward_progress 0
		.amdhsa_shared_vgpr_count 0
		.amdhsa_exception_fp_ieee_invalid_op 0
		.amdhsa_exception_fp_denorm_src 0
		.amdhsa_exception_fp_ieee_div_zero 0
		.amdhsa_exception_fp_ieee_overflow 0
		.amdhsa_exception_fp_ieee_underflow 0
		.amdhsa_exception_fp_ieee_inexact 0
		.amdhsa_exception_int_div_zero 0
	.end_amdhsa_kernel
	.section	.text._ZN7rocprim17ROCPRIM_400000_NS6detail17trampoline_kernelINS0_14default_configENS1_22reduce_config_selectorIbEEZNS1_11reduce_implILb1ES3_N6hipcub16HIPCUB_304000_NS22TransformInputIteratorIbN2at6native12_GLOBAL__N_19NonZeroOpIsEEPKslEEPiiNS8_6detail34convert_binary_result_type_wrapperINS8_3SumESH_iEEEE10hipError_tPvRmT1_T2_T3_mT4_P12ihipStream_tbEUlT_E0_NS1_11comp_targetILNS1_3genE8ELNS1_11target_archE1030ELNS1_3gpuE2ELNS1_3repE0EEENS1_30default_config_static_selectorELNS0_4arch9wavefront6targetE0EEEvSQ_,"axG",@progbits,_ZN7rocprim17ROCPRIM_400000_NS6detail17trampoline_kernelINS0_14default_configENS1_22reduce_config_selectorIbEEZNS1_11reduce_implILb1ES3_N6hipcub16HIPCUB_304000_NS22TransformInputIteratorIbN2at6native12_GLOBAL__N_19NonZeroOpIsEEPKslEEPiiNS8_6detail34convert_binary_result_type_wrapperINS8_3SumESH_iEEEE10hipError_tPvRmT1_T2_T3_mT4_P12ihipStream_tbEUlT_E0_NS1_11comp_targetILNS1_3genE8ELNS1_11target_archE1030ELNS1_3gpuE2ELNS1_3repE0EEENS1_30default_config_static_selectorELNS0_4arch9wavefront6targetE0EEEvSQ_,comdat
.Lfunc_end312:
	.size	_ZN7rocprim17ROCPRIM_400000_NS6detail17trampoline_kernelINS0_14default_configENS1_22reduce_config_selectorIbEEZNS1_11reduce_implILb1ES3_N6hipcub16HIPCUB_304000_NS22TransformInputIteratorIbN2at6native12_GLOBAL__N_19NonZeroOpIsEEPKslEEPiiNS8_6detail34convert_binary_result_type_wrapperINS8_3SumESH_iEEEE10hipError_tPvRmT1_T2_T3_mT4_P12ihipStream_tbEUlT_E0_NS1_11comp_targetILNS1_3genE8ELNS1_11target_archE1030ELNS1_3gpuE2ELNS1_3repE0EEENS1_30default_config_static_selectorELNS0_4arch9wavefront6targetE0EEEvSQ_, .Lfunc_end312-_ZN7rocprim17ROCPRIM_400000_NS6detail17trampoline_kernelINS0_14default_configENS1_22reduce_config_selectorIbEEZNS1_11reduce_implILb1ES3_N6hipcub16HIPCUB_304000_NS22TransformInputIteratorIbN2at6native12_GLOBAL__N_19NonZeroOpIsEEPKslEEPiiNS8_6detail34convert_binary_result_type_wrapperINS8_3SumESH_iEEEE10hipError_tPvRmT1_T2_T3_mT4_P12ihipStream_tbEUlT_E0_NS1_11comp_targetILNS1_3genE8ELNS1_11target_archE1030ELNS1_3gpuE2ELNS1_3repE0EEENS1_30default_config_static_selectorELNS0_4arch9wavefront6targetE0EEEvSQ_
                                        ; -- End function
	.section	.AMDGPU.csdata,"",@progbits
; Kernel info:
; codeLenInByte = 0
; NumSgprs: 0
; NumVgprs: 0
; ScratchSize: 0
; MemoryBound: 0
; FloatMode: 240
; IeeeMode: 1
; LDSByteSize: 0 bytes/workgroup (compile time only)
; SGPRBlocks: 0
; VGPRBlocks: 0
; NumSGPRsForWavesPerEU: 1
; NumVGPRsForWavesPerEU: 1
; Occupancy: 16
; WaveLimiterHint : 0
; COMPUTE_PGM_RSRC2:SCRATCH_EN: 0
; COMPUTE_PGM_RSRC2:USER_SGPR: 15
; COMPUTE_PGM_RSRC2:TRAP_HANDLER: 0
; COMPUTE_PGM_RSRC2:TGID_X_EN: 1
; COMPUTE_PGM_RSRC2:TGID_Y_EN: 0
; COMPUTE_PGM_RSRC2:TGID_Z_EN: 0
; COMPUTE_PGM_RSRC2:TIDIG_COMP_CNT: 0
	.section	.text._ZN7rocprim17ROCPRIM_400000_NS6detail17trampoline_kernelINS0_14default_configENS1_22reduce_config_selectorIbEEZNS1_11reduce_implILb1ES3_N6hipcub16HIPCUB_304000_NS22TransformInputIteratorIbN2at6native12_GLOBAL__N_19NonZeroOpIsEEPKslEEPiiNS8_6detail34convert_binary_result_type_wrapperINS8_3SumESH_iEEEE10hipError_tPvRmT1_T2_T3_mT4_P12ihipStream_tbEUlT_E1_NS1_11comp_targetILNS1_3genE0ELNS1_11target_archE4294967295ELNS1_3gpuE0ELNS1_3repE0EEENS1_30default_config_static_selectorELNS0_4arch9wavefront6targetE0EEEvSQ_,"axG",@progbits,_ZN7rocprim17ROCPRIM_400000_NS6detail17trampoline_kernelINS0_14default_configENS1_22reduce_config_selectorIbEEZNS1_11reduce_implILb1ES3_N6hipcub16HIPCUB_304000_NS22TransformInputIteratorIbN2at6native12_GLOBAL__N_19NonZeroOpIsEEPKslEEPiiNS8_6detail34convert_binary_result_type_wrapperINS8_3SumESH_iEEEE10hipError_tPvRmT1_T2_T3_mT4_P12ihipStream_tbEUlT_E1_NS1_11comp_targetILNS1_3genE0ELNS1_11target_archE4294967295ELNS1_3gpuE0ELNS1_3repE0EEENS1_30default_config_static_selectorELNS0_4arch9wavefront6targetE0EEEvSQ_,comdat
	.globl	_ZN7rocprim17ROCPRIM_400000_NS6detail17trampoline_kernelINS0_14default_configENS1_22reduce_config_selectorIbEEZNS1_11reduce_implILb1ES3_N6hipcub16HIPCUB_304000_NS22TransformInputIteratorIbN2at6native12_GLOBAL__N_19NonZeroOpIsEEPKslEEPiiNS8_6detail34convert_binary_result_type_wrapperINS8_3SumESH_iEEEE10hipError_tPvRmT1_T2_T3_mT4_P12ihipStream_tbEUlT_E1_NS1_11comp_targetILNS1_3genE0ELNS1_11target_archE4294967295ELNS1_3gpuE0ELNS1_3repE0EEENS1_30default_config_static_selectorELNS0_4arch9wavefront6targetE0EEEvSQ_ ; -- Begin function _ZN7rocprim17ROCPRIM_400000_NS6detail17trampoline_kernelINS0_14default_configENS1_22reduce_config_selectorIbEEZNS1_11reduce_implILb1ES3_N6hipcub16HIPCUB_304000_NS22TransformInputIteratorIbN2at6native12_GLOBAL__N_19NonZeroOpIsEEPKslEEPiiNS8_6detail34convert_binary_result_type_wrapperINS8_3SumESH_iEEEE10hipError_tPvRmT1_T2_T3_mT4_P12ihipStream_tbEUlT_E1_NS1_11comp_targetILNS1_3genE0ELNS1_11target_archE4294967295ELNS1_3gpuE0ELNS1_3repE0EEENS1_30default_config_static_selectorELNS0_4arch9wavefront6targetE0EEEvSQ_
	.p2align	8
	.type	_ZN7rocprim17ROCPRIM_400000_NS6detail17trampoline_kernelINS0_14default_configENS1_22reduce_config_selectorIbEEZNS1_11reduce_implILb1ES3_N6hipcub16HIPCUB_304000_NS22TransformInputIteratorIbN2at6native12_GLOBAL__N_19NonZeroOpIsEEPKslEEPiiNS8_6detail34convert_binary_result_type_wrapperINS8_3SumESH_iEEEE10hipError_tPvRmT1_T2_T3_mT4_P12ihipStream_tbEUlT_E1_NS1_11comp_targetILNS1_3genE0ELNS1_11target_archE4294967295ELNS1_3gpuE0ELNS1_3repE0EEENS1_30default_config_static_selectorELNS0_4arch9wavefront6targetE0EEEvSQ_,@function
_ZN7rocprim17ROCPRIM_400000_NS6detail17trampoline_kernelINS0_14default_configENS1_22reduce_config_selectorIbEEZNS1_11reduce_implILb1ES3_N6hipcub16HIPCUB_304000_NS22TransformInputIteratorIbN2at6native12_GLOBAL__N_19NonZeroOpIsEEPKslEEPiiNS8_6detail34convert_binary_result_type_wrapperINS8_3SumESH_iEEEE10hipError_tPvRmT1_T2_T3_mT4_P12ihipStream_tbEUlT_E1_NS1_11comp_targetILNS1_3genE0ELNS1_11target_archE4294967295ELNS1_3gpuE0ELNS1_3repE0EEENS1_30default_config_static_selectorELNS0_4arch9wavefront6targetE0EEEvSQ_: ; @_ZN7rocprim17ROCPRIM_400000_NS6detail17trampoline_kernelINS0_14default_configENS1_22reduce_config_selectorIbEEZNS1_11reduce_implILb1ES3_N6hipcub16HIPCUB_304000_NS22TransformInputIteratorIbN2at6native12_GLOBAL__N_19NonZeroOpIsEEPKslEEPiiNS8_6detail34convert_binary_result_type_wrapperINS8_3SumESH_iEEEE10hipError_tPvRmT1_T2_T3_mT4_P12ihipStream_tbEUlT_E1_NS1_11comp_targetILNS1_3genE0ELNS1_11target_archE4294967295ELNS1_3gpuE0ELNS1_3repE0EEENS1_30default_config_static_selectorELNS0_4arch9wavefront6targetE0EEEvSQ_
; %bb.0:
	.section	.rodata,"a",@progbits
	.p2align	6, 0x0
	.amdhsa_kernel _ZN7rocprim17ROCPRIM_400000_NS6detail17trampoline_kernelINS0_14default_configENS1_22reduce_config_selectorIbEEZNS1_11reduce_implILb1ES3_N6hipcub16HIPCUB_304000_NS22TransformInputIteratorIbN2at6native12_GLOBAL__N_19NonZeroOpIsEEPKslEEPiiNS8_6detail34convert_binary_result_type_wrapperINS8_3SumESH_iEEEE10hipError_tPvRmT1_T2_T3_mT4_P12ihipStream_tbEUlT_E1_NS1_11comp_targetILNS1_3genE0ELNS1_11target_archE4294967295ELNS1_3gpuE0ELNS1_3repE0EEENS1_30default_config_static_selectorELNS0_4arch9wavefront6targetE0EEEvSQ_
		.amdhsa_group_segment_fixed_size 0
		.amdhsa_private_segment_fixed_size 0
		.amdhsa_kernarg_size 48
		.amdhsa_user_sgpr_count 15
		.amdhsa_user_sgpr_dispatch_ptr 0
		.amdhsa_user_sgpr_queue_ptr 0
		.amdhsa_user_sgpr_kernarg_segment_ptr 1
		.amdhsa_user_sgpr_dispatch_id 0
		.amdhsa_user_sgpr_private_segment_size 0
		.amdhsa_wavefront_size32 1
		.amdhsa_uses_dynamic_stack 0
		.amdhsa_enable_private_segment 0
		.amdhsa_system_sgpr_workgroup_id_x 1
		.amdhsa_system_sgpr_workgroup_id_y 0
		.amdhsa_system_sgpr_workgroup_id_z 0
		.amdhsa_system_sgpr_workgroup_info 0
		.amdhsa_system_vgpr_workitem_id 0
		.amdhsa_next_free_vgpr 1
		.amdhsa_next_free_sgpr 1
		.amdhsa_reserve_vcc 0
		.amdhsa_float_round_mode_32 0
		.amdhsa_float_round_mode_16_64 0
		.amdhsa_float_denorm_mode_32 3
		.amdhsa_float_denorm_mode_16_64 3
		.amdhsa_dx10_clamp 1
		.amdhsa_ieee_mode 1
		.amdhsa_fp16_overflow 0
		.amdhsa_workgroup_processor_mode 1
		.amdhsa_memory_ordered 1
		.amdhsa_forward_progress 0
		.amdhsa_shared_vgpr_count 0
		.amdhsa_exception_fp_ieee_invalid_op 0
		.amdhsa_exception_fp_denorm_src 0
		.amdhsa_exception_fp_ieee_div_zero 0
		.amdhsa_exception_fp_ieee_overflow 0
		.amdhsa_exception_fp_ieee_underflow 0
		.amdhsa_exception_fp_ieee_inexact 0
		.amdhsa_exception_int_div_zero 0
	.end_amdhsa_kernel
	.section	.text._ZN7rocprim17ROCPRIM_400000_NS6detail17trampoline_kernelINS0_14default_configENS1_22reduce_config_selectorIbEEZNS1_11reduce_implILb1ES3_N6hipcub16HIPCUB_304000_NS22TransformInputIteratorIbN2at6native12_GLOBAL__N_19NonZeroOpIsEEPKslEEPiiNS8_6detail34convert_binary_result_type_wrapperINS8_3SumESH_iEEEE10hipError_tPvRmT1_T2_T3_mT4_P12ihipStream_tbEUlT_E1_NS1_11comp_targetILNS1_3genE0ELNS1_11target_archE4294967295ELNS1_3gpuE0ELNS1_3repE0EEENS1_30default_config_static_selectorELNS0_4arch9wavefront6targetE0EEEvSQ_,"axG",@progbits,_ZN7rocprim17ROCPRIM_400000_NS6detail17trampoline_kernelINS0_14default_configENS1_22reduce_config_selectorIbEEZNS1_11reduce_implILb1ES3_N6hipcub16HIPCUB_304000_NS22TransformInputIteratorIbN2at6native12_GLOBAL__N_19NonZeroOpIsEEPKslEEPiiNS8_6detail34convert_binary_result_type_wrapperINS8_3SumESH_iEEEE10hipError_tPvRmT1_T2_T3_mT4_P12ihipStream_tbEUlT_E1_NS1_11comp_targetILNS1_3genE0ELNS1_11target_archE4294967295ELNS1_3gpuE0ELNS1_3repE0EEENS1_30default_config_static_selectorELNS0_4arch9wavefront6targetE0EEEvSQ_,comdat
.Lfunc_end313:
	.size	_ZN7rocprim17ROCPRIM_400000_NS6detail17trampoline_kernelINS0_14default_configENS1_22reduce_config_selectorIbEEZNS1_11reduce_implILb1ES3_N6hipcub16HIPCUB_304000_NS22TransformInputIteratorIbN2at6native12_GLOBAL__N_19NonZeroOpIsEEPKslEEPiiNS8_6detail34convert_binary_result_type_wrapperINS8_3SumESH_iEEEE10hipError_tPvRmT1_T2_T3_mT4_P12ihipStream_tbEUlT_E1_NS1_11comp_targetILNS1_3genE0ELNS1_11target_archE4294967295ELNS1_3gpuE0ELNS1_3repE0EEENS1_30default_config_static_selectorELNS0_4arch9wavefront6targetE0EEEvSQ_, .Lfunc_end313-_ZN7rocprim17ROCPRIM_400000_NS6detail17trampoline_kernelINS0_14default_configENS1_22reduce_config_selectorIbEEZNS1_11reduce_implILb1ES3_N6hipcub16HIPCUB_304000_NS22TransformInputIteratorIbN2at6native12_GLOBAL__N_19NonZeroOpIsEEPKslEEPiiNS8_6detail34convert_binary_result_type_wrapperINS8_3SumESH_iEEEE10hipError_tPvRmT1_T2_T3_mT4_P12ihipStream_tbEUlT_E1_NS1_11comp_targetILNS1_3genE0ELNS1_11target_archE4294967295ELNS1_3gpuE0ELNS1_3repE0EEENS1_30default_config_static_selectorELNS0_4arch9wavefront6targetE0EEEvSQ_
                                        ; -- End function
	.section	.AMDGPU.csdata,"",@progbits
; Kernel info:
; codeLenInByte = 0
; NumSgprs: 0
; NumVgprs: 0
; ScratchSize: 0
; MemoryBound: 0
; FloatMode: 240
; IeeeMode: 1
; LDSByteSize: 0 bytes/workgroup (compile time only)
; SGPRBlocks: 0
; VGPRBlocks: 0
; NumSGPRsForWavesPerEU: 1
; NumVGPRsForWavesPerEU: 1
; Occupancy: 16
; WaveLimiterHint : 0
; COMPUTE_PGM_RSRC2:SCRATCH_EN: 0
; COMPUTE_PGM_RSRC2:USER_SGPR: 15
; COMPUTE_PGM_RSRC2:TRAP_HANDLER: 0
; COMPUTE_PGM_RSRC2:TGID_X_EN: 1
; COMPUTE_PGM_RSRC2:TGID_Y_EN: 0
; COMPUTE_PGM_RSRC2:TGID_Z_EN: 0
; COMPUTE_PGM_RSRC2:TIDIG_COMP_CNT: 0
	.section	.text._ZN7rocprim17ROCPRIM_400000_NS6detail17trampoline_kernelINS0_14default_configENS1_22reduce_config_selectorIbEEZNS1_11reduce_implILb1ES3_N6hipcub16HIPCUB_304000_NS22TransformInputIteratorIbN2at6native12_GLOBAL__N_19NonZeroOpIsEEPKslEEPiiNS8_6detail34convert_binary_result_type_wrapperINS8_3SumESH_iEEEE10hipError_tPvRmT1_T2_T3_mT4_P12ihipStream_tbEUlT_E1_NS1_11comp_targetILNS1_3genE5ELNS1_11target_archE942ELNS1_3gpuE9ELNS1_3repE0EEENS1_30default_config_static_selectorELNS0_4arch9wavefront6targetE0EEEvSQ_,"axG",@progbits,_ZN7rocprim17ROCPRIM_400000_NS6detail17trampoline_kernelINS0_14default_configENS1_22reduce_config_selectorIbEEZNS1_11reduce_implILb1ES3_N6hipcub16HIPCUB_304000_NS22TransformInputIteratorIbN2at6native12_GLOBAL__N_19NonZeroOpIsEEPKslEEPiiNS8_6detail34convert_binary_result_type_wrapperINS8_3SumESH_iEEEE10hipError_tPvRmT1_T2_T3_mT4_P12ihipStream_tbEUlT_E1_NS1_11comp_targetILNS1_3genE5ELNS1_11target_archE942ELNS1_3gpuE9ELNS1_3repE0EEENS1_30default_config_static_selectorELNS0_4arch9wavefront6targetE0EEEvSQ_,comdat
	.globl	_ZN7rocprim17ROCPRIM_400000_NS6detail17trampoline_kernelINS0_14default_configENS1_22reduce_config_selectorIbEEZNS1_11reduce_implILb1ES3_N6hipcub16HIPCUB_304000_NS22TransformInputIteratorIbN2at6native12_GLOBAL__N_19NonZeroOpIsEEPKslEEPiiNS8_6detail34convert_binary_result_type_wrapperINS8_3SumESH_iEEEE10hipError_tPvRmT1_T2_T3_mT4_P12ihipStream_tbEUlT_E1_NS1_11comp_targetILNS1_3genE5ELNS1_11target_archE942ELNS1_3gpuE9ELNS1_3repE0EEENS1_30default_config_static_selectorELNS0_4arch9wavefront6targetE0EEEvSQ_ ; -- Begin function _ZN7rocprim17ROCPRIM_400000_NS6detail17trampoline_kernelINS0_14default_configENS1_22reduce_config_selectorIbEEZNS1_11reduce_implILb1ES3_N6hipcub16HIPCUB_304000_NS22TransformInputIteratorIbN2at6native12_GLOBAL__N_19NonZeroOpIsEEPKslEEPiiNS8_6detail34convert_binary_result_type_wrapperINS8_3SumESH_iEEEE10hipError_tPvRmT1_T2_T3_mT4_P12ihipStream_tbEUlT_E1_NS1_11comp_targetILNS1_3genE5ELNS1_11target_archE942ELNS1_3gpuE9ELNS1_3repE0EEENS1_30default_config_static_selectorELNS0_4arch9wavefront6targetE0EEEvSQ_
	.p2align	8
	.type	_ZN7rocprim17ROCPRIM_400000_NS6detail17trampoline_kernelINS0_14default_configENS1_22reduce_config_selectorIbEEZNS1_11reduce_implILb1ES3_N6hipcub16HIPCUB_304000_NS22TransformInputIteratorIbN2at6native12_GLOBAL__N_19NonZeroOpIsEEPKslEEPiiNS8_6detail34convert_binary_result_type_wrapperINS8_3SumESH_iEEEE10hipError_tPvRmT1_T2_T3_mT4_P12ihipStream_tbEUlT_E1_NS1_11comp_targetILNS1_3genE5ELNS1_11target_archE942ELNS1_3gpuE9ELNS1_3repE0EEENS1_30default_config_static_selectorELNS0_4arch9wavefront6targetE0EEEvSQ_,@function
_ZN7rocprim17ROCPRIM_400000_NS6detail17trampoline_kernelINS0_14default_configENS1_22reduce_config_selectorIbEEZNS1_11reduce_implILb1ES3_N6hipcub16HIPCUB_304000_NS22TransformInputIteratorIbN2at6native12_GLOBAL__N_19NonZeroOpIsEEPKslEEPiiNS8_6detail34convert_binary_result_type_wrapperINS8_3SumESH_iEEEE10hipError_tPvRmT1_T2_T3_mT4_P12ihipStream_tbEUlT_E1_NS1_11comp_targetILNS1_3genE5ELNS1_11target_archE942ELNS1_3gpuE9ELNS1_3repE0EEENS1_30default_config_static_selectorELNS0_4arch9wavefront6targetE0EEEvSQ_: ; @_ZN7rocprim17ROCPRIM_400000_NS6detail17trampoline_kernelINS0_14default_configENS1_22reduce_config_selectorIbEEZNS1_11reduce_implILb1ES3_N6hipcub16HIPCUB_304000_NS22TransformInputIteratorIbN2at6native12_GLOBAL__N_19NonZeroOpIsEEPKslEEPiiNS8_6detail34convert_binary_result_type_wrapperINS8_3SumESH_iEEEE10hipError_tPvRmT1_T2_T3_mT4_P12ihipStream_tbEUlT_E1_NS1_11comp_targetILNS1_3genE5ELNS1_11target_archE942ELNS1_3gpuE9ELNS1_3repE0EEENS1_30default_config_static_selectorELNS0_4arch9wavefront6targetE0EEEvSQ_
; %bb.0:
	.section	.rodata,"a",@progbits
	.p2align	6, 0x0
	.amdhsa_kernel _ZN7rocprim17ROCPRIM_400000_NS6detail17trampoline_kernelINS0_14default_configENS1_22reduce_config_selectorIbEEZNS1_11reduce_implILb1ES3_N6hipcub16HIPCUB_304000_NS22TransformInputIteratorIbN2at6native12_GLOBAL__N_19NonZeroOpIsEEPKslEEPiiNS8_6detail34convert_binary_result_type_wrapperINS8_3SumESH_iEEEE10hipError_tPvRmT1_T2_T3_mT4_P12ihipStream_tbEUlT_E1_NS1_11comp_targetILNS1_3genE5ELNS1_11target_archE942ELNS1_3gpuE9ELNS1_3repE0EEENS1_30default_config_static_selectorELNS0_4arch9wavefront6targetE0EEEvSQ_
		.amdhsa_group_segment_fixed_size 0
		.amdhsa_private_segment_fixed_size 0
		.amdhsa_kernarg_size 48
		.amdhsa_user_sgpr_count 15
		.amdhsa_user_sgpr_dispatch_ptr 0
		.amdhsa_user_sgpr_queue_ptr 0
		.amdhsa_user_sgpr_kernarg_segment_ptr 1
		.amdhsa_user_sgpr_dispatch_id 0
		.amdhsa_user_sgpr_private_segment_size 0
		.amdhsa_wavefront_size32 1
		.amdhsa_uses_dynamic_stack 0
		.amdhsa_enable_private_segment 0
		.amdhsa_system_sgpr_workgroup_id_x 1
		.amdhsa_system_sgpr_workgroup_id_y 0
		.amdhsa_system_sgpr_workgroup_id_z 0
		.amdhsa_system_sgpr_workgroup_info 0
		.amdhsa_system_vgpr_workitem_id 0
		.amdhsa_next_free_vgpr 1
		.amdhsa_next_free_sgpr 1
		.amdhsa_reserve_vcc 0
		.amdhsa_float_round_mode_32 0
		.amdhsa_float_round_mode_16_64 0
		.amdhsa_float_denorm_mode_32 3
		.amdhsa_float_denorm_mode_16_64 3
		.amdhsa_dx10_clamp 1
		.amdhsa_ieee_mode 1
		.amdhsa_fp16_overflow 0
		.amdhsa_workgroup_processor_mode 1
		.amdhsa_memory_ordered 1
		.amdhsa_forward_progress 0
		.amdhsa_shared_vgpr_count 0
		.amdhsa_exception_fp_ieee_invalid_op 0
		.amdhsa_exception_fp_denorm_src 0
		.amdhsa_exception_fp_ieee_div_zero 0
		.amdhsa_exception_fp_ieee_overflow 0
		.amdhsa_exception_fp_ieee_underflow 0
		.amdhsa_exception_fp_ieee_inexact 0
		.amdhsa_exception_int_div_zero 0
	.end_amdhsa_kernel
	.section	.text._ZN7rocprim17ROCPRIM_400000_NS6detail17trampoline_kernelINS0_14default_configENS1_22reduce_config_selectorIbEEZNS1_11reduce_implILb1ES3_N6hipcub16HIPCUB_304000_NS22TransformInputIteratorIbN2at6native12_GLOBAL__N_19NonZeroOpIsEEPKslEEPiiNS8_6detail34convert_binary_result_type_wrapperINS8_3SumESH_iEEEE10hipError_tPvRmT1_T2_T3_mT4_P12ihipStream_tbEUlT_E1_NS1_11comp_targetILNS1_3genE5ELNS1_11target_archE942ELNS1_3gpuE9ELNS1_3repE0EEENS1_30default_config_static_selectorELNS0_4arch9wavefront6targetE0EEEvSQ_,"axG",@progbits,_ZN7rocprim17ROCPRIM_400000_NS6detail17trampoline_kernelINS0_14default_configENS1_22reduce_config_selectorIbEEZNS1_11reduce_implILb1ES3_N6hipcub16HIPCUB_304000_NS22TransformInputIteratorIbN2at6native12_GLOBAL__N_19NonZeroOpIsEEPKslEEPiiNS8_6detail34convert_binary_result_type_wrapperINS8_3SumESH_iEEEE10hipError_tPvRmT1_T2_T3_mT4_P12ihipStream_tbEUlT_E1_NS1_11comp_targetILNS1_3genE5ELNS1_11target_archE942ELNS1_3gpuE9ELNS1_3repE0EEENS1_30default_config_static_selectorELNS0_4arch9wavefront6targetE0EEEvSQ_,comdat
.Lfunc_end314:
	.size	_ZN7rocprim17ROCPRIM_400000_NS6detail17trampoline_kernelINS0_14default_configENS1_22reduce_config_selectorIbEEZNS1_11reduce_implILb1ES3_N6hipcub16HIPCUB_304000_NS22TransformInputIteratorIbN2at6native12_GLOBAL__N_19NonZeroOpIsEEPKslEEPiiNS8_6detail34convert_binary_result_type_wrapperINS8_3SumESH_iEEEE10hipError_tPvRmT1_T2_T3_mT4_P12ihipStream_tbEUlT_E1_NS1_11comp_targetILNS1_3genE5ELNS1_11target_archE942ELNS1_3gpuE9ELNS1_3repE0EEENS1_30default_config_static_selectorELNS0_4arch9wavefront6targetE0EEEvSQ_, .Lfunc_end314-_ZN7rocprim17ROCPRIM_400000_NS6detail17trampoline_kernelINS0_14default_configENS1_22reduce_config_selectorIbEEZNS1_11reduce_implILb1ES3_N6hipcub16HIPCUB_304000_NS22TransformInputIteratorIbN2at6native12_GLOBAL__N_19NonZeroOpIsEEPKslEEPiiNS8_6detail34convert_binary_result_type_wrapperINS8_3SumESH_iEEEE10hipError_tPvRmT1_T2_T3_mT4_P12ihipStream_tbEUlT_E1_NS1_11comp_targetILNS1_3genE5ELNS1_11target_archE942ELNS1_3gpuE9ELNS1_3repE0EEENS1_30default_config_static_selectorELNS0_4arch9wavefront6targetE0EEEvSQ_
                                        ; -- End function
	.section	.AMDGPU.csdata,"",@progbits
; Kernel info:
; codeLenInByte = 0
; NumSgprs: 0
; NumVgprs: 0
; ScratchSize: 0
; MemoryBound: 0
; FloatMode: 240
; IeeeMode: 1
; LDSByteSize: 0 bytes/workgroup (compile time only)
; SGPRBlocks: 0
; VGPRBlocks: 0
; NumSGPRsForWavesPerEU: 1
; NumVGPRsForWavesPerEU: 1
; Occupancy: 16
; WaveLimiterHint : 0
; COMPUTE_PGM_RSRC2:SCRATCH_EN: 0
; COMPUTE_PGM_RSRC2:USER_SGPR: 15
; COMPUTE_PGM_RSRC2:TRAP_HANDLER: 0
; COMPUTE_PGM_RSRC2:TGID_X_EN: 1
; COMPUTE_PGM_RSRC2:TGID_Y_EN: 0
; COMPUTE_PGM_RSRC2:TGID_Z_EN: 0
; COMPUTE_PGM_RSRC2:TIDIG_COMP_CNT: 0
	.section	.text._ZN7rocprim17ROCPRIM_400000_NS6detail17trampoline_kernelINS0_14default_configENS1_22reduce_config_selectorIbEEZNS1_11reduce_implILb1ES3_N6hipcub16HIPCUB_304000_NS22TransformInputIteratorIbN2at6native12_GLOBAL__N_19NonZeroOpIsEEPKslEEPiiNS8_6detail34convert_binary_result_type_wrapperINS8_3SumESH_iEEEE10hipError_tPvRmT1_T2_T3_mT4_P12ihipStream_tbEUlT_E1_NS1_11comp_targetILNS1_3genE4ELNS1_11target_archE910ELNS1_3gpuE8ELNS1_3repE0EEENS1_30default_config_static_selectorELNS0_4arch9wavefront6targetE0EEEvSQ_,"axG",@progbits,_ZN7rocprim17ROCPRIM_400000_NS6detail17trampoline_kernelINS0_14default_configENS1_22reduce_config_selectorIbEEZNS1_11reduce_implILb1ES3_N6hipcub16HIPCUB_304000_NS22TransformInputIteratorIbN2at6native12_GLOBAL__N_19NonZeroOpIsEEPKslEEPiiNS8_6detail34convert_binary_result_type_wrapperINS8_3SumESH_iEEEE10hipError_tPvRmT1_T2_T3_mT4_P12ihipStream_tbEUlT_E1_NS1_11comp_targetILNS1_3genE4ELNS1_11target_archE910ELNS1_3gpuE8ELNS1_3repE0EEENS1_30default_config_static_selectorELNS0_4arch9wavefront6targetE0EEEvSQ_,comdat
	.globl	_ZN7rocprim17ROCPRIM_400000_NS6detail17trampoline_kernelINS0_14default_configENS1_22reduce_config_selectorIbEEZNS1_11reduce_implILb1ES3_N6hipcub16HIPCUB_304000_NS22TransformInputIteratorIbN2at6native12_GLOBAL__N_19NonZeroOpIsEEPKslEEPiiNS8_6detail34convert_binary_result_type_wrapperINS8_3SumESH_iEEEE10hipError_tPvRmT1_T2_T3_mT4_P12ihipStream_tbEUlT_E1_NS1_11comp_targetILNS1_3genE4ELNS1_11target_archE910ELNS1_3gpuE8ELNS1_3repE0EEENS1_30default_config_static_selectorELNS0_4arch9wavefront6targetE0EEEvSQ_ ; -- Begin function _ZN7rocprim17ROCPRIM_400000_NS6detail17trampoline_kernelINS0_14default_configENS1_22reduce_config_selectorIbEEZNS1_11reduce_implILb1ES3_N6hipcub16HIPCUB_304000_NS22TransformInputIteratorIbN2at6native12_GLOBAL__N_19NonZeroOpIsEEPKslEEPiiNS8_6detail34convert_binary_result_type_wrapperINS8_3SumESH_iEEEE10hipError_tPvRmT1_T2_T3_mT4_P12ihipStream_tbEUlT_E1_NS1_11comp_targetILNS1_3genE4ELNS1_11target_archE910ELNS1_3gpuE8ELNS1_3repE0EEENS1_30default_config_static_selectorELNS0_4arch9wavefront6targetE0EEEvSQ_
	.p2align	8
	.type	_ZN7rocprim17ROCPRIM_400000_NS6detail17trampoline_kernelINS0_14default_configENS1_22reduce_config_selectorIbEEZNS1_11reduce_implILb1ES3_N6hipcub16HIPCUB_304000_NS22TransformInputIteratorIbN2at6native12_GLOBAL__N_19NonZeroOpIsEEPKslEEPiiNS8_6detail34convert_binary_result_type_wrapperINS8_3SumESH_iEEEE10hipError_tPvRmT1_T2_T3_mT4_P12ihipStream_tbEUlT_E1_NS1_11comp_targetILNS1_3genE4ELNS1_11target_archE910ELNS1_3gpuE8ELNS1_3repE0EEENS1_30default_config_static_selectorELNS0_4arch9wavefront6targetE0EEEvSQ_,@function
_ZN7rocprim17ROCPRIM_400000_NS6detail17trampoline_kernelINS0_14default_configENS1_22reduce_config_selectorIbEEZNS1_11reduce_implILb1ES3_N6hipcub16HIPCUB_304000_NS22TransformInputIteratorIbN2at6native12_GLOBAL__N_19NonZeroOpIsEEPKslEEPiiNS8_6detail34convert_binary_result_type_wrapperINS8_3SumESH_iEEEE10hipError_tPvRmT1_T2_T3_mT4_P12ihipStream_tbEUlT_E1_NS1_11comp_targetILNS1_3genE4ELNS1_11target_archE910ELNS1_3gpuE8ELNS1_3repE0EEENS1_30default_config_static_selectorELNS0_4arch9wavefront6targetE0EEEvSQ_: ; @_ZN7rocprim17ROCPRIM_400000_NS6detail17trampoline_kernelINS0_14default_configENS1_22reduce_config_selectorIbEEZNS1_11reduce_implILb1ES3_N6hipcub16HIPCUB_304000_NS22TransformInputIteratorIbN2at6native12_GLOBAL__N_19NonZeroOpIsEEPKslEEPiiNS8_6detail34convert_binary_result_type_wrapperINS8_3SumESH_iEEEE10hipError_tPvRmT1_T2_T3_mT4_P12ihipStream_tbEUlT_E1_NS1_11comp_targetILNS1_3genE4ELNS1_11target_archE910ELNS1_3gpuE8ELNS1_3repE0EEENS1_30default_config_static_selectorELNS0_4arch9wavefront6targetE0EEEvSQ_
; %bb.0:
	.section	.rodata,"a",@progbits
	.p2align	6, 0x0
	.amdhsa_kernel _ZN7rocprim17ROCPRIM_400000_NS6detail17trampoline_kernelINS0_14default_configENS1_22reduce_config_selectorIbEEZNS1_11reduce_implILb1ES3_N6hipcub16HIPCUB_304000_NS22TransformInputIteratorIbN2at6native12_GLOBAL__N_19NonZeroOpIsEEPKslEEPiiNS8_6detail34convert_binary_result_type_wrapperINS8_3SumESH_iEEEE10hipError_tPvRmT1_T2_T3_mT4_P12ihipStream_tbEUlT_E1_NS1_11comp_targetILNS1_3genE4ELNS1_11target_archE910ELNS1_3gpuE8ELNS1_3repE0EEENS1_30default_config_static_selectorELNS0_4arch9wavefront6targetE0EEEvSQ_
		.amdhsa_group_segment_fixed_size 0
		.amdhsa_private_segment_fixed_size 0
		.amdhsa_kernarg_size 48
		.amdhsa_user_sgpr_count 15
		.amdhsa_user_sgpr_dispatch_ptr 0
		.amdhsa_user_sgpr_queue_ptr 0
		.amdhsa_user_sgpr_kernarg_segment_ptr 1
		.amdhsa_user_sgpr_dispatch_id 0
		.amdhsa_user_sgpr_private_segment_size 0
		.amdhsa_wavefront_size32 1
		.amdhsa_uses_dynamic_stack 0
		.amdhsa_enable_private_segment 0
		.amdhsa_system_sgpr_workgroup_id_x 1
		.amdhsa_system_sgpr_workgroup_id_y 0
		.amdhsa_system_sgpr_workgroup_id_z 0
		.amdhsa_system_sgpr_workgroup_info 0
		.amdhsa_system_vgpr_workitem_id 0
		.amdhsa_next_free_vgpr 1
		.amdhsa_next_free_sgpr 1
		.amdhsa_reserve_vcc 0
		.amdhsa_float_round_mode_32 0
		.amdhsa_float_round_mode_16_64 0
		.amdhsa_float_denorm_mode_32 3
		.amdhsa_float_denorm_mode_16_64 3
		.amdhsa_dx10_clamp 1
		.amdhsa_ieee_mode 1
		.amdhsa_fp16_overflow 0
		.amdhsa_workgroup_processor_mode 1
		.amdhsa_memory_ordered 1
		.amdhsa_forward_progress 0
		.amdhsa_shared_vgpr_count 0
		.amdhsa_exception_fp_ieee_invalid_op 0
		.amdhsa_exception_fp_denorm_src 0
		.amdhsa_exception_fp_ieee_div_zero 0
		.amdhsa_exception_fp_ieee_overflow 0
		.amdhsa_exception_fp_ieee_underflow 0
		.amdhsa_exception_fp_ieee_inexact 0
		.amdhsa_exception_int_div_zero 0
	.end_amdhsa_kernel
	.section	.text._ZN7rocprim17ROCPRIM_400000_NS6detail17trampoline_kernelINS0_14default_configENS1_22reduce_config_selectorIbEEZNS1_11reduce_implILb1ES3_N6hipcub16HIPCUB_304000_NS22TransformInputIteratorIbN2at6native12_GLOBAL__N_19NonZeroOpIsEEPKslEEPiiNS8_6detail34convert_binary_result_type_wrapperINS8_3SumESH_iEEEE10hipError_tPvRmT1_T2_T3_mT4_P12ihipStream_tbEUlT_E1_NS1_11comp_targetILNS1_3genE4ELNS1_11target_archE910ELNS1_3gpuE8ELNS1_3repE0EEENS1_30default_config_static_selectorELNS0_4arch9wavefront6targetE0EEEvSQ_,"axG",@progbits,_ZN7rocprim17ROCPRIM_400000_NS6detail17trampoline_kernelINS0_14default_configENS1_22reduce_config_selectorIbEEZNS1_11reduce_implILb1ES3_N6hipcub16HIPCUB_304000_NS22TransformInputIteratorIbN2at6native12_GLOBAL__N_19NonZeroOpIsEEPKslEEPiiNS8_6detail34convert_binary_result_type_wrapperINS8_3SumESH_iEEEE10hipError_tPvRmT1_T2_T3_mT4_P12ihipStream_tbEUlT_E1_NS1_11comp_targetILNS1_3genE4ELNS1_11target_archE910ELNS1_3gpuE8ELNS1_3repE0EEENS1_30default_config_static_selectorELNS0_4arch9wavefront6targetE0EEEvSQ_,comdat
.Lfunc_end315:
	.size	_ZN7rocprim17ROCPRIM_400000_NS6detail17trampoline_kernelINS0_14default_configENS1_22reduce_config_selectorIbEEZNS1_11reduce_implILb1ES3_N6hipcub16HIPCUB_304000_NS22TransformInputIteratorIbN2at6native12_GLOBAL__N_19NonZeroOpIsEEPKslEEPiiNS8_6detail34convert_binary_result_type_wrapperINS8_3SumESH_iEEEE10hipError_tPvRmT1_T2_T3_mT4_P12ihipStream_tbEUlT_E1_NS1_11comp_targetILNS1_3genE4ELNS1_11target_archE910ELNS1_3gpuE8ELNS1_3repE0EEENS1_30default_config_static_selectorELNS0_4arch9wavefront6targetE0EEEvSQ_, .Lfunc_end315-_ZN7rocprim17ROCPRIM_400000_NS6detail17trampoline_kernelINS0_14default_configENS1_22reduce_config_selectorIbEEZNS1_11reduce_implILb1ES3_N6hipcub16HIPCUB_304000_NS22TransformInputIteratorIbN2at6native12_GLOBAL__N_19NonZeroOpIsEEPKslEEPiiNS8_6detail34convert_binary_result_type_wrapperINS8_3SumESH_iEEEE10hipError_tPvRmT1_T2_T3_mT4_P12ihipStream_tbEUlT_E1_NS1_11comp_targetILNS1_3genE4ELNS1_11target_archE910ELNS1_3gpuE8ELNS1_3repE0EEENS1_30default_config_static_selectorELNS0_4arch9wavefront6targetE0EEEvSQ_
                                        ; -- End function
	.section	.AMDGPU.csdata,"",@progbits
; Kernel info:
; codeLenInByte = 0
; NumSgprs: 0
; NumVgprs: 0
; ScratchSize: 0
; MemoryBound: 0
; FloatMode: 240
; IeeeMode: 1
; LDSByteSize: 0 bytes/workgroup (compile time only)
; SGPRBlocks: 0
; VGPRBlocks: 0
; NumSGPRsForWavesPerEU: 1
; NumVGPRsForWavesPerEU: 1
; Occupancy: 16
; WaveLimiterHint : 0
; COMPUTE_PGM_RSRC2:SCRATCH_EN: 0
; COMPUTE_PGM_RSRC2:USER_SGPR: 15
; COMPUTE_PGM_RSRC2:TRAP_HANDLER: 0
; COMPUTE_PGM_RSRC2:TGID_X_EN: 1
; COMPUTE_PGM_RSRC2:TGID_Y_EN: 0
; COMPUTE_PGM_RSRC2:TGID_Z_EN: 0
; COMPUTE_PGM_RSRC2:TIDIG_COMP_CNT: 0
	.section	.text._ZN7rocprim17ROCPRIM_400000_NS6detail17trampoline_kernelINS0_14default_configENS1_22reduce_config_selectorIbEEZNS1_11reduce_implILb1ES3_N6hipcub16HIPCUB_304000_NS22TransformInputIteratorIbN2at6native12_GLOBAL__N_19NonZeroOpIsEEPKslEEPiiNS8_6detail34convert_binary_result_type_wrapperINS8_3SumESH_iEEEE10hipError_tPvRmT1_T2_T3_mT4_P12ihipStream_tbEUlT_E1_NS1_11comp_targetILNS1_3genE3ELNS1_11target_archE908ELNS1_3gpuE7ELNS1_3repE0EEENS1_30default_config_static_selectorELNS0_4arch9wavefront6targetE0EEEvSQ_,"axG",@progbits,_ZN7rocprim17ROCPRIM_400000_NS6detail17trampoline_kernelINS0_14default_configENS1_22reduce_config_selectorIbEEZNS1_11reduce_implILb1ES3_N6hipcub16HIPCUB_304000_NS22TransformInputIteratorIbN2at6native12_GLOBAL__N_19NonZeroOpIsEEPKslEEPiiNS8_6detail34convert_binary_result_type_wrapperINS8_3SumESH_iEEEE10hipError_tPvRmT1_T2_T3_mT4_P12ihipStream_tbEUlT_E1_NS1_11comp_targetILNS1_3genE3ELNS1_11target_archE908ELNS1_3gpuE7ELNS1_3repE0EEENS1_30default_config_static_selectorELNS0_4arch9wavefront6targetE0EEEvSQ_,comdat
	.globl	_ZN7rocprim17ROCPRIM_400000_NS6detail17trampoline_kernelINS0_14default_configENS1_22reduce_config_selectorIbEEZNS1_11reduce_implILb1ES3_N6hipcub16HIPCUB_304000_NS22TransformInputIteratorIbN2at6native12_GLOBAL__N_19NonZeroOpIsEEPKslEEPiiNS8_6detail34convert_binary_result_type_wrapperINS8_3SumESH_iEEEE10hipError_tPvRmT1_T2_T3_mT4_P12ihipStream_tbEUlT_E1_NS1_11comp_targetILNS1_3genE3ELNS1_11target_archE908ELNS1_3gpuE7ELNS1_3repE0EEENS1_30default_config_static_selectorELNS0_4arch9wavefront6targetE0EEEvSQ_ ; -- Begin function _ZN7rocprim17ROCPRIM_400000_NS6detail17trampoline_kernelINS0_14default_configENS1_22reduce_config_selectorIbEEZNS1_11reduce_implILb1ES3_N6hipcub16HIPCUB_304000_NS22TransformInputIteratorIbN2at6native12_GLOBAL__N_19NonZeroOpIsEEPKslEEPiiNS8_6detail34convert_binary_result_type_wrapperINS8_3SumESH_iEEEE10hipError_tPvRmT1_T2_T3_mT4_P12ihipStream_tbEUlT_E1_NS1_11comp_targetILNS1_3genE3ELNS1_11target_archE908ELNS1_3gpuE7ELNS1_3repE0EEENS1_30default_config_static_selectorELNS0_4arch9wavefront6targetE0EEEvSQ_
	.p2align	8
	.type	_ZN7rocprim17ROCPRIM_400000_NS6detail17trampoline_kernelINS0_14default_configENS1_22reduce_config_selectorIbEEZNS1_11reduce_implILb1ES3_N6hipcub16HIPCUB_304000_NS22TransformInputIteratorIbN2at6native12_GLOBAL__N_19NonZeroOpIsEEPKslEEPiiNS8_6detail34convert_binary_result_type_wrapperINS8_3SumESH_iEEEE10hipError_tPvRmT1_T2_T3_mT4_P12ihipStream_tbEUlT_E1_NS1_11comp_targetILNS1_3genE3ELNS1_11target_archE908ELNS1_3gpuE7ELNS1_3repE0EEENS1_30default_config_static_selectorELNS0_4arch9wavefront6targetE0EEEvSQ_,@function
_ZN7rocprim17ROCPRIM_400000_NS6detail17trampoline_kernelINS0_14default_configENS1_22reduce_config_selectorIbEEZNS1_11reduce_implILb1ES3_N6hipcub16HIPCUB_304000_NS22TransformInputIteratorIbN2at6native12_GLOBAL__N_19NonZeroOpIsEEPKslEEPiiNS8_6detail34convert_binary_result_type_wrapperINS8_3SumESH_iEEEE10hipError_tPvRmT1_T2_T3_mT4_P12ihipStream_tbEUlT_E1_NS1_11comp_targetILNS1_3genE3ELNS1_11target_archE908ELNS1_3gpuE7ELNS1_3repE0EEENS1_30default_config_static_selectorELNS0_4arch9wavefront6targetE0EEEvSQ_: ; @_ZN7rocprim17ROCPRIM_400000_NS6detail17trampoline_kernelINS0_14default_configENS1_22reduce_config_selectorIbEEZNS1_11reduce_implILb1ES3_N6hipcub16HIPCUB_304000_NS22TransformInputIteratorIbN2at6native12_GLOBAL__N_19NonZeroOpIsEEPKslEEPiiNS8_6detail34convert_binary_result_type_wrapperINS8_3SumESH_iEEEE10hipError_tPvRmT1_T2_T3_mT4_P12ihipStream_tbEUlT_E1_NS1_11comp_targetILNS1_3genE3ELNS1_11target_archE908ELNS1_3gpuE7ELNS1_3repE0EEENS1_30default_config_static_selectorELNS0_4arch9wavefront6targetE0EEEvSQ_
; %bb.0:
	.section	.rodata,"a",@progbits
	.p2align	6, 0x0
	.amdhsa_kernel _ZN7rocprim17ROCPRIM_400000_NS6detail17trampoline_kernelINS0_14default_configENS1_22reduce_config_selectorIbEEZNS1_11reduce_implILb1ES3_N6hipcub16HIPCUB_304000_NS22TransformInputIteratorIbN2at6native12_GLOBAL__N_19NonZeroOpIsEEPKslEEPiiNS8_6detail34convert_binary_result_type_wrapperINS8_3SumESH_iEEEE10hipError_tPvRmT1_T2_T3_mT4_P12ihipStream_tbEUlT_E1_NS1_11comp_targetILNS1_3genE3ELNS1_11target_archE908ELNS1_3gpuE7ELNS1_3repE0EEENS1_30default_config_static_selectorELNS0_4arch9wavefront6targetE0EEEvSQ_
		.amdhsa_group_segment_fixed_size 0
		.amdhsa_private_segment_fixed_size 0
		.amdhsa_kernarg_size 48
		.amdhsa_user_sgpr_count 15
		.amdhsa_user_sgpr_dispatch_ptr 0
		.amdhsa_user_sgpr_queue_ptr 0
		.amdhsa_user_sgpr_kernarg_segment_ptr 1
		.amdhsa_user_sgpr_dispatch_id 0
		.amdhsa_user_sgpr_private_segment_size 0
		.amdhsa_wavefront_size32 1
		.amdhsa_uses_dynamic_stack 0
		.amdhsa_enable_private_segment 0
		.amdhsa_system_sgpr_workgroup_id_x 1
		.amdhsa_system_sgpr_workgroup_id_y 0
		.amdhsa_system_sgpr_workgroup_id_z 0
		.amdhsa_system_sgpr_workgroup_info 0
		.amdhsa_system_vgpr_workitem_id 0
		.amdhsa_next_free_vgpr 1
		.amdhsa_next_free_sgpr 1
		.amdhsa_reserve_vcc 0
		.amdhsa_float_round_mode_32 0
		.amdhsa_float_round_mode_16_64 0
		.amdhsa_float_denorm_mode_32 3
		.amdhsa_float_denorm_mode_16_64 3
		.amdhsa_dx10_clamp 1
		.amdhsa_ieee_mode 1
		.amdhsa_fp16_overflow 0
		.amdhsa_workgroup_processor_mode 1
		.amdhsa_memory_ordered 1
		.amdhsa_forward_progress 0
		.amdhsa_shared_vgpr_count 0
		.amdhsa_exception_fp_ieee_invalid_op 0
		.amdhsa_exception_fp_denorm_src 0
		.amdhsa_exception_fp_ieee_div_zero 0
		.amdhsa_exception_fp_ieee_overflow 0
		.amdhsa_exception_fp_ieee_underflow 0
		.amdhsa_exception_fp_ieee_inexact 0
		.amdhsa_exception_int_div_zero 0
	.end_amdhsa_kernel
	.section	.text._ZN7rocprim17ROCPRIM_400000_NS6detail17trampoline_kernelINS0_14default_configENS1_22reduce_config_selectorIbEEZNS1_11reduce_implILb1ES3_N6hipcub16HIPCUB_304000_NS22TransformInputIteratorIbN2at6native12_GLOBAL__N_19NonZeroOpIsEEPKslEEPiiNS8_6detail34convert_binary_result_type_wrapperINS8_3SumESH_iEEEE10hipError_tPvRmT1_T2_T3_mT4_P12ihipStream_tbEUlT_E1_NS1_11comp_targetILNS1_3genE3ELNS1_11target_archE908ELNS1_3gpuE7ELNS1_3repE0EEENS1_30default_config_static_selectorELNS0_4arch9wavefront6targetE0EEEvSQ_,"axG",@progbits,_ZN7rocprim17ROCPRIM_400000_NS6detail17trampoline_kernelINS0_14default_configENS1_22reduce_config_selectorIbEEZNS1_11reduce_implILb1ES3_N6hipcub16HIPCUB_304000_NS22TransformInputIteratorIbN2at6native12_GLOBAL__N_19NonZeroOpIsEEPKslEEPiiNS8_6detail34convert_binary_result_type_wrapperINS8_3SumESH_iEEEE10hipError_tPvRmT1_T2_T3_mT4_P12ihipStream_tbEUlT_E1_NS1_11comp_targetILNS1_3genE3ELNS1_11target_archE908ELNS1_3gpuE7ELNS1_3repE0EEENS1_30default_config_static_selectorELNS0_4arch9wavefront6targetE0EEEvSQ_,comdat
.Lfunc_end316:
	.size	_ZN7rocprim17ROCPRIM_400000_NS6detail17trampoline_kernelINS0_14default_configENS1_22reduce_config_selectorIbEEZNS1_11reduce_implILb1ES3_N6hipcub16HIPCUB_304000_NS22TransformInputIteratorIbN2at6native12_GLOBAL__N_19NonZeroOpIsEEPKslEEPiiNS8_6detail34convert_binary_result_type_wrapperINS8_3SumESH_iEEEE10hipError_tPvRmT1_T2_T3_mT4_P12ihipStream_tbEUlT_E1_NS1_11comp_targetILNS1_3genE3ELNS1_11target_archE908ELNS1_3gpuE7ELNS1_3repE0EEENS1_30default_config_static_selectorELNS0_4arch9wavefront6targetE0EEEvSQ_, .Lfunc_end316-_ZN7rocprim17ROCPRIM_400000_NS6detail17trampoline_kernelINS0_14default_configENS1_22reduce_config_selectorIbEEZNS1_11reduce_implILb1ES3_N6hipcub16HIPCUB_304000_NS22TransformInputIteratorIbN2at6native12_GLOBAL__N_19NonZeroOpIsEEPKslEEPiiNS8_6detail34convert_binary_result_type_wrapperINS8_3SumESH_iEEEE10hipError_tPvRmT1_T2_T3_mT4_P12ihipStream_tbEUlT_E1_NS1_11comp_targetILNS1_3genE3ELNS1_11target_archE908ELNS1_3gpuE7ELNS1_3repE0EEENS1_30default_config_static_selectorELNS0_4arch9wavefront6targetE0EEEvSQ_
                                        ; -- End function
	.section	.AMDGPU.csdata,"",@progbits
; Kernel info:
; codeLenInByte = 0
; NumSgprs: 0
; NumVgprs: 0
; ScratchSize: 0
; MemoryBound: 0
; FloatMode: 240
; IeeeMode: 1
; LDSByteSize: 0 bytes/workgroup (compile time only)
; SGPRBlocks: 0
; VGPRBlocks: 0
; NumSGPRsForWavesPerEU: 1
; NumVGPRsForWavesPerEU: 1
; Occupancy: 16
; WaveLimiterHint : 0
; COMPUTE_PGM_RSRC2:SCRATCH_EN: 0
; COMPUTE_PGM_RSRC2:USER_SGPR: 15
; COMPUTE_PGM_RSRC2:TRAP_HANDLER: 0
; COMPUTE_PGM_RSRC2:TGID_X_EN: 1
; COMPUTE_PGM_RSRC2:TGID_Y_EN: 0
; COMPUTE_PGM_RSRC2:TGID_Z_EN: 0
; COMPUTE_PGM_RSRC2:TIDIG_COMP_CNT: 0
	.section	.text._ZN7rocprim17ROCPRIM_400000_NS6detail17trampoline_kernelINS0_14default_configENS1_22reduce_config_selectorIbEEZNS1_11reduce_implILb1ES3_N6hipcub16HIPCUB_304000_NS22TransformInputIteratorIbN2at6native12_GLOBAL__N_19NonZeroOpIsEEPKslEEPiiNS8_6detail34convert_binary_result_type_wrapperINS8_3SumESH_iEEEE10hipError_tPvRmT1_T2_T3_mT4_P12ihipStream_tbEUlT_E1_NS1_11comp_targetILNS1_3genE2ELNS1_11target_archE906ELNS1_3gpuE6ELNS1_3repE0EEENS1_30default_config_static_selectorELNS0_4arch9wavefront6targetE0EEEvSQ_,"axG",@progbits,_ZN7rocprim17ROCPRIM_400000_NS6detail17trampoline_kernelINS0_14default_configENS1_22reduce_config_selectorIbEEZNS1_11reduce_implILb1ES3_N6hipcub16HIPCUB_304000_NS22TransformInputIteratorIbN2at6native12_GLOBAL__N_19NonZeroOpIsEEPKslEEPiiNS8_6detail34convert_binary_result_type_wrapperINS8_3SumESH_iEEEE10hipError_tPvRmT1_T2_T3_mT4_P12ihipStream_tbEUlT_E1_NS1_11comp_targetILNS1_3genE2ELNS1_11target_archE906ELNS1_3gpuE6ELNS1_3repE0EEENS1_30default_config_static_selectorELNS0_4arch9wavefront6targetE0EEEvSQ_,comdat
	.globl	_ZN7rocprim17ROCPRIM_400000_NS6detail17trampoline_kernelINS0_14default_configENS1_22reduce_config_selectorIbEEZNS1_11reduce_implILb1ES3_N6hipcub16HIPCUB_304000_NS22TransformInputIteratorIbN2at6native12_GLOBAL__N_19NonZeroOpIsEEPKslEEPiiNS8_6detail34convert_binary_result_type_wrapperINS8_3SumESH_iEEEE10hipError_tPvRmT1_T2_T3_mT4_P12ihipStream_tbEUlT_E1_NS1_11comp_targetILNS1_3genE2ELNS1_11target_archE906ELNS1_3gpuE6ELNS1_3repE0EEENS1_30default_config_static_selectorELNS0_4arch9wavefront6targetE0EEEvSQ_ ; -- Begin function _ZN7rocprim17ROCPRIM_400000_NS6detail17trampoline_kernelINS0_14default_configENS1_22reduce_config_selectorIbEEZNS1_11reduce_implILb1ES3_N6hipcub16HIPCUB_304000_NS22TransformInputIteratorIbN2at6native12_GLOBAL__N_19NonZeroOpIsEEPKslEEPiiNS8_6detail34convert_binary_result_type_wrapperINS8_3SumESH_iEEEE10hipError_tPvRmT1_T2_T3_mT4_P12ihipStream_tbEUlT_E1_NS1_11comp_targetILNS1_3genE2ELNS1_11target_archE906ELNS1_3gpuE6ELNS1_3repE0EEENS1_30default_config_static_selectorELNS0_4arch9wavefront6targetE0EEEvSQ_
	.p2align	8
	.type	_ZN7rocprim17ROCPRIM_400000_NS6detail17trampoline_kernelINS0_14default_configENS1_22reduce_config_selectorIbEEZNS1_11reduce_implILb1ES3_N6hipcub16HIPCUB_304000_NS22TransformInputIteratorIbN2at6native12_GLOBAL__N_19NonZeroOpIsEEPKslEEPiiNS8_6detail34convert_binary_result_type_wrapperINS8_3SumESH_iEEEE10hipError_tPvRmT1_T2_T3_mT4_P12ihipStream_tbEUlT_E1_NS1_11comp_targetILNS1_3genE2ELNS1_11target_archE906ELNS1_3gpuE6ELNS1_3repE0EEENS1_30default_config_static_selectorELNS0_4arch9wavefront6targetE0EEEvSQ_,@function
_ZN7rocprim17ROCPRIM_400000_NS6detail17trampoline_kernelINS0_14default_configENS1_22reduce_config_selectorIbEEZNS1_11reduce_implILb1ES3_N6hipcub16HIPCUB_304000_NS22TransformInputIteratorIbN2at6native12_GLOBAL__N_19NonZeroOpIsEEPKslEEPiiNS8_6detail34convert_binary_result_type_wrapperINS8_3SumESH_iEEEE10hipError_tPvRmT1_T2_T3_mT4_P12ihipStream_tbEUlT_E1_NS1_11comp_targetILNS1_3genE2ELNS1_11target_archE906ELNS1_3gpuE6ELNS1_3repE0EEENS1_30default_config_static_selectorELNS0_4arch9wavefront6targetE0EEEvSQ_: ; @_ZN7rocprim17ROCPRIM_400000_NS6detail17trampoline_kernelINS0_14default_configENS1_22reduce_config_selectorIbEEZNS1_11reduce_implILb1ES3_N6hipcub16HIPCUB_304000_NS22TransformInputIteratorIbN2at6native12_GLOBAL__N_19NonZeroOpIsEEPKslEEPiiNS8_6detail34convert_binary_result_type_wrapperINS8_3SumESH_iEEEE10hipError_tPvRmT1_T2_T3_mT4_P12ihipStream_tbEUlT_E1_NS1_11comp_targetILNS1_3genE2ELNS1_11target_archE906ELNS1_3gpuE6ELNS1_3repE0EEENS1_30default_config_static_selectorELNS0_4arch9wavefront6targetE0EEEvSQ_
; %bb.0:
	.section	.rodata,"a",@progbits
	.p2align	6, 0x0
	.amdhsa_kernel _ZN7rocprim17ROCPRIM_400000_NS6detail17trampoline_kernelINS0_14default_configENS1_22reduce_config_selectorIbEEZNS1_11reduce_implILb1ES3_N6hipcub16HIPCUB_304000_NS22TransformInputIteratorIbN2at6native12_GLOBAL__N_19NonZeroOpIsEEPKslEEPiiNS8_6detail34convert_binary_result_type_wrapperINS8_3SumESH_iEEEE10hipError_tPvRmT1_T2_T3_mT4_P12ihipStream_tbEUlT_E1_NS1_11comp_targetILNS1_3genE2ELNS1_11target_archE906ELNS1_3gpuE6ELNS1_3repE0EEENS1_30default_config_static_selectorELNS0_4arch9wavefront6targetE0EEEvSQ_
		.amdhsa_group_segment_fixed_size 0
		.amdhsa_private_segment_fixed_size 0
		.amdhsa_kernarg_size 48
		.amdhsa_user_sgpr_count 15
		.amdhsa_user_sgpr_dispatch_ptr 0
		.amdhsa_user_sgpr_queue_ptr 0
		.amdhsa_user_sgpr_kernarg_segment_ptr 1
		.amdhsa_user_sgpr_dispatch_id 0
		.amdhsa_user_sgpr_private_segment_size 0
		.amdhsa_wavefront_size32 1
		.amdhsa_uses_dynamic_stack 0
		.amdhsa_enable_private_segment 0
		.amdhsa_system_sgpr_workgroup_id_x 1
		.amdhsa_system_sgpr_workgroup_id_y 0
		.amdhsa_system_sgpr_workgroup_id_z 0
		.amdhsa_system_sgpr_workgroup_info 0
		.amdhsa_system_vgpr_workitem_id 0
		.amdhsa_next_free_vgpr 1
		.amdhsa_next_free_sgpr 1
		.amdhsa_reserve_vcc 0
		.amdhsa_float_round_mode_32 0
		.amdhsa_float_round_mode_16_64 0
		.amdhsa_float_denorm_mode_32 3
		.amdhsa_float_denorm_mode_16_64 3
		.amdhsa_dx10_clamp 1
		.amdhsa_ieee_mode 1
		.amdhsa_fp16_overflow 0
		.amdhsa_workgroup_processor_mode 1
		.amdhsa_memory_ordered 1
		.amdhsa_forward_progress 0
		.amdhsa_shared_vgpr_count 0
		.amdhsa_exception_fp_ieee_invalid_op 0
		.amdhsa_exception_fp_denorm_src 0
		.amdhsa_exception_fp_ieee_div_zero 0
		.amdhsa_exception_fp_ieee_overflow 0
		.amdhsa_exception_fp_ieee_underflow 0
		.amdhsa_exception_fp_ieee_inexact 0
		.amdhsa_exception_int_div_zero 0
	.end_amdhsa_kernel
	.section	.text._ZN7rocprim17ROCPRIM_400000_NS6detail17trampoline_kernelINS0_14default_configENS1_22reduce_config_selectorIbEEZNS1_11reduce_implILb1ES3_N6hipcub16HIPCUB_304000_NS22TransformInputIteratorIbN2at6native12_GLOBAL__N_19NonZeroOpIsEEPKslEEPiiNS8_6detail34convert_binary_result_type_wrapperINS8_3SumESH_iEEEE10hipError_tPvRmT1_T2_T3_mT4_P12ihipStream_tbEUlT_E1_NS1_11comp_targetILNS1_3genE2ELNS1_11target_archE906ELNS1_3gpuE6ELNS1_3repE0EEENS1_30default_config_static_selectorELNS0_4arch9wavefront6targetE0EEEvSQ_,"axG",@progbits,_ZN7rocprim17ROCPRIM_400000_NS6detail17trampoline_kernelINS0_14default_configENS1_22reduce_config_selectorIbEEZNS1_11reduce_implILb1ES3_N6hipcub16HIPCUB_304000_NS22TransformInputIteratorIbN2at6native12_GLOBAL__N_19NonZeroOpIsEEPKslEEPiiNS8_6detail34convert_binary_result_type_wrapperINS8_3SumESH_iEEEE10hipError_tPvRmT1_T2_T3_mT4_P12ihipStream_tbEUlT_E1_NS1_11comp_targetILNS1_3genE2ELNS1_11target_archE906ELNS1_3gpuE6ELNS1_3repE0EEENS1_30default_config_static_selectorELNS0_4arch9wavefront6targetE0EEEvSQ_,comdat
.Lfunc_end317:
	.size	_ZN7rocprim17ROCPRIM_400000_NS6detail17trampoline_kernelINS0_14default_configENS1_22reduce_config_selectorIbEEZNS1_11reduce_implILb1ES3_N6hipcub16HIPCUB_304000_NS22TransformInputIteratorIbN2at6native12_GLOBAL__N_19NonZeroOpIsEEPKslEEPiiNS8_6detail34convert_binary_result_type_wrapperINS8_3SumESH_iEEEE10hipError_tPvRmT1_T2_T3_mT4_P12ihipStream_tbEUlT_E1_NS1_11comp_targetILNS1_3genE2ELNS1_11target_archE906ELNS1_3gpuE6ELNS1_3repE0EEENS1_30default_config_static_selectorELNS0_4arch9wavefront6targetE0EEEvSQ_, .Lfunc_end317-_ZN7rocprim17ROCPRIM_400000_NS6detail17trampoline_kernelINS0_14default_configENS1_22reduce_config_selectorIbEEZNS1_11reduce_implILb1ES3_N6hipcub16HIPCUB_304000_NS22TransformInputIteratorIbN2at6native12_GLOBAL__N_19NonZeroOpIsEEPKslEEPiiNS8_6detail34convert_binary_result_type_wrapperINS8_3SumESH_iEEEE10hipError_tPvRmT1_T2_T3_mT4_P12ihipStream_tbEUlT_E1_NS1_11comp_targetILNS1_3genE2ELNS1_11target_archE906ELNS1_3gpuE6ELNS1_3repE0EEENS1_30default_config_static_selectorELNS0_4arch9wavefront6targetE0EEEvSQ_
                                        ; -- End function
	.section	.AMDGPU.csdata,"",@progbits
; Kernel info:
; codeLenInByte = 0
; NumSgprs: 0
; NumVgprs: 0
; ScratchSize: 0
; MemoryBound: 0
; FloatMode: 240
; IeeeMode: 1
; LDSByteSize: 0 bytes/workgroup (compile time only)
; SGPRBlocks: 0
; VGPRBlocks: 0
; NumSGPRsForWavesPerEU: 1
; NumVGPRsForWavesPerEU: 1
; Occupancy: 16
; WaveLimiterHint : 0
; COMPUTE_PGM_RSRC2:SCRATCH_EN: 0
; COMPUTE_PGM_RSRC2:USER_SGPR: 15
; COMPUTE_PGM_RSRC2:TRAP_HANDLER: 0
; COMPUTE_PGM_RSRC2:TGID_X_EN: 1
; COMPUTE_PGM_RSRC2:TGID_Y_EN: 0
; COMPUTE_PGM_RSRC2:TGID_Z_EN: 0
; COMPUTE_PGM_RSRC2:TIDIG_COMP_CNT: 0
	.section	.text._ZN7rocprim17ROCPRIM_400000_NS6detail17trampoline_kernelINS0_14default_configENS1_22reduce_config_selectorIbEEZNS1_11reduce_implILb1ES3_N6hipcub16HIPCUB_304000_NS22TransformInputIteratorIbN2at6native12_GLOBAL__N_19NonZeroOpIsEEPKslEEPiiNS8_6detail34convert_binary_result_type_wrapperINS8_3SumESH_iEEEE10hipError_tPvRmT1_T2_T3_mT4_P12ihipStream_tbEUlT_E1_NS1_11comp_targetILNS1_3genE10ELNS1_11target_archE1201ELNS1_3gpuE5ELNS1_3repE0EEENS1_30default_config_static_selectorELNS0_4arch9wavefront6targetE0EEEvSQ_,"axG",@progbits,_ZN7rocprim17ROCPRIM_400000_NS6detail17trampoline_kernelINS0_14default_configENS1_22reduce_config_selectorIbEEZNS1_11reduce_implILb1ES3_N6hipcub16HIPCUB_304000_NS22TransformInputIteratorIbN2at6native12_GLOBAL__N_19NonZeroOpIsEEPKslEEPiiNS8_6detail34convert_binary_result_type_wrapperINS8_3SumESH_iEEEE10hipError_tPvRmT1_T2_T3_mT4_P12ihipStream_tbEUlT_E1_NS1_11comp_targetILNS1_3genE10ELNS1_11target_archE1201ELNS1_3gpuE5ELNS1_3repE0EEENS1_30default_config_static_selectorELNS0_4arch9wavefront6targetE0EEEvSQ_,comdat
	.globl	_ZN7rocprim17ROCPRIM_400000_NS6detail17trampoline_kernelINS0_14default_configENS1_22reduce_config_selectorIbEEZNS1_11reduce_implILb1ES3_N6hipcub16HIPCUB_304000_NS22TransformInputIteratorIbN2at6native12_GLOBAL__N_19NonZeroOpIsEEPKslEEPiiNS8_6detail34convert_binary_result_type_wrapperINS8_3SumESH_iEEEE10hipError_tPvRmT1_T2_T3_mT4_P12ihipStream_tbEUlT_E1_NS1_11comp_targetILNS1_3genE10ELNS1_11target_archE1201ELNS1_3gpuE5ELNS1_3repE0EEENS1_30default_config_static_selectorELNS0_4arch9wavefront6targetE0EEEvSQ_ ; -- Begin function _ZN7rocprim17ROCPRIM_400000_NS6detail17trampoline_kernelINS0_14default_configENS1_22reduce_config_selectorIbEEZNS1_11reduce_implILb1ES3_N6hipcub16HIPCUB_304000_NS22TransformInputIteratorIbN2at6native12_GLOBAL__N_19NonZeroOpIsEEPKslEEPiiNS8_6detail34convert_binary_result_type_wrapperINS8_3SumESH_iEEEE10hipError_tPvRmT1_T2_T3_mT4_P12ihipStream_tbEUlT_E1_NS1_11comp_targetILNS1_3genE10ELNS1_11target_archE1201ELNS1_3gpuE5ELNS1_3repE0EEENS1_30default_config_static_selectorELNS0_4arch9wavefront6targetE0EEEvSQ_
	.p2align	8
	.type	_ZN7rocprim17ROCPRIM_400000_NS6detail17trampoline_kernelINS0_14default_configENS1_22reduce_config_selectorIbEEZNS1_11reduce_implILb1ES3_N6hipcub16HIPCUB_304000_NS22TransformInputIteratorIbN2at6native12_GLOBAL__N_19NonZeroOpIsEEPKslEEPiiNS8_6detail34convert_binary_result_type_wrapperINS8_3SumESH_iEEEE10hipError_tPvRmT1_T2_T3_mT4_P12ihipStream_tbEUlT_E1_NS1_11comp_targetILNS1_3genE10ELNS1_11target_archE1201ELNS1_3gpuE5ELNS1_3repE0EEENS1_30default_config_static_selectorELNS0_4arch9wavefront6targetE0EEEvSQ_,@function
_ZN7rocprim17ROCPRIM_400000_NS6detail17trampoline_kernelINS0_14default_configENS1_22reduce_config_selectorIbEEZNS1_11reduce_implILb1ES3_N6hipcub16HIPCUB_304000_NS22TransformInputIteratorIbN2at6native12_GLOBAL__N_19NonZeroOpIsEEPKslEEPiiNS8_6detail34convert_binary_result_type_wrapperINS8_3SumESH_iEEEE10hipError_tPvRmT1_T2_T3_mT4_P12ihipStream_tbEUlT_E1_NS1_11comp_targetILNS1_3genE10ELNS1_11target_archE1201ELNS1_3gpuE5ELNS1_3repE0EEENS1_30default_config_static_selectorELNS0_4arch9wavefront6targetE0EEEvSQ_: ; @_ZN7rocprim17ROCPRIM_400000_NS6detail17trampoline_kernelINS0_14default_configENS1_22reduce_config_selectorIbEEZNS1_11reduce_implILb1ES3_N6hipcub16HIPCUB_304000_NS22TransformInputIteratorIbN2at6native12_GLOBAL__N_19NonZeroOpIsEEPKslEEPiiNS8_6detail34convert_binary_result_type_wrapperINS8_3SumESH_iEEEE10hipError_tPvRmT1_T2_T3_mT4_P12ihipStream_tbEUlT_E1_NS1_11comp_targetILNS1_3genE10ELNS1_11target_archE1201ELNS1_3gpuE5ELNS1_3repE0EEENS1_30default_config_static_selectorELNS0_4arch9wavefront6targetE0EEEvSQ_
; %bb.0:
	.section	.rodata,"a",@progbits
	.p2align	6, 0x0
	.amdhsa_kernel _ZN7rocprim17ROCPRIM_400000_NS6detail17trampoline_kernelINS0_14default_configENS1_22reduce_config_selectorIbEEZNS1_11reduce_implILb1ES3_N6hipcub16HIPCUB_304000_NS22TransformInputIteratorIbN2at6native12_GLOBAL__N_19NonZeroOpIsEEPKslEEPiiNS8_6detail34convert_binary_result_type_wrapperINS8_3SumESH_iEEEE10hipError_tPvRmT1_T2_T3_mT4_P12ihipStream_tbEUlT_E1_NS1_11comp_targetILNS1_3genE10ELNS1_11target_archE1201ELNS1_3gpuE5ELNS1_3repE0EEENS1_30default_config_static_selectorELNS0_4arch9wavefront6targetE0EEEvSQ_
		.amdhsa_group_segment_fixed_size 0
		.amdhsa_private_segment_fixed_size 0
		.amdhsa_kernarg_size 48
		.amdhsa_user_sgpr_count 15
		.amdhsa_user_sgpr_dispatch_ptr 0
		.amdhsa_user_sgpr_queue_ptr 0
		.amdhsa_user_sgpr_kernarg_segment_ptr 1
		.amdhsa_user_sgpr_dispatch_id 0
		.amdhsa_user_sgpr_private_segment_size 0
		.amdhsa_wavefront_size32 1
		.amdhsa_uses_dynamic_stack 0
		.amdhsa_enable_private_segment 0
		.amdhsa_system_sgpr_workgroup_id_x 1
		.amdhsa_system_sgpr_workgroup_id_y 0
		.amdhsa_system_sgpr_workgroup_id_z 0
		.amdhsa_system_sgpr_workgroup_info 0
		.amdhsa_system_vgpr_workitem_id 0
		.amdhsa_next_free_vgpr 1
		.amdhsa_next_free_sgpr 1
		.amdhsa_reserve_vcc 0
		.amdhsa_float_round_mode_32 0
		.amdhsa_float_round_mode_16_64 0
		.amdhsa_float_denorm_mode_32 3
		.amdhsa_float_denorm_mode_16_64 3
		.amdhsa_dx10_clamp 1
		.amdhsa_ieee_mode 1
		.amdhsa_fp16_overflow 0
		.amdhsa_workgroup_processor_mode 1
		.amdhsa_memory_ordered 1
		.amdhsa_forward_progress 0
		.amdhsa_shared_vgpr_count 0
		.amdhsa_exception_fp_ieee_invalid_op 0
		.amdhsa_exception_fp_denorm_src 0
		.amdhsa_exception_fp_ieee_div_zero 0
		.amdhsa_exception_fp_ieee_overflow 0
		.amdhsa_exception_fp_ieee_underflow 0
		.amdhsa_exception_fp_ieee_inexact 0
		.amdhsa_exception_int_div_zero 0
	.end_amdhsa_kernel
	.section	.text._ZN7rocprim17ROCPRIM_400000_NS6detail17trampoline_kernelINS0_14default_configENS1_22reduce_config_selectorIbEEZNS1_11reduce_implILb1ES3_N6hipcub16HIPCUB_304000_NS22TransformInputIteratorIbN2at6native12_GLOBAL__N_19NonZeroOpIsEEPKslEEPiiNS8_6detail34convert_binary_result_type_wrapperINS8_3SumESH_iEEEE10hipError_tPvRmT1_T2_T3_mT4_P12ihipStream_tbEUlT_E1_NS1_11comp_targetILNS1_3genE10ELNS1_11target_archE1201ELNS1_3gpuE5ELNS1_3repE0EEENS1_30default_config_static_selectorELNS0_4arch9wavefront6targetE0EEEvSQ_,"axG",@progbits,_ZN7rocprim17ROCPRIM_400000_NS6detail17trampoline_kernelINS0_14default_configENS1_22reduce_config_selectorIbEEZNS1_11reduce_implILb1ES3_N6hipcub16HIPCUB_304000_NS22TransformInputIteratorIbN2at6native12_GLOBAL__N_19NonZeroOpIsEEPKslEEPiiNS8_6detail34convert_binary_result_type_wrapperINS8_3SumESH_iEEEE10hipError_tPvRmT1_T2_T3_mT4_P12ihipStream_tbEUlT_E1_NS1_11comp_targetILNS1_3genE10ELNS1_11target_archE1201ELNS1_3gpuE5ELNS1_3repE0EEENS1_30default_config_static_selectorELNS0_4arch9wavefront6targetE0EEEvSQ_,comdat
.Lfunc_end318:
	.size	_ZN7rocprim17ROCPRIM_400000_NS6detail17trampoline_kernelINS0_14default_configENS1_22reduce_config_selectorIbEEZNS1_11reduce_implILb1ES3_N6hipcub16HIPCUB_304000_NS22TransformInputIteratorIbN2at6native12_GLOBAL__N_19NonZeroOpIsEEPKslEEPiiNS8_6detail34convert_binary_result_type_wrapperINS8_3SumESH_iEEEE10hipError_tPvRmT1_T2_T3_mT4_P12ihipStream_tbEUlT_E1_NS1_11comp_targetILNS1_3genE10ELNS1_11target_archE1201ELNS1_3gpuE5ELNS1_3repE0EEENS1_30default_config_static_selectorELNS0_4arch9wavefront6targetE0EEEvSQ_, .Lfunc_end318-_ZN7rocprim17ROCPRIM_400000_NS6detail17trampoline_kernelINS0_14default_configENS1_22reduce_config_selectorIbEEZNS1_11reduce_implILb1ES3_N6hipcub16HIPCUB_304000_NS22TransformInputIteratorIbN2at6native12_GLOBAL__N_19NonZeroOpIsEEPKslEEPiiNS8_6detail34convert_binary_result_type_wrapperINS8_3SumESH_iEEEE10hipError_tPvRmT1_T2_T3_mT4_P12ihipStream_tbEUlT_E1_NS1_11comp_targetILNS1_3genE10ELNS1_11target_archE1201ELNS1_3gpuE5ELNS1_3repE0EEENS1_30default_config_static_selectorELNS0_4arch9wavefront6targetE0EEEvSQ_
                                        ; -- End function
	.section	.AMDGPU.csdata,"",@progbits
; Kernel info:
; codeLenInByte = 0
; NumSgprs: 0
; NumVgprs: 0
; ScratchSize: 0
; MemoryBound: 0
; FloatMode: 240
; IeeeMode: 1
; LDSByteSize: 0 bytes/workgroup (compile time only)
; SGPRBlocks: 0
; VGPRBlocks: 0
; NumSGPRsForWavesPerEU: 1
; NumVGPRsForWavesPerEU: 1
; Occupancy: 16
; WaveLimiterHint : 0
; COMPUTE_PGM_RSRC2:SCRATCH_EN: 0
; COMPUTE_PGM_RSRC2:USER_SGPR: 15
; COMPUTE_PGM_RSRC2:TRAP_HANDLER: 0
; COMPUTE_PGM_RSRC2:TGID_X_EN: 1
; COMPUTE_PGM_RSRC2:TGID_Y_EN: 0
; COMPUTE_PGM_RSRC2:TGID_Z_EN: 0
; COMPUTE_PGM_RSRC2:TIDIG_COMP_CNT: 0
	.section	.text._ZN7rocprim17ROCPRIM_400000_NS6detail17trampoline_kernelINS0_14default_configENS1_22reduce_config_selectorIbEEZNS1_11reduce_implILb1ES3_N6hipcub16HIPCUB_304000_NS22TransformInputIteratorIbN2at6native12_GLOBAL__N_19NonZeroOpIsEEPKslEEPiiNS8_6detail34convert_binary_result_type_wrapperINS8_3SumESH_iEEEE10hipError_tPvRmT1_T2_T3_mT4_P12ihipStream_tbEUlT_E1_NS1_11comp_targetILNS1_3genE10ELNS1_11target_archE1200ELNS1_3gpuE4ELNS1_3repE0EEENS1_30default_config_static_selectorELNS0_4arch9wavefront6targetE0EEEvSQ_,"axG",@progbits,_ZN7rocprim17ROCPRIM_400000_NS6detail17trampoline_kernelINS0_14default_configENS1_22reduce_config_selectorIbEEZNS1_11reduce_implILb1ES3_N6hipcub16HIPCUB_304000_NS22TransformInputIteratorIbN2at6native12_GLOBAL__N_19NonZeroOpIsEEPKslEEPiiNS8_6detail34convert_binary_result_type_wrapperINS8_3SumESH_iEEEE10hipError_tPvRmT1_T2_T3_mT4_P12ihipStream_tbEUlT_E1_NS1_11comp_targetILNS1_3genE10ELNS1_11target_archE1200ELNS1_3gpuE4ELNS1_3repE0EEENS1_30default_config_static_selectorELNS0_4arch9wavefront6targetE0EEEvSQ_,comdat
	.globl	_ZN7rocprim17ROCPRIM_400000_NS6detail17trampoline_kernelINS0_14default_configENS1_22reduce_config_selectorIbEEZNS1_11reduce_implILb1ES3_N6hipcub16HIPCUB_304000_NS22TransformInputIteratorIbN2at6native12_GLOBAL__N_19NonZeroOpIsEEPKslEEPiiNS8_6detail34convert_binary_result_type_wrapperINS8_3SumESH_iEEEE10hipError_tPvRmT1_T2_T3_mT4_P12ihipStream_tbEUlT_E1_NS1_11comp_targetILNS1_3genE10ELNS1_11target_archE1200ELNS1_3gpuE4ELNS1_3repE0EEENS1_30default_config_static_selectorELNS0_4arch9wavefront6targetE0EEEvSQ_ ; -- Begin function _ZN7rocprim17ROCPRIM_400000_NS6detail17trampoline_kernelINS0_14default_configENS1_22reduce_config_selectorIbEEZNS1_11reduce_implILb1ES3_N6hipcub16HIPCUB_304000_NS22TransformInputIteratorIbN2at6native12_GLOBAL__N_19NonZeroOpIsEEPKslEEPiiNS8_6detail34convert_binary_result_type_wrapperINS8_3SumESH_iEEEE10hipError_tPvRmT1_T2_T3_mT4_P12ihipStream_tbEUlT_E1_NS1_11comp_targetILNS1_3genE10ELNS1_11target_archE1200ELNS1_3gpuE4ELNS1_3repE0EEENS1_30default_config_static_selectorELNS0_4arch9wavefront6targetE0EEEvSQ_
	.p2align	8
	.type	_ZN7rocprim17ROCPRIM_400000_NS6detail17trampoline_kernelINS0_14default_configENS1_22reduce_config_selectorIbEEZNS1_11reduce_implILb1ES3_N6hipcub16HIPCUB_304000_NS22TransformInputIteratorIbN2at6native12_GLOBAL__N_19NonZeroOpIsEEPKslEEPiiNS8_6detail34convert_binary_result_type_wrapperINS8_3SumESH_iEEEE10hipError_tPvRmT1_T2_T3_mT4_P12ihipStream_tbEUlT_E1_NS1_11comp_targetILNS1_3genE10ELNS1_11target_archE1200ELNS1_3gpuE4ELNS1_3repE0EEENS1_30default_config_static_selectorELNS0_4arch9wavefront6targetE0EEEvSQ_,@function
_ZN7rocprim17ROCPRIM_400000_NS6detail17trampoline_kernelINS0_14default_configENS1_22reduce_config_selectorIbEEZNS1_11reduce_implILb1ES3_N6hipcub16HIPCUB_304000_NS22TransformInputIteratorIbN2at6native12_GLOBAL__N_19NonZeroOpIsEEPKslEEPiiNS8_6detail34convert_binary_result_type_wrapperINS8_3SumESH_iEEEE10hipError_tPvRmT1_T2_T3_mT4_P12ihipStream_tbEUlT_E1_NS1_11comp_targetILNS1_3genE10ELNS1_11target_archE1200ELNS1_3gpuE4ELNS1_3repE0EEENS1_30default_config_static_selectorELNS0_4arch9wavefront6targetE0EEEvSQ_: ; @_ZN7rocprim17ROCPRIM_400000_NS6detail17trampoline_kernelINS0_14default_configENS1_22reduce_config_selectorIbEEZNS1_11reduce_implILb1ES3_N6hipcub16HIPCUB_304000_NS22TransformInputIteratorIbN2at6native12_GLOBAL__N_19NonZeroOpIsEEPKslEEPiiNS8_6detail34convert_binary_result_type_wrapperINS8_3SumESH_iEEEE10hipError_tPvRmT1_T2_T3_mT4_P12ihipStream_tbEUlT_E1_NS1_11comp_targetILNS1_3genE10ELNS1_11target_archE1200ELNS1_3gpuE4ELNS1_3repE0EEENS1_30default_config_static_selectorELNS0_4arch9wavefront6targetE0EEEvSQ_
; %bb.0:
	.section	.rodata,"a",@progbits
	.p2align	6, 0x0
	.amdhsa_kernel _ZN7rocprim17ROCPRIM_400000_NS6detail17trampoline_kernelINS0_14default_configENS1_22reduce_config_selectorIbEEZNS1_11reduce_implILb1ES3_N6hipcub16HIPCUB_304000_NS22TransformInputIteratorIbN2at6native12_GLOBAL__N_19NonZeroOpIsEEPKslEEPiiNS8_6detail34convert_binary_result_type_wrapperINS8_3SumESH_iEEEE10hipError_tPvRmT1_T2_T3_mT4_P12ihipStream_tbEUlT_E1_NS1_11comp_targetILNS1_3genE10ELNS1_11target_archE1200ELNS1_3gpuE4ELNS1_3repE0EEENS1_30default_config_static_selectorELNS0_4arch9wavefront6targetE0EEEvSQ_
		.amdhsa_group_segment_fixed_size 0
		.amdhsa_private_segment_fixed_size 0
		.amdhsa_kernarg_size 48
		.amdhsa_user_sgpr_count 15
		.amdhsa_user_sgpr_dispatch_ptr 0
		.amdhsa_user_sgpr_queue_ptr 0
		.amdhsa_user_sgpr_kernarg_segment_ptr 1
		.amdhsa_user_sgpr_dispatch_id 0
		.amdhsa_user_sgpr_private_segment_size 0
		.amdhsa_wavefront_size32 1
		.amdhsa_uses_dynamic_stack 0
		.amdhsa_enable_private_segment 0
		.amdhsa_system_sgpr_workgroup_id_x 1
		.amdhsa_system_sgpr_workgroup_id_y 0
		.amdhsa_system_sgpr_workgroup_id_z 0
		.amdhsa_system_sgpr_workgroup_info 0
		.amdhsa_system_vgpr_workitem_id 0
		.amdhsa_next_free_vgpr 1
		.amdhsa_next_free_sgpr 1
		.amdhsa_reserve_vcc 0
		.amdhsa_float_round_mode_32 0
		.amdhsa_float_round_mode_16_64 0
		.amdhsa_float_denorm_mode_32 3
		.amdhsa_float_denorm_mode_16_64 3
		.amdhsa_dx10_clamp 1
		.amdhsa_ieee_mode 1
		.amdhsa_fp16_overflow 0
		.amdhsa_workgroup_processor_mode 1
		.amdhsa_memory_ordered 1
		.amdhsa_forward_progress 0
		.amdhsa_shared_vgpr_count 0
		.amdhsa_exception_fp_ieee_invalid_op 0
		.amdhsa_exception_fp_denorm_src 0
		.amdhsa_exception_fp_ieee_div_zero 0
		.amdhsa_exception_fp_ieee_overflow 0
		.amdhsa_exception_fp_ieee_underflow 0
		.amdhsa_exception_fp_ieee_inexact 0
		.amdhsa_exception_int_div_zero 0
	.end_amdhsa_kernel
	.section	.text._ZN7rocprim17ROCPRIM_400000_NS6detail17trampoline_kernelINS0_14default_configENS1_22reduce_config_selectorIbEEZNS1_11reduce_implILb1ES3_N6hipcub16HIPCUB_304000_NS22TransformInputIteratorIbN2at6native12_GLOBAL__N_19NonZeroOpIsEEPKslEEPiiNS8_6detail34convert_binary_result_type_wrapperINS8_3SumESH_iEEEE10hipError_tPvRmT1_T2_T3_mT4_P12ihipStream_tbEUlT_E1_NS1_11comp_targetILNS1_3genE10ELNS1_11target_archE1200ELNS1_3gpuE4ELNS1_3repE0EEENS1_30default_config_static_selectorELNS0_4arch9wavefront6targetE0EEEvSQ_,"axG",@progbits,_ZN7rocprim17ROCPRIM_400000_NS6detail17trampoline_kernelINS0_14default_configENS1_22reduce_config_selectorIbEEZNS1_11reduce_implILb1ES3_N6hipcub16HIPCUB_304000_NS22TransformInputIteratorIbN2at6native12_GLOBAL__N_19NonZeroOpIsEEPKslEEPiiNS8_6detail34convert_binary_result_type_wrapperINS8_3SumESH_iEEEE10hipError_tPvRmT1_T2_T3_mT4_P12ihipStream_tbEUlT_E1_NS1_11comp_targetILNS1_3genE10ELNS1_11target_archE1200ELNS1_3gpuE4ELNS1_3repE0EEENS1_30default_config_static_selectorELNS0_4arch9wavefront6targetE0EEEvSQ_,comdat
.Lfunc_end319:
	.size	_ZN7rocprim17ROCPRIM_400000_NS6detail17trampoline_kernelINS0_14default_configENS1_22reduce_config_selectorIbEEZNS1_11reduce_implILb1ES3_N6hipcub16HIPCUB_304000_NS22TransformInputIteratorIbN2at6native12_GLOBAL__N_19NonZeroOpIsEEPKslEEPiiNS8_6detail34convert_binary_result_type_wrapperINS8_3SumESH_iEEEE10hipError_tPvRmT1_T2_T3_mT4_P12ihipStream_tbEUlT_E1_NS1_11comp_targetILNS1_3genE10ELNS1_11target_archE1200ELNS1_3gpuE4ELNS1_3repE0EEENS1_30default_config_static_selectorELNS0_4arch9wavefront6targetE0EEEvSQ_, .Lfunc_end319-_ZN7rocprim17ROCPRIM_400000_NS6detail17trampoline_kernelINS0_14default_configENS1_22reduce_config_selectorIbEEZNS1_11reduce_implILb1ES3_N6hipcub16HIPCUB_304000_NS22TransformInputIteratorIbN2at6native12_GLOBAL__N_19NonZeroOpIsEEPKslEEPiiNS8_6detail34convert_binary_result_type_wrapperINS8_3SumESH_iEEEE10hipError_tPvRmT1_T2_T3_mT4_P12ihipStream_tbEUlT_E1_NS1_11comp_targetILNS1_3genE10ELNS1_11target_archE1200ELNS1_3gpuE4ELNS1_3repE0EEENS1_30default_config_static_selectorELNS0_4arch9wavefront6targetE0EEEvSQ_
                                        ; -- End function
	.section	.AMDGPU.csdata,"",@progbits
; Kernel info:
; codeLenInByte = 0
; NumSgprs: 0
; NumVgprs: 0
; ScratchSize: 0
; MemoryBound: 0
; FloatMode: 240
; IeeeMode: 1
; LDSByteSize: 0 bytes/workgroup (compile time only)
; SGPRBlocks: 0
; VGPRBlocks: 0
; NumSGPRsForWavesPerEU: 1
; NumVGPRsForWavesPerEU: 1
; Occupancy: 16
; WaveLimiterHint : 0
; COMPUTE_PGM_RSRC2:SCRATCH_EN: 0
; COMPUTE_PGM_RSRC2:USER_SGPR: 15
; COMPUTE_PGM_RSRC2:TRAP_HANDLER: 0
; COMPUTE_PGM_RSRC2:TGID_X_EN: 1
; COMPUTE_PGM_RSRC2:TGID_Y_EN: 0
; COMPUTE_PGM_RSRC2:TGID_Z_EN: 0
; COMPUTE_PGM_RSRC2:TIDIG_COMP_CNT: 0
	.section	.text._ZN7rocprim17ROCPRIM_400000_NS6detail17trampoline_kernelINS0_14default_configENS1_22reduce_config_selectorIbEEZNS1_11reduce_implILb1ES3_N6hipcub16HIPCUB_304000_NS22TransformInputIteratorIbN2at6native12_GLOBAL__N_19NonZeroOpIsEEPKslEEPiiNS8_6detail34convert_binary_result_type_wrapperINS8_3SumESH_iEEEE10hipError_tPvRmT1_T2_T3_mT4_P12ihipStream_tbEUlT_E1_NS1_11comp_targetILNS1_3genE9ELNS1_11target_archE1100ELNS1_3gpuE3ELNS1_3repE0EEENS1_30default_config_static_selectorELNS0_4arch9wavefront6targetE0EEEvSQ_,"axG",@progbits,_ZN7rocprim17ROCPRIM_400000_NS6detail17trampoline_kernelINS0_14default_configENS1_22reduce_config_selectorIbEEZNS1_11reduce_implILb1ES3_N6hipcub16HIPCUB_304000_NS22TransformInputIteratorIbN2at6native12_GLOBAL__N_19NonZeroOpIsEEPKslEEPiiNS8_6detail34convert_binary_result_type_wrapperINS8_3SumESH_iEEEE10hipError_tPvRmT1_T2_T3_mT4_P12ihipStream_tbEUlT_E1_NS1_11comp_targetILNS1_3genE9ELNS1_11target_archE1100ELNS1_3gpuE3ELNS1_3repE0EEENS1_30default_config_static_selectorELNS0_4arch9wavefront6targetE0EEEvSQ_,comdat
	.globl	_ZN7rocprim17ROCPRIM_400000_NS6detail17trampoline_kernelINS0_14default_configENS1_22reduce_config_selectorIbEEZNS1_11reduce_implILb1ES3_N6hipcub16HIPCUB_304000_NS22TransformInputIteratorIbN2at6native12_GLOBAL__N_19NonZeroOpIsEEPKslEEPiiNS8_6detail34convert_binary_result_type_wrapperINS8_3SumESH_iEEEE10hipError_tPvRmT1_T2_T3_mT4_P12ihipStream_tbEUlT_E1_NS1_11comp_targetILNS1_3genE9ELNS1_11target_archE1100ELNS1_3gpuE3ELNS1_3repE0EEENS1_30default_config_static_selectorELNS0_4arch9wavefront6targetE0EEEvSQ_ ; -- Begin function _ZN7rocprim17ROCPRIM_400000_NS6detail17trampoline_kernelINS0_14default_configENS1_22reduce_config_selectorIbEEZNS1_11reduce_implILb1ES3_N6hipcub16HIPCUB_304000_NS22TransformInputIteratorIbN2at6native12_GLOBAL__N_19NonZeroOpIsEEPKslEEPiiNS8_6detail34convert_binary_result_type_wrapperINS8_3SumESH_iEEEE10hipError_tPvRmT1_T2_T3_mT4_P12ihipStream_tbEUlT_E1_NS1_11comp_targetILNS1_3genE9ELNS1_11target_archE1100ELNS1_3gpuE3ELNS1_3repE0EEENS1_30default_config_static_selectorELNS0_4arch9wavefront6targetE0EEEvSQ_
	.p2align	8
	.type	_ZN7rocprim17ROCPRIM_400000_NS6detail17trampoline_kernelINS0_14default_configENS1_22reduce_config_selectorIbEEZNS1_11reduce_implILb1ES3_N6hipcub16HIPCUB_304000_NS22TransformInputIteratorIbN2at6native12_GLOBAL__N_19NonZeroOpIsEEPKslEEPiiNS8_6detail34convert_binary_result_type_wrapperINS8_3SumESH_iEEEE10hipError_tPvRmT1_T2_T3_mT4_P12ihipStream_tbEUlT_E1_NS1_11comp_targetILNS1_3genE9ELNS1_11target_archE1100ELNS1_3gpuE3ELNS1_3repE0EEENS1_30default_config_static_selectorELNS0_4arch9wavefront6targetE0EEEvSQ_,@function
_ZN7rocprim17ROCPRIM_400000_NS6detail17trampoline_kernelINS0_14default_configENS1_22reduce_config_selectorIbEEZNS1_11reduce_implILb1ES3_N6hipcub16HIPCUB_304000_NS22TransformInputIteratorIbN2at6native12_GLOBAL__N_19NonZeroOpIsEEPKslEEPiiNS8_6detail34convert_binary_result_type_wrapperINS8_3SumESH_iEEEE10hipError_tPvRmT1_T2_T3_mT4_P12ihipStream_tbEUlT_E1_NS1_11comp_targetILNS1_3genE9ELNS1_11target_archE1100ELNS1_3gpuE3ELNS1_3repE0EEENS1_30default_config_static_selectorELNS0_4arch9wavefront6targetE0EEEvSQ_: ; @_ZN7rocprim17ROCPRIM_400000_NS6detail17trampoline_kernelINS0_14default_configENS1_22reduce_config_selectorIbEEZNS1_11reduce_implILb1ES3_N6hipcub16HIPCUB_304000_NS22TransformInputIteratorIbN2at6native12_GLOBAL__N_19NonZeroOpIsEEPKslEEPiiNS8_6detail34convert_binary_result_type_wrapperINS8_3SumESH_iEEEE10hipError_tPvRmT1_T2_T3_mT4_P12ihipStream_tbEUlT_E1_NS1_11comp_targetILNS1_3genE9ELNS1_11target_archE1100ELNS1_3gpuE3ELNS1_3repE0EEENS1_30default_config_static_selectorELNS0_4arch9wavefront6targetE0EEEvSQ_
; %bb.0:
	s_clause 0x2
	s_load_b32 s26, s[0:1], 0x4
	s_load_b64 s[24:25], s[0:1], 0x8
	s_load_b128 s[20:23], s[0:1], 0x18
	s_mov_b32 s18, s15
	s_waitcnt lgkmcnt(0)
	s_cmp_lt_i32 s26, 16
	s_cbranch_scc1 .LBB320_12
; %bb.1:
	s_cmp_gt_i32 s26, 63
	s_cbranch_scc0 .LBB320_13
; %bb.2:
	s_cmpk_gt_i32 s26, 0x7f
	s_cbranch_scc0 .LBB320_22
; %bb.3:
	s_cmpk_eq_i32 s26, 0x80
	s_mov_b32 s6, 0
	s_cbranch_scc0 .LBB320_23
; %bb.4:
	s_mov_b32 s19, 0
	s_lshl_b32 s4, s18, 14
	s_mov_b32 s5, s19
	s_lshr_b64 s[8:9], s[20:21], 14
	s_lshl_b64 s[2:3], s[4:5], 1
	s_delay_alu instid0(SALU_CYCLE_1)
	s_add_u32 s2, s24, s2
	s_addc_u32 s3, s25, s3
	s_cmp_lg_u64 s[8:9], s[18:19]
	s_cbranch_scc0 .LBB320_34
; %bb.5:
	v_lshlrev_b32_e32 v5, 1, v0
	s_clause 0xe
	global_load_u16 v7, v5, s[2:3]
	global_load_u16 v8, v5, s[2:3] offset:512
	global_load_u16 v9, v5, s[2:3] offset:256
	;; [unrolled: 1-line block ×14, first 2 shown]
	v_add_co_u32 v18, s5, s2, v5
	s_delay_alu instid0(VALU_DEP_1) | instskip(SKIP_1) | instid1(VALU_DEP_2)
	v_add_co_ci_u32_e64 v19, null, s3, 0, s5
	s_mov_b32 s5, exec_lo
	v_add_co_u32 v1, vcc_lo, v18, 0x2000
	s_delay_alu instid0(VALU_DEP_2)
	v_add_co_ci_u32_e32 v2, vcc_lo, 0, v19, vcc_lo
	v_add_co_u32 v3, vcc_lo, 0x1000, v18
	v_add_co_ci_u32_e32 v4, vcc_lo, 0, v19, vcc_lo
	s_clause 0xf
	global_load_u16 v24, v[1:2], off offset:-4096
	global_load_u16 v25, v5, s[2:3] offset:3840
	global_load_u16 v26, v[3:4], off offset:512
	global_load_u16 v27, v[3:4], off offset:256
	;; [unrolled: 1-line block ×14, first 2 shown]
	v_add_co_u32 v5, vcc_lo, 0x2000, v18
	v_add_co_ci_u32_e32 v6, vcc_lo, 0, v19, vcc_lo
	s_clause 0xf
	global_load_u16 v40, v[1:2], off
	global_load_u16 v41, v[3:4], off offset:3840
	global_load_u16 v42, v[5:6], off offset:512
	;; [unrolled: 1-line block ×15, first 2 shown]
	v_add_co_u32 v1, vcc_lo, v18, 0x4000
	v_add_co_ci_u32_e32 v2, vcc_lo, 0, v19, vcc_lo
	v_add_co_u32 v3, vcc_lo, 0x3000, v18
	v_add_co_ci_u32_e32 v4, vcc_lo, 0, v19, vcc_lo
	s_clause 0xf
	global_load_u16 v56, v[1:2], off offset:-4096
	global_load_u16 v57, v[5:6], off offset:3840
	global_load_u16 v58, v[3:4], off offset:512
	;; [unrolled: 1-line block ×15, first 2 shown]
	v_add_co_u32 v5, vcc_lo, 0x4000, v18
	v_add_co_ci_u32_e32 v6, vcc_lo, 0, v19, vcc_lo
	s_clause 0xd
	global_load_u16 v72, v[1:2], off
	global_load_u16 v73, v[3:4], off offset:3840
	global_load_u16 v74, v[5:6], off offset:512
	;; [unrolled: 1-line block ×13, first 2 shown]
	v_add_co_u32 v1, vcc_lo, v18, 0x6000
	v_add_co_ci_u32_e32 v2, vcc_lo, 0, v19, vcc_lo
	v_add_co_u32 v3, vcc_lo, 0x5000, v18
	v_add_co_ci_u32_e32 v4, vcc_lo, 0, v19, vcc_lo
	s_clause 0x11
	global_load_u16 v86, v[5:6], off offset:3328
	global_load_u16 v87, v[5:6], off offset:3584
	global_load_u16 v88, v[1:2], off offset:-4096
	global_load_u16 v89, v[5:6], off offset:3840
	global_load_u16 v90, v[3:4], off offset:512
	;; [unrolled: 1-line block ×15, first 2 shown]
	v_add_co_u32 v5, vcc_lo, 0x6000, v18
	v_add_co_ci_u32_e32 v6, vcc_lo, 0, v19, vcc_lo
	s_clause 0xd
	global_load_u16 v104, v[1:2], off
	global_load_u16 v3, v[3:4], off offset:3840
	global_load_u16 v4, v[5:6], off offset:512
	;; [unrolled: 1-line block ×13, first 2 shown]
	v_add_co_u32 v1, vcc_lo, 0x7000, v18
	v_add_co_ci_u32_e32 v2, vcc_lo, 0, v19, vcc_lo
	s_clause 0x12
	global_load_u16 v18, v[5:6], off offset:3584
	global_load_u16 v19, v[5:6], off offset:3328
	global_load_u16 v116, v[1:2], off
	global_load_u16 v5, v[5:6], off offset:3840
	global_load_u16 v6, v[1:2], off offset:512
	;; [unrolled: 1-line block ×16, first 2 shown]
	s_waitcnt vmcnt(62)
	v_cmp_ne_u16_e32 vcc_lo, 0, v7
	v_cndmask_b32_e64 v2, 0, 1, vcc_lo
	v_cmp_ne_u16_e32 vcc_lo, 0, v8
	v_cndmask_b32_e64 v7, 0, 1, vcc_lo
	v_cmp_ne_u16_e32 vcc_lo, 0, v9
	s_delay_alu instid0(VALU_DEP_4) | instskip(SKIP_3) | instid1(VALU_DEP_4)
	v_add_co_ci_u32_e32 v2, vcc_lo, 0, v2, vcc_lo
	v_cmp_ne_u16_e32 vcc_lo, 0, v10
	v_cndmask_b32_e64 v8, 0, 1, vcc_lo
	v_cmp_ne_u16_e32 vcc_lo, 0, v11
	v_add_co_ci_u32_e32 v2, vcc_lo, v2, v7, vcc_lo
	v_cmp_ne_u16_e32 vcc_lo, 0, v12
	v_cndmask_b32_e64 v7, 0, 1, vcc_lo
	v_cmp_ne_u16_e32 vcc_lo, 0, v13
	s_delay_alu instid0(VALU_DEP_4) | instskip(SKIP_3) | instid1(VALU_DEP_4)
	v_add_co_ci_u32_e32 v2, vcc_lo, v2, v8, vcc_lo
	v_cmp_ne_u16_e32 vcc_lo, 0, v14
	v_cndmask_b32_e64 v8, 0, 1, vcc_lo
	v_cmp_ne_u16_e32 vcc_lo, 0, v15
	v_add_co_ci_u32_e32 v2, vcc_lo, v2, v7, vcc_lo
	;; [unrolled: 9-line block ×16, first 2 shown]
	v_cmp_ne_u16_e32 vcc_lo, 0, v74
	v_cndmask_b32_e64 v7, 0, 1, vcc_lo
	s_waitcnt vmcnt(61)
	v_cmp_ne_u16_e32 vcc_lo, 0, v75
	v_add_co_ci_u32_e32 v2, vcc_lo, v2, v8, vcc_lo
	s_waitcnt vmcnt(60)
	v_cmp_ne_u16_e32 vcc_lo, 0, v76
	v_cndmask_b32_e64 v8, 0, 1, vcc_lo
	s_waitcnt vmcnt(59)
	v_cmp_ne_u16_e32 vcc_lo, 0, v77
	v_add_co_ci_u32_e32 v2, vcc_lo, v2, v7, vcc_lo
	s_waitcnt vmcnt(58)
	;; [unrolled: 6-line block ×5, first 2 shown]
	v_cmp_ne_u16_e32 vcc_lo, 0, v85
	v_cndmask_b32_e64 v8, 0, 1, vcc_lo
	v_cmp_ne_u16_e32 vcc_lo, 0, v84
	v_add_co_ci_u32_e32 v2, vcc_lo, v2, v7, vcc_lo
	s_waitcnt vmcnt(49)
	v_cmp_ne_u16_e32 vcc_lo, 0, v87
	v_cndmask_b32_e64 v7, 0, 1, vcc_lo
	v_cmp_ne_u16_e32 vcc_lo, 0, v86
	v_add_co_ci_u32_e32 v2, vcc_lo, v2, v8, vcc_lo
	s_waitcnt vmcnt(48)
	v_cmp_ne_u16_e32 vcc_lo, 0, v88
	v_cndmask_b32_e64 v8, 0, 1, vcc_lo
	s_waitcnt vmcnt(47)
	v_cmp_ne_u16_e32 vcc_lo, 0, v89
	v_add_co_ci_u32_e32 v2, vcc_lo, v2, v7, vcc_lo
	s_waitcnt vmcnt(46)
	v_cmp_ne_u16_e32 vcc_lo, 0, v90
	v_cndmask_b32_e64 v7, 0, 1, vcc_lo
	s_waitcnt vmcnt(45)
	;; [unrolled: 6-line block ×7, first 2 shown]
	v_cmp_ne_u16_e32 vcc_lo, 0, v101
	v_add_co_ci_u32_e32 v2, vcc_lo, v2, v7, vcc_lo
	s_waitcnt vmcnt(33)
	v_cmp_ne_u16_e32 vcc_lo, 0, v103
	v_cndmask_b32_e64 v7, 0, 1, vcc_lo
	v_cmp_ne_u16_e32 vcc_lo, 0, v102
	v_add_co_ci_u32_e32 v2, vcc_lo, v2, v8, vcc_lo
	s_waitcnt vmcnt(32)
	v_cmp_ne_u16_e32 vcc_lo, 0, v104
	v_cndmask_b32_e64 v8, 0, 1, vcc_lo
	s_waitcnt vmcnt(31)
	v_cmp_ne_u16_e32 vcc_lo, 0, v3
	v_add_co_ci_u32_e32 v2, vcc_lo, v2, v7, vcc_lo
	s_waitcnt vmcnt(30)
	v_cmp_ne_u16_e32 vcc_lo, 0, v4
	v_cndmask_b32_e64 v3, 0, 1, vcc_lo
	s_waitcnt vmcnt(29)
	;; [unrolled: 6-line block ×6, first 2 shown]
	v_cmp_ne_u16_e32 vcc_lo, 0, v113
	v_add_co_ci_u32_e32 v2, vcc_lo, v2, v4, vcc_lo
	s_waitcnt vmcnt(19)
	v_cmp_ne_u16_e32 vcc_lo, 0, v115
	v_cndmask_b32_e64 v4, 0, 1, vcc_lo
	v_cmp_ne_u16_e32 vcc_lo, 0, v114
	v_add_co_ci_u32_e32 v2, vcc_lo, v2, v3, vcc_lo
	s_waitcnt vmcnt(18)
	v_cmp_ne_u16_e32 vcc_lo, 0, v18
	v_cndmask_b32_e64 v3, 0, 1, vcc_lo
	s_waitcnt vmcnt(17)
	v_cmp_ne_u16_e32 vcc_lo, 0, v19
	v_add_co_ci_u32_e32 v2, vcc_lo, v2, v4, vcc_lo
	s_waitcnt vmcnt(16)
	v_cmp_ne_u16_e32 vcc_lo, 0, v116
	v_cndmask_b32_e64 v4, 0, 1, vcc_lo
	s_waitcnt vmcnt(15)
	;; [unrolled: 6-line block ×8, first 2 shown]
	v_cmp_ne_u16_e32 vcc_lo, 0, v127
	v_add_co_ci_u32_e32 v2, vcc_lo, v2, v3, vcc_lo
	s_waitcnt vmcnt(2)
	v_cmp_ne_u16_e64 vcc_lo, 0, v128
	s_delay_alu instid0(VALU_DEP_1)
	v_cndmask_b32_e64 v3, 0, 1, vcc_lo
	s_waitcnt vmcnt(1)
	v_cmp_ne_u16_e64 vcc_lo, 0, v129
	v_add_co_ci_u32_e32 v2, vcc_lo, v2, v4, vcc_lo
	s_waitcnt vmcnt(0)
	v_cmp_ne_u16_e32 vcc_lo, 0, v1
	s_delay_alu instid0(VALU_DEP_2) | instskip(SKIP_1) | instid1(VALU_DEP_2)
	v_add_co_ci_u32_e32 v1, vcc_lo, v2, v3, vcc_lo
	v_mov_b32_e32 v3, 0
	v_mov_b32_dpp v2, v1 quad_perm:[1,0,3,2] row_mask:0xf bank_mask:0xf
	s_delay_alu instid0(VALU_DEP_1) | instskip(NEXT) | instid1(VALU_DEP_1)
	v_add_nc_u32_e32 v1, v1, v2
	v_mov_b32_dpp v2, v1 quad_perm:[2,3,0,1] row_mask:0xf bank_mask:0xf
	s_delay_alu instid0(VALU_DEP_1) | instskip(NEXT) | instid1(VALU_DEP_1)
	v_add_nc_u32_e32 v1, v1, v2
	v_mov_b32_dpp v2, v1 row_ror:4 row_mask:0xf bank_mask:0xf
	s_delay_alu instid0(VALU_DEP_1) | instskip(NEXT) | instid1(VALU_DEP_1)
	v_add_nc_u32_e32 v1, v1, v2
	v_mov_b32_dpp v2, v1 row_ror:8 row_mask:0xf bank_mask:0xf
	s_delay_alu instid0(VALU_DEP_1)
	v_add_nc_u32_e32 v1, v1, v2
	ds_swizzle_b32 v2, v1 offset:swizzle(BROADCAST,32,15)
	s_waitcnt lgkmcnt(0)
	v_add_nc_u32_e32 v1, v1, v2
	v_mbcnt_lo_u32_b32 v2, -1, 0
	ds_bpermute_b32 v1, v3, v1 offset:124
	v_cmpx_eq_u32_e32 0, v2
	s_cbranch_execz .LBB320_7
; %bb.6:
	v_lshrrev_b32_e32 v3, 3, v0
	s_delay_alu instid0(VALU_DEP_1)
	v_and_b32_e32 v3, 12, v3
	s_waitcnt lgkmcnt(0)
	ds_store_b32 v3, v1
.LBB320_7:
	s_or_b32 exec_lo, exec_lo, s5
	s_delay_alu instid0(SALU_CYCLE_1)
	s_mov_b32 s5, exec_lo
	s_waitcnt lgkmcnt(0)
	s_barrier
	buffer_gl0_inv
	v_cmpx_gt_u32_e32 32, v0
	s_cbranch_execz .LBB320_9
; %bb.8:
	v_and_b32_e32 v1, 3, v2
	s_delay_alu instid0(VALU_DEP_1) | instskip(SKIP_4) | instid1(VALU_DEP_2)
	v_lshlrev_b32_e32 v3, 2, v1
	v_cmp_ne_u32_e32 vcc_lo, 3, v1
	ds_load_b32 v3, v3
	v_add_co_ci_u32_e32 v4, vcc_lo, 0, v2, vcc_lo
	v_cmp_gt_u32_e32 vcc_lo, 2, v1
	v_lshlrev_b32_e32 v4, 2, v4
	v_cndmask_b32_e64 v1, 0, 1, vcc_lo
	s_delay_alu instid0(VALU_DEP_1) | instskip(NEXT) | instid1(VALU_DEP_1)
	v_lshlrev_b32_e32 v1, 1, v1
	v_add_lshl_u32 v1, v1, v2, 2
	s_waitcnt lgkmcnt(0)
	ds_bpermute_b32 v4, v4, v3
	s_waitcnt lgkmcnt(0)
	v_add_nc_u32_e32 v3, v4, v3
	ds_bpermute_b32 v1, v1, v3
	s_waitcnt lgkmcnt(0)
	v_add_nc_u32_e32 v1, v1, v3
.LBB320_9:
	s_or_b32 exec_lo, exec_lo, s5
.LBB320_10:
	v_cmp_eq_u32_e64 s2, 0, v0
	s_and_b32 vcc_lo, exec_lo, s6
	s_cbranch_vccnz .LBB320_24
.LBB320_11:
	s_branch .LBB320_512
.LBB320_12:
	s_mov_b32 s2, 0
                                        ; implicit-def: $vgpr1
	s_cbranch_execz .LBB320_623
	s_branch .LBB320_513
.LBB320_13:
	s_mov_b32 s2, 0
                                        ; implicit-def: $vgpr1
	s_cbranch_execz .LBB320_512
; %bb.14:
	s_cmp_gt_i32 s26, 31
	s_cbranch_scc0 .LBB320_31
; %bb.15:
	s_cmp_eq_u32 s26, 32
	s_cbranch_scc0 .LBB320_32
; %bb.16:
	s_mov_b32 s19, 0
	s_lshl_b32 s4, s18, 12
	s_mov_b32 s5, s19
	s_lshr_b64 s[6:7], s[20:21], 12
	s_lshl_b64 s[2:3], s[4:5], 1
	s_delay_alu instid0(SALU_CYCLE_1)
	s_add_u32 s2, s24, s2
	s_addc_u32 s3, s25, s3
	s_cmp_lg_u64 s[6:7], s[18:19]
	s_cbranch_scc0 .LBB320_296
; %bb.17:
	v_lshlrev_b32_e32 v3, 1, v0
	s_clause 0xd
	global_load_u16 v4, v3, s[2:3]
	global_load_u16 v5, v3, s[2:3] offset:512
	global_load_u16 v6, v3, s[2:3] offset:256
	;; [unrolled: 1-line block ×13, first 2 shown]
	v_add_co_u32 v1, s5, s2, v3
	s_delay_alu instid0(VALU_DEP_1) | instskip(SKIP_1) | instid1(VALU_DEP_2)
	v_add_co_ci_u32_e64 v2, null, s3, 0, s5
	s_mov_b32 s5, exec_lo
	v_add_co_u32 v1, vcc_lo, 0x1000, v1
	s_delay_alu instid0(VALU_DEP_2)
	v_add_co_ci_u32_e32 v2, vcc_lo, 0, v2, vcc_lo
	s_clause 0x11
	global_load_u16 v18, v3, s[2:3] offset:3328
	global_load_u16 v19, v[1:2], off
	global_load_u16 v3, v3, s[2:3] offset:3840
	global_load_u16 v20, v[1:2], off offset:512
	global_load_u16 v21, v[1:2], off offset:256
	;; [unrolled: 1-line block ×15, first 2 shown]
	s_waitcnt vmcnt(31)
	v_cmp_ne_u16_e32 vcc_lo, 0, v4
	v_cndmask_b32_e64 v2, 0, 1, vcc_lo
	s_waitcnt vmcnt(30)
	v_cmp_ne_u16_e32 vcc_lo, 0, v5
	v_cndmask_b32_e64 v4, 0, 1, vcc_lo
	s_waitcnt vmcnt(29)
	v_cmp_ne_u16_e32 vcc_lo, 0, v6
	v_add_co_ci_u32_e32 v2, vcc_lo, 0, v2, vcc_lo
	s_waitcnt vmcnt(28)
	v_cmp_ne_u16_e32 vcc_lo, 0, v7
	v_cndmask_b32_e64 v5, 0, 1, vcc_lo
	s_waitcnt vmcnt(27)
	v_cmp_ne_u16_e32 vcc_lo, 0, v8
	v_add_co_ci_u32_e32 v2, vcc_lo, v2, v4, vcc_lo
	;; [unrolled: 6-line block ×4, first 2 shown]
	s_waitcnt vmcnt(21)
	v_cmp_ne_u16_e32 vcc_lo, 0, v14
	v_cndmask_b32_e64 v4, 0, 1, vcc_lo
	v_cmp_ne_u16_e32 vcc_lo, 0, v13
	v_add_co_ci_u32_e32 v2, vcc_lo, v2, v5, vcc_lo
	s_waitcnt vmcnt(19)
	v_cmp_ne_u16_e32 vcc_lo, 0, v16
	v_cndmask_b32_e64 v5, 0, 1, vcc_lo
	v_cmp_ne_u16_e32 vcc_lo, 0, v15
	v_add_co_ci_u32_e32 v2, vcc_lo, v2, v4, vcc_lo
	s_waitcnt vmcnt(18)
	v_cmp_ne_u16_e32 vcc_lo, 0, v17
	v_cndmask_b32_e64 v4, 0, 1, vcc_lo
	s_waitcnt vmcnt(17)
	v_cmp_ne_u16_e32 vcc_lo, 0, v18
	v_add_co_ci_u32_e32 v2, vcc_lo, v2, v5, vcc_lo
	s_waitcnt vmcnt(16)
	v_cmp_ne_u16_e32 vcc_lo, 0, v19
	v_cndmask_b32_e64 v5, 0, 1, vcc_lo
	s_waitcnt vmcnt(15)
	;; [unrolled: 6-line block ×9, first 2 shown]
	v_cmp_ne_u16_e32 vcc_lo, 0, v33
	v_add_co_ci_u32_e32 v2, vcc_lo, v2, v4, vcc_lo
	s_waitcnt vmcnt(0)
	v_cmp_ne_u16_e32 vcc_lo, 0, v1
	s_delay_alu instid0(VALU_DEP_2) | instskip(SKIP_1) | instid1(VALU_DEP_2)
	v_add_co_ci_u32_e32 v1, vcc_lo, v2, v3, vcc_lo
	v_mov_b32_e32 v3, 0
	v_mov_b32_dpp v2, v1 quad_perm:[1,0,3,2] row_mask:0xf bank_mask:0xf
	s_delay_alu instid0(VALU_DEP_1) | instskip(NEXT) | instid1(VALU_DEP_1)
	v_add_nc_u32_e32 v1, v1, v2
	v_mov_b32_dpp v2, v1 quad_perm:[2,3,0,1] row_mask:0xf bank_mask:0xf
	s_delay_alu instid0(VALU_DEP_1) | instskip(NEXT) | instid1(VALU_DEP_1)
	v_add_nc_u32_e32 v1, v1, v2
	v_mov_b32_dpp v2, v1 row_ror:4 row_mask:0xf bank_mask:0xf
	s_delay_alu instid0(VALU_DEP_1) | instskip(NEXT) | instid1(VALU_DEP_1)
	v_add_nc_u32_e32 v1, v1, v2
	v_mov_b32_dpp v2, v1 row_ror:8 row_mask:0xf bank_mask:0xf
	s_delay_alu instid0(VALU_DEP_1)
	v_add_nc_u32_e32 v1, v1, v2
	ds_swizzle_b32 v2, v1 offset:swizzle(BROADCAST,32,15)
	s_waitcnt lgkmcnt(0)
	v_add_nc_u32_e32 v1, v1, v2
	v_mbcnt_lo_u32_b32 v2, -1, 0
	ds_bpermute_b32 v1, v3, v1 offset:124
	v_cmpx_eq_u32_e32 0, v2
	s_cbranch_execz .LBB320_19
; %bb.18:
	v_lshrrev_b32_e32 v3, 3, v0
	s_delay_alu instid0(VALU_DEP_1)
	v_and_b32_e32 v3, 12, v3
	s_waitcnt lgkmcnt(0)
	ds_store_b32 v3, v1 offset:64
.LBB320_19:
	s_or_b32 exec_lo, exec_lo, s5
	s_delay_alu instid0(SALU_CYCLE_1)
	s_mov_b32 s5, exec_lo
	s_waitcnt lgkmcnt(0)
	s_barrier
	buffer_gl0_inv
	v_cmpx_gt_u32_e32 32, v0
	s_cbranch_execz .LBB320_21
; %bb.20:
	v_and_b32_e32 v1, 3, v2
	s_delay_alu instid0(VALU_DEP_1) | instskip(SKIP_4) | instid1(VALU_DEP_2)
	v_lshlrev_b32_e32 v3, 2, v1
	v_cmp_ne_u32_e32 vcc_lo, 3, v1
	ds_load_b32 v3, v3 offset:64
	v_add_co_ci_u32_e32 v4, vcc_lo, 0, v2, vcc_lo
	v_cmp_gt_u32_e32 vcc_lo, 2, v1
	v_lshlrev_b32_e32 v4, 2, v4
	v_cndmask_b32_e64 v1, 0, 1, vcc_lo
	s_delay_alu instid0(VALU_DEP_1) | instskip(NEXT) | instid1(VALU_DEP_1)
	v_lshlrev_b32_e32 v1, 1, v1
	v_add_lshl_u32 v1, v1, v2, 2
	s_waitcnt lgkmcnt(0)
	ds_bpermute_b32 v4, v4, v3
	s_waitcnt lgkmcnt(0)
	v_add_nc_u32_e32 v3, v4, v3
	ds_bpermute_b32 v1, v1, v3
	s_waitcnt lgkmcnt(0)
	v_add_nc_u32_e32 v1, v1, v3
.LBB320_21:
	s_or_b32 exec_lo, exec_lo, s5
	s_mov_b32 s5, 0
	s_branch .LBB320_297
.LBB320_22:
	s_mov_b32 s6, -1
.LBB320_23:
	s_mov_b32 s2, 0
                                        ; implicit-def: $vgpr1
	s_and_b32 vcc_lo, exec_lo, s6
	s_cbranch_vccz .LBB320_11
.LBB320_24:
	s_cmp_eq_u32 s26, 64
	s_cbranch_scc0 .LBB320_33
; %bb.25:
	s_mov_b32 s19, 0
	s_lshl_b32 s4, s18, 13
	s_mov_b32 s5, s19
	s_lshr_b64 s[6:7], s[20:21], 13
	s_lshl_b64 s[2:3], s[4:5], 1
	s_delay_alu instid0(SALU_CYCLE_1)
	s_add_u32 s2, s24, s2
	s_addc_u32 s3, s25, s3
	s_cmp_lg_u64 s[6:7], s[18:19]
	s_cbranch_scc0 .LBB320_376
; %bb.26:
	v_lshlrev_b32_e32 v5, 1, v0
	s_clause 0xe
	global_load_u16 v7, v5, s[2:3]
	global_load_u16 v8, v5, s[2:3] offset:512
	global_load_u16 v9, v5, s[2:3] offset:256
	;; [unrolled: 1-line block ×14, first 2 shown]
	v_add_co_u32 v18, s5, s2, v5
	s_delay_alu instid0(VALU_DEP_1) | instskip(SKIP_1) | instid1(VALU_DEP_2)
	v_add_co_ci_u32_e64 v19, null, s3, 0, s5
	s_mov_b32 s5, exec_lo
	v_add_co_u32 v1, vcc_lo, v18, 0x2000
	s_delay_alu instid0(VALU_DEP_2)
	v_add_co_ci_u32_e32 v2, vcc_lo, 0, v19, vcc_lo
	v_add_co_u32 v3, vcc_lo, 0x1000, v18
	v_add_co_ci_u32_e32 v4, vcc_lo, 0, v19, vcc_lo
	s_clause 0xf
	global_load_u16 v24, v[1:2], off offset:-4096
	global_load_u16 v25, v5, s[2:3] offset:3840
	global_load_u16 v26, v[3:4], off offset:512
	global_load_u16 v27, v[3:4], off offset:256
	;; [unrolled: 1-line block ×14, first 2 shown]
	v_add_co_u32 v5, vcc_lo, 0x2000, v18
	v_add_co_ci_u32_e32 v6, vcc_lo, 0, v19, vcc_lo
	s_clause 0xd
	global_load_u16 v40, v[1:2], off
	global_load_u16 v3, v[3:4], off offset:3840
	global_load_u16 v4, v[5:6], off offset:512
	;; [unrolled: 1-line block ×13, first 2 shown]
	v_add_co_u32 v1, vcc_lo, 0x3000, v18
	v_add_co_ci_u32_e32 v2, vcc_lo, 0, v19, vcc_lo
	s_clause 0x12
	global_load_u16 v18, v[5:6], off offset:3584
	global_load_u16 v19, v[5:6], off offset:3328
	global_load_u16 v52, v[1:2], off
	global_load_u16 v5, v[5:6], off offset:3840
	global_load_u16 v6, v[1:2], off offset:512
	;; [unrolled: 1-line block ×16, first 2 shown]
	s_waitcnt vmcnt(62)
	v_cmp_ne_u16_e32 vcc_lo, 0, v7
	v_cndmask_b32_e64 v2, 0, 1, vcc_lo
	v_cmp_ne_u16_e32 vcc_lo, 0, v8
	v_cndmask_b32_e64 v7, 0, 1, vcc_lo
	s_waitcnt vmcnt(61)
	v_cmp_ne_u16_e32 vcc_lo, 0, v9
	v_add_co_ci_u32_e32 v2, vcc_lo, 0, v2, vcc_lo
	s_waitcnt vmcnt(60)
	v_cmp_ne_u16_e32 vcc_lo, 0, v10
	v_cndmask_b32_e64 v8, 0, 1, vcc_lo
	s_waitcnt vmcnt(59)
	v_cmp_ne_u16_e32 vcc_lo, 0, v11
	v_add_co_ci_u32_e32 v2, vcc_lo, v2, v7, vcc_lo
	s_waitcnt vmcnt(58)
	;; [unrolled: 6-line block ×4, first 2 shown]
	v_cmp_ne_u16_e32 vcc_lo, 0, v17
	v_cndmask_b32_e64 v7, 0, 1, vcc_lo
	v_cmp_ne_u16_e32 vcc_lo, 0, v16
	v_add_co_ci_u32_e32 v2, vcc_lo, v2, v8, vcc_lo
	s_waitcnt vmcnt(51)
	v_cmp_ne_u16_e32 vcc_lo, 0, v21
	v_cndmask_b32_e64 v8, 0, 1, vcc_lo
	v_cmp_ne_u16_e32 vcc_lo, 0, v20
	v_add_co_ci_u32_e32 v2, vcc_lo, v2, v7, vcc_lo
	s_waitcnt vmcnt(49)
	;; [unrolled: 5-line block ×3, first 2 shown]
	v_cmp_ne_u16_e32 vcc_lo, 0, v24
	v_cndmask_b32_e64 v8, 0, 1, vcc_lo
	s_waitcnt vmcnt(47)
	v_cmp_ne_u16_e32 vcc_lo, 0, v25
	v_add_co_ci_u32_e32 v2, vcc_lo, v2, v7, vcc_lo
	s_waitcnt vmcnt(46)
	v_cmp_ne_u16_e32 vcc_lo, 0, v26
	v_cndmask_b32_e64 v7, 0, 1, vcc_lo
	s_waitcnt vmcnt(45)
	v_cmp_ne_u16_e32 vcc_lo, 0, v27
	v_add_co_ci_u32_e32 v2, vcc_lo, v2, v8, vcc_lo
	s_waitcnt vmcnt(44)
	v_cmp_ne_u16_e32 vcc_lo, 0, v28
	v_cndmask_b32_e64 v8, 0, 1, vcc_lo
	s_waitcnt vmcnt(43)
	v_cmp_ne_u16_e32 vcc_lo, 0, v29
	v_add_co_ci_u32_e32 v2, vcc_lo, v2, v7, vcc_lo
	s_waitcnt vmcnt(42)
	v_cmp_ne_u16_e32 vcc_lo, 0, v30
	v_cndmask_b32_e64 v7, 0, 1, vcc_lo
	s_waitcnt vmcnt(41)
	v_cmp_ne_u16_e32 vcc_lo, 0, v31
	v_add_co_ci_u32_e32 v2, vcc_lo, v2, v8, vcc_lo
	s_waitcnt vmcnt(40)
	v_cmp_ne_u16_e32 vcc_lo, 0, v32
	v_cndmask_b32_e64 v8, 0, 1, vcc_lo
	s_waitcnt vmcnt(39)
	v_cmp_ne_u16_e32 vcc_lo, 0, v33
	v_add_co_ci_u32_e32 v2, vcc_lo, v2, v7, vcc_lo
	s_waitcnt vmcnt(38)
	v_cmp_ne_u16_e32 vcc_lo, 0, v34
	v_cndmask_b32_e64 v7, 0, 1, vcc_lo
	s_waitcnt vmcnt(37)
	v_cmp_ne_u16_e32 vcc_lo, 0, v35
	v_add_co_ci_u32_e32 v2, vcc_lo, v2, v8, vcc_lo
	s_waitcnt vmcnt(36)
	v_cmp_ne_u16_e32 vcc_lo, 0, v36
	v_cndmask_b32_e64 v8, 0, 1, vcc_lo
	s_waitcnt vmcnt(35)
	v_cmp_ne_u16_e32 vcc_lo, 0, v37
	v_add_co_ci_u32_e32 v2, vcc_lo, v2, v7, vcc_lo
	s_waitcnt vmcnt(33)
	v_cmp_ne_u16_e32 vcc_lo, 0, v39
	v_cndmask_b32_e64 v7, 0, 1, vcc_lo
	v_cmp_ne_u16_e32 vcc_lo, 0, v38
	v_add_co_ci_u32_e32 v2, vcc_lo, v2, v8, vcc_lo
	s_waitcnt vmcnt(32)
	v_cmp_ne_u16_e32 vcc_lo, 0, v40
	v_cndmask_b32_e64 v8, 0, 1, vcc_lo
	s_waitcnt vmcnt(31)
	v_cmp_ne_u16_e32 vcc_lo, 0, v3
	v_add_co_ci_u32_e32 v2, vcc_lo, v2, v7, vcc_lo
	s_waitcnt vmcnt(30)
	v_cmp_ne_u16_e32 vcc_lo, 0, v4
	v_cndmask_b32_e64 v3, 0, 1, vcc_lo
	s_waitcnt vmcnt(29)
	;; [unrolled: 6-line block ×6, first 2 shown]
	v_cmp_ne_u16_e32 vcc_lo, 0, v49
	v_add_co_ci_u32_e32 v2, vcc_lo, v2, v4, vcc_lo
	s_waitcnt vmcnt(19)
	v_cmp_ne_u16_e32 vcc_lo, 0, v51
	v_cndmask_b32_e64 v4, 0, 1, vcc_lo
	v_cmp_ne_u16_e32 vcc_lo, 0, v50
	v_add_co_ci_u32_e32 v2, vcc_lo, v2, v3, vcc_lo
	s_waitcnt vmcnt(18)
	v_cmp_ne_u16_e32 vcc_lo, 0, v18
	v_cndmask_b32_e64 v3, 0, 1, vcc_lo
	s_waitcnt vmcnt(17)
	v_cmp_ne_u16_e32 vcc_lo, 0, v19
	v_add_co_ci_u32_e32 v2, vcc_lo, v2, v4, vcc_lo
	s_waitcnt vmcnt(16)
	v_cmp_ne_u16_e32 vcc_lo, 0, v52
	v_cndmask_b32_e64 v4, 0, 1, vcc_lo
	s_waitcnt vmcnt(15)
	;; [unrolled: 6-line block ×9, first 2 shown]
	v_cmp_ne_u16_e32 vcc_lo, 0, v65
	v_add_co_ci_u32_e32 v2, vcc_lo, v2, v4, vcc_lo
	s_waitcnt vmcnt(0)
	v_cmp_ne_u16_e32 vcc_lo, 0, v1
	s_delay_alu instid0(VALU_DEP_2) | instskip(SKIP_1) | instid1(VALU_DEP_2)
	v_add_co_ci_u32_e32 v1, vcc_lo, v2, v3, vcc_lo
	v_mov_b32_e32 v3, 0
	v_mov_b32_dpp v2, v1 quad_perm:[1,0,3,2] row_mask:0xf bank_mask:0xf
	s_delay_alu instid0(VALU_DEP_1) | instskip(NEXT) | instid1(VALU_DEP_1)
	v_add_nc_u32_e32 v1, v1, v2
	v_mov_b32_dpp v2, v1 quad_perm:[2,3,0,1] row_mask:0xf bank_mask:0xf
	s_delay_alu instid0(VALU_DEP_1) | instskip(NEXT) | instid1(VALU_DEP_1)
	v_add_nc_u32_e32 v1, v1, v2
	v_mov_b32_dpp v2, v1 row_ror:4 row_mask:0xf bank_mask:0xf
	s_delay_alu instid0(VALU_DEP_1) | instskip(NEXT) | instid1(VALU_DEP_1)
	v_add_nc_u32_e32 v1, v1, v2
	v_mov_b32_dpp v2, v1 row_ror:8 row_mask:0xf bank_mask:0xf
	s_delay_alu instid0(VALU_DEP_1)
	v_add_nc_u32_e32 v1, v1, v2
	ds_swizzle_b32 v2, v1 offset:swizzle(BROADCAST,32,15)
	s_waitcnt lgkmcnt(0)
	v_add_nc_u32_e32 v1, v1, v2
	v_mbcnt_lo_u32_b32 v2, -1, 0
	ds_bpermute_b32 v1, v3, v1 offset:124
	v_cmpx_eq_u32_e32 0, v2
	s_cbranch_execz .LBB320_28
; %bb.27:
	v_lshrrev_b32_e32 v3, 3, v0
	s_delay_alu instid0(VALU_DEP_1)
	v_and_b32_e32 v3, 12, v3
	s_waitcnt lgkmcnt(0)
	ds_store_b32 v3, v1 offset:96
.LBB320_28:
	s_or_b32 exec_lo, exec_lo, s5
	s_delay_alu instid0(SALU_CYCLE_1)
	s_mov_b32 s5, exec_lo
	s_waitcnt lgkmcnt(0)
	s_barrier
	buffer_gl0_inv
	v_cmpx_gt_u32_e32 32, v0
	s_cbranch_execz .LBB320_30
; %bb.29:
	v_and_b32_e32 v1, 3, v2
	s_delay_alu instid0(VALU_DEP_1) | instskip(SKIP_4) | instid1(VALU_DEP_2)
	v_lshlrev_b32_e32 v3, 2, v1
	v_cmp_ne_u32_e32 vcc_lo, 3, v1
	ds_load_b32 v3, v3 offset:96
	v_add_co_ci_u32_e32 v4, vcc_lo, 0, v2, vcc_lo
	v_cmp_gt_u32_e32 vcc_lo, 2, v1
	v_lshlrev_b32_e32 v4, 2, v4
	v_cndmask_b32_e64 v1, 0, 1, vcc_lo
	s_delay_alu instid0(VALU_DEP_1) | instskip(NEXT) | instid1(VALU_DEP_1)
	v_lshlrev_b32_e32 v1, 1, v1
	v_add_lshl_u32 v1, v1, v2, 2
	s_waitcnt lgkmcnt(0)
	ds_bpermute_b32 v4, v4, v3
	s_waitcnt lgkmcnt(0)
	v_add_nc_u32_e32 v3, v4, v3
	ds_bpermute_b32 v1, v1, v3
	s_waitcnt lgkmcnt(0)
	v_add_nc_u32_e32 v1, v1, v3
.LBB320_30:
	s_or_b32 exec_lo, exec_lo, s5
	s_mov_b32 s5, 0
	s_branch .LBB320_377
.LBB320_31:
                                        ; implicit-def: $vgpr1
	s_cbranch_execz .LBB320_512
	s_branch .LBB320_368
.LBB320_32:
                                        ; implicit-def: $vgpr1
	s_branch .LBB320_512
.LBB320_33:
                                        ; implicit-def: $vgpr1
	s_branch .LBB320_512
.LBB320_34:
                                        ; implicit-def: $vgpr1
	s_cbranch_execz .LBB320_10
; %bb.35:
	s_sub_i32 s4, s20, s4
	s_mov_b32 s5, exec_lo
                                        ; implicit-def: $vgpr1
	v_cmpx_gt_u32_e64 s4, v0
	s_cbranch_execz .LBB320_37
; %bb.36:
	v_lshlrev_b32_e32 v1, 1, v0
	global_load_u16 v1, v1, s[2:3]
	s_waitcnt vmcnt(0)
	v_cmp_ne_u16_e32 vcc_lo, 0, v1
	v_cndmask_b32_e64 v1, 0, 1, vcc_lo
.LBB320_37:
	s_or_b32 exec_lo, exec_lo, s5
	v_or_b32_e32 v3, 0x80, v0
	v_mov_b32_e32 v2, 0
	s_delay_alu instid0(VALU_DEP_2)
	v_cmp_gt_u32_e32 vcc_lo, s4, v3
	v_mov_b32_e32 v3, 0
	s_and_saveexec_b32 s5, vcc_lo
	s_cbranch_execz .LBB320_39
; %bb.38:
	v_lshlrev_b32_e32 v3, 1, v0
	global_load_u16 v3, v3, s[2:3] offset:256
	s_waitcnt vmcnt(0)
	v_cmp_ne_u16_e32 vcc_lo, 0, v3
	v_cndmask_b32_e64 v3, 0, 1, vcc_lo
.LBB320_39:
	s_or_b32 exec_lo, exec_lo, s5
	v_or_b32_e32 v4, 0x100, v0
	s_mov_b32 s5, exec_lo
	s_delay_alu instid0(VALU_DEP_1)
	v_cmpx_gt_u32_e64 s4, v4
	s_cbranch_execz .LBB320_41
; %bb.40:
	v_lshlrev_b32_e32 v2, 1, v0
	global_load_u16 v2, v2, s[2:3] offset:512
	s_waitcnt vmcnt(0)
	v_cmp_ne_u16_e32 vcc_lo, 0, v2
	v_cndmask_b32_e64 v2, 0, 1, vcc_lo
.LBB320_41:
	s_or_b32 exec_lo, exec_lo, s5
	v_or_b32_e32 v5, 0x180, v0
	v_mov_b32_e32 v4, 0
	s_delay_alu instid0(VALU_DEP_2)
	v_cmp_gt_u32_e32 vcc_lo, s4, v5
	v_mov_b32_e32 v5, 0
	s_and_saveexec_b32 s5, vcc_lo
	s_cbranch_execz .LBB320_43
; %bb.42:
	v_lshlrev_b32_e32 v5, 1, v0
	global_load_u16 v5, v5, s[2:3] offset:768
	s_waitcnt vmcnt(0)
	v_cmp_ne_u16_e32 vcc_lo, 0, v5
	v_cndmask_b32_e64 v5, 0, 1, vcc_lo
.LBB320_43:
	s_or_b32 exec_lo, exec_lo, s5
	v_or_b32_e32 v6, 0x200, v0
	s_mov_b32 s5, exec_lo
	s_delay_alu instid0(VALU_DEP_1)
	v_cmpx_gt_u32_e64 s4, v6
	s_cbranch_execz .LBB320_45
; %bb.44:
	v_lshlrev_b32_e32 v4, 1, v0
	global_load_u16 v4, v4, s[2:3] offset:1024
	s_waitcnt vmcnt(0)
	v_cmp_ne_u16_e32 vcc_lo, 0, v4
	v_cndmask_b32_e64 v4, 0, 1, vcc_lo
.LBB320_45:
	;; [unrolled: 28-line block ×7, first 2 shown]
	s_or_b32 exec_lo, exec_lo, s5
	v_or_b32_e32 v17, 0x780, v0
	v_mov_b32_e32 v16, 0
	s_delay_alu instid0(VALU_DEP_2)
	v_cmp_gt_u32_e32 vcc_lo, s4, v17
	v_mov_b32_e32 v17, 0
	s_and_saveexec_b32 s5, vcc_lo
	s_cbranch_execz .LBB320_67
; %bb.66:
	v_lshlrev_b32_e32 v17, 1, v0
	global_load_u16 v17, v17, s[2:3] offset:3840
	s_waitcnt vmcnt(0)
	v_cmp_ne_u16_e32 vcc_lo, 0, v17
	v_cndmask_b32_e64 v17, 0, 1, vcc_lo
.LBB320_67:
	s_or_b32 exec_lo, exec_lo, s5
	v_or_b32_e32 v18, 0x800, v0
	s_mov_b32 s5, exec_lo
	s_delay_alu instid0(VALU_DEP_1)
	v_cmpx_gt_u32_e64 s4, v18
	s_cbranch_execz .LBB320_69
; %bb.68:
	v_lshlrev_b32_e32 v16, 1, v18
	global_load_u16 v16, v16, s[2:3]
	s_waitcnt vmcnt(0)
	v_cmp_ne_u16_e32 vcc_lo, 0, v16
	v_cndmask_b32_e64 v16, 0, 1, vcc_lo
.LBB320_69:
	s_or_b32 exec_lo, exec_lo, s5
	v_or_b32_e32 v20, 0x880, v0
	v_dual_mov_b32 v18, 0 :: v_dual_mov_b32 v19, 0
	s_mov_b32 s5, exec_lo
	s_delay_alu instid0(VALU_DEP_2)
	v_cmpx_gt_u32_e64 s4, v20
	s_cbranch_execz .LBB320_71
; %bb.70:
	v_lshlrev_b32_e32 v19, 1, v20
	global_load_u16 v19, v19, s[2:3]
	s_waitcnt vmcnt(0)
	v_cmp_ne_u16_e32 vcc_lo, 0, v19
	v_cndmask_b32_e64 v19, 0, 1, vcc_lo
.LBB320_71:
	s_or_b32 exec_lo, exec_lo, s5
	v_or_b32_e32 v20, 0x900, v0
	s_mov_b32 s5, exec_lo
	s_delay_alu instid0(VALU_DEP_1)
	v_cmpx_gt_u32_e64 s4, v20
	s_cbranch_execz .LBB320_73
; %bb.72:
	v_lshlrev_b32_e32 v18, 1, v20
	global_load_u16 v18, v18, s[2:3]
	s_waitcnt vmcnt(0)
	v_cmp_ne_u16_e32 vcc_lo, 0, v18
	v_cndmask_b32_e64 v18, 0, 1, vcc_lo
.LBB320_73:
	s_or_b32 exec_lo, exec_lo, s5
	v_or_b32_e32 v22, 0x980, v0
	v_dual_mov_b32 v20, 0 :: v_dual_mov_b32 v21, 0
	s_mov_b32 s5, exec_lo
	s_delay_alu instid0(VALU_DEP_2)
	v_cmpx_gt_u32_e64 s4, v22
	s_cbranch_execz .LBB320_75
; %bb.74:
	v_lshlrev_b32_e32 v21, 1, v22
	global_load_u16 v21, v21, s[2:3]
	s_waitcnt vmcnt(0)
	v_cmp_ne_u16_e32 vcc_lo, 0, v21
	v_cndmask_b32_e64 v21, 0, 1, vcc_lo
.LBB320_75:
	;; [unrolled: 27-line block ×55, first 2 shown]
	s_or_b32 exec_lo, exec_lo, s5
	v_or_b32_e32 v128, 0x3f00, v0
	s_mov_b32 s5, exec_lo
	s_delay_alu instid0(VALU_DEP_1)
	v_cmpx_gt_u32_e64 s4, v128
	s_cbranch_execz .LBB320_289
; %bb.288:
	v_lshlrev_b32_e32 v126, 1, v128
	global_load_u16 v126, v126, s[2:3]
	s_waitcnt vmcnt(0)
	v_cmp_ne_u16_e32 vcc_lo, 0, v126
	v_cndmask_b32_e64 v126, 0, 1, vcc_lo
.LBB320_289:
	s_or_b32 exec_lo, exec_lo, s5
	v_or_b32_e32 v129, 0x3f80, v0
	v_mov_b32_e32 v128, 0
	s_mov_b32 s5, exec_lo
	s_delay_alu instid0(VALU_DEP_2)
	v_cmpx_gt_u32_e64 s4, v129
	s_cbranch_execz .LBB320_291
; %bb.290:
	v_lshlrev_b32_e32 v128, 1, v129
	global_load_u16 v128, v128, s[2:3]
	s_waitcnt vmcnt(0)
	v_cmp_ne_u16_e64 vcc_lo, 0, v128
	s_delay_alu instid0(VALU_DEP_1)
	v_cndmask_b32_e64 v128, 0, 1, vcc_lo
.LBB320_291:
	s_or_b32 exec_lo, exec_lo, s5
	v_add_nc_u32_e32 v1, v3, v1
	s_min_u32 s2, s4, 0x80
	s_mov_b32 s3, exec_lo
	s_delay_alu instid0(VALU_DEP_1) | instskip(SKIP_1) | instid1(VALU_DEP_2)
	v_add3_u32 v1, v1, v2, v5
	v_mbcnt_lo_u32_b32 v2, -1, 0
	v_add3_u32 v1, v1, v4, v7
	s_delay_alu instid0(VALU_DEP_2) | instskip(NEXT) | instid1(VALU_DEP_2)
	v_cmp_ne_u32_e32 vcc_lo, 31, v2
	v_add3_u32 v1, v1, v6, v9
	v_add_co_ci_u32_e32 v3, vcc_lo, 0, v2, vcc_lo
	v_cmp_gt_u32_e32 vcc_lo, 30, v2
	v_add_nc_u32_e32 v6, 1, v2
	s_delay_alu instid0(VALU_DEP_4) | instskip(NEXT) | instid1(VALU_DEP_4)
	v_add3_u32 v1, v1, v8, v11
	v_lshlrev_b32_e32 v3, 2, v3
	v_cndmask_b32_e64 v5, 0, 1, vcc_lo
	s_delay_alu instid0(VALU_DEP_3) | instskip(NEXT) | instid1(VALU_DEP_2)
	v_add3_u32 v1, v1, v10, v13
	v_lshlrev_b32_e32 v5, 1, v5
	s_delay_alu instid0(VALU_DEP_2) | instskip(NEXT) | instid1(VALU_DEP_2)
	v_add3_u32 v1, v1, v12, v15
	v_add_lshl_u32 v5, v5, v2, 2
	s_delay_alu instid0(VALU_DEP_2) | instskip(NEXT) | instid1(VALU_DEP_1)
	v_add3_u32 v1, v1, v14, v17
	v_add3_u32 v1, v1, v16, v19
	s_delay_alu instid0(VALU_DEP_1) | instskip(NEXT) | instid1(VALU_DEP_1)
	v_add3_u32 v1, v1, v18, v21
	v_add3_u32 v1, v1, v20, v23
	s_delay_alu instid0(VALU_DEP_1) | instskip(NEXT) | instid1(VALU_DEP_1)
	;; [unrolled: 3-line block ×27, first 2 shown]
	v_add3_u32 v1, v1, v122, v125
	v_add3_u32 v1, v1, v124, v127
	s_delay_alu instid0(VALU_DEP_1) | instskip(SKIP_2) | instid1(VALU_DEP_1)
	v_add3_u32 v1, v1, v126, v128
	ds_bpermute_b32 v3, v3, v1
	v_and_b32_e32 v4, 0x60, v0
	v_sub_nc_u32_e64 v4, s2, v4 clamp
	s_delay_alu instid0(VALU_DEP_1) | instskip(SKIP_3) | instid1(VALU_DEP_2)
	v_cmp_lt_u32_e32 vcc_lo, v6, v4
	s_waitcnt lgkmcnt(0)
	v_dual_cndmask_b32 v3, 0, v3 :: v_dual_add_nc_u32 v6, 2, v2
	v_cmp_gt_u32_e32 vcc_lo, 28, v2
	v_add_nc_u32_e32 v1, v3, v1
	ds_bpermute_b32 v3, v5, v1
	v_cndmask_b32_e64 v5, 0, 1, vcc_lo
	v_cmp_lt_u32_e32 vcc_lo, v6, v4
	v_add_nc_u32_e32 v6, 4, v2
	s_delay_alu instid0(VALU_DEP_3) | instskip(NEXT) | instid1(VALU_DEP_1)
	v_lshlrev_b32_e32 v5, 2, v5
	v_add_lshl_u32 v5, v5, v2, 2
	s_waitcnt lgkmcnt(0)
	v_cndmask_b32_e32 v3, 0, v3, vcc_lo
	v_cmp_gt_u32_e32 vcc_lo, 24, v2
	s_delay_alu instid0(VALU_DEP_2) | instskip(SKIP_4) | instid1(VALU_DEP_3)
	v_add_nc_u32_e32 v1, v1, v3
	ds_bpermute_b32 v3, v5, v1
	v_cndmask_b32_e64 v5, 0, 1, vcc_lo
	v_cmp_lt_u32_e32 vcc_lo, v6, v4
	v_add_nc_u32_e32 v6, 8, v2
	v_lshlrev_b32_e32 v5, 3, v5
	s_delay_alu instid0(VALU_DEP_1) | instskip(SKIP_3) | instid1(VALU_DEP_2)
	v_add_lshl_u32 v5, v5, v2, 2
	s_waitcnt lgkmcnt(0)
	v_cndmask_b32_e32 v3, 0, v3, vcc_lo
	v_cmp_gt_u32_e32 vcc_lo, 16, v2
	v_add_nc_u32_e32 v1, v1, v3
	ds_bpermute_b32 v3, v5, v1
	v_cndmask_b32_e64 v5, 0, 1, vcc_lo
	v_cmp_lt_u32_e32 vcc_lo, v6, v4
	s_delay_alu instid0(VALU_DEP_2) | instskip(NEXT) | instid1(VALU_DEP_1)
	v_lshlrev_b32_e32 v5, 4, v5
	v_add_lshl_u32 v5, v5, v2, 2
	s_waitcnt lgkmcnt(0)
	v_cndmask_b32_e32 v3, 0, v3, vcc_lo
	s_delay_alu instid0(VALU_DEP_1) | instskip(SKIP_2) | instid1(VALU_DEP_1)
	v_add_nc_u32_e32 v1, v1, v3
	ds_bpermute_b32 v3, v5, v1
	v_add_nc_u32_e32 v5, 16, v2
	v_cmp_lt_u32_e32 vcc_lo, v5, v4
	s_waitcnt lgkmcnt(0)
	v_cndmask_b32_e32 v3, 0, v3, vcc_lo
	s_delay_alu instid0(VALU_DEP_1)
	v_add_nc_u32_e32 v1, v1, v3
	v_cmpx_eq_u32_e32 0, v2
	s_cbranch_execz .LBB320_293
; %bb.292:
	v_lshrrev_b32_e32 v3, 3, v0
	s_delay_alu instid0(VALU_DEP_1)
	v_and_b32_e32 v3, 12, v3
	ds_store_b32 v3, v1 offset:128
.LBB320_293:
	s_or_b32 exec_lo, exec_lo, s3
	s_delay_alu instid0(SALU_CYCLE_1)
	s_mov_b32 s3, exec_lo
	s_waitcnt lgkmcnt(0)
	s_barrier
	buffer_gl0_inv
	v_cmpx_gt_u32_e32 4, v0
	s_cbranch_execz .LBB320_295
; %bb.294:
	v_and_b32_e32 v3, 3, v2
	s_add_i32 s2, s2, 31
	s_delay_alu instid0(SALU_CYCLE_1) | instskip(NEXT) | instid1(VALU_DEP_1)
	s_lshr_b32 s2, s2, 5
	v_cmp_ne_u32_e32 vcc_lo, 3, v3
	v_add_nc_u32_e32 v5, 1, v3
	v_add_co_ci_u32_e32 v4, vcc_lo, 0, v2, vcc_lo
	v_cmp_gt_u32_e32 vcc_lo, 2, v3
	v_add_nc_u32_e32 v3, 2, v3
	s_delay_alu instid0(VALU_DEP_3) | instskip(SKIP_3) | instid1(VALU_DEP_3)
	v_lshlrev_b32_e32 v4, 2, v4
	v_cndmask_b32_e64 v6, 0, 1, vcc_lo
	v_cmp_gt_u32_e32 vcc_lo, s2, v5
	v_lshlrev_b32_e32 v1, 2, v2
	v_lshlrev_b32_e32 v5, 1, v6
	ds_load_b32 v1, v1 offset:128
	v_add_lshl_u32 v2, v5, v2, 2
	s_waitcnt lgkmcnt(0)
	ds_bpermute_b32 v4, v4, v1
	s_waitcnt lgkmcnt(0)
	v_cndmask_b32_e32 v4, 0, v4, vcc_lo
	v_cmp_gt_u32_e32 vcc_lo, s2, v3
	s_delay_alu instid0(VALU_DEP_2) | instskip(SKIP_3) | instid1(VALU_DEP_1)
	v_add_nc_u32_e32 v1, v4, v1
	ds_bpermute_b32 v2, v2, v1
	s_waitcnt lgkmcnt(0)
	v_cndmask_b32_e32 v2, 0, v2, vcc_lo
	v_add_nc_u32_e32 v1, v1, v2
.LBB320_295:
	s_or_b32 exec_lo, exec_lo, s3
	v_cmp_eq_u32_e64 s2, 0, v0
	s_and_b32 vcc_lo, exec_lo, s6
	s_cbranch_vccnz .LBB320_24
	s_branch .LBB320_11
.LBB320_296:
	s_mov_b32 s5, -1
                                        ; implicit-def: $vgpr1
.LBB320_297:
	s_delay_alu instid0(SALU_CYCLE_1)
	s_and_b32 vcc_lo, exec_lo, s5
	s_cbranch_vccz .LBB320_367
; %bb.298:
	s_sub_i32 s4, s20, s4
	s_mov_b32 s5, exec_lo
                                        ; implicit-def: $vgpr1
	v_cmpx_gt_u32_e64 s4, v0
	s_cbranch_execz .LBB320_300
; %bb.299:
	v_lshlrev_b32_e32 v1, 1, v0
	global_load_u16 v1, v1, s[2:3]
	s_waitcnt vmcnt(0)
	v_cmp_ne_u16_e32 vcc_lo, 0, v1
	v_cndmask_b32_e64 v1, 0, 1, vcc_lo
.LBB320_300:
	s_or_b32 exec_lo, exec_lo, s5
	v_or_b32_e32 v3, 0x80, v0
	v_mov_b32_e32 v2, 0
	s_delay_alu instid0(VALU_DEP_2)
	v_cmp_gt_u32_e32 vcc_lo, s4, v3
	v_mov_b32_e32 v3, 0
	s_and_saveexec_b32 s5, vcc_lo
	s_cbranch_execz .LBB320_302
; %bb.301:
	v_lshlrev_b32_e32 v3, 1, v0
	global_load_u16 v3, v3, s[2:3] offset:256
	s_waitcnt vmcnt(0)
	v_cmp_ne_u16_e32 vcc_lo, 0, v3
	v_cndmask_b32_e64 v3, 0, 1, vcc_lo
.LBB320_302:
	s_or_b32 exec_lo, exec_lo, s5
	v_or_b32_e32 v4, 0x100, v0
	s_mov_b32 s5, exec_lo
	s_delay_alu instid0(VALU_DEP_1)
	v_cmpx_gt_u32_e64 s4, v4
	s_cbranch_execz .LBB320_304
; %bb.303:
	v_lshlrev_b32_e32 v2, 1, v0
	global_load_u16 v2, v2, s[2:3] offset:512
	s_waitcnt vmcnt(0)
	v_cmp_ne_u16_e32 vcc_lo, 0, v2
	v_cndmask_b32_e64 v2, 0, 1, vcc_lo
.LBB320_304:
	s_or_b32 exec_lo, exec_lo, s5
	v_or_b32_e32 v5, 0x180, v0
	v_mov_b32_e32 v4, 0
	s_delay_alu instid0(VALU_DEP_2)
	v_cmp_gt_u32_e32 vcc_lo, s4, v5
	v_mov_b32_e32 v5, 0
	s_and_saveexec_b32 s5, vcc_lo
	s_cbranch_execz .LBB320_306
; %bb.305:
	v_lshlrev_b32_e32 v5, 1, v0
	global_load_u16 v5, v5, s[2:3] offset:768
	s_waitcnt vmcnt(0)
	v_cmp_ne_u16_e32 vcc_lo, 0, v5
	v_cndmask_b32_e64 v5, 0, 1, vcc_lo
.LBB320_306:
	s_or_b32 exec_lo, exec_lo, s5
	v_or_b32_e32 v6, 0x200, v0
	s_mov_b32 s5, exec_lo
	s_delay_alu instid0(VALU_DEP_1)
	v_cmpx_gt_u32_e64 s4, v6
	s_cbranch_execz .LBB320_308
; %bb.307:
	v_lshlrev_b32_e32 v4, 1, v0
	global_load_u16 v4, v4, s[2:3] offset:1024
	s_waitcnt vmcnt(0)
	v_cmp_ne_u16_e32 vcc_lo, 0, v4
	v_cndmask_b32_e64 v4, 0, 1, vcc_lo
.LBB320_308:
	;; [unrolled: 28-line block ×7, first 2 shown]
	s_or_b32 exec_lo, exec_lo, s5
	v_or_b32_e32 v17, 0x780, v0
	v_mov_b32_e32 v16, 0
	s_delay_alu instid0(VALU_DEP_2)
	v_cmp_gt_u32_e32 vcc_lo, s4, v17
	v_mov_b32_e32 v17, 0
	s_and_saveexec_b32 s5, vcc_lo
	s_cbranch_execz .LBB320_330
; %bb.329:
	v_lshlrev_b32_e32 v17, 1, v0
	global_load_u16 v17, v17, s[2:3] offset:3840
	s_waitcnt vmcnt(0)
	v_cmp_ne_u16_e32 vcc_lo, 0, v17
	v_cndmask_b32_e64 v17, 0, 1, vcc_lo
.LBB320_330:
	s_or_b32 exec_lo, exec_lo, s5
	v_or_b32_e32 v18, 0x800, v0
	s_mov_b32 s5, exec_lo
	s_delay_alu instid0(VALU_DEP_1)
	v_cmpx_gt_u32_e64 s4, v18
	s_cbranch_execz .LBB320_332
; %bb.331:
	v_lshlrev_b32_e32 v16, 1, v18
	global_load_u16 v16, v16, s[2:3]
	s_waitcnt vmcnt(0)
	v_cmp_ne_u16_e32 vcc_lo, 0, v16
	v_cndmask_b32_e64 v16, 0, 1, vcc_lo
.LBB320_332:
	s_or_b32 exec_lo, exec_lo, s5
	v_or_b32_e32 v20, 0x880, v0
	v_dual_mov_b32 v18, 0 :: v_dual_mov_b32 v19, 0
	s_mov_b32 s5, exec_lo
	s_delay_alu instid0(VALU_DEP_2)
	v_cmpx_gt_u32_e64 s4, v20
	s_cbranch_execz .LBB320_334
; %bb.333:
	v_lshlrev_b32_e32 v19, 1, v20
	global_load_u16 v19, v19, s[2:3]
	s_waitcnt vmcnt(0)
	v_cmp_ne_u16_e32 vcc_lo, 0, v19
	v_cndmask_b32_e64 v19, 0, 1, vcc_lo
.LBB320_334:
	s_or_b32 exec_lo, exec_lo, s5
	v_or_b32_e32 v20, 0x900, v0
	s_mov_b32 s5, exec_lo
	s_delay_alu instid0(VALU_DEP_1)
	v_cmpx_gt_u32_e64 s4, v20
	s_cbranch_execz .LBB320_336
; %bb.335:
	v_lshlrev_b32_e32 v18, 1, v20
	global_load_u16 v18, v18, s[2:3]
	s_waitcnt vmcnt(0)
	v_cmp_ne_u16_e32 vcc_lo, 0, v18
	v_cndmask_b32_e64 v18, 0, 1, vcc_lo
.LBB320_336:
	s_or_b32 exec_lo, exec_lo, s5
	v_or_b32_e32 v22, 0x980, v0
	v_dual_mov_b32 v20, 0 :: v_dual_mov_b32 v21, 0
	s_mov_b32 s5, exec_lo
	s_delay_alu instid0(VALU_DEP_2)
	v_cmpx_gt_u32_e64 s4, v22
	s_cbranch_execz .LBB320_338
; %bb.337:
	v_lshlrev_b32_e32 v21, 1, v22
	global_load_u16 v21, v21, s[2:3]
	s_waitcnt vmcnt(0)
	v_cmp_ne_u16_e32 vcc_lo, 0, v21
	v_cndmask_b32_e64 v21, 0, 1, vcc_lo
.LBB320_338:
	;; [unrolled: 27-line block ×7, first 2 shown]
	s_or_b32 exec_lo, exec_lo, s5
	v_or_b32_e32 v32, 0xf00, v0
	s_mov_b32 s5, exec_lo
	s_delay_alu instid0(VALU_DEP_1)
	v_cmpx_gt_u32_e64 s4, v32
	s_cbranch_execz .LBB320_360
; %bb.359:
	v_lshlrev_b32_e32 v30, 1, v32
	global_load_u16 v30, v30, s[2:3]
	s_waitcnt vmcnt(0)
	v_cmp_ne_u16_e32 vcc_lo, 0, v30
	v_cndmask_b32_e64 v30, 0, 1, vcc_lo
.LBB320_360:
	s_or_b32 exec_lo, exec_lo, s5
	v_or_b32_e32 v33, 0xf80, v0
	v_mov_b32_e32 v32, 0
	s_mov_b32 s5, exec_lo
	s_delay_alu instid0(VALU_DEP_2)
	v_cmpx_gt_u32_e64 s4, v33
	s_cbranch_execz .LBB320_362
; %bb.361:
	v_lshlrev_b32_e32 v32, 1, v33
	global_load_u16 v32, v32, s[2:3]
	s_waitcnt vmcnt(0)
	v_cmp_ne_u16_e32 vcc_lo, 0, v32
	v_cndmask_b32_e64 v32, 0, 1, vcc_lo
.LBB320_362:
	s_or_b32 exec_lo, exec_lo, s5
	v_add_nc_u32_e32 v1, v3, v1
	s_min_u32 s2, s4, 0x80
	s_mov_b32 s3, exec_lo
	s_delay_alu instid0(VALU_DEP_1) | instskip(SKIP_1) | instid1(VALU_DEP_2)
	v_add3_u32 v1, v1, v2, v5
	v_mbcnt_lo_u32_b32 v2, -1, 0
	v_add3_u32 v1, v1, v4, v7
	s_delay_alu instid0(VALU_DEP_2) | instskip(NEXT) | instid1(VALU_DEP_2)
	v_cmp_ne_u32_e32 vcc_lo, 31, v2
	v_add3_u32 v1, v1, v6, v9
	v_add_co_ci_u32_e32 v3, vcc_lo, 0, v2, vcc_lo
	v_cmp_gt_u32_e32 vcc_lo, 30, v2
	v_add_nc_u32_e32 v6, 1, v2
	s_delay_alu instid0(VALU_DEP_4) | instskip(NEXT) | instid1(VALU_DEP_4)
	v_add3_u32 v1, v1, v8, v11
	v_lshlrev_b32_e32 v3, 2, v3
	v_cndmask_b32_e64 v5, 0, 1, vcc_lo
	s_delay_alu instid0(VALU_DEP_3) | instskip(NEXT) | instid1(VALU_DEP_2)
	v_add3_u32 v1, v1, v10, v13
	v_lshlrev_b32_e32 v5, 1, v5
	s_delay_alu instid0(VALU_DEP_2) | instskip(NEXT) | instid1(VALU_DEP_2)
	v_add3_u32 v1, v1, v12, v15
	v_add_lshl_u32 v5, v5, v2, 2
	s_delay_alu instid0(VALU_DEP_2) | instskip(NEXT) | instid1(VALU_DEP_1)
	v_add3_u32 v1, v1, v14, v17
	v_add3_u32 v1, v1, v16, v19
	s_delay_alu instid0(VALU_DEP_1) | instskip(NEXT) | instid1(VALU_DEP_1)
	v_add3_u32 v1, v1, v18, v21
	v_add3_u32 v1, v1, v20, v23
	s_delay_alu instid0(VALU_DEP_1) | instskip(NEXT) | instid1(VALU_DEP_1)
	;; [unrolled: 3-line block ×3, first 2 shown]
	v_add3_u32 v1, v1, v26, v29
	v_add3_u32 v1, v1, v28, v31
	s_delay_alu instid0(VALU_DEP_1) | instskip(SKIP_2) | instid1(VALU_DEP_1)
	v_add3_u32 v1, v1, v30, v32
	ds_bpermute_b32 v3, v3, v1
	v_and_b32_e32 v4, 0x60, v0
	v_sub_nc_u32_e64 v4, s2, v4 clamp
	s_delay_alu instid0(VALU_DEP_1) | instskip(SKIP_3) | instid1(VALU_DEP_2)
	v_cmp_lt_u32_e32 vcc_lo, v6, v4
	s_waitcnt lgkmcnt(0)
	v_dual_cndmask_b32 v3, 0, v3 :: v_dual_add_nc_u32 v6, 2, v2
	v_cmp_gt_u32_e32 vcc_lo, 28, v2
	v_add_nc_u32_e32 v1, v3, v1
	ds_bpermute_b32 v3, v5, v1
	v_cndmask_b32_e64 v5, 0, 1, vcc_lo
	v_cmp_lt_u32_e32 vcc_lo, v6, v4
	v_add_nc_u32_e32 v6, 4, v2
	s_delay_alu instid0(VALU_DEP_3) | instskip(NEXT) | instid1(VALU_DEP_1)
	v_lshlrev_b32_e32 v5, 2, v5
	v_add_lshl_u32 v5, v5, v2, 2
	s_waitcnt lgkmcnt(0)
	v_cndmask_b32_e32 v3, 0, v3, vcc_lo
	v_cmp_gt_u32_e32 vcc_lo, 24, v2
	s_delay_alu instid0(VALU_DEP_2) | instskip(SKIP_4) | instid1(VALU_DEP_3)
	v_add_nc_u32_e32 v1, v1, v3
	ds_bpermute_b32 v3, v5, v1
	v_cndmask_b32_e64 v5, 0, 1, vcc_lo
	v_cmp_lt_u32_e32 vcc_lo, v6, v4
	v_add_nc_u32_e32 v6, 8, v2
	v_lshlrev_b32_e32 v5, 3, v5
	s_delay_alu instid0(VALU_DEP_1) | instskip(SKIP_3) | instid1(VALU_DEP_2)
	v_add_lshl_u32 v5, v5, v2, 2
	s_waitcnt lgkmcnt(0)
	v_cndmask_b32_e32 v3, 0, v3, vcc_lo
	v_cmp_gt_u32_e32 vcc_lo, 16, v2
	v_add_nc_u32_e32 v1, v1, v3
	ds_bpermute_b32 v3, v5, v1
	v_cndmask_b32_e64 v5, 0, 1, vcc_lo
	v_cmp_lt_u32_e32 vcc_lo, v6, v4
	s_delay_alu instid0(VALU_DEP_2) | instskip(NEXT) | instid1(VALU_DEP_1)
	v_lshlrev_b32_e32 v5, 4, v5
	v_add_lshl_u32 v5, v5, v2, 2
	s_waitcnt lgkmcnt(0)
	v_cndmask_b32_e32 v3, 0, v3, vcc_lo
	s_delay_alu instid0(VALU_DEP_1) | instskip(SKIP_2) | instid1(VALU_DEP_1)
	v_add_nc_u32_e32 v1, v1, v3
	ds_bpermute_b32 v3, v5, v1
	v_add_nc_u32_e32 v5, 16, v2
	v_cmp_lt_u32_e32 vcc_lo, v5, v4
	s_waitcnt lgkmcnt(0)
	v_cndmask_b32_e32 v3, 0, v3, vcc_lo
	s_delay_alu instid0(VALU_DEP_1)
	v_add_nc_u32_e32 v1, v1, v3
	v_cmpx_eq_u32_e32 0, v2
	s_cbranch_execz .LBB320_364
; %bb.363:
	v_lshrrev_b32_e32 v3, 3, v0
	s_delay_alu instid0(VALU_DEP_1)
	v_and_b32_e32 v3, 12, v3
	ds_store_b32 v3, v1 offset:128
.LBB320_364:
	s_or_b32 exec_lo, exec_lo, s3
	s_delay_alu instid0(SALU_CYCLE_1)
	s_mov_b32 s3, exec_lo
	s_waitcnt lgkmcnt(0)
	s_barrier
	buffer_gl0_inv
	v_cmpx_gt_u32_e32 4, v0
	s_cbranch_execz .LBB320_366
; %bb.365:
	v_and_b32_e32 v3, 3, v2
	s_add_i32 s2, s2, 31
	s_delay_alu instid0(SALU_CYCLE_1) | instskip(NEXT) | instid1(VALU_DEP_1)
	s_lshr_b32 s2, s2, 5
	v_cmp_ne_u32_e32 vcc_lo, 3, v3
	v_add_nc_u32_e32 v5, 1, v3
	v_add_co_ci_u32_e32 v4, vcc_lo, 0, v2, vcc_lo
	v_cmp_gt_u32_e32 vcc_lo, 2, v3
	v_add_nc_u32_e32 v3, 2, v3
	s_delay_alu instid0(VALU_DEP_3) | instskip(SKIP_3) | instid1(VALU_DEP_3)
	v_lshlrev_b32_e32 v4, 2, v4
	v_cndmask_b32_e64 v6, 0, 1, vcc_lo
	v_cmp_gt_u32_e32 vcc_lo, s2, v5
	v_lshlrev_b32_e32 v1, 2, v2
	v_lshlrev_b32_e32 v5, 1, v6
	ds_load_b32 v1, v1 offset:128
	v_add_lshl_u32 v2, v5, v2, 2
	s_waitcnt lgkmcnt(0)
	ds_bpermute_b32 v4, v4, v1
	s_waitcnt lgkmcnt(0)
	v_cndmask_b32_e32 v4, 0, v4, vcc_lo
	v_cmp_gt_u32_e32 vcc_lo, s2, v3
	s_delay_alu instid0(VALU_DEP_2) | instskip(SKIP_3) | instid1(VALU_DEP_1)
	v_add_nc_u32_e32 v1, v4, v1
	ds_bpermute_b32 v2, v2, v1
	s_waitcnt lgkmcnt(0)
	v_cndmask_b32_e32 v2, 0, v2, vcc_lo
	v_add_nc_u32_e32 v1, v1, v2
.LBB320_366:
	s_or_b32 exec_lo, exec_lo, s3
.LBB320_367:
	v_cmp_eq_u32_e64 s2, 0, v0
	s_branch .LBB320_512
.LBB320_368:
	s_cmp_eq_u32 s26, 16
	s_cbranch_scc0 .LBB320_375
; %bb.369:
	s_mov_b32 s19, 0
	s_lshl_b32 s2, s18, 11
	s_mov_b32 s3, s19
	s_lshr_b64 s[6:7], s[20:21], 11
	s_lshl_b64 s[4:5], s[2:3], 1
	s_delay_alu instid0(SALU_CYCLE_1)
	s_add_u32 s16, s24, s4
	s_addc_u32 s17, s25, s5
	s_cmp_lg_u64 s[6:7], s[18:19]
	s_cbranch_scc0 .LBB320_533
; %bb.370:
	v_lshlrev_b32_e32 v1, 1, v0
	s_mov_b32 s3, exec_lo
	s_clause 0xf
	global_load_u16 v2, v1, s[16:17]
	global_load_u16 v3, v1, s[16:17] offset:512
	global_load_u16 v4, v1, s[16:17] offset:256
	;; [unrolled: 1-line block ×15, first 2 shown]
	s_waitcnt vmcnt(15)
	v_cmp_ne_u16_e32 vcc_lo, 0, v2
	v_cndmask_b32_e64 v2, 0, 1, vcc_lo
	s_waitcnt vmcnt(14)
	v_cmp_ne_u16_e32 vcc_lo, 0, v3
	v_cndmask_b32_e64 v3, 0, 1, vcc_lo
	s_waitcnt vmcnt(13)
	v_cmp_ne_u16_e32 vcc_lo, 0, v4
	v_add_co_ci_u32_e32 v2, vcc_lo, 0, v2, vcc_lo
	s_waitcnt vmcnt(12)
	v_cmp_ne_u16_e32 vcc_lo, 0, v5
	v_cndmask_b32_e64 v4, 0, 1, vcc_lo
	s_waitcnt vmcnt(11)
	v_cmp_ne_u16_e32 vcc_lo, 0, v6
	v_add_co_ci_u32_e32 v2, vcc_lo, v2, v3, vcc_lo
	;; [unrolled: 6-line block ×7, first 2 shown]
	s_waitcnt vmcnt(0)
	v_cmp_ne_u16_e32 vcc_lo, 0, v1
	s_delay_alu instid0(VALU_DEP_2) | instskip(NEXT) | instid1(VALU_DEP_1)
	v_add_co_ci_u32_e32 v1, vcc_lo, v2, v3, vcc_lo
	v_mov_b32_dpp v2, v1 quad_perm:[1,0,3,2] row_mask:0xf bank_mask:0xf
	s_delay_alu instid0(VALU_DEP_1) | instskip(NEXT) | instid1(VALU_DEP_1)
	v_add_nc_u32_e32 v1, v1, v2
	v_mov_b32_dpp v2, v1 quad_perm:[2,3,0,1] row_mask:0xf bank_mask:0xf
	s_delay_alu instid0(VALU_DEP_1) | instskip(NEXT) | instid1(VALU_DEP_1)
	v_add_nc_u32_e32 v1, v1, v2
	v_mov_b32_dpp v2, v1 row_ror:4 row_mask:0xf bank_mask:0xf
	s_delay_alu instid0(VALU_DEP_1) | instskip(NEXT) | instid1(VALU_DEP_1)
	v_add_nc_u32_e32 v1, v1, v2
	v_mov_b32_dpp v2, v1 row_ror:8 row_mask:0xf bank_mask:0xf
	s_delay_alu instid0(VALU_DEP_1)
	v_add_nc_u32_e32 v1, v1, v2
	ds_swizzle_b32 v2, v1 offset:swizzle(BROADCAST,32,15)
	s_waitcnt lgkmcnt(0)
	v_dual_mov_b32 v2, 0 :: v_dual_add_nc_u32 v1, v1, v2
	ds_bpermute_b32 v1, v2, v1 offset:124
	v_mbcnt_lo_u32_b32 v2, -1, 0
	s_delay_alu instid0(VALU_DEP_1)
	v_cmpx_eq_u32_e32 0, v2
	s_cbranch_execz .LBB320_372
; %bb.371:
	v_lshrrev_b32_e32 v3, 3, v0
	s_delay_alu instid0(VALU_DEP_1)
	v_and_b32_e32 v3, 12, v3
	s_waitcnt lgkmcnt(0)
	ds_store_b32 v3, v1 offset:16
.LBB320_372:
	s_or_b32 exec_lo, exec_lo, s3
	s_delay_alu instid0(SALU_CYCLE_1)
	s_mov_b32 s3, exec_lo
	s_waitcnt lgkmcnt(0)
	s_barrier
	buffer_gl0_inv
	v_cmpx_gt_u32_e32 32, v0
	s_cbranch_execz .LBB320_374
; %bb.373:
	v_and_b32_e32 v1, 3, v2
	s_delay_alu instid0(VALU_DEP_1) | instskip(SKIP_4) | instid1(VALU_DEP_2)
	v_lshlrev_b32_e32 v3, 2, v1
	v_cmp_ne_u32_e32 vcc_lo, 3, v1
	ds_load_b32 v3, v3 offset:16
	v_add_co_ci_u32_e32 v4, vcc_lo, 0, v2, vcc_lo
	v_cmp_gt_u32_e32 vcc_lo, 2, v1
	v_lshlrev_b32_e32 v4, 2, v4
	v_cndmask_b32_e64 v1, 0, 1, vcc_lo
	s_delay_alu instid0(VALU_DEP_1) | instskip(NEXT) | instid1(VALU_DEP_1)
	v_lshlrev_b32_e32 v1, 1, v1
	v_add_lshl_u32 v1, v1, v2, 2
	s_waitcnt lgkmcnt(0)
	ds_bpermute_b32 v4, v4, v3
	s_waitcnt lgkmcnt(0)
	v_add_nc_u32_e32 v3, v4, v3
	ds_bpermute_b32 v1, v1, v3
	s_waitcnt lgkmcnt(0)
	v_add_nc_u32_e32 v1, v1, v3
.LBB320_374:
	s_or_b32 exec_lo, exec_lo, s3
	s_mov_b32 s3, 0
	s_branch .LBB320_534
.LBB320_375:
                                        ; implicit-def: $vgpr1
	s_branch .LBB320_623
.LBB320_376:
	s_mov_b32 s5, -1
                                        ; implicit-def: $vgpr1
.LBB320_377:
	s_delay_alu instid0(SALU_CYCLE_1)
	s_and_b32 vcc_lo, exec_lo, s5
	s_cbranch_vccz .LBB320_511
; %bb.378:
	s_sub_i32 s4, s20, s4
	s_mov_b32 s5, exec_lo
                                        ; implicit-def: $vgpr1
	v_cmpx_gt_u32_e64 s4, v0
	s_cbranch_execz .LBB320_380
; %bb.379:
	v_lshlrev_b32_e32 v1, 1, v0
	global_load_u16 v1, v1, s[2:3]
	s_waitcnt vmcnt(0)
	v_cmp_ne_u16_e32 vcc_lo, 0, v1
	v_cndmask_b32_e64 v1, 0, 1, vcc_lo
.LBB320_380:
	s_or_b32 exec_lo, exec_lo, s5
	v_or_b32_e32 v3, 0x80, v0
	v_mov_b32_e32 v2, 0
	s_delay_alu instid0(VALU_DEP_2)
	v_cmp_gt_u32_e32 vcc_lo, s4, v3
	v_mov_b32_e32 v3, 0
	s_and_saveexec_b32 s5, vcc_lo
	s_cbranch_execz .LBB320_382
; %bb.381:
	v_lshlrev_b32_e32 v3, 1, v0
	global_load_u16 v3, v3, s[2:3] offset:256
	s_waitcnt vmcnt(0)
	v_cmp_ne_u16_e32 vcc_lo, 0, v3
	v_cndmask_b32_e64 v3, 0, 1, vcc_lo
.LBB320_382:
	s_or_b32 exec_lo, exec_lo, s5
	v_or_b32_e32 v4, 0x100, v0
	s_mov_b32 s5, exec_lo
	s_delay_alu instid0(VALU_DEP_1)
	v_cmpx_gt_u32_e64 s4, v4
	s_cbranch_execz .LBB320_384
; %bb.383:
	v_lshlrev_b32_e32 v2, 1, v0
	global_load_u16 v2, v2, s[2:3] offset:512
	s_waitcnt vmcnt(0)
	v_cmp_ne_u16_e32 vcc_lo, 0, v2
	v_cndmask_b32_e64 v2, 0, 1, vcc_lo
.LBB320_384:
	s_or_b32 exec_lo, exec_lo, s5
	v_or_b32_e32 v5, 0x180, v0
	v_mov_b32_e32 v4, 0
	s_delay_alu instid0(VALU_DEP_2)
	v_cmp_gt_u32_e32 vcc_lo, s4, v5
	v_mov_b32_e32 v5, 0
	s_and_saveexec_b32 s5, vcc_lo
	s_cbranch_execz .LBB320_386
; %bb.385:
	v_lshlrev_b32_e32 v5, 1, v0
	global_load_u16 v5, v5, s[2:3] offset:768
	s_waitcnt vmcnt(0)
	v_cmp_ne_u16_e32 vcc_lo, 0, v5
	v_cndmask_b32_e64 v5, 0, 1, vcc_lo
.LBB320_386:
	s_or_b32 exec_lo, exec_lo, s5
	v_or_b32_e32 v6, 0x200, v0
	s_mov_b32 s5, exec_lo
	s_delay_alu instid0(VALU_DEP_1)
	v_cmpx_gt_u32_e64 s4, v6
	s_cbranch_execz .LBB320_388
; %bb.387:
	v_lshlrev_b32_e32 v4, 1, v0
	global_load_u16 v4, v4, s[2:3] offset:1024
	s_waitcnt vmcnt(0)
	v_cmp_ne_u16_e32 vcc_lo, 0, v4
	v_cndmask_b32_e64 v4, 0, 1, vcc_lo
.LBB320_388:
	;; [unrolled: 28-line block ×7, first 2 shown]
	s_or_b32 exec_lo, exec_lo, s5
	v_or_b32_e32 v17, 0x780, v0
	v_mov_b32_e32 v16, 0
	s_delay_alu instid0(VALU_DEP_2)
	v_cmp_gt_u32_e32 vcc_lo, s4, v17
	v_mov_b32_e32 v17, 0
	s_and_saveexec_b32 s5, vcc_lo
	s_cbranch_execz .LBB320_410
; %bb.409:
	v_lshlrev_b32_e32 v17, 1, v0
	global_load_u16 v17, v17, s[2:3] offset:3840
	s_waitcnt vmcnt(0)
	v_cmp_ne_u16_e32 vcc_lo, 0, v17
	v_cndmask_b32_e64 v17, 0, 1, vcc_lo
.LBB320_410:
	s_or_b32 exec_lo, exec_lo, s5
	v_or_b32_e32 v18, 0x800, v0
	s_mov_b32 s5, exec_lo
	s_delay_alu instid0(VALU_DEP_1)
	v_cmpx_gt_u32_e64 s4, v18
	s_cbranch_execz .LBB320_412
; %bb.411:
	v_lshlrev_b32_e32 v16, 1, v18
	global_load_u16 v16, v16, s[2:3]
	s_waitcnt vmcnt(0)
	v_cmp_ne_u16_e32 vcc_lo, 0, v16
	v_cndmask_b32_e64 v16, 0, 1, vcc_lo
.LBB320_412:
	s_or_b32 exec_lo, exec_lo, s5
	v_or_b32_e32 v20, 0x880, v0
	v_dual_mov_b32 v18, 0 :: v_dual_mov_b32 v19, 0
	s_mov_b32 s5, exec_lo
	s_delay_alu instid0(VALU_DEP_2)
	v_cmpx_gt_u32_e64 s4, v20
	s_cbranch_execz .LBB320_414
; %bb.413:
	v_lshlrev_b32_e32 v19, 1, v20
	global_load_u16 v19, v19, s[2:3]
	s_waitcnt vmcnt(0)
	v_cmp_ne_u16_e32 vcc_lo, 0, v19
	v_cndmask_b32_e64 v19, 0, 1, vcc_lo
.LBB320_414:
	s_or_b32 exec_lo, exec_lo, s5
	v_or_b32_e32 v20, 0x900, v0
	s_mov_b32 s5, exec_lo
	s_delay_alu instid0(VALU_DEP_1)
	v_cmpx_gt_u32_e64 s4, v20
	s_cbranch_execz .LBB320_416
; %bb.415:
	v_lshlrev_b32_e32 v18, 1, v20
	global_load_u16 v18, v18, s[2:3]
	s_waitcnt vmcnt(0)
	v_cmp_ne_u16_e32 vcc_lo, 0, v18
	v_cndmask_b32_e64 v18, 0, 1, vcc_lo
.LBB320_416:
	s_or_b32 exec_lo, exec_lo, s5
	v_or_b32_e32 v22, 0x980, v0
	v_dual_mov_b32 v20, 0 :: v_dual_mov_b32 v21, 0
	s_mov_b32 s5, exec_lo
	s_delay_alu instid0(VALU_DEP_2)
	v_cmpx_gt_u32_e64 s4, v22
	s_cbranch_execz .LBB320_418
; %bb.417:
	v_lshlrev_b32_e32 v21, 1, v22
	global_load_u16 v21, v21, s[2:3]
	s_waitcnt vmcnt(0)
	v_cmp_ne_u16_e32 vcc_lo, 0, v21
	v_cndmask_b32_e64 v21, 0, 1, vcc_lo
.LBB320_418:
	;; [unrolled: 27-line block ×23, first 2 shown]
	s_or_b32 exec_lo, exec_lo, s5
	v_or_b32_e32 v64, 0x1f00, v0
	s_mov_b32 s5, exec_lo
	s_delay_alu instid0(VALU_DEP_1)
	v_cmpx_gt_u32_e64 s4, v64
	s_cbranch_execz .LBB320_504
; %bb.503:
	v_lshlrev_b32_e32 v62, 1, v64
	global_load_u16 v62, v62, s[2:3]
	s_waitcnt vmcnt(0)
	v_cmp_ne_u16_e32 vcc_lo, 0, v62
	v_cndmask_b32_e64 v62, 0, 1, vcc_lo
.LBB320_504:
	s_or_b32 exec_lo, exec_lo, s5
	v_or_b32_e32 v65, 0x1f80, v0
	v_mov_b32_e32 v64, 0
	s_mov_b32 s5, exec_lo
	s_delay_alu instid0(VALU_DEP_2)
	v_cmpx_gt_u32_e64 s4, v65
	s_cbranch_execz .LBB320_506
; %bb.505:
	v_lshlrev_b32_e32 v64, 1, v65
	global_load_u16 v64, v64, s[2:3]
	s_waitcnt vmcnt(0)
	v_cmp_ne_u16_e32 vcc_lo, 0, v64
	v_cndmask_b32_e64 v64, 0, 1, vcc_lo
.LBB320_506:
	s_or_b32 exec_lo, exec_lo, s5
	v_add_nc_u32_e32 v1, v3, v1
	s_min_u32 s2, s4, 0x80
	s_mov_b32 s3, exec_lo
	s_delay_alu instid0(VALU_DEP_1) | instskip(SKIP_1) | instid1(VALU_DEP_2)
	v_add3_u32 v1, v1, v2, v5
	v_mbcnt_lo_u32_b32 v2, -1, 0
	v_add3_u32 v1, v1, v4, v7
	s_delay_alu instid0(VALU_DEP_2) | instskip(NEXT) | instid1(VALU_DEP_2)
	v_cmp_ne_u32_e32 vcc_lo, 31, v2
	v_add3_u32 v1, v1, v6, v9
	v_add_co_ci_u32_e32 v3, vcc_lo, 0, v2, vcc_lo
	v_cmp_gt_u32_e32 vcc_lo, 30, v2
	v_add_nc_u32_e32 v6, 1, v2
	s_delay_alu instid0(VALU_DEP_4) | instskip(NEXT) | instid1(VALU_DEP_4)
	v_add3_u32 v1, v1, v8, v11
	v_lshlrev_b32_e32 v3, 2, v3
	v_cndmask_b32_e64 v5, 0, 1, vcc_lo
	s_delay_alu instid0(VALU_DEP_3) | instskip(NEXT) | instid1(VALU_DEP_2)
	v_add3_u32 v1, v1, v10, v13
	v_lshlrev_b32_e32 v5, 1, v5
	s_delay_alu instid0(VALU_DEP_2) | instskip(NEXT) | instid1(VALU_DEP_2)
	v_add3_u32 v1, v1, v12, v15
	v_add_lshl_u32 v5, v5, v2, 2
	s_delay_alu instid0(VALU_DEP_2) | instskip(NEXT) | instid1(VALU_DEP_1)
	v_add3_u32 v1, v1, v14, v17
	v_add3_u32 v1, v1, v16, v19
	s_delay_alu instid0(VALU_DEP_1) | instskip(NEXT) | instid1(VALU_DEP_1)
	v_add3_u32 v1, v1, v18, v21
	v_add3_u32 v1, v1, v20, v23
	s_delay_alu instid0(VALU_DEP_1) | instskip(NEXT) | instid1(VALU_DEP_1)
	;; [unrolled: 3-line block ×11, first 2 shown]
	v_add3_u32 v1, v1, v58, v61
	v_add3_u32 v1, v1, v60, v63
	s_delay_alu instid0(VALU_DEP_1) | instskip(SKIP_2) | instid1(VALU_DEP_1)
	v_add3_u32 v1, v1, v62, v64
	ds_bpermute_b32 v3, v3, v1
	v_and_b32_e32 v4, 0x60, v0
	v_sub_nc_u32_e64 v4, s2, v4 clamp
	s_delay_alu instid0(VALU_DEP_1) | instskip(SKIP_3) | instid1(VALU_DEP_2)
	v_cmp_lt_u32_e32 vcc_lo, v6, v4
	s_waitcnt lgkmcnt(0)
	v_dual_cndmask_b32 v3, 0, v3 :: v_dual_add_nc_u32 v6, 2, v2
	v_cmp_gt_u32_e32 vcc_lo, 28, v2
	v_add_nc_u32_e32 v1, v3, v1
	ds_bpermute_b32 v3, v5, v1
	v_cndmask_b32_e64 v5, 0, 1, vcc_lo
	v_cmp_lt_u32_e32 vcc_lo, v6, v4
	v_add_nc_u32_e32 v6, 4, v2
	s_delay_alu instid0(VALU_DEP_3) | instskip(NEXT) | instid1(VALU_DEP_1)
	v_lshlrev_b32_e32 v5, 2, v5
	v_add_lshl_u32 v5, v5, v2, 2
	s_waitcnt lgkmcnt(0)
	v_cndmask_b32_e32 v3, 0, v3, vcc_lo
	v_cmp_gt_u32_e32 vcc_lo, 24, v2
	s_delay_alu instid0(VALU_DEP_2) | instskip(SKIP_4) | instid1(VALU_DEP_3)
	v_add_nc_u32_e32 v1, v1, v3
	ds_bpermute_b32 v3, v5, v1
	v_cndmask_b32_e64 v5, 0, 1, vcc_lo
	v_cmp_lt_u32_e32 vcc_lo, v6, v4
	v_add_nc_u32_e32 v6, 8, v2
	v_lshlrev_b32_e32 v5, 3, v5
	s_delay_alu instid0(VALU_DEP_1) | instskip(SKIP_3) | instid1(VALU_DEP_2)
	v_add_lshl_u32 v5, v5, v2, 2
	s_waitcnt lgkmcnt(0)
	v_cndmask_b32_e32 v3, 0, v3, vcc_lo
	v_cmp_gt_u32_e32 vcc_lo, 16, v2
	v_add_nc_u32_e32 v1, v1, v3
	ds_bpermute_b32 v3, v5, v1
	v_cndmask_b32_e64 v5, 0, 1, vcc_lo
	v_cmp_lt_u32_e32 vcc_lo, v6, v4
	s_delay_alu instid0(VALU_DEP_2) | instskip(NEXT) | instid1(VALU_DEP_1)
	v_lshlrev_b32_e32 v5, 4, v5
	v_add_lshl_u32 v5, v5, v2, 2
	s_waitcnt lgkmcnt(0)
	v_cndmask_b32_e32 v3, 0, v3, vcc_lo
	s_delay_alu instid0(VALU_DEP_1) | instskip(SKIP_2) | instid1(VALU_DEP_1)
	v_add_nc_u32_e32 v1, v1, v3
	ds_bpermute_b32 v3, v5, v1
	v_add_nc_u32_e32 v5, 16, v2
	v_cmp_lt_u32_e32 vcc_lo, v5, v4
	s_waitcnt lgkmcnt(0)
	v_cndmask_b32_e32 v3, 0, v3, vcc_lo
	s_delay_alu instid0(VALU_DEP_1)
	v_add_nc_u32_e32 v1, v1, v3
	v_cmpx_eq_u32_e32 0, v2
	s_cbranch_execz .LBB320_508
; %bb.507:
	v_lshrrev_b32_e32 v3, 3, v0
	s_delay_alu instid0(VALU_DEP_1)
	v_and_b32_e32 v3, 12, v3
	ds_store_b32 v3, v1 offset:128
.LBB320_508:
	s_or_b32 exec_lo, exec_lo, s3
	s_delay_alu instid0(SALU_CYCLE_1)
	s_mov_b32 s3, exec_lo
	s_waitcnt lgkmcnt(0)
	s_barrier
	buffer_gl0_inv
	v_cmpx_gt_u32_e32 4, v0
	s_cbranch_execz .LBB320_510
; %bb.509:
	v_and_b32_e32 v3, 3, v2
	s_add_i32 s2, s2, 31
	s_delay_alu instid0(SALU_CYCLE_1) | instskip(NEXT) | instid1(VALU_DEP_1)
	s_lshr_b32 s2, s2, 5
	v_cmp_ne_u32_e32 vcc_lo, 3, v3
	v_add_nc_u32_e32 v5, 1, v3
	v_add_co_ci_u32_e32 v4, vcc_lo, 0, v2, vcc_lo
	v_cmp_gt_u32_e32 vcc_lo, 2, v3
	v_add_nc_u32_e32 v3, 2, v3
	s_delay_alu instid0(VALU_DEP_3) | instskip(SKIP_3) | instid1(VALU_DEP_3)
	v_lshlrev_b32_e32 v4, 2, v4
	v_cndmask_b32_e64 v6, 0, 1, vcc_lo
	v_cmp_gt_u32_e32 vcc_lo, s2, v5
	v_lshlrev_b32_e32 v1, 2, v2
	v_lshlrev_b32_e32 v5, 1, v6
	ds_load_b32 v1, v1 offset:128
	v_add_lshl_u32 v2, v5, v2, 2
	s_waitcnt lgkmcnt(0)
	ds_bpermute_b32 v4, v4, v1
	s_waitcnt lgkmcnt(0)
	v_cndmask_b32_e32 v4, 0, v4, vcc_lo
	v_cmp_gt_u32_e32 vcc_lo, s2, v3
	s_delay_alu instid0(VALU_DEP_2) | instskip(SKIP_3) | instid1(VALU_DEP_1)
	v_add_nc_u32_e32 v1, v4, v1
	ds_bpermute_b32 v2, v2, v1
	s_waitcnt lgkmcnt(0)
	v_cndmask_b32_e32 v2, 0, v2, vcc_lo
	v_add_nc_u32_e32 v1, v1, v2
.LBB320_510:
	s_or_b32 exec_lo, exec_lo, s3
.LBB320_511:
	v_cmp_eq_u32_e64 s2, 0, v0
.LBB320_512:
	s_branch .LBB320_623
.LBB320_513:
	s_cmp_gt_i32 s26, 3
	s_cbranch_scc0 .LBB320_522
; %bb.514:
	s_cmp_gt_i32 s26, 7
	s_cbranch_scc0 .LBB320_523
; %bb.515:
	s_cmp_eq_u32 s26, 8
	s_cbranch_scc0 .LBB320_531
; %bb.516:
	s_mov_b32 s19, 0
	s_lshl_b32 s2, s18, 10
	s_mov_b32 s3, s19
	s_lshr_b64 s[6:7], s[20:21], 10
	s_lshl_b64 s[4:5], s[2:3], 1
	s_delay_alu instid0(SALU_CYCLE_1)
	s_add_u32 s8, s24, s4
	s_addc_u32 s9, s25, s5
	s_cmp_lg_u64 s[6:7], s[18:19]
	s_cbranch_scc0 .LBB320_573
; %bb.517:
	v_lshlrev_b32_e32 v1, 1, v0
	s_mov_b32 s3, exec_lo
	s_clause 0x7
	global_load_u16 v2, v1, s[8:9]
	global_load_u16 v3, v1, s[8:9] offset:512
	global_load_u16 v4, v1, s[8:9] offset:256
	global_load_u16 v5, v1, s[8:9] offset:1024
	global_load_u16 v6, v1, s[8:9] offset:768
	global_load_u16 v7, v1, s[8:9] offset:1536
	global_load_u16 v8, v1, s[8:9] offset:1280
	global_load_u16 v1, v1, s[8:9] offset:1792
	s_waitcnt vmcnt(7)
	v_cmp_ne_u16_e32 vcc_lo, 0, v2
	v_cndmask_b32_e64 v2, 0, 1, vcc_lo
	s_waitcnt vmcnt(6)
	v_cmp_ne_u16_e32 vcc_lo, 0, v3
	v_cndmask_b32_e64 v3, 0, 1, vcc_lo
	s_waitcnt vmcnt(5)
	v_cmp_ne_u16_e32 vcc_lo, 0, v4
	v_add_co_ci_u32_e32 v2, vcc_lo, 0, v2, vcc_lo
	s_waitcnt vmcnt(4)
	v_cmp_ne_u16_e32 vcc_lo, 0, v5
	v_cndmask_b32_e64 v4, 0, 1, vcc_lo
	s_waitcnt vmcnt(3)
	v_cmp_ne_u16_e32 vcc_lo, 0, v6
	v_add_co_ci_u32_e32 v2, vcc_lo, v2, v3, vcc_lo
	;; [unrolled: 6-line block ×3, first 2 shown]
	s_waitcnt vmcnt(0)
	v_cmp_ne_u16_e32 vcc_lo, 0, v1
	s_delay_alu instid0(VALU_DEP_2) | instskip(NEXT) | instid1(VALU_DEP_1)
	v_add_co_ci_u32_e32 v1, vcc_lo, v2, v3, vcc_lo
	v_mov_b32_dpp v2, v1 quad_perm:[1,0,3,2] row_mask:0xf bank_mask:0xf
	s_delay_alu instid0(VALU_DEP_1) | instskip(NEXT) | instid1(VALU_DEP_1)
	v_add_nc_u32_e32 v1, v1, v2
	v_mov_b32_dpp v2, v1 quad_perm:[2,3,0,1] row_mask:0xf bank_mask:0xf
	s_delay_alu instid0(VALU_DEP_1) | instskip(NEXT) | instid1(VALU_DEP_1)
	v_add_nc_u32_e32 v1, v1, v2
	v_mov_b32_dpp v2, v1 row_ror:4 row_mask:0xf bank_mask:0xf
	s_delay_alu instid0(VALU_DEP_1) | instskip(NEXT) | instid1(VALU_DEP_1)
	v_add_nc_u32_e32 v1, v1, v2
	v_mov_b32_dpp v2, v1 row_ror:8 row_mask:0xf bank_mask:0xf
	s_delay_alu instid0(VALU_DEP_1)
	v_add_nc_u32_e32 v1, v1, v2
	ds_swizzle_b32 v2, v1 offset:swizzle(BROADCAST,32,15)
	s_waitcnt lgkmcnt(0)
	v_dual_mov_b32 v2, 0 :: v_dual_add_nc_u32 v1, v1, v2
	ds_bpermute_b32 v1, v2, v1 offset:124
	v_mbcnt_lo_u32_b32 v2, -1, 0
	s_delay_alu instid0(VALU_DEP_1)
	v_cmpx_eq_u32_e32 0, v2
	s_cbranch_execz .LBB320_519
; %bb.518:
	v_lshrrev_b32_e32 v3, 3, v0
	s_delay_alu instid0(VALU_DEP_1)
	v_and_b32_e32 v3, 12, v3
	s_waitcnt lgkmcnt(0)
	ds_store_b32 v3, v1 offset:112
.LBB320_519:
	s_or_b32 exec_lo, exec_lo, s3
	s_delay_alu instid0(SALU_CYCLE_1)
	s_mov_b32 s3, exec_lo
	s_waitcnt lgkmcnt(0)
	s_barrier
	buffer_gl0_inv
	v_cmpx_gt_u32_e32 32, v0
	s_cbranch_execz .LBB320_521
; %bb.520:
	v_lshl_or_b32 v1, v2, 2, 0x70
	v_and_b32_e32 v3, 3, v2
	ds_load_b32 v1, v1
	v_cmp_ne_u32_e32 vcc_lo, 3, v3
	v_add_co_ci_u32_e32 v4, vcc_lo, 0, v2, vcc_lo
	v_cmp_gt_u32_e32 vcc_lo, 2, v3
	s_delay_alu instid0(VALU_DEP_2) | instskip(SKIP_1) | instid1(VALU_DEP_1)
	v_lshlrev_b32_e32 v4, 2, v4
	v_cndmask_b32_e64 v3, 0, 1, vcc_lo
	v_lshlrev_b32_e32 v3, 1, v3
	s_waitcnt lgkmcnt(0)
	ds_bpermute_b32 v4, v4, v1
	v_add_lshl_u32 v2, v3, v2, 2
	s_waitcnt lgkmcnt(0)
	v_add_nc_u32_e32 v1, v4, v1
	ds_bpermute_b32 v2, v2, v1
	s_waitcnt lgkmcnt(0)
	v_add_nc_u32_e32 v1, v2, v1
.LBB320_521:
	s_or_b32 exec_lo, exec_lo, s3
	s_mov_b32 s3, 0
	s_branch .LBB320_574
.LBB320_522:
                                        ; implicit-def: $vgpr1
	s_cbranch_execnz .LBB320_614
	s_branch .LBB320_623
.LBB320_523:
                                        ; implicit-def: $vgpr1
	s_cbranch_execz .LBB320_597
; %bb.524:
	s_cmp_eq_u32 s26, 4
	s_cbranch_scc0 .LBB320_532
; %bb.525:
	s_mov_b32 s19, 0
	s_lshl_b32 s2, s18, 9
	s_mov_b32 s3, s19
	s_lshr_b64 s[6:7], s[20:21], 9
	s_lshl_b64 s[4:5], s[2:3], 1
	s_delay_alu instid0(SALU_CYCLE_1)
	s_add_u32 s4, s24, s4
	s_addc_u32 s5, s25, s5
	s_cmp_lg_u64 s[6:7], s[18:19]
	s_cbranch_scc0 .LBB320_598
; %bb.526:
	v_lshlrev_b32_e32 v1, 1, v0
	s_mov_b32 s3, exec_lo
	s_clause 0x3
	global_load_u16 v2, v1, s[4:5]
	global_load_u16 v3, v1, s[4:5] offset:512
	global_load_u16 v4, v1, s[4:5] offset:256
	;; [unrolled: 1-line block ×3, first 2 shown]
	s_waitcnt vmcnt(3)
	v_cmp_ne_u16_e32 vcc_lo, 0, v2
	v_cndmask_b32_e64 v2, 0, 1, vcc_lo
	s_waitcnt vmcnt(2)
	v_cmp_ne_u16_e32 vcc_lo, 0, v3
	v_cndmask_b32_e64 v3, 0, 1, vcc_lo
	s_waitcnt vmcnt(1)
	v_cmp_ne_u16_e32 vcc_lo, 0, v4
	v_add_co_ci_u32_e32 v2, vcc_lo, 0, v2, vcc_lo
	s_waitcnt vmcnt(0)
	v_cmp_ne_u16_e32 vcc_lo, 0, v1
	s_delay_alu instid0(VALU_DEP_2) | instskip(NEXT) | instid1(VALU_DEP_1)
	v_add_co_ci_u32_e32 v1, vcc_lo, v2, v3, vcc_lo
	v_mov_b32_dpp v2, v1 quad_perm:[1,0,3,2] row_mask:0xf bank_mask:0xf
	s_delay_alu instid0(VALU_DEP_1) | instskip(NEXT) | instid1(VALU_DEP_1)
	v_add_nc_u32_e32 v1, v1, v2
	v_mov_b32_dpp v2, v1 quad_perm:[2,3,0,1] row_mask:0xf bank_mask:0xf
	s_delay_alu instid0(VALU_DEP_1) | instskip(NEXT) | instid1(VALU_DEP_1)
	v_add_nc_u32_e32 v1, v1, v2
	v_mov_b32_dpp v2, v1 row_ror:4 row_mask:0xf bank_mask:0xf
	s_delay_alu instid0(VALU_DEP_1) | instskip(NEXT) | instid1(VALU_DEP_1)
	v_add_nc_u32_e32 v1, v1, v2
	v_mov_b32_dpp v2, v1 row_ror:8 row_mask:0xf bank_mask:0xf
	s_delay_alu instid0(VALU_DEP_1)
	v_add_nc_u32_e32 v1, v1, v2
	ds_swizzle_b32 v2, v1 offset:swizzle(BROADCAST,32,15)
	s_waitcnt lgkmcnt(0)
	v_dual_mov_b32 v2, 0 :: v_dual_add_nc_u32 v1, v1, v2
	ds_bpermute_b32 v1, v2, v1 offset:124
	v_mbcnt_lo_u32_b32 v2, -1, 0
	s_delay_alu instid0(VALU_DEP_1)
	v_cmpx_eq_u32_e32 0, v2
	s_cbranch_execz .LBB320_528
; %bb.527:
	v_lshrrev_b32_e32 v3, 3, v0
	s_delay_alu instid0(VALU_DEP_1)
	v_and_b32_e32 v3, 12, v3
	s_waitcnt lgkmcnt(0)
	ds_store_b32 v3, v1 offset:80
.LBB320_528:
	s_or_b32 exec_lo, exec_lo, s3
	s_delay_alu instid0(SALU_CYCLE_1)
	s_mov_b32 s3, exec_lo
	s_waitcnt lgkmcnt(0)
	s_barrier
	buffer_gl0_inv
	v_cmpx_gt_u32_e32 32, v0
	s_cbranch_execz .LBB320_530
; %bb.529:
	v_and_b32_e32 v1, 3, v2
	s_delay_alu instid0(VALU_DEP_1) | instskip(SKIP_4) | instid1(VALU_DEP_2)
	v_lshlrev_b32_e32 v3, 2, v1
	v_cmp_ne_u32_e32 vcc_lo, 3, v1
	ds_load_b32 v3, v3 offset:80
	v_add_co_ci_u32_e32 v4, vcc_lo, 0, v2, vcc_lo
	v_cmp_gt_u32_e32 vcc_lo, 2, v1
	v_lshlrev_b32_e32 v4, 2, v4
	v_cndmask_b32_e64 v1, 0, 1, vcc_lo
	s_delay_alu instid0(VALU_DEP_1) | instskip(NEXT) | instid1(VALU_DEP_1)
	v_lshlrev_b32_e32 v1, 1, v1
	v_add_lshl_u32 v1, v1, v2, 2
	s_waitcnt lgkmcnt(0)
	ds_bpermute_b32 v4, v4, v3
	s_waitcnt lgkmcnt(0)
	v_add_nc_u32_e32 v3, v4, v3
	ds_bpermute_b32 v1, v1, v3
	s_waitcnt lgkmcnt(0)
	v_add_nc_u32_e32 v1, v1, v3
.LBB320_530:
	s_or_b32 exec_lo, exec_lo, s3
	s_mov_b32 s3, 0
	s_branch .LBB320_599
.LBB320_531:
                                        ; implicit-def: $vgpr1
	s_branch .LBB320_597
.LBB320_532:
                                        ; implicit-def: $vgpr1
	s_branch .LBB320_623
.LBB320_533:
	s_mov_b32 s3, -1
                                        ; implicit-def: $vgpr1
.LBB320_534:
	s_delay_alu instid0(SALU_CYCLE_1)
	s_and_b32 vcc_lo, exec_lo, s3
	s_cbranch_vccz .LBB320_572
; %bb.535:
	s_sub_i32 s27, s20, s2
	s_mov_b32 s2, exec_lo
                                        ; implicit-def: $vgpr1_vgpr2_vgpr3_vgpr4_vgpr5_vgpr6_vgpr7_vgpr8_vgpr9_vgpr10_vgpr11_vgpr12_vgpr13_vgpr14_vgpr15_vgpr16
	v_cmpx_gt_u32_e64 s27, v0
	s_cbranch_execz .LBB320_537
; %bb.536:
	v_lshlrev_b32_e32 v1, 1, v0
	global_load_u16 v1, v1, s[16:17]
	s_waitcnt vmcnt(0)
	v_cmp_ne_u16_e32 vcc_lo, 0, v1
	v_cndmask_b32_e64 v1, 0, 1, vcc_lo
.LBB320_537:
	s_or_b32 exec_lo, exec_lo, s2
	v_or_b32_e32 v17, 0x80, v0
	s_delay_alu instid0(VALU_DEP_1)
	v_cmp_gt_u32_e32 vcc_lo, s27, v17
	s_and_saveexec_b32 s3, vcc_lo
	s_cbranch_execz .LBB320_539
; %bb.538:
	v_lshlrev_b32_e32 v2, 1, v0
	global_load_u16 v2, v2, s[16:17] offset:256
	s_waitcnt vmcnt(0)
	v_cmp_ne_u16_e64 s2, 0, v2
	s_delay_alu instid0(VALU_DEP_1)
	v_cndmask_b32_e64 v2, 0, 1, s2
.LBB320_539:
	s_or_b32 exec_lo, exec_lo, s3
	v_or_b32_e32 v17, 0x100, v0
	s_delay_alu instid0(VALU_DEP_1) | instskip(NEXT) | instid1(VALU_DEP_1)
	v_cmp_gt_u32_e64 s2, s27, v17
	s_and_saveexec_b32 s4, s2
	s_cbranch_execz .LBB320_541
; %bb.540:
	v_lshlrev_b32_e32 v3, 1, v0
	global_load_u16 v3, v3, s[16:17] offset:512
	s_waitcnt vmcnt(0)
	v_cmp_ne_u16_e64 s3, 0, v3
	s_delay_alu instid0(VALU_DEP_1)
	v_cndmask_b32_e64 v3, 0, 1, s3
.LBB320_541:
	s_or_b32 exec_lo, exec_lo, s4
	v_or_b32_e32 v17, 0x180, v0
	s_delay_alu instid0(VALU_DEP_1) | instskip(NEXT) | instid1(VALU_DEP_1)
	v_cmp_gt_u32_e64 s3, s27, v17
	s_and_saveexec_b32 s5, s3
	;; [unrolled: 14-line block ×14, first 2 shown]
	s_cbranch_execz .LBB320_567
; %bb.566:
	v_lshlrev_b32_e32 v16, 1, v0
	global_load_u16 v16, v16, s[16:17] offset:3840
	s_waitcnt vmcnt(0)
	v_cmp_ne_u16_e64 s16, 0, v16
	s_delay_alu instid0(VALU_DEP_1)
	v_cndmask_b32_e64 v16, 0, 1, s16
.LBB320_567:
	s_or_b32 exec_lo, exec_lo, s28
	v_cndmask_b32_e32 v2, 0, v2, vcc_lo
	v_cndmask_b32_e64 v3, 0, v3, s2
	v_cndmask_b32_e64 v4, 0, v4, s3
	s_min_u32 s2, s27, 0x80
	s_mov_b32 s3, exec_lo
	v_add_nc_u32_e32 v1, v2, v1
	v_cndmask_b32_e64 v2, 0, v5, s4
	v_cndmask_b32_e64 v5, 0, v6, s5
	v_cndmask_b32_e64 v6, 0, v14, s13
	s_delay_alu instid0(VALU_DEP_4) | instskip(SKIP_3) | instid1(VALU_DEP_4)
	v_add3_u32 v1, v1, v3, v4
	v_cndmask_b32_e64 v3, 0, v7, s6
	v_cndmask_b32_e64 v4, 0, v8, s7
	v_cndmask_b32_e64 v7, 0, v15, s14
	v_add3_u32 v1, v1, v2, v5
	v_cndmask_b32_e64 v2, 0, v9, s8
	v_cndmask_b32_e64 v5, 0, v10, s9
	s_delay_alu instid0(VALU_DEP_3) | instskip(SKIP_2) | instid1(VALU_DEP_3)
	v_add3_u32 v1, v1, v3, v4
	v_cndmask_b32_e64 v3, 0, v11, s10
	v_cndmask_b32_e64 v4, 0, v12, s11
	v_add3_u32 v1, v1, v2, v5
	v_mbcnt_lo_u32_b32 v2, -1, 0
	v_cndmask_b32_e64 v5, 0, v13, s12
	s_delay_alu instid0(VALU_DEP_3) | instskip(NEXT) | instid1(VALU_DEP_3)
	v_add3_u32 v1, v1, v3, v4
	v_cmp_ne_u32_e32 vcc_lo, 31, v2
	v_cndmask_b32_e64 v3, 0, v16, s15
	s_delay_alu instid0(VALU_DEP_3) | instskip(SKIP_3) | instid1(VALU_DEP_4)
	v_add3_u32 v1, v1, v5, v6
	v_add_co_ci_u32_e32 v4, vcc_lo, 0, v2, vcc_lo
	v_cmp_gt_u32_e32 vcc_lo, 30, v2
	v_add_nc_u32_e32 v6, 1, v2
	v_add3_u32 v1, v1, v7, v3
	s_delay_alu instid0(VALU_DEP_4) | instskip(SKIP_4) | instid1(VALU_DEP_2)
	v_lshlrev_b32_e32 v4, 2, v4
	v_cndmask_b32_e64 v5, 0, 1, vcc_lo
	ds_bpermute_b32 v3, v4, v1
	v_and_b32_e32 v4, 0x60, v0
	v_lshlrev_b32_e32 v5, 1, v5
	v_sub_nc_u32_e64 v4, s2, v4 clamp
	s_delay_alu instid0(VALU_DEP_2) | instskip(NEXT) | instid1(VALU_DEP_2)
	v_add_lshl_u32 v5, v5, v2, 2
	v_cmp_lt_u32_e32 vcc_lo, v6, v4
	s_waitcnt lgkmcnt(0)
	v_dual_cndmask_b32 v3, 0, v3 :: v_dual_add_nc_u32 v6, 2, v2
	v_cmp_gt_u32_e32 vcc_lo, 28, v2
	s_delay_alu instid0(VALU_DEP_2) | instskip(SKIP_4) | instid1(VALU_DEP_3)
	v_add_nc_u32_e32 v1, v1, v3
	ds_bpermute_b32 v3, v5, v1
	v_cndmask_b32_e64 v5, 0, 1, vcc_lo
	v_cmp_lt_u32_e32 vcc_lo, v6, v4
	v_add_nc_u32_e32 v6, 4, v2
	v_lshlrev_b32_e32 v5, 2, v5
	s_delay_alu instid0(VALU_DEP_1) | instskip(SKIP_3) | instid1(VALU_DEP_2)
	v_add_lshl_u32 v5, v5, v2, 2
	s_waitcnt lgkmcnt(0)
	v_cndmask_b32_e32 v3, 0, v3, vcc_lo
	v_cmp_gt_u32_e32 vcc_lo, 24, v2
	v_add_nc_u32_e32 v1, v1, v3
	ds_bpermute_b32 v3, v5, v1
	v_cndmask_b32_e64 v5, 0, 1, vcc_lo
	v_cmp_lt_u32_e32 vcc_lo, v6, v4
	v_add_nc_u32_e32 v6, 8, v2
	s_delay_alu instid0(VALU_DEP_3) | instskip(NEXT) | instid1(VALU_DEP_1)
	v_lshlrev_b32_e32 v5, 3, v5
	v_add_lshl_u32 v5, v5, v2, 2
	s_waitcnt lgkmcnt(0)
	v_cndmask_b32_e32 v3, 0, v3, vcc_lo
	v_cmp_gt_u32_e32 vcc_lo, 16, v2
	s_delay_alu instid0(VALU_DEP_2) | instskip(SKIP_3) | instid1(VALU_DEP_2)
	v_add_nc_u32_e32 v1, v1, v3
	ds_bpermute_b32 v3, v5, v1
	v_cndmask_b32_e64 v5, 0, 1, vcc_lo
	v_cmp_lt_u32_e32 vcc_lo, v6, v4
	v_lshlrev_b32_e32 v5, 4, v5
	s_delay_alu instid0(VALU_DEP_1) | instskip(SKIP_2) | instid1(VALU_DEP_1)
	v_add_lshl_u32 v5, v5, v2, 2
	s_waitcnt lgkmcnt(0)
	v_cndmask_b32_e32 v3, 0, v3, vcc_lo
	v_add_nc_u32_e32 v1, v1, v3
	ds_bpermute_b32 v3, v5, v1
	v_add_nc_u32_e32 v5, 16, v2
	s_delay_alu instid0(VALU_DEP_1) | instskip(SKIP_2) | instid1(VALU_DEP_1)
	v_cmp_lt_u32_e32 vcc_lo, v5, v4
	s_waitcnt lgkmcnt(0)
	v_cndmask_b32_e32 v3, 0, v3, vcc_lo
	v_add_nc_u32_e32 v1, v1, v3
	v_cmpx_eq_u32_e32 0, v2
	s_cbranch_execz .LBB320_569
; %bb.568:
	v_lshrrev_b32_e32 v3, 3, v0
	s_delay_alu instid0(VALU_DEP_1)
	v_and_b32_e32 v3, 12, v3
	ds_store_b32 v3, v1 offset:128
.LBB320_569:
	s_or_b32 exec_lo, exec_lo, s3
	s_delay_alu instid0(SALU_CYCLE_1)
	s_mov_b32 s3, exec_lo
	s_waitcnt lgkmcnt(0)
	s_barrier
	buffer_gl0_inv
	v_cmpx_gt_u32_e32 4, v0
	s_cbranch_execz .LBB320_571
; %bb.570:
	v_and_b32_e32 v3, 3, v2
	s_add_i32 s2, s2, 31
	s_delay_alu instid0(SALU_CYCLE_1) | instskip(NEXT) | instid1(VALU_DEP_1)
	s_lshr_b32 s2, s2, 5
	v_cmp_ne_u32_e32 vcc_lo, 3, v3
	v_add_nc_u32_e32 v5, 1, v3
	v_add_co_ci_u32_e32 v4, vcc_lo, 0, v2, vcc_lo
	v_cmp_gt_u32_e32 vcc_lo, 2, v3
	v_add_nc_u32_e32 v3, 2, v3
	s_delay_alu instid0(VALU_DEP_3) | instskip(SKIP_3) | instid1(VALU_DEP_3)
	v_lshlrev_b32_e32 v4, 2, v4
	v_cndmask_b32_e64 v6, 0, 1, vcc_lo
	v_cmp_gt_u32_e32 vcc_lo, s2, v5
	v_lshlrev_b32_e32 v1, 2, v2
	v_lshlrev_b32_e32 v5, 1, v6
	ds_load_b32 v1, v1 offset:128
	v_add_lshl_u32 v2, v5, v2, 2
	s_waitcnt lgkmcnt(0)
	ds_bpermute_b32 v4, v4, v1
	s_waitcnt lgkmcnt(0)
	v_cndmask_b32_e32 v4, 0, v4, vcc_lo
	v_cmp_gt_u32_e32 vcc_lo, s2, v3
	s_delay_alu instid0(VALU_DEP_2) | instskip(SKIP_3) | instid1(VALU_DEP_1)
	v_add_nc_u32_e32 v1, v4, v1
	ds_bpermute_b32 v2, v2, v1
	s_waitcnt lgkmcnt(0)
	v_cndmask_b32_e32 v2, 0, v2, vcc_lo
	v_add_nc_u32_e32 v1, v1, v2
.LBB320_571:
	s_or_b32 exec_lo, exec_lo, s3
.LBB320_572:
	v_cmp_eq_u32_e64 s2, 0, v0
	s_branch .LBB320_623
.LBB320_573:
	s_mov_b32 s3, -1
                                        ; implicit-def: $vgpr1
.LBB320_574:
	s_delay_alu instid0(SALU_CYCLE_1)
	s_and_b32 vcc_lo, exec_lo, s3
	s_cbranch_vccz .LBB320_596
; %bb.575:
	s_sub_i32 s10, s20, s2
	s_mov_b32 s2, exec_lo
                                        ; implicit-def: $vgpr1_vgpr2_vgpr3_vgpr4_vgpr5_vgpr6_vgpr7_vgpr8
	v_cmpx_gt_u32_e64 s10, v0
	s_cbranch_execz .LBB320_577
; %bb.576:
	v_lshlrev_b32_e32 v1, 1, v0
	global_load_u16 v1, v1, s[8:9]
	s_waitcnt vmcnt(0)
	v_cmp_ne_u16_e32 vcc_lo, 0, v1
	v_cndmask_b32_e64 v1, 0, 1, vcc_lo
.LBB320_577:
	s_or_b32 exec_lo, exec_lo, s2
	v_or_b32_e32 v9, 0x80, v0
	s_delay_alu instid0(VALU_DEP_1)
	v_cmp_gt_u32_e32 vcc_lo, s10, v9
	s_and_saveexec_b32 s3, vcc_lo
	s_cbranch_execz .LBB320_579
; %bb.578:
	v_lshlrev_b32_e32 v2, 1, v0
	global_load_u16 v2, v2, s[8:9] offset:256
	s_waitcnt vmcnt(0)
	v_cmp_ne_u16_e64 s2, 0, v2
	s_delay_alu instid0(VALU_DEP_1)
	v_cndmask_b32_e64 v2, 0, 1, s2
.LBB320_579:
	s_or_b32 exec_lo, exec_lo, s3
	v_or_b32_e32 v9, 0x100, v0
	s_delay_alu instid0(VALU_DEP_1) | instskip(NEXT) | instid1(VALU_DEP_1)
	v_cmp_gt_u32_e64 s2, s10, v9
	s_and_saveexec_b32 s4, s2
	s_cbranch_execz .LBB320_581
; %bb.580:
	v_lshlrev_b32_e32 v3, 1, v0
	global_load_u16 v3, v3, s[8:9] offset:512
	s_waitcnt vmcnt(0)
	v_cmp_ne_u16_e64 s3, 0, v3
	s_delay_alu instid0(VALU_DEP_1)
	v_cndmask_b32_e64 v3, 0, 1, s3
.LBB320_581:
	s_or_b32 exec_lo, exec_lo, s4
	v_or_b32_e32 v9, 0x180, v0
	s_delay_alu instid0(VALU_DEP_1) | instskip(NEXT) | instid1(VALU_DEP_1)
	v_cmp_gt_u32_e64 s3, s10, v9
	s_and_saveexec_b32 s5, s3
	;; [unrolled: 14-line block ×6, first 2 shown]
	s_cbranch_execz .LBB320_591
; %bb.590:
	v_lshlrev_b32_e32 v8, 1, v0
	global_load_u16 v8, v8, s[8:9] offset:1792
	s_waitcnt vmcnt(0)
	v_cmp_ne_u16_e64 s8, 0, v8
	s_delay_alu instid0(VALU_DEP_1)
	v_cndmask_b32_e64 v8, 0, 1, s8
.LBB320_591:
	s_or_b32 exec_lo, exec_lo, s11
	v_cndmask_b32_e32 v2, 0, v2, vcc_lo
	v_cndmask_b32_e64 v3, 0, v3, s2
	v_cndmask_b32_e64 v4, 0, v4, s3
	;; [unrolled: 1-line block ×4, first 2 shown]
	v_add_nc_u32_e32 v1, v2, v1
	v_mbcnt_lo_u32_b32 v2, -1, 0
	v_cndmask_b32_e64 v7, 0, v7, s6
	s_min_u32 s2, s10, 0x80
	s_mov_b32 s3, exec_lo
	v_add3_u32 v1, v1, v3, v4
	v_cmp_ne_u32_e32 vcc_lo, 31, v2
	v_cndmask_b32_e64 v3, 0, v8, s7
	s_delay_alu instid0(VALU_DEP_3) | instskip(SKIP_3) | instid1(VALU_DEP_4)
	v_add3_u32 v1, v1, v5, v6
	v_add_co_ci_u32_e32 v4, vcc_lo, 0, v2, vcc_lo
	v_cmp_gt_u32_e32 vcc_lo, 30, v2
	v_add_nc_u32_e32 v6, 1, v2
	v_add3_u32 v1, v1, v7, v3
	s_delay_alu instid0(VALU_DEP_4) | instskip(SKIP_4) | instid1(VALU_DEP_2)
	v_lshlrev_b32_e32 v4, 2, v4
	v_cndmask_b32_e64 v5, 0, 1, vcc_lo
	ds_bpermute_b32 v3, v4, v1
	v_and_b32_e32 v4, 0x60, v0
	v_lshlrev_b32_e32 v5, 1, v5
	v_sub_nc_u32_e64 v4, s2, v4 clamp
	s_delay_alu instid0(VALU_DEP_2) | instskip(NEXT) | instid1(VALU_DEP_2)
	v_add_lshl_u32 v5, v5, v2, 2
	v_cmp_lt_u32_e32 vcc_lo, v6, v4
	s_waitcnt lgkmcnt(0)
	v_dual_cndmask_b32 v3, 0, v3 :: v_dual_add_nc_u32 v6, 2, v2
	v_cmp_gt_u32_e32 vcc_lo, 28, v2
	s_delay_alu instid0(VALU_DEP_2) | instskip(SKIP_4) | instid1(VALU_DEP_3)
	v_add_nc_u32_e32 v1, v1, v3
	ds_bpermute_b32 v3, v5, v1
	v_cndmask_b32_e64 v5, 0, 1, vcc_lo
	v_cmp_lt_u32_e32 vcc_lo, v6, v4
	v_add_nc_u32_e32 v6, 4, v2
	v_lshlrev_b32_e32 v5, 2, v5
	s_delay_alu instid0(VALU_DEP_1) | instskip(SKIP_3) | instid1(VALU_DEP_2)
	v_add_lshl_u32 v5, v5, v2, 2
	s_waitcnt lgkmcnt(0)
	v_cndmask_b32_e32 v3, 0, v3, vcc_lo
	v_cmp_gt_u32_e32 vcc_lo, 24, v2
	v_add_nc_u32_e32 v1, v1, v3
	ds_bpermute_b32 v3, v5, v1
	v_cndmask_b32_e64 v5, 0, 1, vcc_lo
	v_cmp_lt_u32_e32 vcc_lo, v6, v4
	v_add_nc_u32_e32 v6, 8, v2
	s_delay_alu instid0(VALU_DEP_3) | instskip(NEXT) | instid1(VALU_DEP_1)
	v_lshlrev_b32_e32 v5, 3, v5
	v_add_lshl_u32 v5, v5, v2, 2
	s_waitcnt lgkmcnt(0)
	v_cndmask_b32_e32 v3, 0, v3, vcc_lo
	v_cmp_gt_u32_e32 vcc_lo, 16, v2
	s_delay_alu instid0(VALU_DEP_2) | instskip(SKIP_3) | instid1(VALU_DEP_2)
	v_add_nc_u32_e32 v1, v1, v3
	ds_bpermute_b32 v3, v5, v1
	v_cndmask_b32_e64 v5, 0, 1, vcc_lo
	v_cmp_lt_u32_e32 vcc_lo, v6, v4
	v_lshlrev_b32_e32 v5, 4, v5
	s_delay_alu instid0(VALU_DEP_1) | instskip(SKIP_2) | instid1(VALU_DEP_1)
	v_add_lshl_u32 v5, v5, v2, 2
	s_waitcnt lgkmcnt(0)
	v_cndmask_b32_e32 v3, 0, v3, vcc_lo
	v_add_nc_u32_e32 v1, v1, v3
	ds_bpermute_b32 v3, v5, v1
	v_add_nc_u32_e32 v5, 16, v2
	s_delay_alu instid0(VALU_DEP_1) | instskip(SKIP_2) | instid1(VALU_DEP_1)
	v_cmp_lt_u32_e32 vcc_lo, v5, v4
	s_waitcnt lgkmcnt(0)
	v_cndmask_b32_e32 v3, 0, v3, vcc_lo
	v_add_nc_u32_e32 v1, v1, v3
	v_cmpx_eq_u32_e32 0, v2
	s_cbranch_execz .LBB320_593
; %bb.592:
	v_lshrrev_b32_e32 v3, 3, v0
	s_delay_alu instid0(VALU_DEP_1)
	v_and_b32_e32 v3, 12, v3
	ds_store_b32 v3, v1 offset:128
.LBB320_593:
	s_or_b32 exec_lo, exec_lo, s3
	s_delay_alu instid0(SALU_CYCLE_1)
	s_mov_b32 s3, exec_lo
	s_waitcnt lgkmcnt(0)
	s_barrier
	buffer_gl0_inv
	v_cmpx_gt_u32_e32 4, v0
	s_cbranch_execz .LBB320_595
; %bb.594:
	v_and_b32_e32 v3, 3, v2
	s_add_i32 s2, s2, 31
	s_delay_alu instid0(SALU_CYCLE_1) | instskip(NEXT) | instid1(VALU_DEP_1)
	s_lshr_b32 s2, s2, 5
	v_cmp_ne_u32_e32 vcc_lo, 3, v3
	v_add_nc_u32_e32 v5, 1, v3
	v_add_co_ci_u32_e32 v4, vcc_lo, 0, v2, vcc_lo
	v_cmp_gt_u32_e32 vcc_lo, 2, v3
	v_add_nc_u32_e32 v3, 2, v3
	s_delay_alu instid0(VALU_DEP_3) | instskip(SKIP_3) | instid1(VALU_DEP_3)
	v_lshlrev_b32_e32 v4, 2, v4
	v_cndmask_b32_e64 v6, 0, 1, vcc_lo
	v_cmp_gt_u32_e32 vcc_lo, s2, v5
	v_lshlrev_b32_e32 v1, 2, v2
	v_lshlrev_b32_e32 v5, 1, v6
	ds_load_b32 v1, v1 offset:128
	v_add_lshl_u32 v2, v5, v2, 2
	s_waitcnt lgkmcnt(0)
	ds_bpermute_b32 v4, v4, v1
	s_waitcnt lgkmcnt(0)
	v_cndmask_b32_e32 v4, 0, v4, vcc_lo
	v_cmp_gt_u32_e32 vcc_lo, s2, v3
	s_delay_alu instid0(VALU_DEP_2) | instskip(SKIP_3) | instid1(VALU_DEP_1)
	v_add_nc_u32_e32 v1, v4, v1
	ds_bpermute_b32 v2, v2, v1
	s_waitcnt lgkmcnt(0)
	v_cndmask_b32_e32 v2, 0, v2, vcc_lo
	v_add_nc_u32_e32 v1, v1, v2
.LBB320_595:
	s_or_b32 exec_lo, exec_lo, s3
.LBB320_596:
	v_cmp_eq_u32_e64 s2, 0, v0
.LBB320_597:
	s_branch .LBB320_623
.LBB320_598:
	s_mov_b32 s3, -1
                                        ; implicit-def: $vgpr1
.LBB320_599:
	s_delay_alu instid0(SALU_CYCLE_1)
	s_and_b32 vcc_lo, exec_lo, s3
	s_cbranch_vccz .LBB320_613
; %bb.600:
	s_sub_i32 s6, s20, s2
	s_mov_b32 s2, exec_lo
                                        ; implicit-def: $vgpr1_vgpr2_vgpr3_vgpr4
	v_cmpx_gt_u32_e64 s6, v0
	s_cbranch_execz .LBB320_602
; %bb.601:
	v_lshlrev_b32_e32 v1, 1, v0
	global_load_u16 v1, v1, s[4:5]
	s_waitcnt vmcnt(0)
	v_cmp_ne_u16_e32 vcc_lo, 0, v1
	v_cndmask_b32_e64 v1, 0, 1, vcc_lo
.LBB320_602:
	s_or_b32 exec_lo, exec_lo, s2
	v_or_b32_e32 v5, 0x80, v0
	s_delay_alu instid0(VALU_DEP_1)
	v_cmp_gt_u32_e32 vcc_lo, s6, v5
	s_and_saveexec_b32 s3, vcc_lo
	s_cbranch_execz .LBB320_604
; %bb.603:
	v_lshlrev_b32_e32 v2, 1, v0
	global_load_u16 v2, v2, s[4:5] offset:256
	s_waitcnt vmcnt(0)
	v_cmp_ne_u16_e64 s2, 0, v2
	s_delay_alu instid0(VALU_DEP_1)
	v_cndmask_b32_e64 v2, 0, 1, s2
.LBB320_604:
	s_or_b32 exec_lo, exec_lo, s3
	v_or_b32_e32 v5, 0x100, v0
	s_delay_alu instid0(VALU_DEP_1) | instskip(NEXT) | instid1(VALU_DEP_1)
	v_cmp_gt_u32_e64 s2, s6, v5
	s_and_saveexec_b32 s7, s2
	s_cbranch_execz .LBB320_606
; %bb.605:
	v_lshlrev_b32_e32 v3, 1, v0
	global_load_u16 v3, v3, s[4:5] offset:512
	s_waitcnt vmcnt(0)
	v_cmp_ne_u16_e64 s3, 0, v3
	s_delay_alu instid0(VALU_DEP_1)
	v_cndmask_b32_e64 v3, 0, 1, s3
.LBB320_606:
	s_or_b32 exec_lo, exec_lo, s7
	v_or_b32_e32 v5, 0x180, v0
	s_delay_alu instid0(VALU_DEP_1) | instskip(NEXT) | instid1(VALU_DEP_1)
	v_cmp_gt_u32_e64 s3, s6, v5
	s_and_saveexec_b32 s7, s3
	s_cbranch_execz .LBB320_608
; %bb.607:
	v_lshlrev_b32_e32 v4, 1, v0
	global_load_u16 v4, v4, s[4:5] offset:768
	s_waitcnt vmcnt(0)
	v_cmp_ne_u16_e64 s4, 0, v4
	s_delay_alu instid0(VALU_DEP_1)
	v_cndmask_b32_e64 v4, 0, 1, s4
.LBB320_608:
	s_or_b32 exec_lo, exec_lo, s7
	v_cndmask_b32_e32 v5, 0, v2, vcc_lo
	v_mbcnt_lo_u32_b32 v2, -1, 0
	v_cndmask_b32_e64 v3, 0, v3, s2
	v_cndmask_b32_e64 v4, 0, v4, s3
	s_min_u32 s2, s6, 0x80
	v_add_nc_u32_e32 v1, v5, v1
	v_cmp_ne_u32_e32 vcc_lo, 31, v2
	s_mov_b32 s3, exec_lo
	s_delay_alu instid0(VALU_DEP_2) | instskip(SKIP_3) | instid1(VALU_DEP_3)
	v_add3_u32 v1, v1, v3, v4
	v_and_b32_e32 v4, 0x60, v0
	v_add_co_ci_u32_e32 v5, vcc_lo, 0, v2, vcc_lo
	v_cmp_gt_u32_e32 vcc_lo, 30, v2
	v_sub_nc_u32_e64 v4, s2, v4 clamp
	s_delay_alu instid0(VALU_DEP_3) | instskip(SKIP_4) | instid1(VALU_DEP_2)
	v_lshlrev_b32_e32 v3, 2, v5
	v_cndmask_b32_e64 v5, 0, 1, vcc_lo
	ds_bpermute_b32 v3, v3, v1
	v_add_nc_u32_e32 v6, 1, v2
	v_lshlrev_b32_e32 v5, 1, v5
	v_cmp_lt_u32_e32 vcc_lo, v6, v4
	s_delay_alu instid0(VALU_DEP_2) | instskip(SKIP_3) | instid1(VALU_DEP_2)
	v_add_lshl_u32 v5, v5, v2, 2
	s_waitcnt lgkmcnt(0)
	v_cndmask_b32_e32 v3, 0, v3, vcc_lo
	v_cmp_gt_u32_e32 vcc_lo, 28, v2
	v_add_nc_u32_e32 v1, v3, v1
	ds_bpermute_b32 v3, v5, v1
	v_add_nc_u32_e32 v6, 2, v2
	v_cndmask_b32_e64 v5, 0, 1, vcc_lo
	s_delay_alu instid0(VALU_DEP_2) | instskip(NEXT) | instid1(VALU_DEP_2)
	v_cmp_lt_u32_e32 vcc_lo, v6, v4
	v_lshlrev_b32_e32 v5, 2, v5
	s_delay_alu instid0(VALU_DEP_1) | instskip(SKIP_3) | instid1(VALU_DEP_2)
	v_add_lshl_u32 v5, v5, v2, 2
	s_waitcnt lgkmcnt(0)
	v_cndmask_b32_e32 v3, 0, v3, vcc_lo
	v_cmp_gt_u32_e32 vcc_lo, 24, v2
	v_add_nc_u32_e32 v1, v1, v3
	ds_bpermute_b32 v3, v5, v1
	v_add_nc_u32_e32 v6, 4, v2
	v_cndmask_b32_e64 v5, 0, 1, vcc_lo
	s_delay_alu instid0(VALU_DEP_2) | instskip(NEXT) | instid1(VALU_DEP_2)
	v_cmp_lt_u32_e32 vcc_lo, v6, v4
	v_lshlrev_b32_e32 v5, 3, v5
	s_delay_alu instid0(VALU_DEP_1) | instskip(SKIP_3) | instid1(VALU_DEP_2)
	v_add_lshl_u32 v5, v5, v2, 2
	s_waitcnt lgkmcnt(0)
	v_cndmask_b32_e32 v3, 0, v3, vcc_lo
	v_cmp_gt_u32_e32 vcc_lo, 16, v2
	v_add_nc_u32_e32 v1, v1, v3
	ds_bpermute_b32 v3, v5, v1
	v_add_nc_u32_e32 v6, 8, v2
	v_cndmask_b32_e64 v5, 0, 1, vcc_lo
	s_delay_alu instid0(VALU_DEP_2) | instskip(NEXT) | instid1(VALU_DEP_2)
	v_cmp_lt_u32_e32 vcc_lo, v6, v4
	v_lshlrev_b32_e32 v5, 4, v5
	s_delay_alu instid0(VALU_DEP_1) | instskip(SKIP_2) | instid1(VALU_DEP_1)
	v_add_lshl_u32 v5, v5, v2, 2
	s_waitcnt lgkmcnt(0)
	v_cndmask_b32_e32 v3, 0, v3, vcc_lo
	v_add_nc_u32_e32 v1, v1, v3
	ds_bpermute_b32 v3, v5, v1
	v_add_nc_u32_e32 v5, 16, v2
	s_delay_alu instid0(VALU_DEP_1) | instskip(SKIP_2) | instid1(VALU_DEP_1)
	v_cmp_lt_u32_e32 vcc_lo, v5, v4
	s_waitcnt lgkmcnt(0)
	v_cndmask_b32_e32 v3, 0, v3, vcc_lo
	v_add_nc_u32_e32 v1, v1, v3
	v_cmpx_eq_u32_e32 0, v2
	s_cbranch_execz .LBB320_610
; %bb.609:
	v_lshrrev_b32_e32 v3, 3, v0
	s_delay_alu instid0(VALU_DEP_1)
	v_and_b32_e32 v3, 12, v3
	ds_store_b32 v3, v1 offset:128
.LBB320_610:
	s_or_b32 exec_lo, exec_lo, s3
	s_delay_alu instid0(SALU_CYCLE_1)
	s_mov_b32 s3, exec_lo
	s_waitcnt lgkmcnt(0)
	s_barrier
	buffer_gl0_inv
	v_cmpx_gt_u32_e32 4, v0
	s_cbranch_execz .LBB320_612
; %bb.611:
	v_and_b32_e32 v3, 3, v2
	s_add_i32 s2, s2, 31
	s_delay_alu instid0(SALU_CYCLE_1) | instskip(NEXT) | instid1(VALU_DEP_1)
	s_lshr_b32 s2, s2, 5
	v_cmp_ne_u32_e32 vcc_lo, 3, v3
	v_add_nc_u32_e32 v5, 1, v3
	v_add_co_ci_u32_e32 v4, vcc_lo, 0, v2, vcc_lo
	v_cmp_gt_u32_e32 vcc_lo, 2, v3
	v_add_nc_u32_e32 v3, 2, v3
	s_delay_alu instid0(VALU_DEP_3) | instskip(SKIP_3) | instid1(VALU_DEP_3)
	v_lshlrev_b32_e32 v4, 2, v4
	v_cndmask_b32_e64 v6, 0, 1, vcc_lo
	v_cmp_gt_u32_e32 vcc_lo, s2, v5
	v_lshlrev_b32_e32 v1, 2, v2
	v_lshlrev_b32_e32 v5, 1, v6
	ds_load_b32 v1, v1 offset:128
	v_add_lshl_u32 v2, v5, v2, 2
	s_waitcnt lgkmcnt(0)
	ds_bpermute_b32 v4, v4, v1
	s_waitcnt lgkmcnt(0)
	v_cndmask_b32_e32 v4, 0, v4, vcc_lo
	v_cmp_gt_u32_e32 vcc_lo, s2, v3
	s_delay_alu instid0(VALU_DEP_2) | instskip(SKIP_3) | instid1(VALU_DEP_1)
	v_add_nc_u32_e32 v1, v4, v1
	ds_bpermute_b32 v2, v2, v1
	s_waitcnt lgkmcnt(0)
	v_cndmask_b32_e32 v2, 0, v2, vcc_lo
	v_add_nc_u32_e32 v1, v1, v2
.LBB320_612:
	s_or_b32 exec_lo, exec_lo, s3
.LBB320_613:
	v_cmp_eq_u32_e64 s2, 0, v0
	s_branch .LBB320_623
.LBB320_614:
	s_cmp_gt_i32 s26, 1
	s_cbranch_scc0 .LBB320_622
; %bb.615:
	s_cmp_eq_u32 s26, 2
	s_cbranch_scc0 .LBB320_626
; %bb.616:
	s_mov_b32 s19, 0
	s_lshl_b32 s6, s18, 8
	s_mov_b32 s7, s19
	s_lshr_b64 s[8:9], s[20:21], 8
	s_lshl_b64 s[2:3], s[6:7], 1
	s_delay_alu instid0(SALU_CYCLE_1)
	s_add_u32 s4, s24, s2
	s_addc_u32 s5, s25, s3
	s_cmp_lg_u64 s[8:9], s[18:19]
	s_cbranch_scc0 .LBB320_627
; %bb.617:
	v_lshlrev_b32_e32 v1, 1, v0
	s_clause 0x1
	global_load_u16 v2, v1, s[4:5]
	global_load_u16 v1, v1, s[4:5] offset:256
	s_waitcnt vmcnt(1)
	v_cmp_ne_u16_e32 vcc_lo, 0, v2
	v_cndmask_b32_e64 v2, 0, 1, vcc_lo
	s_waitcnt vmcnt(0)
	v_cmp_ne_u16_e32 vcc_lo, 0, v1
	s_delay_alu instid0(VALU_DEP_2) | instskip(SKIP_1) | instid1(VALU_DEP_1)
	v_add_co_ci_u32_e64 v1, s2, 0, v2, vcc_lo
	s_mov_b32 s2, exec_lo
	v_mov_b32_dpp v1, v1 quad_perm:[1,0,3,2] row_mask:0xf bank_mask:0xf
	s_delay_alu instid0(VALU_DEP_1) | instskip(NEXT) | instid1(VALU_DEP_1)
	v_add_co_ci_u32_e32 v1, vcc_lo, v1, v2, vcc_lo
	v_mov_b32_dpp v2, v1 quad_perm:[2,3,0,1] row_mask:0xf bank_mask:0xf
	s_delay_alu instid0(VALU_DEP_1) | instskip(NEXT) | instid1(VALU_DEP_1)
	v_add_nc_u32_e32 v1, v1, v2
	v_mov_b32_dpp v2, v1 row_ror:4 row_mask:0xf bank_mask:0xf
	s_delay_alu instid0(VALU_DEP_1) | instskip(NEXT) | instid1(VALU_DEP_1)
	v_add_nc_u32_e32 v1, v1, v2
	v_mov_b32_dpp v2, v1 row_ror:8 row_mask:0xf bank_mask:0xf
	s_delay_alu instid0(VALU_DEP_1)
	v_add_nc_u32_e32 v1, v1, v2
	ds_swizzle_b32 v2, v1 offset:swizzle(BROADCAST,32,15)
	s_waitcnt lgkmcnt(0)
	v_dual_mov_b32 v2, 0 :: v_dual_add_nc_u32 v1, v1, v2
	ds_bpermute_b32 v1, v2, v1 offset:124
	v_mbcnt_lo_u32_b32 v2, -1, 0
	s_delay_alu instid0(VALU_DEP_1)
	v_cmpx_eq_u32_e32 0, v2
	s_cbranch_execz .LBB320_619
; %bb.618:
	v_lshrrev_b32_e32 v3, 3, v0
	s_delay_alu instid0(VALU_DEP_1)
	v_and_b32_e32 v3, 12, v3
	s_waitcnt lgkmcnt(0)
	ds_store_b32 v3, v1 offset:48
.LBB320_619:
	s_or_b32 exec_lo, exec_lo, s2
	s_delay_alu instid0(SALU_CYCLE_1)
	s_mov_b32 s2, exec_lo
	s_waitcnt lgkmcnt(0)
	s_barrier
	buffer_gl0_inv
	v_cmpx_gt_u32_e32 32, v0
	s_cbranch_execz .LBB320_621
; %bb.620:
	v_and_b32_e32 v1, 3, v2
	s_delay_alu instid0(VALU_DEP_1) | instskip(SKIP_4) | instid1(VALU_DEP_2)
	v_lshlrev_b32_e32 v3, 2, v1
	v_cmp_ne_u32_e32 vcc_lo, 3, v1
	ds_load_b32 v3, v3 offset:48
	v_add_co_ci_u32_e32 v4, vcc_lo, 0, v2, vcc_lo
	v_cmp_gt_u32_e32 vcc_lo, 2, v1
	v_lshlrev_b32_e32 v4, 2, v4
	v_cndmask_b32_e64 v1, 0, 1, vcc_lo
	s_delay_alu instid0(VALU_DEP_1) | instskip(NEXT) | instid1(VALU_DEP_1)
	v_lshlrev_b32_e32 v1, 1, v1
	v_add_lshl_u32 v1, v1, v2, 2
	s_waitcnt lgkmcnt(0)
	ds_bpermute_b32 v4, v4, v3
	s_waitcnt lgkmcnt(0)
	v_add_nc_u32_e32 v3, v4, v3
	ds_bpermute_b32 v1, v1, v3
	s_waitcnt lgkmcnt(0)
	v_add_nc_u32_e32 v1, v1, v3
.LBB320_621:
	s_or_b32 exec_lo, exec_lo, s2
	s_mov_b32 s2, 0
	s_branch .LBB320_628
.LBB320_622:
                                        ; implicit-def: $vgpr1
	s_cbranch_execnz .LBB320_639
.LBB320_623:
	s_delay_alu instid0(VALU_DEP_1)
	s_and_saveexec_b32 s3, s2
	s_cbranch_execz .LBB320_625
.LBB320_624:
	s_load_b32 s2, s[0:1], 0x28
	s_cmp_lg_u64 s[20:21], 0
	s_cselect_b32 vcc_lo, -1, 0
	s_lshl_b64 s[0:1], s[18:19], 2
	v_dual_cndmask_b32 v0, 0, v1 :: v_dual_mov_b32 v1, 0
	s_add_u32 s0, s22, s0
	s_addc_u32 s1, s23, s1
	s_waitcnt lgkmcnt(0)
	s_delay_alu instid0(VALU_DEP_1)
	v_add_nc_u32_e32 v0, s2, v0
	global_store_b32 v1, v0, s[0:1]
.LBB320_625:
	s_nop 0
	s_sendmsg sendmsg(MSG_DEALLOC_VGPRS)
	s_endpgm
.LBB320_626:
                                        ; implicit-def: $vgpr1
	s_branch .LBB320_623
.LBB320_627:
	s_mov_b32 s2, -1
                                        ; implicit-def: $vgpr1
.LBB320_628:
	s_delay_alu instid0(SALU_CYCLE_1)
	s_and_b32 vcc_lo, exec_lo, s2
	s_cbranch_vccz .LBB320_638
; %bb.629:
	s_sub_i32 s3, s20, s6
	s_mov_b32 s2, exec_lo
                                        ; implicit-def: $vgpr1_vgpr2
	v_cmpx_gt_u32_e64 s3, v0
	s_cbranch_execz .LBB320_631
; %bb.630:
	v_lshlrev_b32_e32 v1, 1, v0
	global_load_u16 v1, v1, s[4:5]
	s_waitcnt vmcnt(0)
	v_cmp_ne_u16_e32 vcc_lo, 0, v1
	v_cndmask_b32_e64 v1, 0, 1, vcc_lo
.LBB320_631:
	s_or_b32 exec_lo, exec_lo, s2
	v_or_b32_e32 v3, 0x80, v0
	s_delay_alu instid0(VALU_DEP_1)
	v_cmp_gt_u32_e32 vcc_lo, s3, v3
	s_and_saveexec_b32 s6, vcc_lo
	s_cbranch_execz .LBB320_633
; %bb.632:
	v_lshlrev_b32_e32 v2, 1, v0
	global_load_u16 v2, v2, s[4:5] offset:256
	s_waitcnt vmcnt(0)
	v_cmp_ne_u16_e64 s2, 0, v2
	s_delay_alu instid0(VALU_DEP_1)
	v_cndmask_b32_e64 v2, 0, 1, s2
.LBB320_633:
	s_or_b32 exec_lo, exec_lo, s6
	v_mbcnt_lo_u32_b32 v3, -1, 0
	s_delay_alu instid0(VALU_DEP_2) | instskip(SKIP_2) | instid1(VALU_DEP_2)
	v_cndmask_b32_e32 v2, 0, v2, vcc_lo
	s_min_u32 s2, s3, 0x80
	s_mov_b32 s3, exec_lo
	v_cmp_ne_u32_e32 vcc_lo, 31, v3
	v_add_nc_u32_e32 v6, 1, v3
	v_add_co_ci_u32_e32 v4, vcc_lo, 0, v3, vcc_lo
	v_cmp_gt_u32_e32 vcc_lo, 30, v3
	v_cndmask_b32_e64 v5, 0, 1, vcc_lo
	s_delay_alu instid0(VALU_DEP_1) | instskip(SKIP_3) | instid1(VALU_DEP_4)
	v_lshlrev_b32_e32 v5, 1, v5
	v_add_nc_u32_e32 v1, v2, v1
	v_lshlrev_b32_e32 v2, 2, v4
	v_and_b32_e32 v4, 0x60, v0
	v_add_lshl_u32 v5, v5, v3, 2
	ds_bpermute_b32 v2, v2, v1
	v_sub_nc_u32_e64 v4, s2, v4 clamp
	s_delay_alu instid0(VALU_DEP_1) | instskip(SKIP_4) | instid1(VALU_DEP_2)
	v_cmp_lt_u32_e32 vcc_lo, v6, v4
	v_add_nc_u32_e32 v6, 2, v3
	s_waitcnt lgkmcnt(0)
	v_cndmask_b32_e32 v2, 0, v2, vcc_lo
	v_cmp_gt_u32_e32 vcc_lo, 28, v3
	v_add_nc_u32_e32 v1, v2, v1
	ds_bpermute_b32 v2, v5, v1
	v_cndmask_b32_e64 v5, 0, 1, vcc_lo
	v_cmp_lt_u32_e32 vcc_lo, v6, v4
	v_add_nc_u32_e32 v6, 4, v3
	s_delay_alu instid0(VALU_DEP_3) | instskip(NEXT) | instid1(VALU_DEP_1)
	v_lshlrev_b32_e32 v5, 2, v5
	v_add_lshl_u32 v5, v5, v3, 2
	s_waitcnt lgkmcnt(0)
	v_cndmask_b32_e32 v2, 0, v2, vcc_lo
	v_cmp_gt_u32_e32 vcc_lo, 24, v3
	s_delay_alu instid0(VALU_DEP_2) | instskip(SKIP_4) | instid1(VALU_DEP_3)
	v_add_nc_u32_e32 v1, v1, v2
	ds_bpermute_b32 v2, v5, v1
	v_cndmask_b32_e64 v5, 0, 1, vcc_lo
	v_cmp_lt_u32_e32 vcc_lo, v6, v4
	v_add_nc_u32_e32 v6, 8, v3
	v_lshlrev_b32_e32 v5, 3, v5
	s_delay_alu instid0(VALU_DEP_1) | instskip(SKIP_3) | instid1(VALU_DEP_2)
	v_add_lshl_u32 v5, v5, v3, 2
	s_waitcnt lgkmcnt(0)
	v_cndmask_b32_e32 v2, 0, v2, vcc_lo
	v_cmp_gt_u32_e32 vcc_lo, 16, v3
	v_add_nc_u32_e32 v1, v1, v2
	ds_bpermute_b32 v2, v5, v1
	v_cndmask_b32_e64 v5, 0, 1, vcc_lo
	v_cmp_lt_u32_e32 vcc_lo, v6, v4
	s_delay_alu instid0(VALU_DEP_2) | instskip(NEXT) | instid1(VALU_DEP_1)
	v_lshlrev_b32_e32 v5, 4, v5
	v_add_lshl_u32 v5, v5, v3, 2
	s_waitcnt lgkmcnt(0)
	v_cndmask_b32_e32 v2, 0, v2, vcc_lo
	s_delay_alu instid0(VALU_DEP_1) | instskip(SKIP_2) | instid1(VALU_DEP_1)
	v_add_nc_u32_e32 v1, v1, v2
	ds_bpermute_b32 v2, v5, v1
	v_add_nc_u32_e32 v5, 16, v3
	v_cmp_lt_u32_e32 vcc_lo, v5, v4
	s_waitcnt lgkmcnt(0)
	v_cndmask_b32_e32 v2, 0, v2, vcc_lo
	s_delay_alu instid0(VALU_DEP_1)
	v_add_nc_u32_e32 v1, v1, v2
	v_cmpx_eq_u32_e32 0, v3
	s_cbranch_execz .LBB320_635
; %bb.634:
	v_lshrrev_b32_e32 v2, 3, v0
	s_delay_alu instid0(VALU_DEP_1)
	v_and_b32_e32 v2, 12, v2
	ds_store_b32 v2, v1 offset:128
.LBB320_635:
	s_or_b32 exec_lo, exec_lo, s3
	s_delay_alu instid0(SALU_CYCLE_1)
	s_mov_b32 s3, exec_lo
	s_waitcnt lgkmcnt(0)
	s_barrier
	buffer_gl0_inv
	v_cmpx_gt_u32_e32 4, v0
	s_cbranch_execz .LBB320_637
; %bb.636:
	v_and_b32_e32 v2, 3, v3
	s_add_i32 s2, s2, 31
	s_delay_alu instid0(SALU_CYCLE_1) | instskip(NEXT) | instid1(VALU_DEP_1)
	s_lshr_b32 s2, s2, 5
	v_cmp_ne_u32_e32 vcc_lo, 3, v2
	v_add_nc_u32_e32 v5, 1, v2
	v_add_co_ci_u32_e32 v4, vcc_lo, 0, v3, vcc_lo
	v_cmp_gt_u32_e32 vcc_lo, 2, v2
	v_add_nc_u32_e32 v2, 2, v2
	s_delay_alu instid0(VALU_DEP_3) | instskip(SKIP_3) | instid1(VALU_DEP_3)
	v_lshlrev_b32_e32 v4, 2, v4
	v_cndmask_b32_e64 v6, 0, 1, vcc_lo
	v_cmp_gt_u32_e32 vcc_lo, s2, v5
	v_lshlrev_b32_e32 v1, 2, v3
	v_lshlrev_b32_e32 v5, 1, v6
	ds_load_b32 v1, v1 offset:128
	v_add_lshl_u32 v3, v5, v3, 2
	s_waitcnt lgkmcnt(0)
	ds_bpermute_b32 v4, v4, v1
	s_waitcnt lgkmcnt(0)
	v_cndmask_b32_e32 v4, 0, v4, vcc_lo
	v_cmp_gt_u32_e32 vcc_lo, s2, v2
	s_delay_alu instid0(VALU_DEP_2) | instskip(SKIP_3) | instid1(VALU_DEP_1)
	v_add_nc_u32_e32 v1, v4, v1
	ds_bpermute_b32 v3, v3, v1
	s_waitcnt lgkmcnt(0)
	v_cndmask_b32_e32 v2, 0, v3, vcc_lo
	v_add_nc_u32_e32 v1, v1, v2
.LBB320_637:
	s_or_b32 exec_lo, exec_lo, s3
.LBB320_638:
	v_cmp_eq_u32_e64 s2, 0, v0
	s_branch .LBB320_623
.LBB320_639:
	s_cmp_eq_u32 s26, 1
	s_cbranch_scc0 .LBB320_647
; %bb.640:
	s_mov_b32 s5, 0
	v_mbcnt_lo_u32_b32 v2, -1, 0
	s_lshr_b64 s[2:3], s[20:21], 7
	s_mov_b32 s19, s5
	s_lshl_b32 s4, s18, 7
	s_cmp_lg_u64 s[2:3], s[18:19]
	s_cbranch_scc0 .LBB320_648
; %bb.641:
	s_lshl_b64 s[2:3], s[4:5], 1
	v_lshlrev_b32_e32 v1, 1, v0
	s_add_u32 s2, s24, s2
	s_addc_u32 s3, s25, s3
	global_load_u16 v1, v1, s[2:3]
	s_waitcnt vmcnt(0)
	v_cmp_ne_u16_e32 vcc_lo, 0, v1
	v_cndmask_b32_e64 v1, 0, 1, vcc_lo
	s_delay_alu instid0(VALU_DEP_1) | instskip(NEXT) | instid1(VALU_DEP_1)
	v_mov_b32_dpp v1, v1 quad_perm:[1,0,3,2] row_mask:0xf bank_mask:0xf
	v_add_co_ci_u32_e64 v3, s2, 0, v1, vcc_lo
	s_mov_b32 s2, exec_lo
	s_delay_alu instid0(VALU_DEP_1) | instskip(NEXT) | instid1(VALU_DEP_1)
	v_mov_b32_dpp v3, v3 quad_perm:[2,3,0,1] row_mask:0xf bank_mask:0xf
	v_add_co_ci_u32_e32 v1, vcc_lo, v3, v1, vcc_lo
	s_delay_alu instid0(VALU_DEP_1) | instskip(NEXT) | instid1(VALU_DEP_1)
	v_mov_b32_dpp v3, v1 row_ror:4 row_mask:0xf bank_mask:0xf
	v_add_nc_u32_e32 v1, v1, v3
	s_delay_alu instid0(VALU_DEP_1) | instskip(NEXT) | instid1(VALU_DEP_1)
	v_mov_b32_dpp v3, v1 row_ror:8 row_mask:0xf bank_mask:0xf
	v_add_nc_u32_e32 v1, v1, v3
	ds_swizzle_b32 v3, v1 offset:swizzle(BROADCAST,32,15)
	s_waitcnt lgkmcnt(0)
	v_add_nc_u32_e32 v1, v1, v3
	v_mov_b32_e32 v3, 0
	ds_bpermute_b32 v1, v3, v1 offset:124
	v_cmpx_eq_u32_e32 0, v2
	s_cbranch_execz .LBB320_643
; %bb.642:
	v_lshrrev_b32_e32 v3, 3, v0
	s_delay_alu instid0(VALU_DEP_1)
	v_and_b32_e32 v3, 12, v3
	s_waitcnt lgkmcnt(0)
	ds_store_b32 v3, v1 offset:32
.LBB320_643:
	s_or_b32 exec_lo, exec_lo, s2
	s_delay_alu instid0(SALU_CYCLE_1)
	s_mov_b32 s2, exec_lo
	s_waitcnt lgkmcnt(0)
	s_barrier
	buffer_gl0_inv
	v_cmpx_gt_u32_e32 32, v0
	s_cbranch_execz .LBB320_645
; %bb.644:
	v_and_b32_e32 v1, 3, v2
	s_delay_alu instid0(VALU_DEP_1) | instskip(SKIP_4) | instid1(VALU_DEP_2)
	v_lshlrev_b32_e32 v3, 2, v1
	v_cmp_ne_u32_e32 vcc_lo, 3, v1
	ds_load_b32 v3, v3 offset:32
	v_add_co_ci_u32_e32 v4, vcc_lo, 0, v2, vcc_lo
	v_cmp_gt_u32_e32 vcc_lo, 2, v1
	v_lshlrev_b32_e32 v4, 2, v4
	v_cndmask_b32_e64 v1, 0, 1, vcc_lo
	s_delay_alu instid0(VALU_DEP_1) | instskip(NEXT) | instid1(VALU_DEP_1)
	v_lshlrev_b32_e32 v1, 1, v1
	v_add_lshl_u32 v1, v1, v2, 2
	s_waitcnt lgkmcnt(0)
	ds_bpermute_b32 v4, v4, v3
	s_waitcnt lgkmcnt(0)
	v_add_nc_u32_e32 v3, v4, v3
	ds_bpermute_b32 v1, v1, v3
	s_waitcnt lgkmcnt(0)
	v_add_nc_u32_e32 v1, v1, v3
.LBB320_645:
	s_or_b32 exec_lo, exec_lo, s2
.LBB320_646:
	v_cmp_eq_u32_e64 s2, 0, v0
	s_delay_alu instid0(VALU_DEP_1)
	s_and_saveexec_b32 s3, s2
	s_cbranch_execnz .LBB320_624
	s_branch .LBB320_625
.LBB320_647:
                                        ; implicit-def: $sgpr18_sgpr19
                                        ; implicit-def: $vgpr1
	s_and_saveexec_b32 s3, s2
	s_cbranch_execz .LBB320_625
	s_branch .LBB320_624
.LBB320_648:
                                        ; implicit-def: $vgpr1
	s_cbranch_execz .LBB320_646
; %bb.649:
	s_sub_i32 s2, s20, s4
	s_mov_b32 s3, exec_lo
                                        ; implicit-def: $vgpr1
	v_cmpx_gt_u32_e64 s2, v0
	s_cbranch_execz .LBB320_651
; %bb.650:
	s_lshl_b64 s[4:5], s[4:5], 1
	v_lshlrev_b32_e32 v1, 1, v0
	s_add_u32 s4, s24, s4
	s_addc_u32 s5, s25, s5
	global_load_u16 v1, v1, s[4:5]
	s_waitcnt vmcnt(0)
	v_cmp_ne_u16_e32 vcc_lo, 0, v1
	v_cndmask_b32_e64 v1, 0, 1, vcc_lo
.LBB320_651:
	s_or_b32 exec_lo, exec_lo, s3
	v_cmp_ne_u32_e32 vcc_lo, 31, v2
	s_min_u32 s2, s2, 0x80
	v_add_nc_u32_e32 v5, 1, v2
	s_mov_b32 s3, exec_lo
	v_add_co_ci_u32_e32 v3, vcc_lo, 0, v2, vcc_lo
	v_cmp_gt_u32_e32 vcc_lo, 30, v2
	s_delay_alu instid0(VALU_DEP_2) | instskip(SKIP_4) | instid1(VALU_DEP_2)
	v_lshlrev_b32_e32 v3, 2, v3
	v_cndmask_b32_e64 v6, 0, 1, vcc_lo
	ds_bpermute_b32 v3, v3, v1
	v_and_b32_e32 v4, 0x60, v0
	v_lshlrev_b32_e32 v6, 1, v6
	v_sub_nc_u32_e64 v4, s2, v4 clamp
	s_delay_alu instid0(VALU_DEP_1) | instskip(NEXT) | instid1(VALU_DEP_3)
	v_cmp_lt_u32_e32 vcc_lo, v5, v4
	v_add_lshl_u32 v5, v6, v2, 2
	s_waitcnt lgkmcnt(0)
	v_dual_cndmask_b32 v3, 0, v3 :: v_dual_add_nc_u32 v6, 2, v2
	v_cmp_gt_u32_e32 vcc_lo, 28, v2
	s_delay_alu instid0(VALU_DEP_2) | instskip(SKIP_4) | instid1(VALU_DEP_3)
	v_add_nc_u32_e32 v1, v3, v1
	ds_bpermute_b32 v3, v5, v1
	v_cndmask_b32_e64 v5, 0, 1, vcc_lo
	v_cmp_lt_u32_e32 vcc_lo, v6, v4
	v_add_nc_u32_e32 v6, 4, v2
	v_lshlrev_b32_e32 v5, 2, v5
	s_delay_alu instid0(VALU_DEP_1) | instskip(SKIP_3) | instid1(VALU_DEP_2)
	v_add_lshl_u32 v5, v5, v2, 2
	s_waitcnt lgkmcnt(0)
	v_cndmask_b32_e32 v3, 0, v3, vcc_lo
	v_cmp_gt_u32_e32 vcc_lo, 24, v2
	v_add_nc_u32_e32 v1, v1, v3
	ds_bpermute_b32 v3, v5, v1
	v_cndmask_b32_e64 v5, 0, 1, vcc_lo
	v_cmp_lt_u32_e32 vcc_lo, v6, v4
	v_add_nc_u32_e32 v6, 8, v2
	s_delay_alu instid0(VALU_DEP_3) | instskip(NEXT) | instid1(VALU_DEP_1)
	v_lshlrev_b32_e32 v5, 3, v5
	v_add_lshl_u32 v5, v5, v2, 2
	s_waitcnt lgkmcnt(0)
	v_cndmask_b32_e32 v3, 0, v3, vcc_lo
	v_cmp_gt_u32_e32 vcc_lo, 16, v2
	s_delay_alu instid0(VALU_DEP_2) | instskip(SKIP_3) | instid1(VALU_DEP_2)
	v_add_nc_u32_e32 v1, v1, v3
	ds_bpermute_b32 v3, v5, v1
	v_cndmask_b32_e64 v5, 0, 1, vcc_lo
	v_cmp_lt_u32_e32 vcc_lo, v6, v4
	v_lshlrev_b32_e32 v5, 4, v5
	s_delay_alu instid0(VALU_DEP_1) | instskip(SKIP_2) | instid1(VALU_DEP_1)
	v_add_lshl_u32 v5, v5, v2, 2
	s_waitcnt lgkmcnt(0)
	v_cndmask_b32_e32 v3, 0, v3, vcc_lo
	v_add_nc_u32_e32 v1, v1, v3
	ds_bpermute_b32 v3, v5, v1
	v_add_nc_u32_e32 v5, 16, v2
	s_delay_alu instid0(VALU_DEP_1) | instskip(SKIP_2) | instid1(VALU_DEP_1)
	v_cmp_lt_u32_e32 vcc_lo, v5, v4
	s_waitcnt lgkmcnt(0)
	v_cndmask_b32_e32 v3, 0, v3, vcc_lo
	v_add_nc_u32_e32 v1, v1, v3
	v_cmpx_eq_u32_e32 0, v2
	s_cbranch_execz .LBB320_653
; %bb.652:
	v_lshrrev_b32_e32 v3, 3, v0
	s_delay_alu instid0(VALU_DEP_1)
	v_and_b32_e32 v3, 12, v3
	ds_store_b32 v3, v1 offset:128
.LBB320_653:
	s_or_b32 exec_lo, exec_lo, s3
	s_delay_alu instid0(SALU_CYCLE_1)
	s_mov_b32 s3, exec_lo
	s_waitcnt lgkmcnt(0)
	s_barrier
	buffer_gl0_inv
	v_cmpx_gt_u32_e32 4, v0
	s_cbranch_execz .LBB320_655
; %bb.654:
	v_and_b32_e32 v3, 3, v2
	s_add_i32 s2, s2, 31
	s_delay_alu instid0(SALU_CYCLE_1) | instskip(NEXT) | instid1(VALU_DEP_1)
	s_lshr_b32 s2, s2, 5
	v_cmp_ne_u32_e32 vcc_lo, 3, v3
	v_add_nc_u32_e32 v5, 1, v3
	v_add_co_ci_u32_e32 v4, vcc_lo, 0, v2, vcc_lo
	v_cmp_gt_u32_e32 vcc_lo, 2, v3
	v_add_nc_u32_e32 v3, 2, v3
	s_delay_alu instid0(VALU_DEP_3) | instskip(SKIP_3) | instid1(VALU_DEP_3)
	v_lshlrev_b32_e32 v4, 2, v4
	v_cndmask_b32_e64 v6, 0, 1, vcc_lo
	v_cmp_gt_u32_e32 vcc_lo, s2, v5
	v_lshlrev_b32_e32 v1, 2, v2
	v_lshlrev_b32_e32 v5, 1, v6
	ds_load_b32 v1, v1 offset:128
	v_add_lshl_u32 v2, v5, v2, 2
	s_waitcnt lgkmcnt(0)
	ds_bpermute_b32 v4, v4, v1
	s_waitcnt lgkmcnt(0)
	v_cndmask_b32_e32 v4, 0, v4, vcc_lo
	v_cmp_gt_u32_e32 vcc_lo, s2, v3
	s_delay_alu instid0(VALU_DEP_2) | instskip(SKIP_3) | instid1(VALU_DEP_1)
	v_add_nc_u32_e32 v1, v4, v1
	ds_bpermute_b32 v2, v2, v1
	s_waitcnt lgkmcnt(0)
	v_cndmask_b32_e32 v2, 0, v2, vcc_lo
	v_add_nc_u32_e32 v1, v1, v2
.LBB320_655:
	s_or_b32 exec_lo, exec_lo, s3
	v_cmp_eq_u32_e64 s2, 0, v0
	s_delay_alu instid0(VALU_DEP_1)
	s_and_saveexec_b32 s3, s2
	s_cbranch_execnz .LBB320_624
	s_branch .LBB320_625
	.section	.rodata,"a",@progbits
	.p2align	6, 0x0
	.amdhsa_kernel _ZN7rocprim17ROCPRIM_400000_NS6detail17trampoline_kernelINS0_14default_configENS1_22reduce_config_selectorIbEEZNS1_11reduce_implILb1ES3_N6hipcub16HIPCUB_304000_NS22TransformInputIteratorIbN2at6native12_GLOBAL__N_19NonZeroOpIsEEPKslEEPiiNS8_6detail34convert_binary_result_type_wrapperINS8_3SumESH_iEEEE10hipError_tPvRmT1_T2_T3_mT4_P12ihipStream_tbEUlT_E1_NS1_11comp_targetILNS1_3genE9ELNS1_11target_archE1100ELNS1_3gpuE3ELNS1_3repE0EEENS1_30default_config_static_selectorELNS0_4arch9wavefront6targetE0EEEvSQ_
		.amdhsa_group_segment_fixed_size 144
		.amdhsa_private_segment_fixed_size 0
		.amdhsa_kernarg_size 48
		.amdhsa_user_sgpr_count 15
		.amdhsa_user_sgpr_dispatch_ptr 0
		.amdhsa_user_sgpr_queue_ptr 0
		.amdhsa_user_sgpr_kernarg_segment_ptr 1
		.amdhsa_user_sgpr_dispatch_id 0
		.amdhsa_user_sgpr_private_segment_size 0
		.amdhsa_wavefront_size32 1
		.amdhsa_uses_dynamic_stack 0
		.amdhsa_enable_private_segment 0
		.amdhsa_system_sgpr_workgroup_id_x 1
		.amdhsa_system_sgpr_workgroup_id_y 0
		.amdhsa_system_sgpr_workgroup_id_z 0
		.amdhsa_system_sgpr_workgroup_info 0
		.amdhsa_system_vgpr_workitem_id 0
		.amdhsa_next_free_vgpr 130
		.amdhsa_next_free_sgpr 29
		.amdhsa_reserve_vcc 1
		.amdhsa_float_round_mode_32 0
		.amdhsa_float_round_mode_16_64 0
		.amdhsa_float_denorm_mode_32 3
		.amdhsa_float_denorm_mode_16_64 3
		.amdhsa_dx10_clamp 1
		.amdhsa_ieee_mode 1
		.amdhsa_fp16_overflow 0
		.amdhsa_workgroup_processor_mode 1
		.amdhsa_memory_ordered 1
		.amdhsa_forward_progress 0
		.amdhsa_shared_vgpr_count 0
		.amdhsa_exception_fp_ieee_invalid_op 0
		.amdhsa_exception_fp_denorm_src 0
		.amdhsa_exception_fp_ieee_div_zero 0
		.amdhsa_exception_fp_ieee_overflow 0
		.amdhsa_exception_fp_ieee_underflow 0
		.amdhsa_exception_fp_ieee_inexact 0
		.amdhsa_exception_int_div_zero 0
	.end_amdhsa_kernel
	.section	.text._ZN7rocprim17ROCPRIM_400000_NS6detail17trampoline_kernelINS0_14default_configENS1_22reduce_config_selectorIbEEZNS1_11reduce_implILb1ES3_N6hipcub16HIPCUB_304000_NS22TransformInputIteratorIbN2at6native12_GLOBAL__N_19NonZeroOpIsEEPKslEEPiiNS8_6detail34convert_binary_result_type_wrapperINS8_3SumESH_iEEEE10hipError_tPvRmT1_T2_T3_mT4_P12ihipStream_tbEUlT_E1_NS1_11comp_targetILNS1_3genE9ELNS1_11target_archE1100ELNS1_3gpuE3ELNS1_3repE0EEENS1_30default_config_static_selectorELNS0_4arch9wavefront6targetE0EEEvSQ_,"axG",@progbits,_ZN7rocprim17ROCPRIM_400000_NS6detail17trampoline_kernelINS0_14default_configENS1_22reduce_config_selectorIbEEZNS1_11reduce_implILb1ES3_N6hipcub16HIPCUB_304000_NS22TransformInputIteratorIbN2at6native12_GLOBAL__N_19NonZeroOpIsEEPKslEEPiiNS8_6detail34convert_binary_result_type_wrapperINS8_3SumESH_iEEEE10hipError_tPvRmT1_T2_T3_mT4_P12ihipStream_tbEUlT_E1_NS1_11comp_targetILNS1_3genE9ELNS1_11target_archE1100ELNS1_3gpuE3ELNS1_3repE0EEENS1_30default_config_static_selectorELNS0_4arch9wavefront6targetE0EEEvSQ_,comdat
.Lfunc_end320:
	.size	_ZN7rocprim17ROCPRIM_400000_NS6detail17trampoline_kernelINS0_14default_configENS1_22reduce_config_selectorIbEEZNS1_11reduce_implILb1ES3_N6hipcub16HIPCUB_304000_NS22TransformInputIteratorIbN2at6native12_GLOBAL__N_19NonZeroOpIsEEPKslEEPiiNS8_6detail34convert_binary_result_type_wrapperINS8_3SumESH_iEEEE10hipError_tPvRmT1_T2_T3_mT4_P12ihipStream_tbEUlT_E1_NS1_11comp_targetILNS1_3genE9ELNS1_11target_archE1100ELNS1_3gpuE3ELNS1_3repE0EEENS1_30default_config_static_selectorELNS0_4arch9wavefront6targetE0EEEvSQ_, .Lfunc_end320-_ZN7rocprim17ROCPRIM_400000_NS6detail17trampoline_kernelINS0_14default_configENS1_22reduce_config_selectorIbEEZNS1_11reduce_implILb1ES3_N6hipcub16HIPCUB_304000_NS22TransformInputIteratorIbN2at6native12_GLOBAL__N_19NonZeroOpIsEEPKslEEPiiNS8_6detail34convert_binary_result_type_wrapperINS8_3SumESH_iEEEE10hipError_tPvRmT1_T2_T3_mT4_P12ihipStream_tbEUlT_E1_NS1_11comp_targetILNS1_3genE9ELNS1_11target_archE1100ELNS1_3gpuE3ELNS1_3repE0EEENS1_30default_config_static_selectorELNS0_4arch9wavefront6targetE0EEEvSQ_
                                        ; -- End function
	.section	.AMDGPU.csdata,"",@progbits
; Kernel info:
; codeLenInByte = 30796
; NumSgprs: 31
; NumVgprs: 130
; ScratchSize: 0
; MemoryBound: 0
; FloatMode: 240
; IeeeMode: 1
; LDSByteSize: 144 bytes/workgroup (compile time only)
; SGPRBlocks: 3
; VGPRBlocks: 16
; NumSGPRsForWavesPerEU: 31
; NumVGPRsForWavesPerEU: 130
; Occupancy: 10
; WaveLimiterHint : 1
; COMPUTE_PGM_RSRC2:SCRATCH_EN: 0
; COMPUTE_PGM_RSRC2:USER_SGPR: 15
; COMPUTE_PGM_RSRC2:TRAP_HANDLER: 0
; COMPUTE_PGM_RSRC2:TGID_X_EN: 1
; COMPUTE_PGM_RSRC2:TGID_Y_EN: 0
; COMPUTE_PGM_RSRC2:TGID_Z_EN: 0
; COMPUTE_PGM_RSRC2:TIDIG_COMP_CNT: 0
	.section	.text._ZN7rocprim17ROCPRIM_400000_NS6detail17trampoline_kernelINS0_14default_configENS1_22reduce_config_selectorIbEEZNS1_11reduce_implILb1ES3_N6hipcub16HIPCUB_304000_NS22TransformInputIteratorIbN2at6native12_GLOBAL__N_19NonZeroOpIsEEPKslEEPiiNS8_6detail34convert_binary_result_type_wrapperINS8_3SumESH_iEEEE10hipError_tPvRmT1_T2_T3_mT4_P12ihipStream_tbEUlT_E1_NS1_11comp_targetILNS1_3genE8ELNS1_11target_archE1030ELNS1_3gpuE2ELNS1_3repE0EEENS1_30default_config_static_selectorELNS0_4arch9wavefront6targetE0EEEvSQ_,"axG",@progbits,_ZN7rocprim17ROCPRIM_400000_NS6detail17trampoline_kernelINS0_14default_configENS1_22reduce_config_selectorIbEEZNS1_11reduce_implILb1ES3_N6hipcub16HIPCUB_304000_NS22TransformInputIteratorIbN2at6native12_GLOBAL__N_19NonZeroOpIsEEPKslEEPiiNS8_6detail34convert_binary_result_type_wrapperINS8_3SumESH_iEEEE10hipError_tPvRmT1_T2_T3_mT4_P12ihipStream_tbEUlT_E1_NS1_11comp_targetILNS1_3genE8ELNS1_11target_archE1030ELNS1_3gpuE2ELNS1_3repE0EEENS1_30default_config_static_selectorELNS0_4arch9wavefront6targetE0EEEvSQ_,comdat
	.globl	_ZN7rocprim17ROCPRIM_400000_NS6detail17trampoline_kernelINS0_14default_configENS1_22reduce_config_selectorIbEEZNS1_11reduce_implILb1ES3_N6hipcub16HIPCUB_304000_NS22TransformInputIteratorIbN2at6native12_GLOBAL__N_19NonZeroOpIsEEPKslEEPiiNS8_6detail34convert_binary_result_type_wrapperINS8_3SumESH_iEEEE10hipError_tPvRmT1_T2_T3_mT4_P12ihipStream_tbEUlT_E1_NS1_11comp_targetILNS1_3genE8ELNS1_11target_archE1030ELNS1_3gpuE2ELNS1_3repE0EEENS1_30default_config_static_selectorELNS0_4arch9wavefront6targetE0EEEvSQ_ ; -- Begin function _ZN7rocprim17ROCPRIM_400000_NS6detail17trampoline_kernelINS0_14default_configENS1_22reduce_config_selectorIbEEZNS1_11reduce_implILb1ES3_N6hipcub16HIPCUB_304000_NS22TransformInputIteratorIbN2at6native12_GLOBAL__N_19NonZeroOpIsEEPKslEEPiiNS8_6detail34convert_binary_result_type_wrapperINS8_3SumESH_iEEEE10hipError_tPvRmT1_T2_T3_mT4_P12ihipStream_tbEUlT_E1_NS1_11comp_targetILNS1_3genE8ELNS1_11target_archE1030ELNS1_3gpuE2ELNS1_3repE0EEENS1_30default_config_static_selectorELNS0_4arch9wavefront6targetE0EEEvSQ_
	.p2align	8
	.type	_ZN7rocprim17ROCPRIM_400000_NS6detail17trampoline_kernelINS0_14default_configENS1_22reduce_config_selectorIbEEZNS1_11reduce_implILb1ES3_N6hipcub16HIPCUB_304000_NS22TransformInputIteratorIbN2at6native12_GLOBAL__N_19NonZeroOpIsEEPKslEEPiiNS8_6detail34convert_binary_result_type_wrapperINS8_3SumESH_iEEEE10hipError_tPvRmT1_T2_T3_mT4_P12ihipStream_tbEUlT_E1_NS1_11comp_targetILNS1_3genE8ELNS1_11target_archE1030ELNS1_3gpuE2ELNS1_3repE0EEENS1_30default_config_static_selectorELNS0_4arch9wavefront6targetE0EEEvSQ_,@function
_ZN7rocprim17ROCPRIM_400000_NS6detail17trampoline_kernelINS0_14default_configENS1_22reduce_config_selectorIbEEZNS1_11reduce_implILb1ES3_N6hipcub16HIPCUB_304000_NS22TransformInputIteratorIbN2at6native12_GLOBAL__N_19NonZeroOpIsEEPKslEEPiiNS8_6detail34convert_binary_result_type_wrapperINS8_3SumESH_iEEEE10hipError_tPvRmT1_T2_T3_mT4_P12ihipStream_tbEUlT_E1_NS1_11comp_targetILNS1_3genE8ELNS1_11target_archE1030ELNS1_3gpuE2ELNS1_3repE0EEENS1_30default_config_static_selectorELNS0_4arch9wavefront6targetE0EEEvSQ_: ; @_ZN7rocprim17ROCPRIM_400000_NS6detail17trampoline_kernelINS0_14default_configENS1_22reduce_config_selectorIbEEZNS1_11reduce_implILb1ES3_N6hipcub16HIPCUB_304000_NS22TransformInputIteratorIbN2at6native12_GLOBAL__N_19NonZeroOpIsEEPKslEEPiiNS8_6detail34convert_binary_result_type_wrapperINS8_3SumESH_iEEEE10hipError_tPvRmT1_T2_T3_mT4_P12ihipStream_tbEUlT_E1_NS1_11comp_targetILNS1_3genE8ELNS1_11target_archE1030ELNS1_3gpuE2ELNS1_3repE0EEENS1_30default_config_static_selectorELNS0_4arch9wavefront6targetE0EEEvSQ_
; %bb.0:
	.section	.rodata,"a",@progbits
	.p2align	6, 0x0
	.amdhsa_kernel _ZN7rocprim17ROCPRIM_400000_NS6detail17trampoline_kernelINS0_14default_configENS1_22reduce_config_selectorIbEEZNS1_11reduce_implILb1ES3_N6hipcub16HIPCUB_304000_NS22TransformInputIteratorIbN2at6native12_GLOBAL__N_19NonZeroOpIsEEPKslEEPiiNS8_6detail34convert_binary_result_type_wrapperINS8_3SumESH_iEEEE10hipError_tPvRmT1_T2_T3_mT4_P12ihipStream_tbEUlT_E1_NS1_11comp_targetILNS1_3genE8ELNS1_11target_archE1030ELNS1_3gpuE2ELNS1_3repE0EEENS1_30default_config_static_selectorELNS0_4arch9wavefront6targetE0EEEvSQ_
		.amdhsa_group_segment_fixed_size 0
		.amdhsa_private_segment_fixed_size 0
		.amdhsa_kernarg_size 48
		.amdhsa_user_sgpr_count 15
		.amdhsa_user_sgpr_dispatch_ptr 0
		.amdhsa_user_sgpr_queue_ptr 0
		.amdhsa_user_sgpr_kernarg_segment_ptr 1
		.amdhsa_user_sgpr_dispatch_id 0
		.amdhsa_user_sgpr_private_segment_size 0
		.amdhsa_wavefront_size32 1
		.amdhsa_uses_dynamic_stack 0
		.amdhsa_enable_private_segment 0
		.amdhsa_system_sgpr_workgroup_id_x 1
		.amdhsa_system_sgpr_workgroup_id_y 0
		.amdhsa_system_sgpr_workgroup_id_z 0
		.amdhsa_system_sgpr_workgroup_info 0
		.amdhsa_system_vgpr_workitem_id 0
		.amdhsa_next_free_vgpr 1
		.amdhsa_next_free_sgpr 1
		.amdhsa_reserve_vcc 0
		.amdhsa_float_round_mode_32 0
		.amdhsa_float_round_mode_16_64 0
		.amdhsa_float_denorm_mode_32 3
		.amdhsa_float_denorm_mode_16_64 3
		.amdhsa_dx10_clamp 1
		.amdhsa_ieee_mode 1
		.amdhsa_fp16_overflow 0
		.amdhsa_workgroup_processor_mode 1
		.amdhsa_memory_ordered 1
		.amdhsa_forward_progress 0
		.amdhsa_shared_vgpr_count 0
		.amdhsa_exception_fp_ieee_invalid_op 0
		.amdhsa_exception_fp_denorm_src 0
		.amdhsa_exception_fp_ieee_div_zero 0
		.amdhsa_exception_fp_ieee_overflow 0
		.amdhsa_exception_fp_ieee_underflow 0
		.amdhsa_exception_fp_ieee_inexact 0
		.amdhsa_exception_int_div_zero 0
	.end_amdhsa_kernel
	.section	.text._ZN7rocprim17ROCPRIM_400000_NS6detail17trampoline_kernelINS0_14default_configENS1_22reduce_config_selectorIbEEZNS1_11reduce_implILb1ES3_N6hipcub16HIPCUB_304000_NS22TransformInputIteratorIbN2at6native12_GLOBAL__N_19NonZeroOpIsEEPKslEEPiiNS8_6detail34convert_binary_result_type_wrapperINS8_3SumESH_iEEEE10hipError_tPvRmT1_T2_T3_mT4_P12ihipStream_tbEUlT_E1_NS1_11comp_targetILNS1_3genE8ELNS1_11target_archE1030ELNS1_3gpuE2ELNS1_3repE0EEENS1_30default_config_static_selectorELNS0_4arch9wavefront6targetE0EEEvSQ_,"axG",@progbits,_ZN7rocprim17ROCPRIM_400000_NS6detail17trampoline_kernelINS0_14default_configENS1_22reduce_config_selectorIbEEZNS1_11reduce_implILb1ES3_N6hipcub16HIPCUB_304000_NS22TransformInputIteratorIbN2at6native12_GLOBAL__N_19NonZeroOpIsEEPKslEEPiiNS8_6detail34convert_binary_result_type_wrapperINS8_3SumESH_iEEEE10hipError_tPvRmT1_T2_T3_mT4_P12ihipStream_tbEUlT_E1_NS1_11comp_targetILNS1_3genE8ELNS1_11target_archE1030ELNS1_3gpuE2ELNS1_3repE0EEENS1_30default_config_static_selectorELNS0_4arch9wavefront6targetE0EEEvSQ_,comdat
.Lfunc_end321:
	.size	_ZN7rocprim17ROCPRIM_400000_NS6detail17trampoline_kernelINS0_14default_configENS1_22reduce_config_selectorIbEEZNS1_11reduce_implILb1ES3_N6hipcub16HIPCUB_304000_NS22TransformInputIteratorIbN2at6native12_GLOBAL__N_19NonZeroOpIsEEPKslEEPiiNS8_6detail34convert_binary_result_type_wrapperINS8_3SumESH_iEEEE10hipError_tPvRmT1_T2_T3_mT4_P12ihipStream_tbEUlT_E1_NS1_11comp_targetILNS1_3genE8ELNS1_11target_archE1030ELNS1_3gpuE2ELNS1_3repE0EEENS1_30default_config_static_selectorELNS0_4arch9wavefront6targetE0EEEvSQ_, .Lfunc_end321-_ZN7rocprim17ROCPRIM_400000_NS6detail17trampoline_kernelINS0_14default_configENS1_22reduce_config_selectorIbEEZNS1_11reduce_implILb1ES3_N6hipcub16HIPCUB_304000_NS22TransformInputIteratorIbN2at6native12_GLOBAL__N_19NonZeroOpIsEEPKslEEPiiNS8_6detail34convert_binary_result_type_wrapperINS8_3SumESH_iEEEE10hipError_tPvRmT1_T2_T3_mT4_P12ihipStream_tbEUlT_E1_NS1_11comp_targetILNS1_3genE8ELNS1_11target_archE1030ELNS1_3gpuE2ELNS1_3repE0EEENS1_30default_config_static_selectorELNS0_4arch9wavefront6targetE0EEEvSQ_
                                        ; -- End function
	.section	.AMDGPU.csdata,"",@progbits
; Kernel info:
; codeLenInByte = 0
; NumSgprs: 0
; NumVgprs: 0
; ScratchSize: 0
; MemoryBound: 0
; FloatMode: 240
; IeeeMode: 1
; LDSByteSize: 0 bytes/workgroup (compile time only)
; SGPRBlocks: 0
; VGPRBlocks: 0
; NumSGPRsForWavesPerEU: 1
; NumVGPRsForWavesPerEU: 1
; Occupancy: 16
; WaveLimiterHint : 0
; COMPUTE_PGM_RSRC2:SCRATCH_EN: 0
; COMPUTE_PGM_RSRC2:USER_SGPR: 15
; COMPUTE_PGM_RSRC2:TRAP_HANDLER: 0
; COMPUTE_PGM_RSRC2:TGID_X_EN: 1
; COMPUTE_PGM_RSRC2:TGID_Y_EN: 0
; COMPUTE_PGM_RSRC2:TGID_Z_EN: 0
; COMPUTE_PGM_RSRC2:TIDIG_COMP_CNT: 0
	.section	.text._ZN7rocprim17ROCPRIM_400000_NS6detail17trampoline_kernelINS0_14default_configENS1_25partition_config_selectorILNS1_17partition_subalgoE5ElNS0_10empty_typeEbEEZZNS1_14partition_implILS5_5ELb0ES3_mN6hipcub16HIPCUB_304000_NS21CountingInputIteratorIllEEPS6_NSA_22TransformInputIteratorIbN2at6native12_GLOBAL__N_19NonZeroOpIsEEPKslEENS0_5tupleIJPlS6_EEENSN_IJSD_SD_EEES6_PiJS6_EEE10hipError_tPvRmT3_T4_T5_T6_T7_T9_mT8_P12ihipStream_tbDpT10_ENKUlT_T0_E_clISt17integral_constantIbLb0EES1B_EEDaS16_S17_EUlS16_E_NS1_11comp_targetILNS1_3genE0ELNS1_11target_archE4294967295ELNS1_3gpuE0ELNS1_3repE0EEENS1_30default_config_static_selectorELNS0_4arch9wavefront6targetE0EEEvT1_,"axG",@progbits,_ZN7rocprim17ROCPRIM_400000_NS6detail17trampoline_kernelINS0_14default_configENS1_25partition_config_selectorILNS1_17partition_subalgoE5ElNS0_10empty_typeEbEEZZNS1_14partition_implILS5_5ELb0ES3_mN6hipcub16HIPCUB_304000_NS21CountingInputIteratorIllEEPS6_NSA_22TransformInputIteratorIbN2at6native12_GLOBAL__N_19NonZeroOpIsEEPKslEENS0_5tupleIJPlS6_EEENSN_IJSD_SD_EEES6_PiJS6_EEE10hipError_tPvRmT3_T4_T5_T6_T7_T9_mT8_P12ihipStream_tbDpT10_ENKUlT_T0_E_clISt17integral_constantIbLb0EES1B_EEDaS16_S17_EUlS16_E_NS1_11comp_targetILNS1_3genE0ELNS1_11target_archE4294967295ELNS1_3gpuE0ELNS1_3repE0EEENS1_30default_config_static_selectorELNS0_4arch9wavefront6targetE0EEEvT1_,comdat
	.globl	_ZN7rocprim17ROCPRIM_400000_NS6detail17trampoline_kernelINS0_14default_configENS1_25partition_config_selectorILNS1_17partition_subalgoE5ElNS0_10empty_typeEbEEZZNS1_14partition_implILS5_5ELb0ES3_mN6hipcub16HIPCUB_304000_NS21CountingInputIteratorIllEEPS6_NSA_22TransformInputIteratorIbN2at6native12_GLOBAL__N_19NonZeroOpIsEEPKslEENS0_5tupleIJPlS6_EEENSN_IJSD_SD_EEES6_PiJS6_EEE10hipError_tPvRmT3_T4_T5_T6_T7_T9_mT8_P12ihipStream_tbDpT10_ENKUlT_T0_E_clISt17integral_constantIbLb0EES1B_EEDaS16_S17_EUlS16_E_NS1_11comp_targetILNS1_3genE0ELNS1_11target_archE4294967295ELNS1_3gpuE0ELNS1_3repE0EEENS1_30default_config_static_selectorELNS0_4arch9wavefront6targetE0EEEvT1_ ; -- Begin function _ZN7rocprim17ROCPRIM_400000_NS6detail17trampoline_kernelINS0_14default_configENS1_25partition_config_selectorILNS1_17partition_subalgoE5ElNS0_10empty_typeEbEEZZNS1_14partition_implILS5_5ELb0ES3_mN6hipcub16HIPCUB_304000_NS21CountingInputIteratorIllEEPS6_NSA_22TransformInputIteratorIbN2at6native12_GLOBAL__N_19NonZeroOpIsEEPKslEENS0_5tupleIJPlS6_EEENSN_IJSD_SD_EEES6_PiJS6_EEE10hipError_tPvRmT3_T4_T5_T6_T7_T9_mT8_P12ihipStream_tbDpT10_ENKUlT_T0_E_clISt17integral_constantIbLb0EES1B_EEDaS16_S17_EUlS16_E_NS1_11comp_targetILNS1_3genE0ELNS1_11target_archE4294967295ELNS1_3gpuE0ELNS1_3repE0EEENS1_30default_config_static_selectorELNS0_4arch9wavefront6targetE0EEEvT1_
	.p2align	8
	.type	_ZN7rocprim17ROCPRIM_400000_NS6detail17trampoline_kernelINS0_14default_configENS1_25partition_config_selectorILNS1_17partition_subalgoE5ElNS0_10empty_typeEbEEZZNS1_14partition_implILS5_5ELb0ES3_mN6hipcub16HIPCUB_304000_NS21CountingInputIteratorIllEEPS6_NSA_22TransformInputIteratorIbN2at6native12_GLOBAL__N_19NonZeroOpIsEEPKslEENS0_5tupleIJPlS6_EEENSN_IJSD_SD_EEES6_PiJS6_EEE10hipError_tPvRmT3_T4_T5_T6_T7_T9_mT8_P12ihipStream_tbDpT10_ENKUlT_T0_E_clISt17integral_constantIbLb0EES1B_EEDaS16_S17_EUlS16_E_NS1_11comp_targetILNS1_3genE0ELNS1_11target_archE4294967295ELNS1_3gpuE0ELNS1_3repE0EEENS1_30default_config_static_selectorELNS0_4arch9wavefront6targetE0EEEvT1_,@function
_ZN7rocprim17ROCPRIM_400000_NS6detail17trampoline_kernelINS0_14default_configENS1_25partition_config_selectorILNS1_17partition_subalgoE5ElNS0_10empty_typeEbEEZZNS1_14partition_implILS5_5ELb0ES3_mN6hipcub16HIPCUB_304000_NS21CountingInputIteratorIllEEPS6_NSA_22TransformInputIteratorIbN2at6native12_GLOBAL__N_19NonZeroOpIsEEPKslEENS0_5tupleIJPlS6_EEENSN_IJSD_SD_EEES6_PiJS6_EEE10hipError_tPvRmT3_T4_T5_T6_T7_T9_mT8_P12ihipStream_tbDpT10_ENKUlT_T0_E_clISt17integral_constantIbLb0EES1B_EEDaS16_S17_EUlS16_E_NS1_11comp_targetILNS1_3genE0ELNS1_11target_archE4294967295ELNS1_3gpuE0ELNS1_3repE0EEENS1_30default_config_static_selectorELNS0_4arch9wavefront6targetE0EEEvT1_: ; @_ZN7rocprim17ROCPRIM_400000_NS6detail17trampoline_kernelINS0_14default_configENS1_25partition_config_selectorILNS1_17partition_subalgoE5ElNS0_10empty_typeEbEEZZNS1_14partition_implILS5_5ELb0ES3_mN6hipcub16HIPCUB_304000_NS21CountingInputIteratorIllEEPS6_NSA_22TransformInputIteratorIbN2at6native12_GLOBAL__N_19NonZeroOpIsEEPKslEENS0_5tupleIJPlS6_EEENSN_IJSD_SD_EEES6_PiJS6_EEE10hipError_tPvRmT3_T4_T5_T6_T7_T9_mT8_P12ihipStream_tbDpT10_ENKUlT_T0_E_clISt17integral_constantIbLb0EES1B_EEDaS16_S17_EUlS16_E_NS1_11comp_targetILNS1_3genE0ELNS1_11target_archE4294967295ELNS1_3gpuE0ELNS1_3repE0EEENS1_30default_config_static_selectorELNS0_4arch9wavefront6targetE0EEEvT1_
; %bb.0:
	.section	.rodata,"a",@progbits
	.p2align	6, 0x0
	.amdhsa_kernel _ZN7rocprim17ROCPRIM_400000_NS6detail17trampoline_kernelINS0_14default_configENS1_25partition_config_selectorILNS1_17partition_subalgoE5ElNS0_10empty_typeEbEEZZNS1_14partition_implILS5_5ELb0ES3_mN6hipcub16HIPCUB_304000_NS21CountingInputIteratorIllEEPS6_NSA_22TransformInputIteratorIbN2at6native12_GLOBAL__N_19NonZeroOpIsEEPKslEENS0_5tupleIJPlS6_EEENSN_IJSD_SD_EEES6_PiJS6_EEE10hipError_tPvRmT3_T4_T5_T6_T7_T9_mT8_P12ihipStream_tbDpT10_ENKUlT_T0_E_clISt17integral_constantIbLb0EES1B_EEDaS16_S17_EUlS16_E_NS1_11comp_targetILNS1_3genE0ELNS1_11target_archE4294967295ELNS1_3gpuE0ELNS1_3repE0EEENS1_30default_config_static_selectorELNS0_4arch9wavefront6targetE0EEEvT1_
		.amdhsa_group_segment_fixed_size 0
		.amdhsa_private_segment_fixed_size 0
		.amdhsa_kernarg_size 120
		.amdhsa_user_sgpr_count 15
		.amdhsa_user_sgpr_dispatch_ptr 0
		.amdhsa_user_sgpr_queue_ptr 0
		.amdhsa_user_sgpr_kernarg_segment_ptr 1
		.amdhsa_user_sgpr_dispatch_id 0
		.amdhsa_user_sgpr_private_segment_size 0
		.amdhsa_wavefront_size32 1
		.amdhsa_uses_dynamic_stack 0
		.amdhsa_enable_private_segment 0
		.amdhsa_system_sgpr_workgroup_id_x 1
		.amdhsa_system_sgpr_workgroup_id_y 0
		.amdhsa_system_sgpr_workgroup_id_z 0
		.amdhsa_system_sgpr_workgroup_info 0
		.amdhsa_system_vgpr_workitem_id 0
		.amdhsa_next_free_vgpr 1
		.amdhsa_next_free_sgpr 1
		.amdhsa_reserve_vcc 0
		.amdhsa_float_round_mode_32 0
		.amdhsa_float_round_mode_16_64 0
		.amdhsa_float_denorm_mode_32 3
		.amdhsa_float_denorm_mode_16_64 3
		.amdhsa_dx10_clamp 1
		.amdhsa_ieee_mode 1
		.amdhsa_fp16_overflow 0
		.amdhsa_workgroup_processor_mode 1
		.amdhsa_memory_ordered 1
		.amdhsa_forward_progress 0
		.amdhsa_shared_vgpr_count 0
		.amdhsa_exception_fp_ieee_invalid_op 0
		.amdhsa_exception_fp_denorm_src 0
		.amdhsa_exception_fp_ieee_div_zero 0
		.amdhsa_exception_fp_ieee_overflow 0
		.amdhsa_exception_fp_ieee_underflow 0
		.amdhsa_exception_fp_ieee_inexact 0
		.amdhsa_exception_int_div_zero 0
	.end_amdhsa_kernel
	.section	.text._ZN7rocprim17ROCPRIM_400000_NS6detail17trampoline_kernelINS0_14default_configENS1_25partition_config_selectorILNS1_17partition_subalgoE5ElNS0_10empty_typeEbEEZZNS1_14partition_implILS5_5ELb0ES3_mN6hipcub16HIPCUB_304000_NS21CountingInputIteratorIllEEPS6_NSA_22TransformInputIteratorIbN2at6native12_GLOBAL__N_19NonZeroOpIsEEPKslEENS0_5tupleIJPlS6_EEENSN_IJSD_SD_EEES6_PiJS6_EEE10hipError_tPvRmT3_T4_T5_T6_T7_T9_mT8_P12ihipStream_tbDpT10_ENKUlT_T0_E_clISt17integral_constantIbLb0EES1B_EEDaS16_S17_EUlS16_E_NS1_11comp_targetILNS1_3genE0ELNS1_11target_archE4294967295ELNS1_3gpuE0ELNS1_3repE0EEENS1_30default_config_static_selectorELNS0_4arch9wavefront6targetE0EEEvT1_,"axG",@progbits,_ZN7rocprim17ROCPRIM_400000_NS6detail17trampoline_kernelINS0_14default_configENS1_25partition_config_selectorILNS1_17partition_subalgoE5ElNS0_10empty_typeEbEEZZNS1_14partition_implILS5_5ELb0ES3_mN6hipcub16HIPCUB_304000_NS21CountingInputIteratorIllEEPS6_NSA_22TransformInputIteratorIbN2at6native12_GLOBAL__N_19NonZeroOpIsEEPKslEENS0_5tupleIJPlS6_EEENSN_IJSD_SD_EEES6_PiJS6_EEE10hipError_tPvRmT3_T4_T5_T6_T7_T9_mT8_P12ihipStream_tbDpT10_ENKUlT_T0_E_clISt17integral_constantIbLb0EES1B_EEDaS16_S17_EUlS16_E_NS1_11comp_targetILNS1_3genE0ELNS1_11target_archE4294967295ELNS1_3gpuE0ELNS1_3repE0EEENS1_30default_config_static_selectorELNS0_4arch9wavefront6targetE0EEEvT1_,comdat
.Lfunc_end322:
	.size	_ZN7rocprim17ROCPRIM_400000_NS6detail17trampoline_kernelINS0_14default_configENS1_25partition_config_selectorILNS1_17partition_subalgoE5ElNS0_10empty_typeEbEEZZNS1_14partition_implILS5_5ELb0ES3_mN6hipcub16HIPCUB_304000_NS21CountingInputIteratorIllEEPS6_NSA_22TransformInputIteratorIbN2at6native12_GLOBAL__N_19NonZeroOpIsEEPKslEENS0_5tupleIJPlS6_EEENSN_IJSD_SD_EEES6_PiJS6_EEE10hipError_tPvRmT3_T4_T5_T6_T7_T9_mT8_P12ihipStream_tbDpT10_ENKUlT_T0_E_clISt17integral_constantIbLb0EES1B_EEDaS16_S17_EUlS16_E_NS1_11comp_targetILNS1_3genE0ELNS1_11target_archE4294967295ELNS1_3gpuE0ELNS1_3repE0EEENS1_30default_config_static_selectorELNS0_4arch9wavefront6targetE0EEEvT1_, .Lfunc_end322-_ZN7rocprim17ROCPRIM_400000_NS6detail17trampoline_kernelINS0_14default_configENS1_25partition_config_selectorILNS1_17partition_subalgoE5ElNS0_10empty_typeEbEEZZNS1_14partition_implILS5_5ELb0ES3_mN6hipcub16HIPCUB_304000_NS21CountingInputIteratorIllEEPS6_NSA_22TransformInputIteratorIbN2at6native12_GLOBAL__N_19NonZeroOpIsEEPKslEENS0_5tupleIJPlS6_EEENSN_IJSD_SD_EEES6_PiJS6_EEE10hipError_tPvRmT3_T4_T5_T6_T7_T9_mT8_P12ihipStream_tbDpT10_ENKUlT_T0_E_clISt17integral_constantIbLb0EES1B_EEDaS16_S17_EUlS16_E_NS1_11comp_targetILNS1_3genE0ELNS1_11target_archE4294967295ELNS1_3gpuE0ELNS1_3repE0EEENS1_30default_config_static_selectorELNS0_4arch9wavefront6targetE0EEEvT1_
                                        ; -- End function
	.section	.AMDGPU.csdata,"",@progbits
; Kernel info:
; codeLenInByte = 0
; NumSgprs: 0
; NumVgprs: 0
; ScratchSize: 0
; MemoryBound: 0
; FloatMode: 240
; IeeeMode: 1
; LDSByteSize: 0 bytes/workgroup (compile time only)
; SGPRBlocks: 0
; VGPRBlocks: 0
; NumSGPRsForWavesPerEU: 1
; NumVGPRsForWavesPerEU: 1
; Occupancy: 16
; WaveLimiterHint : 0
; COMPUTE_PGM_RSRC2:SCRATCH_EN: 0
; COMPUTE_PGM_RSRC2:USER_SGPR: 15
; COMPUTE_PGM_RSRC2:TRAP_HANDLER: 0
; COMPUTE_PGM_RSRC2:TGID_X_EN: 1
; COMPUTE_PGM_RSRC2:TGID_Y_EN: 0
; COMPUTE_PGM_RSRC2:TGID_Z_EN: 0
; COMPUTE_PGM_RSRC2:TIDIG_COMP_CNT: 0
	.section	.text._ZN7rocprim17ROCPRIM_400000_NS6detail17trampoline_kernelINS0_14default_configENS1_25partition_config_selectorILNS1_17partition_subalgoE5ElNS0_10empty_typeEbEEZZNS1_14partition_implILS5_5ELb0ES3_mN6hipcub16HIPCUB_304000_NS21CountingInputIteratorIllEEPS6_NSA_22TransformInputIteratorIbN2at6native12_GLOBAL__N_19NonZeroOpIsEEPKslEENS0_5tupleIJPlS6_EEENSN_IJSD_SD_EEES6_PiJS6_EEE10hipError_tPvRmT3_T4_T5_T6_T7_T9_mT8_P12ihipStream_tbDpT10_ENKUlT_T0_E_clISt17integral_constantIbLb0EES1B_EEDaS16_S17_EUlS16_E_NS1_11comp_targetILNS1_3genE5ELNS1_11target_archE942ELNS1_3gpuE9ELNS1_3repE0EEENS1_30default_config_static_selectorELNS0_4arch9wavefront6targetE0EEEvT1_,"axG",@progbits,_ZN7rocprim17ROCPRIM_400000_NS6detail17trampoline_kernelINS0_14default_configENS1_25partition_config_selectorILNS1_17partition_subalgoE5ElNS0_10empty_typeEbEEZZNS1_14partition_implILS5_5ELb0ES3_mN6hipcub16HIPCUB_304000_NS21CountingInputIteratorIllEEPS6_NSA_22TransformInputIteratorIbN2at6native12_GLOBAL__N_19NonZeroOpIsEEPKslEENS0_5tupleIJPlS6_EEENSN_IJSD_SD_EEES6_PiJS6_EEE10hipError_tPvRmT3_T4_T5_T6_T7_T9_mT8_P12ihipStream_tbDpT10_ENKUlT_T0_E_clISt17integral_constantIbLb0EES1B_EEDaS16_S17_EUlS16_E_NS1_11comp_targetILNS1_3genE5ELNS1_11target_archE942ELNS1_3gpuE9ELNS1_3repE0EEENS1_30default_config_static_selectorELNS0_4arch9wavefront6targetE0EEEvT1_,comdat
	.globl	_ZN7rocprim17ROCPRIM_400000_NS6detail17trampoline_kernelINS0_14default_configENS1_25partition_config_selectorILNS1_17partition_subalgoE5ElNS0_10empty_typeEbEEZZNS1_14partition_implILS5_5ELb0ES3_mN6hipcub16HIPCUB_304000_NS21CountingInputIteratorIllEEPS6_NSA_22TransformInputIteratorIbN2at6native12_GLOBAL__N_19NonZeroOpIsEEPKslEENS0_5tupleIJPlS6_EEENSN_IJSD_SD_EEES6_PiJS6_EEE10hipError_tPvRmT3_T4_T5_T6_T7_T9_mT8_P12ihipStream_tbDpT10_ENKUlT_T0_E_clISt17integral_constantIbLb0EES1B_EEDaS16_S17_EUlS16_E_NS1_11comp_targetILNS1_3genE5ELNS1_11target_archE942ELNS1_3gpuE9ELNS1_3repE0EEENS1_30default_config_static_selectorELNS0_4arch9wavefront6targetE0EEEvT1_ ; -- Begin function _ZN7rocprim17ROCPRIM_400000_NS6detail17trampoline_kernelINS0_14default_configENS1_25partition_config_selectorILNS1_17partition_subalgoE5ElNS0_10empty_typeEbEEZZNS1_14partition_implILS5_5ELb0ES3_mN6hipcub16HIPCUB_304000_NS21CountingInputIteratorIllEEPS6_NSA_22TransformInputIteratorIbN2at6native12_GLOBAL__N_19NonZeroOpIsEEPKslEENS0_5tupleIJPlS6_EEENSN_IJSD_SD_EEES6_PiJS6_EEE10hipError_tPvRmT3_T4_T5_T6_T7_T9_mT8_P12ihipStream_tbDpT10_ENKUlT_T0_E_clISt17integral_constantIbLb0EES1B_EEDaS16_S17_EUlS16_E_NS1_11comp_targetILNS1_3genE5ELNS1_11target_archE942ELNS1_3gpuE9ELNS1_3repE0EEENS1_30default_config_static_selectorELNS0_4arch9wavefront6targetE0EEEvT1_
	.p2align	8
	.type	_ZN7rocprim17ROCPRIM_400000_NS6detail17trampoline_kernelINS0_14default_configENS1_25partition_config_selectorILNS1_17partition_subalgoE5ElNS0_10empty_typeEbEEZZNS1_14partition_implILS5_5ELb0ES3_mN6hipcub16HIPCUB_304000_NS21CountingInputIteratorIllEEPS6_NSA_22TransformInputIteratorIbN2at6native12_GLOBAL__N_19NonZeroOpIsEEPKslEENS0_5tupleIJPlS6_EEENSN_IJSD_SD_EEES6_PiJS6_EEE10hipError_tPvRmT3_T4_T5_T6_T7_T9_mT8_P12ihipStream_tbDpT10_ENKUlT_T0_E_clISt17integral_constantIbLb0EES1B_EEDaS16_S17_EUlS16_E_NS1_11comp_targetILNS1_3genE5ELNS1_11target_archE942ELNS1_3gpuE9ELNS1_3repE0EEENS1_30default_config_static_selectorELNS0_4arch9wavefront6targetE0EEEvT1_,@function
_ZN7rocprim17ROCPRIM_400000_NS6detail17trampoline_kernelINS0_14default_configENS1_25partition_config_selectorILNS1_17partition_subalgoE5ElNS0_10empty_typeEbEEZZNS1_14partition_implILS5_5ELb0ES3_mN6hipcub16HIPCUB_304000_NS21CountingInputIteratorIllEEPS6_NSA_22TransformInputIteratorIbN2at6native12_GLOBAL__N_19NonZeroOpIsEEPKslEENS0_5tupleIJPlS6_EEENSN_IJSD_SD_EEES6_PiJS6_EEE10hipError_tPvRmT3_T4_T5_T6_T7_T9_mT8_P12ihipStream_tbDpT10_ENKUlT_T0_E_clISt17integral_constantIbLb0EES1B_EEDaS16_S17_EUlS16_E_NS1_11comp_targetILNS1_3genE5ELNS1_11target_archE942ELNS1_3gpuE9ELNS1_3repE0EEENS1_30default_config_static_selectorELNS0_4arch9wavefront6targetE0EEEvT1_: ; @_ZN7rocprim17ROCPRIM_400000_NS6detail17trampoline_kernelINS0_14default_configENS1_25partition_config_selectorILNS1_17partition_subalgoE5ElNS0_10empty_typeEbEEZZNS1_14partition_implILS5_5ELb0ES3_mN6hipcub16HIPCUB_304000_NS21CountingInputIteratorIllEEPS6_NSA_22TransformInputIteratorIbN2at6native12_GLOBAL__N_19NonZeroOpIsEEPKslEENS0_5tupleIJPlS6_EEENSN_IJSD_SD_EEES6_PiJS6_EEE10hipError_tPvRmT3_T4_T5_T6_T7_T9_mT8_P12ihipStream_tbDpT10_ENKUlT_T0_E_clISt17integral_constantIbLb0EES1B_EEDaS16_S17_EUlS16_E_NS1_11comp_targetILNS1_3genE5ELNS1_11target_archE942ELNS1_3gpuE9ELNS1_3repE0EEENS1_30default_config_static_selectorELNS0_4arch9wavefront6targetE0EEEvT1_
; %bb.0:
	.section	.rodata,"a",@progbits
	.p2align	6, 0x0
	.amdhsa_kernel _ZN7rocprim17ROCPRIM_400000_NS6detail17trampoline_kernelINS0_14default_configENS1_25partition_config_selectorILNS1_17partition_subalgoE5ElNS0_10empty_typeEbEEZZNS1_14partition_implILS5_5ELb0ES3_mN6hipcub16HIPCUB_304000_NS21CountingInputIteratorIllEEPS6_NSA_22TransformInputIteratorIbN2at6native12_GLOBAL__N_19NonZeroOpIsEEPKslEENS0_5tupleIJPlS6_EEENSN_IJSD_SD_EEES6_PiJS6_EEE10hipError_tPvRmT3_T4_T5_T6_T7_T9_mT8_P12ihipStream_tbDpT10_ENKUlT_T0_E_clISt17integral_constantIbLb0EES1B_EEDaS16_S17_EUlS16_E_NS1_11comp_targetILNS1_3genE5ELNS1_11target_archE942ELNS1_3gpuE9ELNS1_3repE0EEENS1_30default_config_static_selectorELNS0_4arch9wavefront6targetE0EEEvT1_
		.amdhsa_group_segment_fixed_size 0
		.amdhsa_private_segment_fixed_size 0
		.amdhsa_kernarg_size 120
		.amdhsa_user_sgpr_count 15
		.amdhsa_user_sgpr_dispatch_ptr 0
		.amdhsa_user_sgpr_queue_ptr 0
		.amdhsa_user_sgpr_kernarg_segment_ptr 1
		.amdhsa_user_sgpr_dispatch_id 0
		.amdhsa_user_sgpr_private_segment_size 0
		.amdhsa_wavefront_size32 1
		.amdhsa_uses_dynamic_stack 0
		.amdhsa_enable_private_segment 0
		.amdhsa_system_sgpr_workgroup_id_x 1
		.amdhsa_system_sgpr_workgroup_id_y 0
		.amdhsa_system_sgpr_workgroup_id_z 0
		.amdhsa_system_sgpr_workgroup_info 0
		.amdhsa_system_vgpr_workitem_id 0
		.amdhsa_next_free_vgpr 1
		.amdhsa_next_free_sgpr 1
		.amdhsa_reserve_vcc 0
		.amdhsa_float_round_mode_32 0
		.amdhsa_float_round_mode_16_64 0
		.amdhsa_float_denorm_mode_32 3
		.amdhsa_float_denorm_mode_16_64 3
		.amdhsa_dx10_clamp 1
		.amdhsa_ieee_mode 1
		.amdhsa_fp16_overflow 0
		.amdhsa_workgroup_processor_mode 1
		.amdhsa_memory_ordered 1
		.amdhsa_forward_progress 0
		.amdhsa_shared_vgpr_count 0
		.amdhsa_exception_fp_ieee_invalid_op 0
		.amdhsa_exception_fp_denorm_src 0
		.amdhsa_exception_fp_ieee_div_zero 0
		.amdhsa_exception_fp_ieee_overflow 0
		.amdhsa_exception_fp_ieee_underflow 0
		.amdhsa_exception_fp_ieee_inexact 0
		.amdhsa_exception_int_div_zero 0
	.end_amdhsa_kernel
	.section	.text._ZN7rocprim17ROCPRIM_400000_NS6detail17trampoline_kernelINS0_14default_configENS1_25partition_config_selectorILNS1_17partition_subalgoE5ElNS0_10empty_typeEbEEZZNS1_14partition_implILS5_5ELb0ES3_mN6hipcub16HIPCUB_304000_NS21CountingInputIteratorIllEEPS6_NSA_22TransformInputIteratorIbN2at6native12_GLOBAL__N_19NonZeroOpIsEEPKslEENS0_5tupleIJPlS6_EEENSN_IJSD_SD_EEES6_PiJS6_EEE10hipError_tPvRmT3_T4_T5_T6_T7_T9_mT8_P12ihipStream_tbDpT10_ENKUlT_T0_E_clISt17integral_constantIbLb0EES1B_EEDaS16_S17_EUlS16_E_NS1_11comp_targetILNS1_3genE5ELNS1_11target_archE942ELNS1_3gpuE9ELNS1_3repE0EEENS1_30default_config_static_selectorELNS0_4arch9wavefront6targetE0EEEvT1_,"axG",@progbits,_ZN7rocprim17ROCPRIM_400000_NS6detail17trampoline_kernelINS0_14default_configENS1_25partition_config_selectorILNS1_17partition_subalgoE5ElNS0_10empty_typeEbEEZZNS1_14partition_implILS5_5ELb0ES3_mN6hipcub16HIPCUB_304000_NS21CountingInputIteratorIllEEPS6_NSA_22TransformInputIteratorIbN2at6native12_GLOBAL__N_19NonZeroOpIsEEPKslEENS0_5tupleIJPlS6_EEENSN_IJSD_SD_EEES6_PiJS6_EEE10hipError_tPvRmT3_T4_T5_T6_T7_T9_mT8_P12ihipStream_tbDpT10_ENKUlT_T0_E_clISt17integral_constantIbLb0EES1B_EEDaS16_S17_EUlS16_E_NS1_11comp_targetILNS1_3genE5ELNS1_11target_archE942ELNS1_3gpuE9ELNS1_3repE0EEENS1_30default_config_static_selectorELNS0_4arch9wavefront6targetE0EEEvT1_,comdat
.Lfunc_end323:
	.size	_ZN7rocprim17ROCPRIM_400000_NS6detail17trampoline_kernelINS0_14default_configENS1_25partition_config_selectorILNS1_17partition_subalgoE5ElNS0_10empty_typeEbEEZZNS1_14partition_implILS5_5ELb0ES3_mN6hipcub16HIPCUB_304000_NS21CountingInputIteratorIllEEPS6_NSA_22TransformInputIteratorIbN2at6native12_GLOBAL__N_19NonZeroOpIsEEPKslEENS0_5tupleIJPlS6_EEENSN_IJSD_SD_EEES6_PiJS6_EEE10hipError_tPvRmT3_T4_T5_T6_T7_T9_mT8_P12ihipStream_tbDpT10_ENKUlT_T0_E_clISt17integral_constantIbLb0EES1B_EEDaS16_S17_EUlS16_E_NS1_11comp_targetILNS1_3genE5ELNS1_11target_archE942ELNS1_3gpuE9ELNS1_3repE0EEENS1_30default_config_static_selectorELNS0_4arch9wavefront6targetE0EEEvT1_, .Lfunc_end323-_ZN7rocprim17ROCPRIM_400000_NS6detail17trampoline_kernelINS0_14default_configENS1_25partition_config_selectorILNS1_17partition_subalgoE5ElNS0_10empty_typeEbEEZZNS1_14partition_implILS5_5ELb0ES3_mN6hipcub16HIPCUB_304000_NS21CountingInputIteratorIllEEPS6_NSA_22TransformInputIteratorIbN2at6native12_GLOBAL__N_19NonZeroOpIsEEPKslEENS0_5tupleIJPlS6_EEENSN_IJSD_SD_EEES6_PiJS6_EEE10hipError_tPvRmT3_T4_T5_T6_T7_T9_mT8_P12ihipStream_tbDpT10_ENKUlT_T0_E_clISt17integral_constantIbLb0EES1B_EEDaS16_S17_EUlS16_E_NS1_11comp_targetILNS1_3genE5ELNS1_11target_archE942ELNS1_3gpuE9ELNS1_3repE0EEENS1_30default_config_static_selectorELNS0_4arch9wavefront6targetE0EEEvT1_
                                        ; -- End function
	.section	.AMDGPU.csdata,"",@progbits
; Kernel info:
; codeLenInByte = 0
; NumSgprs: 0
; NumVgprs: 0
; ScratchSize: 0
; MemoryBound: 0
; FloatMode: 240
; IeeeMode: 1
; LDSByteSize: 0 bytes/workgroup (compile time only)
; SGPRBlocks: 0
; VGPRBlocks: 0
; NumSGPRsForWavesPerEU: 1
; NumVGPRsForWavesPerEU: 1
; Occupancy: 16
; WaveLimiterHint : 0
; COMPUTE_PGM_RSRC2:SCRATCH_EN: 0
; COMPUTE_PGM_RSRC2:USER_SGPR: 15
; COMPUTE_PGM_RSRC2:TRAP_HANDLER: 0
; COMPUTE_PGM_RSRC2:TGID_X_EN: 1
; COMPUTE_PGM_RSRC2:TGID_Y_EN: 0
; COMPUTE_PGM_RSRC2:TGID_Z_EN: 0
; COMPUTE_PGM_RSRC2:TIDIG_COMP_CNT: 0
	.section	.text._ZN7rocprim17ROCPRIM_400000_NS6detail17trampoline_kernelINS0_14default_configENS1_25partition_config_selectorILNS1_17partition_subalgoE5ElNS0_10empty_typeEbEEZZNS1_14partition_implILS5_5ELb0ES3_mN6hipcub16HIPCUB_304000_NS21CountingInputIteratorIllEEPS6_NSA_22TransformInputIteratorIbN2at6native12_GLOBAL__N_19NonZeroOpIsEEPKslEENS0_5tupleIJPlS6_EEENSN_IJSD_SD_EEES6_PiJS6_EEE10hipError_tPvRmT3_T4_T5_T6_T7_T9_mT8_P12ihipStream_tbDpT10_ENKUlT_T0_E_clISt17integral_constantIbLb0EES1B_EEDaS16_S17_EUlS16_E_NS1_11comp_targetILNS1_3genE4ELNS1_11target_archE910ELNS1_3gpuE8ELNS1_3repE0EEENS1_30default_config_static_selectorELNS0_4arch9wavefront6targetE0EEEvT1_,"axG",@progbits,_ZN7rocprim17ROCPRIM_400000_NS6detail17trampoline_kernelINS0_14default_configENS1_25partition_config_selectorILNS1_17partition_subalgoE5ElNS0_10empty_typeEbEEZZNS1_14partition_implILS5_5ELb0ES3_mN6hipcub16HIPCUB_304000_NS21CountingInputIteratorIllEEPS6_NSA_22TransformInputIteratorIbN2at6native12_GLOBAL__N_19NonZeroOpIsEEPKslEENS0_5tupleIJPlS6_EEENSN_IJSD_SD_EEES6_PiJS6_EEE10hipError_tPvRmT3_T4_T5_T6_T7_T9_mT8_P12ihipStream_tbDpT10_ENKUlT_T0_E_clISt17integral_constantIbLb0EES1B_EEDaS16_S17_EUlS16_E_NS1_11comp_targetILNS1_3genE4ELNS1_11target_archE910ELNS1_3gpuE8ELNS1_3repE0EEENS1_30default_config_static_selectorELNS0_4arch9wavefront6targetE0EEEvT1_,comdat
	.globl	_ZN7rocprim17ROCPRIM_400000_NS6detail17trampoline_kernelINS0_14default_configENS1_25partition_config_selectorILNS1_17partition_subalgoE5ElNS0_10empty_typeEbEEZZNS1_14partition_implILS5_5ELb0ES3_mN6hipcub16HIPCUB_304000_NS21CountingInputIteratorIllEEPS6_NSA_22TransformInputIteratorIbN2at6native12_GLOBAL__N_19NonZeroOpIsEEPKslEENS0_5tupleIJPlS6_EEENSN_IJSD_SD_EEES6_PiJS6_EEE10hipError_tPvRmT3_T4_T5_T6_T7_T9_mT8_P12ihipStream_tbDpT10_ENKUlT_T0_E_clISt17integral_constantIbLb0EES1B_EEDaS16_S17_EUlS16_E_NS1_11comp_targetILNS1_3genE4ELNS1_11target_archE910ELNS1_3gpuE8ELNS1_3repE0EEENS1_30default_config_static_selectorELNS0_4arch9wavefront6targetE0EEEvT1_ ; -- Begin function _ZN7rocprim17ROCPRIM_400000_NS6detail17trampoline_kernelINS0_14default_configENS1_25partition_config_selectorILNS1_17partition_subalgoE5ElNS0_10empty_typeEbEEZZNS1_14partition_implILS5_5ELb0ES3_mN6hipcub16HIPCUB_304000_NS21CountingInputIteratorIllEEPS6_NSA_22TransformInputIteratorIbN2at6native12_GLOBAL__N_19NonZeroOpIsEEPKslEENS0_5tupleIJPlS6_EEENSN_IJSD_SD_EEES6_PiJS6_EEE10hipError_tPvRmT3_T4_T5_T6_T7_T9_mT8_P12ihipStream_tbDpT10_ENKUlT_T0_E_clISt17integral_constantIbLb0EES1B_EEDaS16_S17_EUlS16_E_NS1_11comp_targetILNS1_3genE4ELNS1_11target_archE910ELNS1_3gpuE8ELNS1_3repE0EEENS1_30default_config_static_selectorELNS0_4arch9wavefront6targetE0EEEvT1_
	.p2align	8
	.type	_ZN7rocprim17ROCPRIM_400000_NS6detail17trampoline_kernelINS0_14default_configENS1_25partition_config_selectorILNS1_17partition_subalgoE5ElNS0_10empty_typeEbEEZZNS1_14partition_implILS5_5ELb0ES3_mN6hipcub16HIPCUB_304000_NS21CountingInputIteratorIllEEPS6_NSA_22TransformInputIteratorIbN2at6native12_GLOBAL__N_19NonZeroOpIsEEPKslEENS0_5tupleIJPlS6_EEENSN_IJSD_SD_EEES6_PiJS6_EEE10hipError_tPvRmT3_T4_T5_T6_T7_T9_mT8_P12ihipStream_tbDpT10_ENKUlT_T0_E_clISt17integral_constantIbLb0EES1B_EEDaS16_S17_EUlS16_E_NS1_11comp_targetILNS1_3genE4ELNS1_11target_archE910ELNS1_3gpuE8ELNS1_3repE0EEENS1_30default_config_static_selectorELNS0_4arch9wavefront6targetE0EEEvT1_,@function
_ZN7rocprim17ROCPRIM_400000_NS6detail17trampoline_kernelINS0_14default_configENS1_25partition_config_selectorILNS1_17partition_subalgoE5ElNS0_10empty_typeEbEEZZNS1_14partition_implILS5_5ELb0ES3_mN6hipcub16HIPCUB_304000_NS21CountingInputIteratorIllEEPS6_NSA_22TransformInputIteratorIbN2at6native12_GLOBAL__N_19NonZeroOpIsEEPKslEENS0_5tupleIJPlS6_EEENSN_IJSD_SD_EEES6_PiJS6_EEE10hipError_tPvRmT3_T4_T5_T6_T7_T9_mT8_P12ihipStream_tbDpT10_ENKUlT_T0_E_clISt17integral_constantIbLb0EES1B_EEDaS16_S17_EUlS16_E_NS1_11comp_targetILNS1_3genE4ELNS1_11target_archE910ELNS1_3gpuE8ELNS1_3repE0EEENS1_30default_config_static_selectorELNS0_4arch9wavefront6targetE0EEEvT1_: ; @_ZN7rocprim17ROCPRIM_400000_NS6detail17trampoline_kernelINS0_14default_configENS1_25partition_config_selectorILNS1_17partition_subalgoE5ElNS0_10empty_typeEbEEZZNS1_14partition_implILS5_5ELb0ES3_mN6hipcub16HIPCUB_304000_NS21CountingInputIteratorIllEEPS6_NSA_22TransformInputIteratorIbN2at6native12_GLOBAL__N_19NonZeroOpIsEEPKslEENS0_5tupleIJPlS6_EEENSN_IJSD_SD_EEES6_PiJS6_EEE10hipError_tPvRmT3_T4_T5_T6_T7_T9_mT8_P12ihipStream_tbDpT10_ENKUlT_T0_E_clISt17integral_constantIbLb0EES1B_EEDaS16_S17_EUlS16_E_NS1_11comp_targetILNS1_3genE4ELNS1_11target_archE910ELNS1_3gpuE8ELNS1_3repE0EEENS1_30default_config_static_selectorELNS0_4arch9wavefront6targetE0EEEvT1_
; %bb.0:
	.section	.rodata,"a",@progbits
	.p2align	6, 0x0
	.amdhsa_kernel _ZN7rocprim17ROCPRIM_400000_NS6detail17trampoline_kernelINS0_14default_configENS1_25partition_config_selectorILNS1_17partition_subalgoE5ElNS0_10empty_typeEbEEZZNS1_14partition_implILS5_5ELb0ES3_mN6hipcub16HIPCUB_304000_NS21CountingInputIteratorIllEEPS6_NSA_22TransformInputIteratorIbN2at6native12_GLOBAL__N_19NonZeroOpIsEEPKslEENS0_5tupleIJPlS6_EEENSN_IJSD_SD_EEES6_PiJS6_EEE10hipError_tPvRmT3_T4_T5_T6_T7_T9_mT8_P12ihipStream_tbDpT10_ENKUlT_T0_E_clISt17integral_constantIbLb0EES1B_EEDaS16_S17_EUlS16_E_NS1_11comp_targetILNS1_3genE4ELNS1_11target_archE910ELNS1_3gpuE8ELNS1_3repE0EEENS1_30default_config_static_selectorELNS0_4arch9wavefront6targetE0EEEvT1_
		.amdhsa_group_segment_fixed_size 0
		.amdhsa_private_segment_fixed_size 0
		.amdhsa_kernarg_size 120
		.amdhsa_user_sgpr_count 15
		.amdhsa_user_sgpr_dispatch_ptr 0
		.amdhsa_user_sgpr_queue_ptr 0
		.amdhsa_user_sgpr_kernarg_segment_ptr 1
		.amdhsa_user_sgpr_dispatch_id 0
		.amdhsa_user_sgpr_private_segment_size 0
		.amdhsa_wavefront_size32 1
		.amdhsa_uses_dynamic_stack 0
		.amdhsa_enable_private_segment 0
		.amdhsa_system_sgpr_workgroup_id_x 1
		.amdhsa_system_sgpr_workgroup_id_y 0
		.amdhsa_system_sgpr_workgroup_id_z 0
		.amdhsa_system_sgpr_workgroup_info 0
		.amdhsa_system_vgpr_workitem_id 0
		.amdhsa_next_free_vgpr 1
		.amdhsa_next_free_sgpr 1
		.amdhsa_reserve_vcc 0
		.amdhsa_float_round_mode_32 0
		.amdhsa_float_round_mode_16_64 0
		.amdhsa_float_denorm_mode_32 3
		.amdhsa_float_denorm_mode_16_64 3
		.amdhsa_dx10_clamp 1
		.amdhsa_ieee_mode 1
		.amdhsa_fp16_overflow 0
		.amdhsa_workgroup_processor_mode 1
		.amdhsa_memory_ordered 1
		.amdhsa_forward_progress 0
		.amdhsa_shared_vgpr_count 0
		.amdhsa_exception_fp_ieee_invalid_op 0
		.amdhsa_exception_fp_denorm_src 0
		.amdhsa_exception_fp_ieee_div_zero 0
		.amdhsa_exception_fp_ieee_overflow 0
		.amdhsa_exception_fp_ieee_underflow 0
		.amdhsa_exception_fp_ieee_inexact 0
		.amdhsa_exception_int_div_zero 0
	.end_amdhsa_kernel
	.section	.text._ZN7rocprim17ROCPRIM_400000_NS6detail17trampoline_kernelINS0_14default_configENS1_25partition_config_selectorILNS1_17partition_subalgoE5ElNS0_10empty_typeEbEEZZNS1_14partition_implILS5_5ELb0ES3_mN6hipcub16HIPCUB_304000_NS21CountingInputIteratorIllEEPS6_NSA_22TransformInputIteratorIbN2at6native12_GLOBAL__N_19NonZeroOpIsEEPKslEENS0_5tupleIJPlS6_EEENSN_IJSD_SD_EEES6_PiJS6_EEE10hipError_tPvRmT3_T4_T5_T6_T7_T9_mT8_P12ihipStream_tbDpT10_ENKUlT_T0_E_clISt17integral_constantIbLb0EES1B_EEDaS16_S17_EUlS16_E_NS1_11comp_targetILNS1_3genE4ELNS1_11target_archE910ELNS1_3gpuE8ELNS1_3repE0EEENS1_30default_config_static_selectorELNS0_4arch9wavefront6targetE0EEEvT1_,"axG",@progbits,_ZN7rocprim17ROCPRIM_400000_NS6detail17trampoline_kernelINS0_14default_configENS1_25partition_config_selectorILNS1_17partition_subalgoE5ElNS0_10empty_typeEbEEZZNS1_14partition_implILS5_5ELb0ES3_mN6hipcub16HIPCUB_304000_NS21CountingInputIteratorIllEEPS6_NSA_22TransformInputIteratorIbN2at6native12_GLOBAL__N_19NonZeroOpIsEEPKslEENS0_5tupleIJPlS6_EEENSN_IJSD_SD_EEES6_PiJS6_EEE10hipError_tPvRmT3_T4_T5_T6_T7_T9_mT8_P12ihipStream_tbDpT10_ENKUlT_T0_E_clISt17integral_constantIbLb0EES1B_EEDaS16_S17_EUlS16_E_NS1_11comp_targetILNS1_3genE4ELNS1_11target_archE910ELNS1_3gpuE8ELNS1_3repE0EEENS1_30default_config_static_selectorELNS0_4arch9wavefront6targetE0EEEvT1_,comdat
.Lfunc_end324:
	.size	_ZN7rocprim17ROCPRIM_400000_NS6detail17trampoline_kernelINS0_14default_configENS1_25partition_config_selectorILNS1_17partition_subalgoE5ElNS0_10empty_typeEbEEZZNS1_14partition_implILS5_5ELb0ES3_mN6hipcub16HIPCUB_304000_NS21CountingInputIteratorIllEEPS6_NSA_22TransformInputIteratorIbN2at6native12_GLOBAL__N_19NonZeroOpIsEEPKslEENS0_5tupleIJPlS6_EEENSN_IJSD_SD_EEES6_PiJS6_EEE10hipError_tPvRmT3_T4_T5_T6_T7_T9_mT8_P12ihipStream_tbDpT10_ENKUlT_T0_E_clISt17integral_constantIbLb0EES1B_EEDaS16_S17_EUlS16_E_NS1_11comp_targetILNS1_3genE4ELNS1_11target_archE910ELNS1_3gpuE8ELNS1_3repE0EEENS1_30default_config_static_selectorELNS0_4arch9wavefront6targetE0EEEvT1_, .Lfunc_end324-_ZN7rocprim17ROCPRIM_400000_NS6detail17trampoline_kernelINS0_14default_configENS1_25partition_config_selectorILNS1_17partition_subalgoE5ElNS0_10empty_typeEbEEZZNS1_14partition_implILS5_5ELb0ES3_mN6hipcub16HIPCUB_304000_NS21CountingInputIteratorIllEEPS6_NSA_22TransformInputIteratorIbN2at6native12_GLOBAL__N_19NonZeroOpIsEEPKslEENS0_5tupleIJPlS6_EEENSN_IJSD_SD_EEES6_PiJS6_EEE10hipError_tPvRmT3_T4_T5_T6_T7_T9_mT8_P12ihipStream_tbDpT10_ENKUlT_T0_E_clISt17integral_constantIbLb0EES1B_EEDaS16_S17_EUlS16_E_NS1_11comp_targetILNS1_3genE4ELNS1_11target_archE910ELNS1_3gpuE8ELNS1_3repE0EEENS1_30default_config_static_selectorELNS0_4arch9wavefront6targetE0EEEvT1_
                                        ; -- End function
	.section	.AMDGPU.csdata,"",@progbits
; Kernel info:
; codeLenInByte = 0
; NumSgprs: 0
; NumVgprs: 0
; ScratchSize: 0
; MemoryBound: 0
; FloatMode: 240
; IeeeMode: 1
; LDSByteSize: 0 bytes/workgroup (compile time only)
; SGPRBlocks: 0
; VGPRBlocks: 0
; NumSGPRsForWavesPerEU: 1
; NumVGPRsForWavesPerEU: 1
; Occupancy: 15
; WaveLimiterHint : 0
; COMPUTE_PGM_RSRC2:SCRATCH_EN: 0
; COMPUTE_PGM_RSRC2:USER_SGPR: 15
; COMPUTE_PGM_RSRC2:TRAP_HANDLER: 0
; COMPUTE_PGM_RSRC2:TGID_X_EN: 1
; COMPUTE_PGM_RSRC2:TGID_Y_EN: 0
; COMPUTE_PGM_RSRC2:TGID_Z_EN: 0
; COMPUTE_PGM_RSRC2:TIDIG_COMP_CNT: 0
	.section	.text._ZN7rocprim17ROCPRIM_400000_NS6detail17trampoline_kernelINS0_14default_configENS1_25partition_config_selectorILNS1_17partition_subalgoE5ElNS0_10empty_typeEbEEZZNS1_14partition_implILS5_5ELb0ES3_mN6hipcub16HIPCUB_304000_NS21CountingInputIteratorIllEEPS6_NSA_22TransformInputIteratorIbN2at6native12_GLOBAL__N_19NonZeroOpIsEEPKslEENS0_5tupleIJPlS6_EEENSN_IJSD_SD_EEES6_PiJS6_EEE10hipError_tPvRmT3_T4_T5_T6_T7_T9_mT8_P12ihipStream_tbDpT10_ENKUlT_T0_E_clISt17integral_constantIbLb0EES1B_EEDaS16_S17_EUlS16_E_NS1_11comp_targetILNS1_3genE3ELNS1_11target_archE908ELNS1_3gpuE7ELNS1_3repE0EEENS1_30default_config_static_selectorELNS0_4arch9wavefront6targetE0EEEvT1_,"axG",@progbits,_ZN7rocprim17ROCPRIM_400000_NS6detail17trampoline_kernelINS0_14default_configENS1_25partition_config_selectorILNS1_17partition_subalgoE5ElNS0_10empty_typeEbEEZZNS1_14partition_implILS5_5ELb0ES3_mN6hipcub16HIPCUB_304000_NS21CountingInputIteratorIllEEPS6_NSA_22TransformInputIteratorIbN2at6native12_GLOBAL__N_19NonZeroOpIsEEPKslEENS0_5tupleIJPlS6_EEENSN_IJSD_SD_EEES6_PiJS6_EEE10hipError_tPvRmT3_T4_T5_T6_T7_T9_mT8_P12ihipStream_tbDpT10_ENKUlT_T0_E_clISt17integral_constantIbLb0EES1B_EEDaS16_S17_EUlS16_E_NS1_11comp_targetILNS1_3genE3ELNS1_11target_archE908ELNS1_3gpuE7ELNS1_3repE0EEENS1_30default_config_static_selectorELNS0_4arch9wavefront6targetE0EEEvT1_,comdat
	.globl	_ZN7rocprim17ROCPRIM_400000_NS6detail17trampoline_kernelINS0_14default_configENS1_25partition_config_selectorILNS1_17partition_subalgoE5ElNS0_10empty_typeEbEEZZNS1_14partition_implILS5_5ELb0ES3_mN6hipcub16HIPCUB_304000_NS21CountingInputIteratorIllEEPS6_NSA_22TransformInputIteratorIbN2at6native12_GLOBAL__N_19NonZeroOpIsEEPKslEENS0_5tupleIJPlS6_EEENSN_IJSD_SD_EEES6_PiJS6_EEE10hipError_tPvRmT3_T4_T5_T6_T7_T9_mT8_P12ihipStream_tbDpT10_ENKUlT_T0_E_clISt17integral_constantIbLb0EES1B_EEDaS16_S17_EUlS16_E_NS1_11comp_targetILNS1_3genE3ELNS1_11target_archE908ELNS1_3gpuE7ELNS1_3repE0EEENS1_30default_config_static_selectorELNS0_4arch9wavefront6targetE0EEEvT1_ ; -- Begin function _ZN7rocprim17ROCPRIM_400000_NS6detail17trampoline_kernelINS0_14default_configENS1_25partition_config_selectorILNS1_17partition_subalgoE5ElNS0_10empty_typeEbEEZZNS1_14partition_implILS5_5ELb0ES3_mN6hipcub16HIPCUB_304000_NS21CountingInputIteratorIllEEPS6_NSA_22TransformInputIteratorIbN2at6native12_GLOBAL__N_19NonZeroOpIsEEPKslEENS0_5tupleIJPlS6_EEENSN_IJSD_SD_EEES6_PiJS6_EEE10hipError_tPvRmT3_T4_T5_T6_T7_T9_mT8_P12ihipStream_tbDpT10_ENKUlT_T0_E_clISt17integral_constantIbLb0EES1B_EEDaS16_S17_EUlS16_E_NS1_11comp_targetILNS1_3genE3ELNS1_11target_archE908ELNS1_3gpuE7ELNS1_3repE0EEENS1_30default_config_static_selectorELNS0_4arch9wavefront6targetE0EEEvT1_
	.p2align	8
	.type	_ZN7rocprim17ROCPRIM_400000_NS6detail17trampoline_kernelINS0_14default_configENS1_25partition_config_selectorILNS1_17partition_subalgoE5ElNS0_10empty_typeEbEEZZNS1_14partition_implILS5_5ELb0ES3_mN6hipcub16HIPCUB_304000_NS21CountingInputIteratorIllEEPS6_NSA_22TransformInputIteratorIbN2at6native12_GLOBAL__N_19NonZeroOpIsEEPKslEENS0_5tupleIJPlS6_EEENSN_IJSD_SD_EEES6_PiJS6_EEE10hipError_tPvRmT3_T4_T5_T6_T7_T9_mT8_P12ihipStream_tbDpT10_ENKUlT_T0_E_clISt17integral_constantIbLb0EES1B_EEDaS16_S17_EUlS16_E_NS1_11comp_targetILNS1_3genE3ELNS1_11target_archE908ELNS1_3gpuE7ELNS1_3repE0EEENS1_30default_config_static_selectorELNS0_4arch9wavefront6targetE0EEEvT1_,@function
_ZN7rocprim17ROCPRIM_400000_NS6detail17trampoline_kernelINS0_14default_configENS1_25partition_config_selectorILNS1_17partition_subalgoE5ElNS0_10empty_typeEbEEZZNS1_14partition_implILS5_5ELb0ES3_mN6hipcub16HIPCUB_304000_NS21CountingInputIteratorIllEEPS6_NSA_22TransformInputIteratorIbN2at6native12_GLOBAL__N_19NonZeroOpIsEEPKslEENS0_5tupleIJPlS6_EEENSN_IJSD_SD_EEES6_PiJS6_EEE10hipError_tPvRmT3_T4_T5_T6_T7_T9_mT8_P12ihipStream_tbDpT10_ENKUlT_T0_E_clISt17integral_constantIbLb0EES1B_EEDaS16_S17_EUlS16_E_NS1_11comp_targetILNS1_3genE3ELNS1_11target_archE908ELNS1_3gpuE7ELNS1_3repE0EEENS1_30default_config_static_selectorELNS0_4arch9wavefront6targetE0EEEvT1_: ; @_ZN7rocprim17ROCPRIM_400000_NS6detail17trampoline_kernelINS0_14default_configENS1_25partition_config_selectorILNS1_17partition_subalgoE5ElNS0_10empty_typeEbEEZZNS1_14partition_implILS5_5ELb0ES3_mN6hipcub16HIPCUB_304000_NS21CountingInputIteratorIllEEPS6_NSA_22TransformInputIteratorIbN2at6native12_GLOBAL__N_19NonZeroOpIsEEPKslEENS0_5tupleIJPlS6_EEENSN_IJSD_SD_EEES6_PiJS6_EEE10hipError_tPvRmT3_T4_T5_T6_T7_T9_mT8_P12ihipStream_tbDpT10_ENKUlT_T0_E_clISt17integral_constantIbLb0EES1B_EEDaS16_S17_EUlS16_E_NS1_11comp_targetILNS1_3genE3ELNS1_11target_archE908ELNS1_3gpuE7ELNS1_3repE0EEENS1_30default_config_static_selectorELNS0_4arch9wavefront6targetE0EEEvT1_
; %bb.0:
	.section	.rodata,"a",@progbits
	.p2align	6, 0x0
	.amdhsa_kernel _ZN7rocprim17ROCPRIM_400000_NS6detail17trampoline_kernelINS0_14default_configENS1_25partition_config_selectorILNS1_17partition_subalgoE5ElNS0_10empty_typeEbEEZZNS1_14partition_implILS5_5ELb0ES3_mN6hipcub16HIPCUB_304000_NS21CountingInputIteratorIllEEPS6_NSA_22TransformInputIteratorIbN2at6native12_GLOBAL__N_19NonZeroOpIsEEPKslEENS0_5tupleIJPlS6_EEENSN_IJSD_SD_EEES6_PiJS6_EEE10hipError_tPvRmT3_T4_T5_T6_T7_T9_mT8_P12ihipStream_tbDpT10_ENKUlT_T0_E_clISt17integral_constantIbLb0EES1B_EEDaS16_S17_EUlS16_E_NS1_11comp_targetILNS1_3genE3ELNS1_11target_archE908ELNS1_3gpuE7ELNS1_3repE0EEENS1_30default_config_static_selectorELNS0_4arch9wavefront6targetE0EEEvT1_
		.amdhsa_group_segment_fixed_size 0
		.amdhsa_private_segment_fixed_size 0
		.amdhsa_kernarg_size 120
		.amdhsa_user_sgpr_count 15
		.amdhsa_user_sgpr_dispatch_ptr 0
		.amdhsa_user_sgpr_queue_ptr 0
		.amdhsa_user_sgpr_kernarg_segment_ptr 1
		.amdhsa_user_sgpr_dispatch_id 0
		.amdhsa_user_sgpr_private_segment_size 0
		.amdhsa_wavefront_size32 1
		.amdhsa_uses_dynamic_stack 0
		.amdhsa_enable_private_segment 0
		.amdhsa_system_sgpr_workgroup_id_x 1
		.amdhsa_system_sgpr_workgroup_id_y 0
		.amdhsa_system_sgpr_workgroup_id_z 0
		.amdhsa_system_sgpr_workgroup_info 0
		.amdhsa_system_vgpr_workitem_id 0
		.amdhsa_next_free_vgpr 1
		.amdhsa_next_free_sgpr 1
		.amdhsa_reserve_vcc 0
		.amdhsa_float_round_mode_32 0
		.amdhsa_float_round_mode_16_64 0
		.amdhsa_float_denorm_mode_32 3
		.amdhsa_float_denorm_mode_16_64 3
		.amdhsa_dx10_clamp 1
		.amdhsa_ieee_mode 1
		.amdhsa_fp16_overflow 0
		.amdhsa_workgroup_processor_mode 1
		.amdhsa_memory_ordered 1
		.amdhsa_forward_progress 0
		.amdhsa_shared_vgpr_count 0
		.amdhsa_exception_fp_ieee_invalid_op 0
		.amdhsa_exception_fp_denorm_src 0
		.amdhsa_exception_fp_ieee_div_zero 0
		.amdhsa_exception_fp_ieee_overflow 0
		.amdhsa_exception_fp_ieee_underflow 0
		.amdhsa_exception_fp_ieee_inexact 0
		.amdhsa_exception_int_div_zero 0
	.end_amdhsa_kernel
	.section	.text._ZN7rocprim17ROCPRIM_400000_NS6detail17trampoline_kernelINS0_14default_configENS1_25partition_config_selectorILNS1_17partition_subalgoE5ElNS0_10empty_typeEbEEZZNS1_14partition_implILS5_5ELb0ES3_mN6hipcub16HIPCUB_304000_NS21CountingInputIteratorIllEEPS6_NSA_22TransformInputIteratorIbN2at6native12_GLOBAL__N_19NonZeroOpIsEEPKslEENS0_5tupleIJPlS6_EEENSN_IJSD_SD_EEES6_PiJS6_EEE10hipError_tPvRmT3_T4_T5_T6_T7_T9_mT8_P12ihipStream_tbDpT10_ENKUlT_T0_E_clISt17integral_constantIbLb0EES1B_EEDaS16_S17_EUlS16_E_NS1_11comp_targetILNS1_3genE3ELNS1_11target_archE908ELNS1_3gpuE7ELNS1_3repE0EEENS1_30default_config_static_selectorELNS0_4arch9wavefront6targetE0EEEvT1_,"axG",@progbits,_ZN7rocprim17ROCPRIM_400000_NS6detail17trampoline_kernelINS0_14default_configENS1_25partition_config_selectorILNS1_17partition_subalgoE5ElNS0_10empty_typeEbEEZZNS1_14partition_implILS5_5ELb0ES3_mN6hipcub16HIPCUB_304000_NS21CountingInputIteratorIllEEPS6_NSA_22TransformInputIteratorIbN2at6native12_GLOBAL__N_19NonZeroOpIsEEPKslEENS0_5tupleIJPlS6_EEENSN_IJSD_SD_EEES6_PiJS6_EEE10hipError_tPvRmT3_T4_T5_T6_T7_T9_mT8_P12ihipStream_tbDpT10_ENKUlT_T0_E_clISt17integral_constantIbLb0EES1B_EEDaS16_S17_EUlS16_E_NS1_11comp_targetILNS1_3genE3ELNS1_11target_archE908ELNS1_3gpuE7ELNS1_3repE0EEENS1_30default_config_static_selectorELNS0_4arch9wavefront6targetE0EEEvT1_,comdat
.Lfunc_end325:
	.size	_ZN7rocprim17ROCPRIM_400000_NS6detail17trampoline_kernelINS0_14default_configENS1_25partition_config_selectorILNS1_17partition_subalgoE5ElNS0_10empty_typeEbEEZZNS1_14partition_implILS5_5ELb0ES3_mN6hipcub16HIPCUB_304000_NS21CountingInputIteratorIllEEPS6_NSA_22TransformInputIteratorIbN2at6native12_GLOBAL__N_19NonZeroOpIsEEPKslEENS0_5tupleIJPlS6_EEENSN_IJSD_SD_EEES6_PiJS6_EEE10hipError_tPvRmT3_T4_T5_T6_T7_T9_mT8_P12ihipStream_tbDpT10_ENKUlT_T0_E_clISt17integral_constantIbLb0EES1B_EEDaS16_S17_EUlS16_E_NS1_11comp_targetILNS1_3genE3ELNS1_11target_archE908ELNS1_3gpuE7ELNS1_3repE0EEENS1_30default_config_static_selectorELNS0_4arch9wavefront6targetE0EEEvT1_, .Lfunc_end325-_ZN7rocprim17ROCPRIM_400000_NS6detail17trampoline_kernelINS0_14default_configENS1_25partition_config_selectorILNS1_17partition_subalgoE5ElNS0_10empty_typeEbEEZZNS1_14partition_implILS5_5ELb0ES3_mN6hipcub16HIPCUB_304000_NS21CountingInputIteratorIllEEPS6_NSA_22TransformInputIteratorIbN2at6native12_GLOBAL__N_19NonZeroOpIsEEPKslEENS0_5tupleIJPlS6_EEENSN_IJSD_SD_EEES6_PiJS6_EEE10hipError_tPvRmT3_T4_T5_T6_T7_T9_mT8_P12ihipStream_tbDpT10_ENKUlT_T0_E_clISt17integral_constantIbLb0EES1B_EEDaS16_S17_EUlS16_E_NS1_11comp_targetILNS1_3genE3ELNS1_11target_archE908ELNS1_3gpuE7ELNS1_3repE0EEENS1_30default_config_static_selectorELNS0_4arch9wavefront6targetE0EEEvT1_
                                        ; -- End function
	.section	.AMDGPU.csdata,"",@progbits
; Kernel info:
; codeLenInByte = 0
; NumSgprs: 0
; NumVgprs: 0
; ScratchSize: 0
; MemoryBound: 0
; FloatMode: 240
; IeeeMode: 1
; LDSByteSize: 0 bytes/workgroup (compile time only)
; SGPRBlocks: 0
; VGPRBlocks: 0
; NumSGPRsForWavesPerEU: 1
; NumVGPRsForWavesPerEU: 1
; Occupancy: 16
; WaveLimiterHint : 0
; COMPUTE_PGM_RSRC2:SCRATCH_EN: 0
; COMPUTE_PGM_RSRC2:USER_SGPR: 15
; COMPUTE_PGM_RSRC2:TRAP_HANDLER: 0
; COMPUTE_PGM_RSRC2:TGID_X_EN: 1
; COMPUTE_PGM_RSRC2:TGID_Y_EN: 0
; COMPUTE_PGM_RSRC2:TGID_Z_EN: 0
; COMPUTE_PGM_RSRC2:TIDIG_COMP_CNT: 0
	.section	.text._ZN7rocprim17ROCPRIM_400000_NS6detail17trampoline_kernelINS0_14default_configENS1_25partition_config_selectorILNS1_17partition_subalgoE5ElNS0_10empty_typeEbEEZZNS1_14partition_implILS5_5ELb0ES3_mN6hipcub16HIPCUB_304000_NS21CountingInputIteratorIllEEPS6_NSA_22TransformInputIteratorIbN2at6native12_GLOBAL__N_19NonZeroOpIsEEPKslEENS0_5tupleIJPlS6_EEENSN_IJSD_SD_EEES6_PiJS6_EEE10hipError_tPvRmT3_T4_T5_T6_T7_T9_mT8_P12ihipStream_tbDpT10_ENKUlT_T0_E_clISt17integral_constantIbLb0EES1B_EEDaS16_S17_EUlS16_E_NS1_11comp_targetILNS1_3genE2ELNS1_11target_archE906ELNS1_3gpuE6ELNS1_3repE0EEENS1_30default_config_static_selectorELNS0_4arch9wavefront6targetE0EEEvT1_,"axG",@progbits,_ZN7rocprim17ROCPRIM_400000_NS6detail17trampoline_kernelINS0_14default_configENS1_25partition_config_selectorILNS1_17partition_subalgoE5ElNS0_10empty_typeEbEEZZNS1_14partition_implILS5_5ELb0ES3_mN6hipcub16HIPCUB_304000_NS21CountingInputIteratorIllEEPS6_NSA_22TransformInputIteratorIbN2at6native12_GLOBAL__N_19NonZeroOpIsEEPKslEENS0_5tupleIJPlS6_EEENSN_IJSD_SD_EEES6_PiJS6_EEE10hipError_tPvRmT3_T4_T5_T6_T7_T9_mT8_P12ihipStream_tbDpT10_ENKUlT_T0_E_clISt17integral_constantIbLb0EES1B_EEDaS16_S17_EUlS16_E_NS1_11comp_targetILNS1_3genE2ELNS1_11target_archE906ELNS1_3gpuE6ELNS1_3repE0EEENS1_30default_config_static_selectorELNS0_4arch9wavefront6targetE0EEEvT1_,comdat
	.globl	_ZN7rocprim17ROCPRIM_400000_NS6detail17trampoline_kernelINS0_14default_configENS1_25partition_config_selectorILNS1_17partition_subalgoE5ElNS0_10empty_typeEbEEZZNS1_14partition_implILS5_5ELb0ES3_mN6hipcub16HIPCUB_304000_NS21CountingInputIteratorIllEEPS6_NSA_22TransformInputIteratorIbN2at6native12_GLOBAL__N_19NonZeroOpIsEEPKslEENS0_5tupleIJPlS6_EEENSN_IJSD_SD_EEES6_PiJS6_EEE10hipError_tPvRmT3_T4_T5_T6_T7_T9_mT8_P12ihipStream_tbDpT10_ENKUlT_T0_E_clISt17integral_constantIbLb0EES1B_EEDaS16_S17_EUlS16_E_NS1_11comp_targetILNS1_3genE2ELNS1_11target_archE906ELNS1_3gpuE6ELNS1_3repE0EEENS1_30default_config_static_selectorELNS0_4arch9wavefront6targetE0EEEvT1_ ; -- Begin function _ZN7rocprim17ROCPRIM_400000_NS6detail17trampoline_kernelINS0_14default_configENS1_25partition_config_selectorILNS1_17partition_subalgoE5ElNS0_10empty_typeEbEEZZNS1_14partition_implILS5_5ELb0ES3_mN6hipcub16HIPCUB_304000_NS21CountingInputIteratorIllEEPS6_NSA_22TransformInputIteratorIbN2at6native12_GLOBAL__N_19NonZeroOpIsEEPKslEENS0_5tupleIJPlS6_EEENSN_IJSD_SD_EEES6_PiJS6_EEE10hipError_tPvRmT3_T4_T5_T6_T7_T9_mT8_P12ihipStream_tbDpT10_ENKUlT_T0_E_clISt17integral_constantIbLb0EES1B_EEDaS16_S17_EUlS16_E_NS1_11comp_targetILNS1_3genE2ELNS1_11target_archE906ELNS1_3gpuE6ELNS1_3repE0EEENS1_30default_config_static_selectorELNS0_4arch9wavefront6targetE0EEEvT1_
	.p2align	8
	.type	_ZN7rocprim17ROCPRIM_400000_NS6detail17trampoline_kernelINS0_14default_configENS1_25partition_config_selectorILNS1_17partition_subalgoE5ElNS0_10empty_typeEbEEZZNS1_14partition_implILS5_5ELb0ES3_mN6hipcub16HIPCUB_304000_NS21CountingInputIteratorIllEEPS6_NSA_22TransformInputIteratorIbN2at6native12_GLOBAL__N_19NonZeroOpIsEEPKslEENS0_5tupleIJPlS6_EEENSN_IJSD_SD_EEES6_PiJS6_EEE10hipError_tPvRmT3_T4_T5_T6_T7_T9_mT8_P12ihipStream_tbDpT10_ENKUlT_T0_E_clISt17integral_constantIbLb0EES1B_EEDaS16_S17_EUlS16_E_NS1_11comp_targetILNS1_3genE2ELNS1_11target_archE906ELNS1_3gpuE6ELNS1_3repE0EEENS1_30default_config_static_selectorELNS0_4arch9wavefront6targetE0EEEvT1_,@function
_ZN7rocprim17ROCPRIM_400000_NS6detail17trampoline_kernelINS0_14default_configENS1_25partition_config_selectorILNS1_17partition_subalgoE5ElNS0_10empty_typeEbEEZZNS1_14partition_implILS5_5ELb0ES3_mN6hipcub16HIPCUB_304000_NS21CountingInputIteratorIllEEPS6_NSA_22TransformInputIteratorIbN2at6native12_GLOBAL__N_19NonZeroOpIsEEPKslEENS0_5tupleIJPlS6_EEENSN_IJSD_SD_EEES6_PiJS6_EEE10hipError_tPvRmT3_T4_T5_T6_T7_T9_mT8_P12ihipStream_tbDpT10_ENKUlT_T0_E_clISt17integral_constantIbLb0EES1B_EEDaS16_S17_EUlS16_E_NS1_11comp_targetILNS1_3genE2ELNS1_11target_archE906ELNS1_3gpuE6ELNS1_3repE0EEENS1_30default_config_static_selectorELNS0_4arch9wavefront6targetE0EEEvT1_: ; @_ZN7rocprim17ROCPRIM_400000_NS6detail17trampoline_kernelINS0_14default_configENS1_25partition_config_selectorILNS1_17partition_subalgoE5ElNS0_10empty_typeEbEEZZNS1_14partition_implILS5_5ELb0ES3_mN6hipcub16HIPCUB_304000_NS21CountingInputIteratorIllEEPS6_NSA_22TransformInputIteratorIbN2at6native12_GLOBAL__N_19NonZeroOpIsEEPKslEENS0_5tupleIJPlS6_EEENSN_IJSD_SD_EEES6_PiJS6_EEE10hipError_tPvRmT3_T4_T5_T6_T7_T9_mT8_P12ihipStream_tbDpT10_ENKUlT_T0_E_clISt17integral_constantIbLb0EES1B_EEDaS16_S17_EUlS16_E_NS1_11comp_targetILNS1_3genE2ELNS1_11target_archE906ELNS1_3gpuE6ELNS1_3repE0EEENS1_30default_config_static_selectorELNS0_4arch9wavefront6targetE0EEEvT1_
; %bb.0:
	.section	.rodata,"a",@progbits
	.p2align	6, 0x0
	.amdhsa_kernel _ZN7rocprim17ROCPRIM_400000_NS6detail17trampoline_kernelINS0_14default_configENS1_25partition_config_selectorILNS1_17partition_subalgoE5ElNS0_10empty_typeEbEEZZNS1_14partition_implILS5_5ELb0ES3_mN6hipcub16HIPCUB_304000_NS21CountingInputIteratorIllEEPS6_NSA_22TransformInputIteratorIbN2at6native12_GLOBAL__N_19NonZeroOpIsEEPKslEENS0_5tupleIJPlS6_EEENSN_IJSD_SD_EEES6_PiJS6_EEE10hipError_tPvRmT3_T4_T5_T6_T7_T9_mT8_P12ihipStream_tbDpT10_ENKUlT_T0_E_clISt17integral_constantIbLb0EES1B_EEDaS16_S17_EUlS16_E_NS1_11comp_targetILNS1_3genE2ELNS1_11target_archE906ELNS1_3gpuE6ELNS1_3repE0EEENS1_30default_config_static_selectorELNS0_4arch9wavefront6targetE0EEEvT1_
		.amdhsa_group_segment_fixed_size 0
		.amdhsa_private_segment_fixed_size 0
		.amdhsa_kernarg_size 120
		.amdhsa_user_sgpr_count 15
		.amdhsa_user_sgpr_dispatch_ptr 0
		.amdhsa_user_sgpr_queue_ptr 0
		.amdhsa_user_sgpr_kernarg_segment_ptr 1
		.amdhsa_user_sgpr_dispatch_id 0
		.amdhsa_user_sgpr_private_segment_size 0
		.amdhsa_wavefront_size32 1
		.amdhsa_uses_dynamic_stack 0
		.amdhsa_enable_private_segment 0
		.amdhsa_system_sgpr_workgroup_id_x 1
		.amdhsa_system_sgpr_workgroup_id_y 0
		.amdhsa_system_sgpr_workgroup_id_z 0
		.amdhsa_system_sgpr_workgroup_info 0
		.amdhsa_system_vgpr_workitem_id 0
		.amdhsa_next_free_vgpr 1
		.amdhsa_next_free_sgpr 1
		.amdhsa_reserve_vcc 0
		.amdhsa_float_round_mode_32 0
		.amdhsa_float_round_mode_16_64 0
		.amdhsa_float_denorm_mode_32 3
		.amdhsa_float_denorm_mode_16_64 3
		.amdhsa_dx10_clamp 1
		.amdhsa_ieee_mode 1
		.amdhsa_fp16_overflow 0
		.amdhsa_workgroup_processor_mode 1
		.amdhsa_memory_ordered 1
		.amdhsa_forward_progress 0
		.amdhsa_shared_vgpr_count 0
		.amdhsa_exception_fp_ieee_invalid_op 0
		.amdhsa_exception_fp_denorm_src 0
		.amdhsa_exception_fp_ieee_div_zero 0
		.amdhsa_exception_fp_ieee_overflow 0
		.amdhsa_exception_fp_ieee_underflow 0
		.amdhsa_exception_fp_ieee_inexact 0
		.amdhsa_exception_int_div_zero 0
	.end_amdhsa_kernel
	.section	.text._ZN7rocprim17ROCPRIM_400000_NS6detail17trampoline_kernelINS0_14default_configENS1_25partition_config_selectorILNS1_17partition_subalgoE5ElNS0_10empty_typeEbEEZZNS1_14partition_implILS5_5ELb0ES3_mN6hipcub16HIPCUB_304000_NS21CountingInputIteratorIllEEPS6_NSA_22TransformInputIteratorIbN2at6native12_GLOBAL__N_19NonZeroOpIsEEPKslEENS0_5tupleIJPlS6_EEENSN_IJSD_SD_EEES6_PiJS6_EEE10hipError_tPvRmT3_T4_T5_T6_T7_T9_mT8_P12ihipStream_tbDpT10_ENKUlT_T0_E_clISt17integral_constantIbLb0EES1B_EEDaS16_S17_EUlS16_E_NS1_11comp_targetILNS1_3genE2ELNS1_11target_archE906ELNS1_3gpuE6ELNS1_3repE0EEENS1_30default_config_static_selectorELNS0_4arch9wavefront6targetE0EEEvT1_,"axG",@progbits,_ZN7rocprim17ROCPRIM_400000_NS6detail17trampoline_kernelINS0_14default_configENS1_25partition_config_selectorILNS1_17partition_subalgoE5ElNS0_10empty_typeEbEEZZNS1_14partition_implILS5_5ELb0ES3_mN6hipcub16HIPCUB_304000_NS21CountingInputIteratorIllEEPS6_NSA_22TransformInputIteratorIbN2at6native12_GLOBAL__N_19NonZeroOpIsEEPKslEENS0_5tupleIJPlS6_EEENSN_IJSD_SD_EEES6_PiJS6_EEE10hipError_tPvRmT3_T4_T5_T6_T7_T9_mT8_P12ihipStream_tbDpT10_ENKUlT_T0_E_clISt17integral_constantIbLb0EES1B_EEDaS16_S17_EUlS16_E_NS1_11comp_targetILNS1_3genE2ELNS1_11target_archE906ELNS1_3gpuE6ELNS1_3repE0EEENS1_30default_config_static_selectorELNS0_4arch9wavefront6targetE0EEEvT1_,comdat
.Lfunc_end326:
	.size	_ZN7rocprim17ROCPRIM_400000_NS6detail17trampoline_kernelINS0_14default_configENS1_25partition_config_selectorILNS1_17partition_subalgoE5ElNS0_10empty_typeEbEEZZNS1_14partition_implILS5_5ELb0ES3_mN6hipcub16HIPCUB_304000_NS21CountingInputIteratorIllEEPS6_NSA_22TransformInputIteratorIbN2at6native12_GLOBAL__N_19NonZeroOpIsEEPKslEENS0_5tupleIJPlS6_EEENSN_IJSD_SD_EEES6_PiJS6_EEE10hipError_tPvRmT3_T4_T5_T6_T7_T9_mT8_P12ihipStream_tbDpT10_ENKUlT_T0_E_clISt17integral_constantIbLb0EES1B_EEDaS16_S17_EUlS16_E_NS1_11comp_targetILNS1_3genE2ELNS1_11target_archE906ELNS1_3gpuE6ELNS1_3repE0EEENS1_30default_config_static_selectorELNS0_4arch9wavefront6targetE0EEEvT1_, .Lfunc_end326-_ZN7rocprim17ROCPRIM_400000_NS6detail17trampoline_kernelINS0_14default_configENS1_25partition_config_selectorILNS1_17partition_subalgoE5ElNS0_10empty_typeEbEEZZNS1_14partition_implILS5_5ELb0ES3_mN6hipcub16HIPCUB_304000_NS21CountingInputIteratorIllEEPS6_NSA_22TransformInputIteratorIbN2at6native12_GLOBAL__N_19NonZeroOpIsEEPKslEENS0_5tupleIJPlS6_EEENSN_IJSD_SD_EEES6_PiJS6_EEE10hipError_tPvRmT3_T4_T5_T6_T7_T9_mT8_P12ihipStream_tbDpT10_ENKUlT_T0_E_clISt17integral_constantIbLb0EES1B_EEDaS16_S17_EUlS16_E_NS1_11comp_targetILNS1_3genE2ELNS1_11target_archE906ELNS1_3gpuE6ELNS1_3repE0EEENS1_30default_config_static_selectorELNS0_4arch9wavefront6targetE0EEEvT1_
                                        ; -- End function
	.section	.AMDGPU.csdata,"",@progbits
; Kernel info:
; codeLenInByte = 0
; NumSgprs: 0
; NumVgprs: 0
; ScratchSize: 0
; MemoryBound: 0
; FloatMode: 240
; IeeeMode: 1
; LDSByteSize: 0 bytes/workgroup (compile time only)
; SGPRBlocks: 0
; VGPRBlocks: 0
; NumSGPRsForWavesPerEU: 1
; NumVGPRsForWavesPerEU: 1
; Occupancy: 16
; WaveLimiterHint : 0
; COMPUTE_PGM_RSRC2:SCRATCH_EN: 0
; COMPUTE_PGM_RSRC2:USER_SGPR: 15
; COMPUTE_PGM_RSRC2:TRAP_HANDLER: 0
; COMPUTE_PGM_RSRC2:TGID_X_EN: 1
; COMPUTE_PGM_RSRC2:TGID_Y_EN: 0
; COMPUTE_PGM_RSRC2:TGID_Z_EN: 0
; COMPUTE_PGM_RSRC2:TIDIG_COMP_CNT: 0
	.section	.text._ZN7rocprim17ROCPRIM_400000_NS6detail17trampoline_kernelINS0_14default_configENS1_25partition_config_selectorILNS1_17partition_subalgoE5ElNS0_10empty_typeEbEEZZNS1_14partition_implILS5_5ELb0ES3_mN6hipcub16HIPCUB_304000_NS21CountingInputIteratorIllEEPS6_NSA_22TransformInputIteratorIbN2at6native12_GLOBAL__N_19NonZeroOpIsEEPKslEENS0_5tupleIJPlS6_EEENSN_IJSD_SD_EEES6_PiJS6_EEE10hipError_tPvRmT3_T4_T5_T6_T7_T9_mT8_P12ihipStream_tbDpT10_ENKUlT_T0_E_clISt17integral_constantIbLb0EES1B_EEDaS16_S17_EUlS16_E_NS1_11comp_targetILNS1_3genE10ELNS1_11target_archE1200ELNS1_3gpuE4ELNS1_3repE0EEENS1_30default_config_static_selectorELNS0_4arch9wavefront6targetE0EEEvT1_,"axG",@progbits,_ZN7rocprim17ROCPRIM_400000_NS6detail17trampoline_kernelINS0_14default_configENS1_25partition_config_selectorILNS1_17partition_subalgoE5ElNS0_10empty_typeEbEEZZNS1_14partition_implILS5_5ELb0ES3_mN6hipcub16HIPCUB_304000_NS21CountingInputIteratorIllEEPS6_NSA_22TransformInputIteratorIbN2at6native12_GLOBAL__N_19NonZeroOpIsEEPKslEENS0_5tupleIJPlS6_EEENSN_IJSD_SD_EEES6_PiJS6_EEE10hipError_tPvRmT3_T4_T5_T6_T7_T9_mT8_P12ihipStream_tbDpT10_ENKUlT_T0_E_clISt17integral_constantIbLb0EES1B_EEDaS16_S17_EUlS16_E_NS1_11comp_targetILNS1_3genE10ELNS1_11target_archE1200ELNS1_3gpuE4ELNS1_3repE0EEENS1_30default_config_static_selectorELNS0_4arch9wavefront6targetE0EEEvT1_,comdat
	.globl	_ZN7rocprim17ROCPRIM_400000_NS6detail17trampoline_kernelINS0_14default_configENS1_25partition_config_selectorILNS1_17partition_subalgoE5ElNS0_10empty_typeEbEEZZNS1_14partition_implILS5_5ELb0ES3_mN6hipcub16HIPCUB_304000_NS21CountingInputIteratorIllEEPS6_NSA_22TransformInputIteratorIbN2at6native12_GLOBAL__N_19NonZeroOpIsEEPKslEENS0_5tupleIJPlS6_EEENSN_IJSD_SD_EEES6_PiJS6_EEE10hipError_tPvRmT3_T4_T5_T6_T7_T9_mT8_P12ihipStream_tbDpT10_ENKUlT_T0_E_clISt17integral_constantIbLb0EES1B_EEDaS16_S17_EUlS16_E_NS1_11comp_targetILNS1_3genE10ELNS1_11target_archE1200ELNS1_3gpuE4ELNS1_3repE0EEENS1_30default_config_static_selectorELNS0_4arch9wavefront6targetE0EEEvT1_ ; -- Begin function _ZN7rocprim17ROCPRIM_400000_NS6detail17trampoline_kernelINS0_14default_configENS1_25partition_config_selectorILNS1_17partition_subalgoE5ElNS0_10empty_typeEbEEZZNS1_14partition_implILS5_5ELb0ES3_mN6hipcub16HIPCUB_304000_NS21CountingInputIteratorIllEEPS6_NSA_22TransformInputIteratorIbN2at6native12_GLOBAL__N_19NonZeroOpIsEEPKslEENS0_5tupleIJPlS6_EEENSN_IJSD_SD_EEES6_PiJS6_EEE10hipError_tPvRmT3_T4_T5_T6_T7_T9_mT8_P12ihipStream_tbDpT10_ENKUlT_T0_E_clISt17integral_constantIbLb0EES1B_EEDaS16_S17_EUlS16_E_NS1_11comp_targetILNS1_3genE10ELNS1_11target_archE1200ELNS1_3gpuE4ELNS1_3repE0EEENS1_30default_config_static_selectorELNS0_4arch9wavefront6targetE0EEEvT1_
	.p2align	8
	.type	_ZN7rocprim17ROCPRIM_400000_NS6detail17trampoline_kernelINS0_14default_configENS1_25partition_config_selectorILNS1_17partition_subalgoE5ElNS0_10empty_typeEbEEZZNS1_14partition_implILS5_5ELb0ES3_mN6hipcub16HIPCUB_304000_NS21CountingInputIteratorIllEEPS6_NSA_22TransformInputIteratorIbN2at6native12_GLOBAL__N_19NonZeroOpIsEEPKslEENS0_5tupleIJPlS6_EEENSN_IJSD_SD_EEES6_PiJS6_EEE10hipError_tPvRmT3_T4_T5_T6_T7_T9_mT8_P12ihipStream_tbDpT10_ENKUlT_T0_E_clISt17integral_constantIbLb0EES1B_EEDaS16_S17_EUlS16_E_NS1_11comp_targetILNS1_3genE10ELNS1_11target_archE1200ELNS1_3gpuE4ELNS1_3repE0EEENS1_30default_config_static_selectorELNS0_4arch9wavefront6targetE0EEEvT1_,@function
_ZN7rocprim17ROCPRIM_400000_NS6detail17trampoline_kernelINS0_14default_configENS1_25partition_config_selectorILNS1_17partition_subalgoE5ElNS0_10empty_typeEbEEZZNS1_14partition_implILS5_5ELb0ES3_mN6hipcub16HIPCUB_304000_NS21CountingInputIteratorIllEEPS6_NSA_22TransformInputIteratorIbN2at6native12_GLOBAL__N_19NonZeroOpIsEEPKslEENS0_5tupleIJPlS6_EEENSN_IJSD_SD_EEES6_PiJS6_EEE10hipError_tPvRmT3_T4_T5_T6_T7_T9_mT8_P12ihipStream_tbDpT10_ENKUlT_T0_E_clISt17integral_constantIbLb0EES1B_EEDaS16_S17_EUlS16_E_NS1_11comp_targetILNS1_3genE10ELNS1_11target_archE1200ELNS1_3gpuE4ELNS1_3repE0EEENS1_30default_config_static_selectorELNS0_4arch9wavefront6targetE0EEEvT1_: ; @_ZN7rocprim17ROCPRIM_400000_NS6detail17trampoline_kernelINS0_14default_configENS1_25partition_config_selectorILNS1_17partition_subalgoE5ElNS0_10empty_typeEbEEZZNS1_14partition_implILS5_5ELb0ES3_mN6hipcub16HIPCUB_304000_NS21CountingInputIteratorIllEEPS6_NSA_22TransformInputIteratorIbN2at6native12_GLOBAL__N_19NonZeroOpIsEEPKslEENS0_5tupleIJPlS6_EEENSN_IJSD_SD_EEES6_PiJS6_EEE10hipError_tPvRmT3_T4_T5_T6_T7_T9_mT8_P12ihipStream_tbDpT10_ENKUlT_T0_E_clISt17integral_constantIbLb0EES1B_EEDaS16_S17_EUlS16_E_NS1_11comp_targetILNS1_3genE10ELNS1_11target_archE1200ELNS1_3gpuE4ELNS1_3repE0EEENS1_30default_config_static_selectorELNS0_4arch9wavefront6targetE0EEEvT1_
; %bb.0:
	.section	.rodata,"a",@progbits
	.p2align	6, 0x0
	.amdhsa_kernel _ZN7rocprim17ROCPRIM_400000_NS6detail17trampoline_kernelINS0_14default_configENS1_25partition_config_selectorILNS1_17partition_subalgoE5ElNS0_10empty_typeEbEEZZNS1_14partition_implILS5_5ELb0ES3_mN6hipcub16HIPCUB_304000_NS21CountingInputIteratorIllEEPS6_NSA_22TransformInputIteratorIbN2at6native12_GLOBAL__N_19NonZeroOpIsEEPKslEENS0_5tupleIJPlS6_EEENSN_IJSD_SD_EEES6_PiJS6_EEE10hipError_tPvRmT3_T4_T5_T6_T7_T9_mT8_P12ihipStream_tbDpT10_ENKUlT_T0_E_clISt17integral_constantIbLb0EES1B_EEDaS16_S17_EUlS16_E_NS1_11comp_targetILNS1_3genE10ELNS1_11target_archE1200ELNS1_3gpuE4ELNS1_3repE0EEENS1_30default_config_static_selectorELNS0_4arch9wavefront6targetE0EEEvT1_
		.amdhsa_group_segment_fixed_size 0
		.amdhsa_private_segment_fixed_size 0
		.amdhsa_kernarg_size 120
		.amdhsa_user_sgpr_count 15
		.amdhsa_user_sgpr_dispatch_ptr 0
		.amdhsa_user_sgpr_queue_ptr 0
		.amdhsa_user_sgpr_kernarg_segment_ptr 1
		.amdhsa_user_sgpr_dispatch_id 0
		.amdhsa_user_sgpr_private_segment_size 0
		.amdhsa_wavefront_size32 1
		.amdhsa_uses_dynamic_stack 0
		.amdhsa_enable_private_segment 0
		.amdhsa_system_sgpr_workgroup_id_x 1
		.amdhsa_system_sgpr_workgroup_id_y 0
		.amdhsa_system_sgpr_workgroup_id_z 0
		.amdhsa_system_sgpr_workgroup_info 0
		.amdhsa_system_vgpr_workitem_id 0
		.amdhsa_next_free_vgpr 1
		.amdhsa_next_free_sgpr 1
		.amdhsa_reserve_vcc 0
		.amdhsa_float_round_mode_32 0
		.amdhsa_float_round_mode_16_64 0
		.amdhsa_float_denorm_mode_32 3
		.amdhsa_float_denorm_mode_16_64 3
		.amdhsa_dx10_clamp 1
		.amdhsa_ieee_mode 1
		.amdhsa_fp16_overflow 0
		.amdhsa_workgroup_processor_mode 1
		.amdhsa_memory_ordered 1
		.amdhsa_forward_progress 0
		.amdhsa_shared_vgpr_count 0
		.amdhsa_exception_fp_ieee_invalid_op 0
		.amdhsa_exception_fp_denorm_src 0
		.amdhsa_exception_fp_ieee_div_zero 0
		.amdhsa_exception_fp_ieee_overflow 0
		.amdhsa_exception_fp_ieee_underflow 0
		.amdhsa_exception_fp_ieee_inexact 0
		.amdhsa_exception_int_div_zero 0
	.end_amdhsa_kernel
	.section	.text._ZN7rocprim17ROCPRIM_400000_NS6detail17trampoline_kernelINS0_14default_configENS1_25partition_config_selectorILNS1_17partition_subalgoE5ElNS0_10empty_typeEbEEZZNS1_14partition_implILS5_5ELb0ES3_mN6hipcub16HIPCUB_304000_NS21CountingInputIteratorIllEEPS6_NSA_22TransformInputIteratorIbN2at6native12_GLOBAL__N_19NonZeroOpIsEEPKslEENS0_5tupleIJPlS6_EEENSN_IJSD_SD_EEES6_PiJS6_EEE10hipError_tPvRmT3_T4_T5_T6_T7_T9_mT8_P12ihipStream_tbDpT10_ENKUlT_T0_E_clISt17integral_constantIbLb0EES1B_EEDaS16_S17_EUlS16_E_NS1_11comp_targetILNS1_3genE10ELNS1_11target_archE1200ELNS1_3gpuE4ELNS1_3repE0EEENS1_30default_config_static_selectorELNS0_4arch9wavefront6targetE0EEEvT1_,"axG",@progbits,_ZN7rocprim17ROCPRIM_400000_NS6detail17trampoline_kernelINS0_14default_configENS1_25partition_config_selectorILNS1_17partition_subalgoE5ElNS0_10empty_typeEbEEZZNS1_14partition_implILS5_5ELb0ES3_mN6hipcub16HIPCUB_304000_NS21CountingInputIteratorIllEEPS6_NSA_22TransformInputIteratorIbN2at6native12_GLOBAL__N_19NonZeroOpIsEEPKslEENS0_5tupleIJPlS6_EEENSN_IJSD_SD_EEES6_PiJS6_EEE10hipError_tPvRmT3_T4_T5_T6_T7_T9_mT8_P12ihipStream_tbDpT10_ENKUlT_T0_E_clISt17integral_constantIbLb0EES1B_EEDaS16_S17_EUlS16_E_NS1_11comp_targetILNS1_3genE10ELNS1_11target_archE1200ELNS1_3gpuE4ELNS1_3repE0EEENS1_30default_config_static_selectorELNS0_4arch9wavefront6targetE0EEEvT1_,comdat
.Lfunc_end327:
	.size	_ZN7rocprim17ROCPRIM_400000_NS6detail17trampoline_kernelINS0_14default_configENS1_25partition_config_selectorILNS1_17partition_subalgoE5ElNS0_10empty_typeEbEEZZNS1_14partition_implILS5_5ELb0ES3_mN6hipcub16HIPCUB_304000_NS21CountingInputIteratorIllEEPS6_NSA_22TransformInputIteratorIbN2at6native12_GLOBAL__N_19NonZeroOpIsEEPKslEENS0_5tupleIJPlS6_EEENSN_IJSD_SD_EEES6_PiJS6_EEE10hipError_tPvRmT3_T4_T5_T6_T7_T9_mT8_P12ihipStream_tbDpT10_ENKUlT_T0_E_clISt17integral_constantIbLb0EES1B_EEDaS16_S17_EUlS16_E_NS1_11comp_targetILNS1_3genE10ELNS1_11target_archE1200ELNS1_3gpuE4ELNS1_3repE0EEENS1_30default_config_static_selectorELNS0_4arch9wavefront6targetE0EEEvT1_, .Lfunc_end327-_ZN7rocprim17ROCPRIM_400000_NS6detail17trampoline_kernelINS0_14default_configENS1_25partition_config_selectorILNS1_17partition_subalgoE5ElNS0_10empty_typeEbEEZZNS1_14partition_implILS5_5ELb0ES3_mN6hipcub16HIPCUB_304000_NS21CountingInputIteratorIllEEPS6_NSA_22TransformInputIteratorIbN2at6native12_GLOBAL__N_19NonZeroOpIsEEPKslEENS0_5tupleIJPlS6_EEENSN_IJSD_SD_EEES6_PiJS6_EEE10hipError_tPvRmT3_T4_T5_T6_T7_T9_mT8_P12ihipStream_tbDpT10_ENKUlT_T0_E_clISt17integral_constantIbLb0EES1B_EEDaS16_S17_EUlS16_E_NS1_11comp_targetILNS1_3genE10ELNS1_11target_archE1200ELNS1_3gpuE4ELNS1_3repE0EEENS1_30default_config_static_selectorELNS0_4arch9wavefront6targetE0EEEvT1_
                                        ; -- End function
	.section	.AMDGPU.csdata,"",@progbits
; Kernel info:
; codeLenInByte = 0
; NumSgprs: 0
; NumVgprs: 0
; ScratchSize: 0
; MemoryBound: 0
; FloatMode: 240
; IeeeMode: 1
; LDSByteSize: 0 bytes/workgroup (compile time only)
; SGPRBlocks: 0
; VGPRBlocks: 0
; NumSGPRsForWavesPerEU: 1
; NumVGPRsForWavesPerEU: 1
; Occupancy: 16
; WaveLimiterHint : 0
; COMPUTE_PGM_RSRC2:SCRATCH_EN: 0
; COMPUTE_PGM_RSRC2:USER_SGPR: 15
; COMPUTE_PGM_RSRC2:TRAP_HANDLER: 0
; COMPUTE_PGM_RSRC2:TGID_X_EN: 1
; COMPUTE_PGM_RSRC2:TGID_Y_EN: 0
; COMPUTE_PGM_RSRC2:TGID_Z_EN: 0
; COMPUTE_PGM_RSRC2:TIDIG_COMP_CNT: 0
	.section	.text._ZN7rocprim17ROCPRIM_400000_NS6detail17trampoline_kernelINS0_14default_configENS1_25partition_config_selectorILNS1_17partition_subalgoE5ElNS0_10empty_typeEbEEZZNS1_14partition_implILS5_5ELb0ES3_mN6hipcub16HIPCUB_304000_NS21CountingInputIteratorIllEEPS6_NSA_22TransformInputIteratorIbN2at6native12_GLOBAL__N_19NonZeroOpIsEEPKslEENS0_5tupleIJPlS6_EEENSN_IJSD_SD_EEES6_PiJS6_EEE10hipError_tPvRmT3_T4_T5_T6_T7_T9_mT8_P12ihipStream_tbDpT10_ENKUlT_T0_E_clISt17integral_constantIbLb0EES1B_EEDaS16_S17_EUlS16_E_NS1_11comp_targetILNS1_3genE9ELNS1_11target_archE1100ELNS1_3gpuE3ELNS1_3repE0EEENS1_30default_config_static_selectorELNS0_4arch9wavefront6targetE0EEEvT1_,"axG",@progbits,_ZN7rocprim17ROCPRIM_400000_NS6detail17trampoline_kernelINS0_14default_configENS1_25partition_config_selectorILNS1_17partition_subalgoE5ElNS0_10empty_typeEbEEZZNS1_14partition_implILS5_5ELb0ES3_mN6hipcub16HIPCUB_304000_NS21CountingInputIteratorIllEEPS6_NSA_22TransformInputIteratorIbN2at6native12_GLOBAL__N_19NonZeroOpIsEEPKslEENS0_5tupleIJPlS6_EEENSN_IJSD_SD_EEES6_PiJS6_EEE10hipError_tPvRmT3_T4_T5_T6_T7_T9_mT8_P12ihipStream_tbDpT10_ENKUlT_T0_E_clISt17integral_constantIbLb0EES1B_EEDaS16_S17_EUlS16_E_NS1_11comp_targetILNS1_3genE9ELNS1_11target_archE1100ELNS1_3gpuE3ELNS1_3repE0EEENS1_30default_config_static_selectorELNS0_4arch9wavefront6targetE0EEEvT1_,comdat
	.globl	_ZN7rocprim17ROCPRIM_400000_NS6detail17trampoline_kernelINS0_14default_configENS1_25partition_config_selectorILNS1_17partition_subalgoE5ElNS0_10empty_typeEbEEZZNS1_14partition_implILS5_5ELb0ES3_mN6hipcub16HIPCUB_304000_NS21CountingInputIteratorIllEEPS6_NSA_22TransformInputIteratorIbN2at6native12_GLOBAL__N_19NonZeroOpIsEEPKslEENS0_5tupleIJPlS6_EEENSN_IJSD_SD_EEES6_PiJS6_EEE10hipError_tPvRmT3_T4_T5_T6_T7_T9_mT8_P12ihipStream_tbDpT10_ENKUlT_T0_E_clISt17integral_constantIbLb0EES1B_EEDaS16_S17_EUlS16_E_NS1_11comp_targetILNS1_3genE9ELNS1_11target_archE1100ELNS1_3gpuE3ELNS1_3repE0EEENS1_30default_config_static_selectorELNS0_4arch9wavefront6targetE0EEEvT1_ ; -- Begin function _ZN7rocprim17ROCPRIM_400000_NS6detail17trampoline_kernelINS0_14default_configENS1_25partition_config_selectorILNS1_17partition_subalgoE5ElNS0_10empty_typeEbEEZZNS1_14partition_implILS5_5ELb0ES3_mN6hipcub16HIPCUB_304000_NS21CountingInputIteratorIllEEPS6_NSA_22TransformInputIteratorIbN2at6native12_GLOBAL__N_19NonZeroOpIsEEPKslEENS0_5tupleIJPlS6_EEENSN_IJSD_SD_EEES6_PiJS6_EEE10hipError_tPvRmT3_T4_T5_T6_T7_T9_mT8_P12ihipStream_tbDpT10_ENKUlT_T0_E_clISt17integral_constantIbLb0EES1B_EEDaS16_S17_EUlS16_E_NS1_11comp_targetILNS1_3genE9ELNS1_11target_archE1100ELNS1_3gpuE3ELNS1_3repE0EEENS1_30default_config_static_selectorELNS0_4arch9wavefront6targetE0EEEvT1_
	.p2align	8
	.type	_ZN7rocprim17ROCPRIM_400000_NS6detail17trampoline_kernelINS0_14default_configENS1_25partition_config_selectorILNS1_17partition_subalgoE5ElNS0_10empty_typeEbEEZZNS1_14partition_implILS5_5ELb0ES3_mN6hipcub16HIPCUB_304000_NS21CountingInputIteratorIllEEPS6_NSA_22TransformInputIteratorIbN2at6native12_GLOBAL__N_19NonZeroOpIsEEPKslEENS0_5tupleIJPlS6_EEENSN_IJSD_SD_EEES6_PiJS6_EEE10hipError_tPvRmT3_T4_T5_T6_T7_T9_mT8_P12ihipStream_tbDpT10_ENKUlT_T0_E_clISt17integral_constantIbLb0EES1B_EEDaS16_S17_EUlS16_E_NS1_11comp_targetILNS1_3genE9ELNS1_11target_archE1100ELNS1_3gpuE3ELNS1_3repE0EEENS1_30default_config_static_selectorELNS0_4arch9wavefront6targetE0EEEvT1_,@function
_ZN7rocprim17ROCPRIM_400000_NS6detail17trampoline_kernelINS0_14default_configENS1_25partition_config_selectorILNS1_17partition_subalgoE5ElNS0_10empty_typeEbEEZZNS1_14partition_implILS5_5ELb0ES3_mN6hipcub16HIPCUB_304000_NS21CountingInputIteratorIllEEPS6_NSA_22TransformInputIteratorIbN2at6native12_GLOBAL__N_19NonZeroOpIsEEPKslEENS0_5tupleIJPlS6_EEENSN_IJSD_SD_EEES6_PiJS6_EEE10hipError_tPvRmT3_T4_T5_T6_T7_T9_mT8_P12ihipStream_tbDpT10_ENKUlT_T0_E_clISt17integral_constantIbLb0EES1B_EEDaS16_S17_EUlS16_E_NS1_11comp_targetILNS1_3genE9ELNS1_11target_archE1100ELNS1_3gpuE3ELNS1_3repE0EEENS1_30default_config_static_selectorELNS0_4arch9wavefront6targetE0EEEvT1_: ; @_ZN7rocprim17ROCPRIM_400000_NS6detail17trampoline_kernelINS0_14default_configENS1_25partition_config_selectorILNS1_17partition_subalgoE5ElNS0_10empty_typeEbEEZZNS1_14partition_implILS5_5ELb0ES3_mN6hipcub16HIPCUB_304000_NS21CountingInputIteratorIllEEPS6_NSA_22TransformInputIteratorIbN2at6native12_GLOBAL__N_19NonZeroOpIsEEPKslEENS0_5tupleIJPlS6_EEENSN_IJSD_SD_EEES6_PiJS6_EEE10hipError_tPvRmT3_T4_T5_T6_T7_T9_mT8_P12ihipStream_tbDpT10_ENKUlT_T0_E_clISt17integral_constantIbLb0EES1B_EEDaS16_S17_EUlS16_E_NS1_11comp_targetILNS1_3genE9ELNS1_11target_archE1100ELNS1_3gpuE3ELNS1_3repE0EEENS1_30default_config_static_selectorELNS0_4arch9wavefront6targetE0EEEvT1_
; %bb.0:
	s_clause 0x4
	s_load_b128 s[8:11], s[0:1], 0x8
	s_load_b128 s[4:7], s[0:1], 0x48
	s_load_b32 s14, s[0:1], 0x70
	s_load_b64 s[2:3], s[0:1], 0x58
	s_load_b64 s[12:13], s[0:1], 0x20
	s_waitcnt lgkmcnt(0)
	s_add_u32 s18, s10, s8
	s_load_b64 s[6:7], s[6:7], 0x0
	s_mul_i32 s17, s14, 0x300
	s_addc_u32 s19, s11, s9
	s_add_i32 s14, s14, -1
	s_add_u32 s8, s10, s17
	s_addc_u32 s9, s11, 0
	s_cmp_eq_u32 s15, s14
	v_cmp_ge_u64_e64 s3, s[8:9], s[2:3]
	s_cselect_b32 s14, -1, 0
	s_mul_i32 s8, s15, 0x300
	s_mov_b32 s9, 0
	s_delay_alu instid0(VALU_DEP_1) | instskip(NEXT) | instid1(SALU_CYCLE_1)
	s_and_b32 s3, s14, s3
	s_xor_b32 s16, s3, -1
	s_mov_b32 s3, -1
	s_and_b32 vcc_lo, exec_lo, s16
	s_cbranch_vccz .LBB328_2
; %bb.1:
	s_add_u32 s3, s18, s8
	s_addc_u32 s20, s19, 0
	v_add_co_u32 v1, s3, s3, v0
	s_delay_alu instid0(VALU_DEP_1) | instskip(SKIP_1) | instid1(VALU_DEP_3)
	v_add_co_ci_u32_e64 v2, null, s20, 0, s3
	v_lshlrev_b32_e32 v13, 3, v0
	v_add_co_u32 v3, vcc_lo, 0x80, v1
	s_delay_alu instid0(VALU_DEP_3)
	v_add_co_ci_u32_e32 v4, vcc_lo, 0, v2, vcc_lo
	v_add_co_u32 v5, vcc_lo, 0x100, v1
	v_add_co_ci_u32_e32 v6, vcc_lo, 0, v2, vcc_lo
	v_add_co_u32 v7, vcc_lo, 0x180, v1
	;; [unrolled: 2-line block ×4, first 2 shown]
	v_add_co_ci_u32_e32 v12, vcc_lo, 0, v2, vcc_lo
	ds_store_2addr_stride64_b64 v13, v[1:2], v[3:4] offset1:2
	ds_store_2addr_stride64_b64 v13, v[5:6], v[7:8] offset0:4 offset1:6
	ds_store_2addr_stride64_b64 v13, v[9:10], v[11:12] offset0:8 offset1:10
	s_waitcnt lgkmcnt(0)
	s_mov_b32 s3, s9
	s_barrier
.LBB328_2:
	v_or_b32_e32 v17, 0x100, v0
	v_or_b32_e32 v16, 0x180, v0
	v_or_b32_e32 v14, 0x200, v0
	v_or_b32_e32 v13, 0x280, v0
	s_and_not1_b32 vcc_lo, exec_lo, s3
	s_cbranch_vccnz .LBB328_4
; %bb.3:
	v_or_b32_e32 v3, 0x80, v0
	s_add_u32 s3, s18, s8
	s_addc_u32 s18, s19, 0
	v_add_co_u32 v1, s19, s3, v0
	s_delay_alu instid0(VALU_DEP_1) | instskip(SKIP_1) | instid1(VALU_DEP_1)
	v_add_co_ci_u32_e64 v2, null, s18, 0, s19
	v_add_co_u32 v3, s19, s3, v3
	v_add_co_ci_u32_e64 v4, null, s18, 0, s19
	v_add_co_u32 v5, s19, s3, v17
	s_delay_alu instid0(VALU_DEP_1) | instskip(SKIP_1) | instid1(VALU_DEP_1)
	v_add_co_ci_u32_e64 v6, null, s18, 0, s19
	v_add_co_u32 v7, s19, s3, v16
	v_add_co_ci_u32_e64 v8, null, s18, 0, s19
	v_add_co_u32 v9, s19, s3, v14
	v_lshlrev_b32_e32 v15, 3, v0
	v_add_co_u32 v11, s3, s3, v13
	v_add_co_ci_u32_e64 v10, null, s18, 0, s19
	v_add_co_ci_u32_e64 v12, null, s18, 0, s3
	ds_store_2addr_stride64_b64 v15, v[1:2], v[3:4] offset1:2
	ds_store_2addr_stride64_b64 v15, v[5:6], v[7:8] offset0:4 offset1:6
	ds_store_2addr_stride64_b64 v15, v[9:10], v[11:12] offset0:8 offset1:10
	s_waitcnt lgkmcnt(0)
	s_barrier
.LBB328_4:
	v_mul_u32_u24_e32 v1, 6, v0
	s_waitcnt lgkmcnt(0)
	buffer_gl0_inv
	s_lshl_b64 s[18:19], s[10:11], 1
	s_delay_alu instid0(SALU_CYCLE_1)
	s_add_u32 s3, s12, s18
	v_lshlrev_b32_e32 v15, 3, v1
	s_addc_u32 s11, s13, s19
	s_lshl_b64 s[8:9], s[8:9], 1
	ds_load_b128 v[9:12], v15
	ds_load_b128 v[5:8], v15 offset:16
	ds_load_b128 v[1:4], v15 offset:32
	s_add_u32 s12, s3, s8
	s_addc_u32 s13, s11, s9
	s_and_b32 vcc_lo, exec_lo, s16
	s_mov_b32 s3, -1
	s_waitcnt lgkmcnt(0)
	s_barrier
	buffer_gl0_inv
	s_cbranch_vccz .LBB328_6
; %bb.5:
	v_lshlrev_b32_e32 v18, 1, v0
	s_mov_b32 s3, 0
	s_clause 0x5
	global_load_u16 v19, v18, s[12:13]
	global_load_u16 v20, v18, s[12:13] offset:256
	global_load_u16 v21, v18, s[12:13] offset:512
	;; [unrolled: 1-line block ×5, first 2 shown]
	s_waitcnt vmcnt(5)
	v_cmp_ne_u16_e32 vcc_lo, 0, v19
	v_cndmask_b32_e64 v19, 0, 1, vcc_lo
	s_waitcnt vmcnt(4)
	v_cmp_ne_u16_e32 vcc_lo, 0, v20
	v_cndmask_b32_e64 v20, 0, 1, vcc_lo
	;; [unrolled: 3-line block ×6, first 2 shown]
	ds_store_b8 v0, v19
	ds_store_b8 v0, v20 offset:128
	ds_store_b8 v0, v21 offset:256
	;; [unrolled: 1-line block ×5, first 2 shown]
	s_waitcnt lgkmcnt(0)
	s_barrier
.LBB328_6:
	s_load_b64 s[8:9], s[0:1], 0x68
	s_and_not1_b32 vcc_lo, exec_lo, s3
	s_cbranch_vccnz .LBB328_20
; %bb.7:
	s_add_i32 s17, s17, s10
	v_dual_mov_b32 v18, 0 :: v_dual_mov_b32 v19, 0
	s_sub_i32 s2, s2, s17
	s_mov_b32 s3, exec_lo
	s_addk_i32 s2, 0x300
	s_delay_alu instid0(SALU_CYCLE_1)
	v_cmpx_gt_u32_e64 s2, v0
	s_cbranch_execz .LBB328_9
; %bb.8:
	v_lshlrev_b32_e32 v19, 1, v0
	global_load_u16 v19, v19, s[12:13]
	s_waitcnt vmcnt(0)
	v_cmp_ne_u16_e32 vcc_lo, 0, v19
	v_cndmask_b32_e64 v19, 0, 1, vcc_lo
.LBB328_9:
	s_or_b32 exec_lo, exec_lo, s3
	v_or_b32_e32 v20, 0x80, v0
	s_mov_b32 s3, exec_lo
	s_delay_alu instid0(VALU_DEP_1)
	v_cmpx_gt_u32_e64 s2, v20
	s_cbranch_execz .LBB328_11
; %bb.10:
	v_lshlrev_b32_e32 v18, 1, v0
	global_load_u16 v18, v18, s[12:13] offset:256
	s_waitcnt vmcnt(0)
	v_cmp_ne_u16_e32 vcc_lo, 0, v18
	v_cndmask_b32_e64 v18, 0, 1, vcc_lo
.LBB328_11:
	s_or_b32 exec_lo, exec_lo, s3
	v_cmp_gt_u32_e32 vcc_lo, s2, v17
	v_dual_mov_b32 v17, 0 :: v_dual_mov_b32 v20, 0
	s_and_saveexec_b32 s3, vcc_lo
	s_cbranch_execz .LBB328_13
; %bb.12:
	v_lshlrev_b32_e32 v20, 1, v0
	global_load_u16 v20, v20, s[12:13] offset:512
	s_waitcnt vmcnt(0)
	v_cmp_ne_u16_e32 vcc_lo, 0, v20
	v_cndmask_b32_e64 v20, 0, 1, vcc_lo
.LBB328_13:
	s_or_b32 exec_lo, exec_lo, s3
	s_delay_alu instid0(SALU_CYCLE_1)
	s_mov_b32 s3, exec_lo
	v_cmpx_gt_u32_e64 s2, v16
	s_cbranch_execz .LBB328_15
; %bb.14:
	v_lshlrev_b32_e32 v16, 1, v0
	global_load_u16 v16, v16, s[12:13] offset:768
	s_waitcnt vmcnt(0)
	v_cmp_ne_u16_e32 vcc_lo, 0, v16
	v_cndmask_b32_e64 v17, 0, 1, vcc_lo
.LBB328_15:
	s_or_b32 exec_lo, exec_lo, s3
	v_cmp_gt_u32_e32 vcc_lo, s2, v14
	v_mov_b32_e32 v14, 0
	v_mov_b32_e32 v16, 0
	s_and_saveexec_b32 s3, vcc_lo
	s_cbranch_execz .LBB328_17
; %bb.16:
	v_lshlrev_b32_e32 v16, 1, v0
	global_load_u16 v16, v16, s[12:13] offset:1024
	s_waitcnt vmcnt(0)
	v_cmp_ne_u16_e32 vcc_lo, 0, v16
	v_cndmask_b32_e64 v16, 0, 1, vcc_lo
.LBB328_17:
	s_or_b32 exec_lo, exec_lo, s3
	v_cmp_gt_u32_e32 vcc_lo, s2, v13
	s_and_saveexec_b32 s2, vcc_lo
	s_cbranch_execz .LBB328_19
; %bb.18:
	v_lshlrev_b32_e32 v13, 1, v0
	global_load_u16 v13, v13, s[12:13] offset:1280
	s_waitcnt vmcnt(0)
	v_cmp_ne_u16_e32 vcc_lo, 0, v13
	v_cndmask_b32_e64 v14, 0, 1, vcc_lo
.LBB328_19:
	s_or_b32 exec_lo, exec_lo, s2
	ds_store_b8 v0, v19
	ds_store_b8 v0, v18 offset:128
	ds_store_b8 v0, v20 offset:256
	ds_store_b8 v0, v17 offset:384
	ds_store_b8 v0, v16 offset:512
	ds_store_b8 v0, v14 offset:640
	s_waitcnt lgkmcnt(0)
	s_barrier
.LBB328_20:
	v_mad_i32_i24 v43, 0xffffffd6, v0, v15
	s_waitcnt lgkmcnt(0)
	buffer_gl0_inv
	v_mbcnt_lo_u32_b32 v42, -1, 0
	s_cmp_lg_u32 s15, 0
	s_mov_b32 s3, -1
	ds_load_u16 v36, v43
	ds_load_u16 v33, v43 offset:2
	ds_load_u16 v31, v43 offset:4
	v_mov_b32_e32 v14, 0
	v_and_b32_e32 v44, 15, v42
	s_waitcnt lgkmcnt(0)
	s_barrier
	buffer_gl0_inv
	v_and_b32_e32 v41, 0xff, v36
	v_lshrrev_b16 v34, 8, v36
	v_lshrrev_b16 v35, 8, v33
	v_and_b32_e32 v39, 0xff, v33
	v_lshrrev_b16 v32, 8, v31
	v_and_b32_e32 v37, 0xff, v31
	v_and_b32_e32 v40, 0xffff, v34
	;; [unrolled: 1-line block ×3, first 2 shown]
	s_delay_alu instid0(VALU_DEP_4) | instskip(NEXT) | instid1(VALU_DEP_3)
	v_and_b32_e32 v16, 0xffff, v32
	v_add_co_u32 v13, s2, v40, v41
	s_delay_alu instid0(VALU_DEP_1) | instskip(SKIP_1) | instid1(VALU_DEP_3)
	v_add_co_ci_u32_e64 v15, null, 0, 0, s2
	v_cmp_ne_u32_e64 s2, 0, v44
	v_add_co_u32 v13, vcc_lo, v13, v39
	s_delay_alu instid0(VALU_DEP_3) | instskip(NEXT) | instid1(VALU_DEP_2)
	v_add_co_ci_u32_e32 v15, vcc_lo, 0, v15, vcc_lo
	v_add_co_u32 v13, vcc_lo, v13, v38
	s_delay_alu instid0(VALU_DEP_2) | instskip(NEXT) | instid1(VALU_DEP_2)
	v_add_co_ci_u32_e32 v15, vcc_lo, 0, v15, vcc_lo
	v_add_co_u32 v13, vcc_lo, v13, v37
	s_delay_alu instid0(VALU_DEP_2) | instskip(NEXT) | instid1(VALU_DEP_2)
	v_add_co_ci_u32_e32 v15, vcc_lo, 0, v15, vcc_lo
	v_add_co_u32 v21, vcc_lo, v13, v16
	s_delay_alu instid0(VALU_DEP_2)
	v_add_co_ci_u32_e32 v22, vcc_lo, 0, v15, vcc_lo
	s_cbranch_scc0 .LBB328_84
; %bb.21:
	s_delay_alu instid0(VALU_DEP_2)
	v_mov_b32_e32 v15, v21
	v_mov_b32_dpp v13, v21 row_shr:1 row_mask:0xf bank_mask:0xf
	v_mov_b32_dpp v18, v14 row_shr:1 row_mask:0xf bank_mask:0xf
	v_dual_mov_b32 v17, v21 :: v_dual_mov_b32 v16, v22
	s_and_saveexec_b32 s3, s2
; %bb.22:
	s_delay_alu instid0(VALU_DEP_3) | instskip(SKIP_1) | instid1(VALU_DEP_2)
	v_add_co_u32 v17, vcc_lo, v21, v13
	v_add_co_ci_u32_e32 v14, vcc_lo, 0, v22, vcc_lo
	v_add_co_u32 v13, vcc_lo, 0, v17
	s_delay_alu instid0(VALU_DEP_2) | instskip(NEXT) | instid1(VALU_DEP_1)
	v_add_co_ci_u32_e32 v14, vcc_lo, v18, v14, vcc_lo
	v_dual_mov_b32 v16, v14 :: v_dual_mov_b32 v15, v13
; %bb.23:
	s_or_b32 exec_lo, exec_lo, s3
	v_mov_b32_dpp v13, v17 row_shr:2 row_mask:0xf bank_mask:0xf
	v_mov_b32_dpp v18, v14 row_shr:2 row_mask:0xf bank_mask:0xf
	s_mov_b32 s3, exec_lo
	v_cmpx_lt_u32_e32 1, v44
; %bb.24:
	s_delay_alu instid0(VALU_DEP_3) | instskip(SKIP_1) | instid1(VALU_DEP_2)
	v_add_co_u32 v17, vcc_lo, v15, v13
	v_add_co_ci_u32_e32 v14, vcc_lo, 0, v16, vcc_lo
	v_add_co_u32 v13, vcc_lo, 0, v17
	s_delay_alu instid0(VALU_DEP_2) | instskip(NEXT) | instid1(VALU_DEP_1)
	v_add_co_ci_u32_e32 v14, vcc_lo, v18, v14, vcc_lo
	v_dual_mov_b32 v16, v14 :: v_dual_mov_b32 v15, v13
; %bb.25:
	s_or_b32 exec_lo, exec_lo, s3
	v_mov_b32_dpp v13, v17 row_shr:4 row_mask:0xf bank_mask:0xf
	v_mov_b32_dpp v18, v14 row_shr:4 row_mask:0xf bank_mask:0xf
	s_mov_b32 s3, exec_lo
	v_cmpx_lt_u32_e32 3, v44
	;; [unrolled: 14-line block ×3, first 2 shown]
; %bb.28:
	s_delay_alu instid0(VALU_DEP_3) | instskip(SKIP_1) | instid1(VALU_DEP_2)
	v_add_co_u32 v17, vcc_lo, v15, v18
	v_add_co_ci_u32_e32 v14, vcc_lo, 0, v16, vcc_lo
	v_add_co_u32 v15, vcc_lo, 0, v17
	s_delay_alu instid0(VALU_DEP_2) | instskip(NEXT) | instid1(VALU_DEP_1)
	v_add_co_ci_u32_e32 v16, vcc_lo, v13, v14, vcc_lo
	v_mov_b32_e32 v14, v16
; %bb.29:
	s_or_b32 exec_lo, exec_lo, s3
	ds_swizzle_b32 v13, v17 offset:swizzle(BROADCAST,32,15)
	ds_swizzle_b32 v18, v14 offset:swizzle(BROADCAST,32,15)
	v_and_b32_e32 v19, 16, v42
	s_mov_b32 s3, exec_lo
	s_delay_alu instid0(VALU_DEP_1)
	v_cmpx_ne_u32_e32 0, v19
	s_cbranch_execz .LBB328_31
; %bb.30:
	s_waitcnt lgkmcnt(1)
	v_add_co_u32 v17, vcc_lo, v15, v13
	v_add_co_ci_u32_e32 v14, vcc_lo, 0, v16, vcc_lo
	s_delay_alu instid0(VALU_DEP_2) | instskip(SKIP_1) | instid1(VALU_DEP_2)
	v_add_co_u32 v13, vcc_lo, 0, v17
	s_waitcnt lgkmcnt(0)
	v_add_co_ci_u32_e32 v14, vcc_lo, v18, v14, vcc_lo
	s_delay_alu instid0(VALU_DEP_1)
	v_dual_mov_b32 v16, v14 :: v_dual_mov_b32 v15, v13
.LBB328_31:
	s_or_b32 exec_lo, exec_lo, s3
	s_waitcnt lgkmcnt(0)
	v_or_b32_e32 v18, 31, v0
	v_lshrrev_b32_e32 v13, 5, v0
	s_mov_b32 s3, exec_lo
	s_delay_alu instid0(VALU_DEP_2)
	v_cmpx_eq_u32_e64 v18, v0
	s_cbranch_execz .LBB328_33
; %bb.32:
	s_delay_alu instid0(VALU_DEP_2)
	v_lshlrev_b32_e32 v18, 3, v13
	ds_store_b64 v18, v[15:16]
.LBB328_33:
	s_or_b32 exec_lo, exec_lo, s3
	s_delay_alu instid0(SALU_CYCLE_1)
	s_mov_b32 s3, exec_lo
	s_waitcnt lgkmcnt(0)
	s_barrier
	buffer_gl0_inv
	v_cmpx_gt_u32_e32 4, v0
	s_cbranch_execz .LBB328_39
; %bb.34:
	v_lshlrev_b32_e32 v18, 3, v0
	s_mov_b32 s10, exec_lo
	ds_load_b64 v[15:16], v18
	s_waitcnt lgkmcnt(0)
	v_dual_mov_b32 v20, v15 :: v_dual_and_b32 v19, 3, v42
	v_mov_b32_dpp v24, v15 row_shr:1 row_mask:0xf bank_mask:0xf
	v_mov_b32_dpp v23, v16 row_shr:1 row_mask:0xf bank_mask:0xf
	s_delay_alu instid0(VALU_DEP_3)
	v_cmpx_ne_u32_e32 0, v19
; %bb.35:
	s_delay_alu instid0(VALU_DEP_3) | instskip(SKIP_1) | instid1(VALU_DEP_2)
	v_add_co_u32 v20, vcc_lo, v15, v24
	v_add_co_ci_u32_e32 v16, vcc_lo, 0, v16, vcc_lo
	v_add_co_u32 v15, vcc_lo, 0, v20
	s_delay_alu instid0(VALU_DEP_2)
	v_add_co_ci_u32_e32 v16, vcc_lo, v23, v16, vcc_lo
; %bb.36:
	s_or_b32 exec_lo, exec_lo, s10
	v_mov_b32_dpp v23, v20 row_shr:2 row_mask:0xf bank_mask:0xf
	s_delay_alu instid0(VALU_DEP_2)
	v_mov_b32_dpp v20, v16 row_shr:2 row_mask:0xf bank_mask:0xf
	s_mov_b32 s10, exec_lo
	v_cmpx_lt_u32_e32 1, v19
; %bb.37:
	s_delay_alu instid0(VALU_DEP_3) | instskip(SKIP_1) | instid1(VALU_DEP_2)
	v_add_co_u32 v15, vcc_lo, v15, v23
	v_add_co_ci_u32_e32 v16, vcc_lo, 0, v16, vcc_lo
	v_add_co_u32 v15, vcc_lo, v15, 0
	s_delay_alu instid0(VALU_DEP_2)
	v_add_co_ci_u32_e32 v16, vcc_lo, v16, v20, vcc_lo
; %bb.38:
	s_or_b32 exec_lo, exec_lo, s10
	ds_store_b64 v18, v[15:16]
.LBB328_39:
	s_or_b32 exec_lo, exec_lo, s3
	v_cmp_gt_u32_e32 vcc_lo, 32, v0
	s_mov_b32 s10, exec_lo
	s_waitcnt lgkmcnt(0)
	s_barrier
	buffer_gl0_inv
                                        ; implicit-def: $vgpr23_vgpr24
	v_cmpx_lt_u32_e32 31, v0
	s_cbranch_execz .LBB328_41
; %bb.40:
	v_lshl_add_u32 v13, v13, 3, -8
	ds_load_b64 v[23:24], v13
	s_waitcnt lgkmcnt(0)
	v_add_co_u32 v17, s3, v17, v23
	s_delay_alu instid0(VALU_DEP_1)
	v_add_co_ci_u32_e64 v14, s3, v14, v24, s3
.LBB328_41:
	s_or_b32 exec_lo, exec_lo, s10
	v_add_nc_u32_e32 v13, -1, v42
	s_delay_alu instid0(VALU_DEP_1) | instskip(NEXT) | instid1(VALU_DEP_1)
	v_cmp_gt_i32_e64 s3, 0, v13
	v_cndmask_b32_e64 v13, v13, v42, s3
	v_cmp_eq_u32_e64 s3, 0, v42
	s_delay_alu instid0(VALU_DEP_2)
	v_lshlrev_b32_e32 v13, 2, v13
	ds_bpermute_b32 v29, v13, v17
	ds_bpermute_b32 v30, v13, v14
	s_and_saveexec_b32 s10, vcc_lo
	s_cbranch_execz .LBB328_79
; %bb.42:
	v_mov_b32_e32 v16, 0
	ds_load_b64 v[13:14], v16 offset:24
	s_and_saveexec_b32 s11, s3
	s_cbranch_execz .LBB328_44
; %bb.43:
	s_add_i32 s12, s15, 32
	s_mov_b32 s13, 0
	s_delay_alu instid0(SALU_CYCLE_1) | instskip(NEXT) | instid1(SALU_CYCLE_1)
	s_lshl_b64 s[12:13], s[12:13], 4
	s_add_u32 s12, s8, s12
	s_addc_u32 s13, s9, s13
	s_delay_alu instid0(SALU_CYCLE_1)
	v_dual_mov_b32 v15, 1 :: v_dual_mov_b32 v18, s13
	v_mov_b32_e32 v17, s12
	s_waitcnt lgkmcnt(0)
	;;#ASMSTART
	global_store_dwordx4 v[17:18], v[13:16] off	
s_waitcnt vmcnt(0)
	;;#ASMEND
.LBB328_44:
	s_or_b32 exec_lo, exec_lo, s11
	v_xad_u32 v25, v42, -1, s15
	s_mov_b32 s12, 0
	s_mov_b32 s11, exec_lo
	s_delay_alu instid0(VALU_DEP_1) | instskip(NEXT) | instid1(VALU_DEP_1)
	v_add_nc_u32_e32 v15, 32, v25
	v_lshlrev_b64 v[15:16], 4, v[15:16]
	s_delay_alu instid0(VALU_DEP_1) | instskip(NEXT) | instid1(VALU_DEP_2)
	v_add_co_u32 v15, vcc_lo, s8, v15
	v_add_co_ci_u32_e32 v16, vcc_lo, s9, v16, vcc_lo
	;;#ASMSTART
	global_load_dwordx4 v[17:20], v[15:16] off glc	
s_waitcnt vmcnt(0)
	;;#ASMEND
	v_and_b32_e32 v20, 0xff, v18
	v_and_b32_e32 v26, 0xff00, v18
	v_or3_b32 v17, v17, 0, 0
	v_and_b32_e32 v27, 0xff000000, v18
	v_and_b32_e32 v18, 0xff0000, v18
	s_delay_alu instid0(VALU_DEP_4) | instskip(SKIP_2) | instid1(VALU_DEP_3)
	v_or3_b32 v20, 0, v20, v26
	v_and_b32_e32 v26, 0xff, v19
	v_or3_b32 v17, v17, 0, 0
	v_or3_b32 v18, v20, v18, v27
	s_delay_alu instid0(VALU_DEP_3)
	v_cmpx_eq_u16_e32 0, v26
	s_cbranch_execz .LBB328_47
.LBB328_45:                             ; =>This Inner Loop Header: Depth=1
	;;#ASMSTART
	global_load_dwordx4 v[17:20], v[15:16] off glc	
s_waitcnt vmcnt(0)
	;;#ASMEND
	v_and_b32_e32 v20, 0xff, v19
	s_delay_alu instid0(VALU_DEP_1) | instskip(SKIP_1) | instid1(SALU_CYCLE_1)
	v_cmp_ne_u16_e32 vcc_lo, 0, v20
	s_or_b32 s12, vcc_lo, s12
	s_and_not1_b32 exec_lo, exec_lo, s12
	s_cbranch_execnz .LBB328_45
; %bb.46:
	s_or_b32 exec_lo, exec_lo, s12
.LBB328_47:
	s_delay_alu instid0(SALU_CYCLE_1)
	s_or_b32 exec_lo, exec_lo, s11
	v_cmp_ne_u32_e32 vcc_lo, 31, v42
	v_and_b32_e32 v16, 0xff, v19
	v_lshlrev_b32_e64 v46, v42, -1
	s_mov_b32 s11, exec_lo
	v_add_co_ci_u32_e32 v15, vcc_lo, 0, v42, vcc_lo
	s_delay_alu instid0(VALU_DEP_3) | instskip(NEXT) | instid1(VALU_DEP_2)
	v_cmp_eq_u16_e32 vcc_lo, 2, v16
	v_dual_mov_b32 v16, v17 :: v_dual_lshlrev_b32 v45, 2, v15
	v_and_or_b32 v15, vcc_lo, v46, 0x80000000
	ds_bpermute_b32 v26, v45, v17
	ds_bpermute_b32 v20, v45, v18
	v_ctz_i32_b32_e32 v15, v15
	s_delay_alu instid0(VALU_DEP_1)
	v_cmpx_lt_u32_e64 v42, v15
	s_cbranch_execz .LBB328_49
; %bb.48:
	s_waitcnt lgkmcnt(1)
	v_add_co_u32 v16, vcc_lo, v17, v26
	v_add_co_ci_u32_e32 v18, vcc_lo, 0, v18, vcc_lo
	s_delay_alu instid0(VALU_DEP_2) | instskip(SKIP_1) | instid1(VALU_DEP_2)
	v_add_co_u32 v17, vcc_lo, 0, v16
	s_waitcnt lgkmcnt(0)
	v_add_co_ci_u32_e32 v18, vcc_lo, v20, v18, vcc_lo
.LBB328_49:
	s_or_b32 exec_lo, exec_lo, s11
	v_cmp_gt_u32_e32 vcc_lo, 30, v42
	v_add_nc_u32_e32 v48, 2, v42
	s_mov_b32 s11, exec_lo
	s_waitcnt lgkmcnt(0)
	v_cndmask_b32_e64 v20, 0, 1, vcc_lo
	s_delay_alu instid0(VALU_DEP_1) | instskip(NEXT) | instid1(VALU_DEP_1)
	v_lshlrev_b32_e32 v20, 1, v20
	v_add_lshl_u32 v47, v20, v42, 2
	ds_bpermute_b32 v26, v47, v16
	ds_bpermute_b32 v20, v47, v18
	v_cmpx_le_u32_e64 v48, v15
	s_cbranch_execz .LBB328_51
; %bb.50:
	s_waitcnt lgkmcnt(1)
	v_add_co_u32 v16, vcc_lo, v17, v26
	v_add_co_ci_u32_e32 v18, vcc_lo, 0, v18, vcc_lo
	s_delay_alu instid0(VALU_DEP_2) | instskip(SKIP_1) | instid1(VALU_DEP_2)
	v_add_co_u32 v17, vcc_lo, 0, v16
	s_waitcnt lgkmcnt(0)
	v_add_co_ci_u32_e32 v18, vcc_lo, v20, v18, vcc_lo
.LBB328_51:
	s_or_b32 exec_lo, exec_lo, s11
	v_cmp_gt_u32_e32 vcc_lo, 28, v42
	v_add_nc_u32_e32 v50, 4, v42
	s_mov_b32 s11, exec_lo
	s_waitcnt lgkmcnt(0)
	v_cndmask_b32_e64 v20, 0, 1, vcc_lo
	s_delay_alu instid0(VALU_DEP_1) | instskip(NEXT) | instid1(VALU_DEP_1)
	v_lshlrev_b32_e32 v20, 2, v20
	v_add_lshl_u32 v49, v20, v42, 2
	ds_bpermute_b32 v26, v49, v16
	ds_bpermute_b32 v20, v49, v18
	v_cmpx_le_u32_e64 v50, v15
	;; [unrolled: 22-line block ×4, first 2 shown]
	s_cbranch_execz .LBB328_57
; %bb.56:
	s_waitcnt lgkmcnt(1)
	v_add_co_u32 v15, vcc_lo, v17, v20
	v_add_co_ci_u32_e32 v18, vcc_lo, 0, v18, vcc_lo
	s_delay_alu instid0(VALU_DEP_2) | instskip(SKIP_1) | instid1(VALU_DEP_2)
	v_add_co_u32 v17, vcc_lo, v15, 0
	s_waitcnt lgkmcnt(0)
	v_add_co_ci_u32_e32 v18, vcc_lo, v18, v16, vcc_lo
.LBB328_57:
	s_or_b32 exec_lo, exec_lo, s11
	v_mov_b32_e32 v26, 0
	s_branch .LBB328_59
.LBB328_58:                             ;   in Loop: Header=BB328_59 Depth=1
	s_or_b32 exec_lo, exec_lo, s11
	v_add_co_u32 v17, vcc_lo, v17, v15
	v_subrev_nc_u32_e32 v25, 32, v25
	v_add_co_ci_u32_e32 v18, vcc_lo, v18, v16, vcc_lo
.LBB328_59:                             ; =>This Loop Header: Depth=1
                                        ;     Child Loop BB328_62 Depth 2
	v_and_b32_e32 v15, 0xff, v19
	s_delay_alu instid0(VALU_DEP_1) | instskip(SKIP_2) | instid1(VALU_DEP_1)
	v_cmp_ne_u16_e32 vcc_lo, 2, v15
	v_cndmask_b32_e64 v15, 0, 1, vcc_lo
	;;#ASMSTART
	;;#ASMEND
	v_cmp_ne_u32_e32 vcc_lo, 0, v15
	s_waitcnt lgkmcnt(0)
	v_dual_mov_b32 v15, v17 :: v_dual_mov_b32 v16, v18
	s_cmp_lg_u32 vcc_lo, exec_lo
	s_cbranch_scc1 .LBB328_74
; %bb.60:                               ;   in Loop: Header=BB328_59 Depth=1
	v_lshlrev_b64 v[17:18], 4, v[25:26]
	s_mov_b32 s11, exec_lo
	s_delay_alu instid0(VALU_DEP_1) | instskip(NEXT) | instid1(VALU_DEP_2)
	v_add_co_u32 v27, vcc_lo, s8, v17
	v_add_co_ci_u32_e32 v28, vcc_lo, s9, v18, vcc_lo
	;;#ASMSTART
	global_load_dwordx4 v[17:20], v[27:28] off glc	
s_waitcnt vmcnt(0)
	;;#ASMEND
	v_and_b32_e32 v20, 0xff, v18
	v_and_b32_e32 v55, 0xff00, v18
	v_or3_b32 v17, v17, 0, 0
	v_and_b32_e32 v56, 0xff000000, v18
	v_and_b32_e32 v18, 0xff0000, v18
	s_delay_alu instid0(VALU_DEP_4) | instskip(SKIP_2) | instid1(VALU_DEP_3)
	v_or3_b32 v20, 0, v20, v55
	v_and_b32_e32 v55, 0xff, v19
	v_or3_b32 v17, v17, 0, 0
	v_or3_b32 v18, v20, v18, v56
	s_delay_alu instid0(VALU_DEP_3)
	v_cmpx_eq_u16_e32 0, v55
	s_cbranch_execz .LBB328_64
; %bb.61:                               ;   in Loop: Header=BB328_59 Depth=1
	s_mov_b32 s12, 0
.LBB328_62:                             ;   Parent Loop BB328_59 Depth=1
                                        ; =>  This Inner Loop Header: Depth=2
	;;#ASMSTART
	global_load_dwordx4 v[17:20], v[27:28] off glc	
s_waitcnt vmcnt(0)
	;;#ASMEND
	v_and_b32_e32 v20, 0xff, v19
	s_delay_alu instid0(VALU_DEP_1) | instskip(SKIP_1) | instid1(SALU_CYCLE_1)
	v_cmp_ne_u16_e32 vcc_lo, 0, v20
	s_or_b32 s12, vcc_lo, s12
	s_and_not1_b32 exec_lo, exec_lo, s12
	s_cbranch_execnz .LBB328_62
; %bb.63:                               ;   in Loop: Header=BB328_59 Depth=1
	s_or_b32 exec_lo, exec_lo, s12
.LBB328_64:                             ;   in Loop: Header=BB328_59 Depth=1
	s_delay_alu instid0(SALU_CYCLE_1)
	s_or_b32 exec_lo, exec_lo, s11
	v_dual_mov_b32 v27, v17 :: v_dual_and_b32 v20, 0xff, v19
	ds_bpermute_b32 v55, v45, v17
	ds_bpermute_b32 v28, v45, v18
	s_mov_b32 s11, exec_lo
	v_cmp_eq_u16_e32 vcc_lo, 2, v20
	v_and_or_b32 v20, vcc_lo, v46, 0x80000000
	s_delay_alu instid0(VALU_DEP_1) | instskip(NEXT) | instid1(VALU_DEP_1)
	v_ctz_i32_b32_e32 v20, v20
	v_cmpx_lt_u32_e64 v42, v20
	s_cbranch_execz .LBB328_66
; %bb.65:                               ;   in Loop: Header=BB328_59 Depth=1
	s_waitcnt lgkmcnt(1)
	v_add_co_u32 v27, vcc_lo, v17, v55
	v_add_co_ci_u32_e32 v18, vcc_lo, 0, v18, vcc_lo
	s_delay_alu instid0(VALU_DEP_2) | instskip(SKIP_1) | instid1(VALU_DEP_2)
	v_add_co_u32 v17, vcc_lo, 0, v27
	s_waitcnt lgkmcnt(0)
	v_add_co_ci_u32_e32 v18, vcc_lo, v28, v18, vcc_lo
.LBB328_66:                             ;   in Loop: Header=BB328_59 Depth=1
	s_or_b32 exec_lo, exec_lo, s11
	s_waitcnt lgkmcnt(1)
	ds_bpermute_b32 v55, v47, v27
	s_waitcnt lgkmcnt(1)
	ds_bpermute_b32 v28, v47, v18
	s_mov_b32 s11, exec_lo
	v_cmpx_le_u32_e64 v48, v20
	s_cbranch_execz .LBB328_68
; %bb.67:                               ;   in Loop: Header=BB328_59 Depth=1
	s_waitcnt lgkmcnt(1)
	v_add_co_u32 v27, vcc_lo, v17, v55
	v_add_co_ci_u32_e32 v18, vcc_lo, 0, v18, vcc_lo
	s_delay_alu instid0(VALU_DEP_2) | instskip(SKIP_1) | instid1(VALU_DEP_2)
	v_add_co_u32 v17, vcc_lo, 0, v27
	s_waitcnt lgkmcnt(0)
	v_add_co_ci_u32_e32 v18, vcc_lo, v28, v18, vcc_lo
.LBB328_68:                             ;   in Loop: Header=BB328_59 Depth=1
	s_or_b32 exec_lo, exec_lo, s11
	s_waitcnt lgkmcnt(1)
	ds_bpermute_b32 v55, v49, v27
	s_waitcnt lgkmcnt(1)
	ds_bpermute_b32 v28, v49, v18
	s_mov_b32 s11, exec_lo
	v_cmpx_le_u32_e64 v50, v20
	;; [unrolled: 17-line block ×3, first 2 shown]
	s_cbranch_execz .LBB328_72
; %bb.71:                               ;   in Loop: Header=BB328_59 Depth=1
	s_waitcnt lgkmcnt(1)
	v_add_co_u32 v27, vcc_lo, v17, v55
	v_add_co_ci_u32_e32 v18, vcc_lo, 0, v18, vcc_lo
	s_delay_alu instid0(VALU_DEP_2) | instskip(SKIP_1) | instid1(VALU_DEP_2)
	v_add_co_u32 v17, vcc_lo, 0, v27
	s_waitcnt lgkmcnt(0)
	v_add_co_ci_u32_e32 v18, vcc_lo, v28, v18, vcc_lo
.LBB328_72:                             ;   in Loop: Header=BB328_59 Depth=1
	s_or_b32 exec_lo, exec_lo, s11
	s_waitcnt lgkmcnt(0)
	ds_bpermute_b32 v28, v53, v27
	ds_bpermute_b32 v27, v53, v18
	s_mov_b32 s11, exec_lo
	v_cmpx_le_u32_e64 v54, v20
	s_cbranch_execz .LBB328_58
; %bb.73:                               ;   in Loop: Header=BB328_59 Depth=1
	s_waitcnt lgkmcnt(1)
	v_add_co_u32 v17, vcc_lo, v17, v28
	v_add_co_ci_u32_e32 v18, vcc_lo, 0, v18, vcc_lo
	s_delay_alu instid0(VALU_DEP_2) | instskip(SKIP_1) | instid1(VALU_DEP_2)
	v_add_co_u32 v17, vcc_lo, v17, 0
	s_waitcnt lgkmcnt(0)
	v_add_co_ci_u32_e32 v18, vcc_lo, v18, v27, vcc_lo
	s_branch .LBB328_58
.LBB328_74:                             ;   in Loop: Header=BB328_59 Depth=1
                                        ; implicit-def: $vgpr17_vgpr18
	s_cbranch_execz .LBB328_59
; %bb.75:
	s_and_saveexec_b32 s11, s3
	s_cbranch_execz .LBB328_77
; %bb.76:
	s_add_i32 s12, s15, 32
	s_mov_b32 s13, 0
	v_add_co_u32 v17, vcc_lo, v15, v13
	s_lshl_b64 s[12:13], s[12:13], 4
	v_dual_mov_b32 v19, 2 :: v_dual_mov_b32 v20, 0
	s_add_u32 s12, s8, s12
	s_addc_u32 s13, s9, s13
	v_add_co_ci_u32_e32 v18, vcc_lo, v16, v14, vcc_lo
	v_dual_mov_b32 v26, s13 :: v_dual_mov_b32 v25, s12
	;;#ASMSTART
	global_store_dwordx4 v[25:26], v[17:20] off	
s_waitcnt vmcnt(0)
	;;#ASMEND
	ds_store_b128 v20, v[13:16] offset:6144
.LBB328_77:
	s_or_b32 exec_lo, exec_lo, s11
	v_cmp_eq_u32_e32 vcc_lo, 0, v0
	s_and_b32 exec_lo, exec_lo, vcc_lo
	s_cbranch_execz .LBB328_79
; %bb.78:
	v_mov_b32_e32 v13, 0
	ds_store_b64 v13, v[15:16] offset:24
.LBB328_79:
	s_or_b32 exec_lo, exec_lo, s10
	s_waitcnt lgkmcnt(1)
	v_cndmask_b32_e64 v16, v29, v23, s3
	v_cmp_ne_u32_e32 vcc_lo, 0, v0
	v_mov_b32_e32 v15, 0
	s_waitcnt lgkmcnt(0)
	s_barrier
	buffer_gl0_inv
	v_cndmask_b32_e32 v16, 0, v16, vcc_lo
	ds_load_b64 v[13:14], v15 offset:24
	v_cndmask_b32_e64 v17, v30, v24, s3
	s_waitcnt lgkmcnt(0)
	s_barrier
	buffer_gl0_inv
	v_cndmask_b32_e32 v17, 0, v17, vcc_lo
	v_add_co_u32 v29, vcc_lo, v13, v16
	s_delay_alu instid0(VALU_DEP_2) | instskip(SKIP_3) | instid1(VALU_DEP_2)
	v_add_co_ci_u32_e32 v30, vcc_lo, v14, v17, vcc_lo
	ds_load_b128 v[13:16], v15 offset:6144
	v_add_co_u32 v27, vcc_lo, v29, v41
	v_add_co_ci_u32_e32 v28, vcc_lo, 0, v30, vcc_lo
	v_add_co_u32 v25, vcc_lo, v27, v40
	s_delay_alu instid0(VALU_DEP_2) | instskip(NEXT) | instid1(VALU_DEP_2)
	v_add_co_ci_u32_e32 v26, vcc_lo, 0, v28, vcc_lo
	v_add_co_u32 v23, vcc_lo, v25, v39
	s_delay_alu instid0(VALU_DEP_2) | instskip(NEXT) | instid1(VALU_DEP_2)
	v_add_co_ci_u32_e32 v24, vcc_lo, 0, v26, vcc_lo
	v_add_co_u32 v19, vcc_lo, v23, v38
	s_delay_alu instid0(VALU_DEP_2) | instskip(NEXT) | instid1(VALU_DEP_2)
	v_add_co_ci_u32_e32 v20, vcc_lo, 0, v24, vcc_lo
	v_add_co_u32 v17, vcc_lo, v19, v37
	s_delay_alu instid0(VALU_DEP_2)
	v_add_co_ci_u32_e32 v18, vcc_lo, 0, v20, vcc_lo
	s_load_b64 s[10:11], s[0:1], 0x30
.LBB328_80:
	s_waitcnt lgkmcnt(0)
	v_cmp_gt_u64_e32 vcc_lo, 0x81, v[13:14]
	s_mov_b32 s0, -1
	s_cbranch_vccnz .LBB328_108
.LBB328_81:
	s_and_b32 vcc_lo, exec_lo, s0
	s_cbranch_vccnz .LBB328_127
.LBB328_82:
	v_cmp_eq_u32_e32 vcc_lo, 0, v0
	s_and_b32 s0, vcc_lo, s14
	s_delay_alu instid0(SALU_CYCLE_1)
	s_and_saveexec_b32 s1, s0
	s_cbranch_execnz .LBB328_143
.LBB328_83:
	s_nop 0
	s_sendmsg sendmsg(MSG_DEALLOC_VGPRS)
	s_endpgm
.LBB328_84:
                                        ; kill: def $vgpr13_vgpr14 killed $sgpr0_sgpr1 killed $exec
                                        ; implicit-def: $vgpr17_vgpr18
                                        ; implicit-def: $vgpr19_vgpr20
                                        ; implicit-def: $vgpr23_vgpr24
                                        ; implicit-def: $vgpr25_vgpr26
                                        ; implicit-def: $vgpr27_vgpr28
                                        ; implicit-def: $vgpr29_vgpr30
                                        ; implicit-def: $vgpr15_vgpr16
	s_load_b64 s[10:11], s[0:1], 0x30
	s_and_b32 vcc_lo, exec_lo, s3
	s_cbranch_vccz .LBB328_80
; %bb.85:
	s_waitcnt lgkmcnt(0)
	v_dual_mov_b32 v14, 0 :: v_dual_mov_b32 v15, v21
	v_mov_b32_dpp v16, v21 row_shr:1 row_mask:0xf bank_mask:0xf
	s_delay_alu instid0(VALU_DEP_2)
	v_mov_b32_dpp v13, v14 row_shr:1 row_mask:0xf bank_mask:0xf
	s_and_saveexec_b32 s0, s2
; %bb.86:
	s_delay_alu instid0(VALU_DEP_2) | instskip(SKIP_1) | instid1(VALU_DEP_2)
	v_add_co_u32 v15, vcc_lo, v21, v16
	v_add_co_ci_u32_e32 v14, vcc_lo, 0, v22, vcc_lo
	v_add_co_u32 v21, vcc_lo, 0, v15
	s_delay_alu instid0(VALU_DEP_2) | instskip(NEXT) | instid1(VALU_DEP_1)
	v_add_co_ci_u32_e32 v22, vcc_lo, v13, v14, vcc_lo
	v_mov_b32_e32 v14, v22
; %bb.87:
	s_or_b32 exec_lo, exec_lo, s0
	v_mov_b32_dpp v13, v15 row_shr:2 row_mask:0xf bank_mask:0xf
	s_delay_alu instid0(VALU_DEP_2)
	v_mov_b32_dpp v16, v14 row_shr:2 row_mask:0xf bank_mask:0xf
	s_mov_b32 s0, exec_lo
	v_cmpx_lt_u32_e32 1, v44
; %bb.88:
	s_delay_alu instid0(VALU_DEP_3) | instskip(SKIP_1) | instid1(VALU_DEP_2)
	v_add_co_u32 v15, vcc_lo, v21, v13
	v_add_co_ci_u32_e32 v14, vcc_lo, 0, v22, vcc_lo
	v_add_co_u32 v13, vcc_lo, 0, v15
	s_delay_alu instid0(VALU_DEP_2) | instskip(NEXT) | instid1(VALU_DEP_1)
	v_add_co_ci_u32_e32 v14, vcc_lo, v16, v14, vcc_lo
	v_dual_mov_b32 v22, v14 :: v_dual_mov_b32 v21, v13
; %bb.89:
	s_or_b32 exec_lo, exec_lo, s0
	v_mov_b32_dpp v13, v15 row_shr:4 row_mask:0xf bank_mask:0xf
	v_mov_b32_dpp v16, v14 row_shr:4 row_mask:0xf bank_mask:0xf
	s_mov_b32 s0, exec_lo
	v_cmpx_lt_u32_e32 3, v44
; %bb.90:
	s_delay_alu instid0(VALU_DEP_3) | instskip(SKIP_1) | instid1(VALU_DEP_2)
	v_add_co_u32 v15, vcc_lo, v21, v13
	v_add_co_ci_u32_e32 v14, vcc_lo, 0, v22, vcc_lo
	v_add_co_u32 v13, vcc_lo, 0, v15
	s_delay_alu instid0(VALU_DEP_2) | instskip(NEXT) | instid1(VALU_DEP_1)
	v_add_co_ci_u32_e32 v14, vcc_lo, v16, v14, vcc_lo
	v_dual_mov_b32 v22, v14 :: v_dual_mov_b32 v21, v13
; %bb.91:
	s_or_b32 exec_lo, exec_lo, s0
	v_mov_b32_dpp v16, v15 row_shr:8 row_mask:0xf bank_mask:0xf
	v_mov_b32_dpp v13, v14 row_shr:8 row_mask:0xf bank_mask:0xf
	s_mov_b32 s0, exec_lo
	v_cmpx_lt_u32_e32 7, v44
; %bb.92:
	s_delay_alu instid0(VALU_DEP_3) | instskip(SKIP_1) | instid1(VALU_DEP_2)
	v_add_co_u32 v15, vcc_lo, v21, v16
	v_add_co_ci_u32_e32 v14, vcc_lo, 0, v22, vcc_lo
	v_add_co_u32 v21, vcc_lo, 0, v15
	s_delay_alu instid0(VALU_DEP_2) | instskip(NEXT) | instid1(VALU_DEP_1)
	v_add_co_ci_u32_e32 v22, vcc_lo, v13, v14, vcc_lo
	v_mov_b32_e32 v14, v22
; %bb.93:
	s_or_b32 exec_lo, exec_lo, s0
	ds_swizzle_b32 v15, v15 offset:swizzle(BROADCAST,32,15)
	ds_swizzle_b32 v13, v14 offset:swizzle(BROADCAST,32,15)
	v_and_b32_e32 v14, 16, v42
	s_mov_b32 s0, exec_lo
	s_delay_alu instid0(VALU_DEP_1)
	v_cmpx_ne_u32_e32 0, v14
	s_cbranch_execz .LBB328_95
; %bb.94:
	s_waitcnt lgkmcnt(1)
	v_add_co_u32 v14, vcc_lo, v21, v15
	v_add_co_ci_u32_e32 v15, vcc_lo, 0, v22, vcc_lo
	s_delay_alu instid0(VALU_DEP_2) | instskip(SKIP_1) | instid1(VALU_DEP_2)
	v_add_co_u32 v21, vcc_lo, v14, 0
	s_waitcnt lgkmcnt(0)
	v_add_co_ci_u32_e32 v22, vcc_lo, v15, v13, vcc_lo
.LBB328_95:
	s_or_b32 exec_lo, exec_lo, s0
	s_waitcnt lgkmcnt(0)
	v_or_b32_e32 v13, 31, v0
	v_lshrrev_b32_e32 v15, 5, v0
	s_mov_b32 s0, exec_lo
	s_delay_alu instid0(VALU_DEP_2)
	v_cmpx_eq_u32_e64 v13, v0
	s_cbranch_execz .LBB328_97
; %bb.96:
	s_delay_alu instid0(VALU_DEP_2)
	v_lshlrev_b32_e32 v13, 3, v15
	ds_store_b64 v13, v[21:22]
.LBB328_97:
	s_or_b32 exec_lo, exec_lo, s0
	s_delay_alu instid0(SALU_CYCLE_1)
	s_mov_b32 s0, exec_lo
	s_waitcnt lgkmcnt(0)
	s_barrier
	buffer_gl0_inv
	v_cmpx_gt_u32_e32 4, v0
	s_cbranch_execz .LBB328_103
; %bb.98:
	v_lshlrev_b32_e32 v13, 1, v0
	s_mov_b32 s1, exec_lo
	s_delay_alu instid0(VALU_DEP_1)
	v_add_nc_u32_e32 v16, v43, v13
	ds_load_b64 v[13:14], v16
	s_waitcnt lgkmcnt(0)
	v_dual_mov_b32 v18, v13 :: v_dual_and_b32 v17, 3, v42
	v_mov_b32_dpp v20, v13 row_shr:1 row_mask:0xf bank_mask:0xf
	v_mov_b32_dpp v19, v14 row_shr:1 row_mask:0xf bank_mask:0xf
	s_delay_alu instid0(VALU_DEP_3)
	v_cmpx_ne_u32_e32 0, v17
; %bb.99:
	s_delay_alu instid0(VALU_DEP_3) | instskip(SKIP_1) | instid1(VALU_DEP_2)
	v_add_co_u32 v18, vcc_lo, v13, v20
	v_add_co_ci_u32_e32 v14, vcc_lo, 0, v14, vcc_lo
	v_add_co_u32 v13, vcc_lo, 0, v18
	s_delay_alu instid0(VALU_DEP_2)
	v_add_co_ci_u32_e32 v14, vcc_lo, v19, v14, vcc_lo
; %bb.100:
	s_or_b32 exec_lo, exec_lo, s1
	v_mov_b32_dpp v19, v18 row_shr:2 row_mask:0xf bank_mask:0xf
	s_delay_alu instid0(VALU_DEP_2)
	v_mov_b32_dpp v18, v14 row_shr:2 row_mask:0xf bank_mask:0xf
	s_mov_b32 s1, exec_lo
	v_cmpx_lt_u32_e32 1, v17
; %bb.101:
	s_delay_alu instid0(VALU_DEP_3) | instskip(SKIP_1) | instid1(VALU_DEP_2)
	v_add_co_u32 v13, vcc_lo, v13, v19
	v_add_co_ci_u32_e32 v14, vcc_lo, 0, v14, vcc_lo
	v_add_co_u32 v13, vcc_lo, v13, 0
	s_delay_alu instid0(VALU_DEP_2)
	v_add_co_ci_u32_e32 v14, vcc_lo, v14, v18, vcc_lo
; %bb.102:
	s_or_b32 exec_lo, exec_lo, s1
	ds_store_b64 v16, v[13:14]
.LBB328_103:
	s_or_b32 exec_lo, exec_lo, s0
	v_mov_b32_e32 v17, 0
	v_mov_b32_e32 v18, 0
	s_mov_b32 s0, exec_lo
	s_waitcnt lgkmcnt(0)
	s_barrier
	buffer_gl0_inv
	v_cmpx_lt_u32_e32 31, v0
	s_cbranch_execz .LBB328_105
; %bb.104:
	v_lshl_add_u32 v13, v15, 3, -8
	ds_load_b64 v[17:18], v13
.LBB328_105:
	s_or_b32 exec_lo, exec_lo, s0
	v_dual_mov_b32 v16, 0 :: v_dual_add_nc_u32 v13, -1, v42
	s_delay_alu instid0(VALU_DEP_1) | instskip(SKIP_4) | instid1(VALU_DEP_3)
	v_cmp_gt_i32_e32 vcc_lo, 0, v13
	v_cndmask_b32_e32 v13, v13, v42, vcc_lo
	s_waitcnt lgkmcnt(0)
	v_add_co_u32 v14, vcc_lo, v17, v21
	v_add_co_ci_u32_e32 v15, vcc_lo, v18, v22, vcc_lo
	v_lshlrev_b32_e32 v13, 2, v13
	v_cmp_eq_u32_e32 vcc_lo, 0, v0
	ds_bpermute_b32 v19, v13, v14
	ds_bpermute_b32 v20, v13, v15
	ds_load_b64 v[13:14], v16 offset:24
	s_and_saveexec_b32 s0, vcc_lo
	s_cbranch_execz .LBB328_107
; %bb.106:
	s_add_u32 s2, s8, 0x200
	s_addc_u32 s3, s9, 0
	s_delay_alu instid0(SALU_CYCLE_1)
	v_dual_mov_b32 v15, 2 :: v_dual_mov_b32 v22, s3
	v_mov_b32_e32 v21, s2
	s_waitcnt lgkmcnt(0)
	;;#ASMSTART
	global_store_dwordx4 v[21:22], v[13:16] off	
s_waitcnt vmcnt(0)
	;;#ASMEND
.LBB328_107:
	s_or_b32 exec_lo, exec_lo, s0
	v_cmp_eq_u32_e64 s0, 0, v42
	s_waitcnt lgkmcnt(0)
	s_barrier
	buffer_gl0_inv
	v_cndmask_b32_e64 v15, v19, v17, s0
	v_cndmask_b32_e64 v16, v20, v18, s0
	s_delay_alu instid0(VALU_DEP_2) | instskip(NEXT) | instid1(VALU_DEP_2)
	v_cndmask_b32_e64 v29, v15, 0, vcc_lo
	v_cndmask_b32_e64 v30, v16, 0, vcc_lo
	v_mov_b32_e32 v15, 0
	v_mov_b32_e32 v16, 0
	s_delay_alu instid0(VALU_DEP_4) | instskip(NEXT) | instid1(VALU_DEP_4)
	v_add_co_u32 v27, vcc_lo, v29, v41
	v_add_co_ci_u32_e32 v28, vcc_lo, 0, v30, vcc_lo
	s_delay_alu instid0(VALU_DEP_2) | instskip(NEXT) | instid1(VALU_DEP_2)
	v_add_co_u32 v25, vcc_lo, v27, v40
	v_add_co_ci_u32_e32 v26, vcc_lo, 0, v28, vcc_lo
	s_delay_alu instid0(VALU_DEP_2) | instskip(NEXT) | instid1(VALU_DEP_2)
	v_add_co_u32 v23, vcc_lo, v25, v39
	v_add_co_ci_u32_e32 v24, vcc_lo, 0, v26, vcc_lo
	s_delay_alu instid0(VALU_DEP_2) | instskip(NEXT) | instid1(VALU_DEP_2)
	v_add_co_u32 v19, vcc_lo, v23, v38
	v_add_co_ci_u32_e32 v20, vcc_lo, 0, v24, vcc_lo
	s_delay_alu instid0(VALU_DEP_2) | instskip(NEXT) | instid1(VALU_DEP_2)
	v_add_co_u32 v17, vcc_lo, v19, v37
	v_add_co_ci_u32_e32 v18, vcc_lo, 0, v20, vcc_lo
	v_cmp_gt_u64_e32 vcc_lo, 0x81, v[13:14]
	s_mov_b32 s0, -1
	s_cbranch_vccz .LBB328_81
.LBB328_108:
	v_add_co_u32 v21, vcc_lo, v15, v13
	v_add_co_ci_u32_e32 v22, vcc_lo, v16, v14, vcc_lo
	s_delay_alu instid0(VALU_DEP_1) | instskip(SKIP_1) | instid1(SALU_CYCLE_1)
	v_cmp_lt_u64_e32 vcc_lo, v[29:30], v[21:22]
	s_or_b32 s1, s16, vcc_lo
	s_and_saveexec_b32 s0, s1
	s_cbranch_execz .LBB328_111
; %bb.109:
	v_and_b32_e32 v37, 1, v36
	s_delay_alu instid0(VALU_DEP_1)
	v_cmp_eq_u32_e32 vcc_lo, 1, v37
	s_and_b32 exec_lo, exec_lo, vcc_lo
	s_cbranch_execz .LBB328_111
; %bb.110:
	v_lshlrev_b64 v[37:38], 3, v[29:30]
	s_lshl_b64 s[2:3], s[6:7], 3
	s_delay_alu instid0(SALU_CYCLE_1) | instskip(SKIP_1) | instid1(VALU_DEP_1)
	s_add_u32 s1, s10, s2
	s_addc_u32 s2, s11, s3
	v_add_co_u32 v37, vcc_lo, s1, v37
	s_delay_alu instid0(VALU_DEP_2)
	v_add_co_ci_u32_e32 v38, vcc_lo, s2, v38, vcc_lo
	global_store_b64 v[37:38], v[9:10], off
.LBB328_111:
	s_or_b32 exec_lo, exec_lo, s0
	v_cmp_lt_u64_e32 vcc_lo, v[27:28], v[21:22]
	s_or_b32 s1, s16, vcc_lo
	s_delay_alu instid0(SALU_CYCLE_1)
	s_and_saveexec_b32 s0, s1
	s_cbranch_execz .LBB328_114
; %bb.112:
	v_and_b32_e32 v30, 1, v34
	s_delay_alu instid0(VALU_DEP_1)
	v_cmp_eq_u32_e32 vcc_lo, 1, v30
	s_and_b32 exec_lo, exec_lo, vcc_lo
	s_cbranch_execz .LBB328_114
; %bb.113:
	v_lshlrev_b64 v[37:38], 3, v[27:28]
	s_lshl_b64 s[2:3], s[6:7], 3
	s_delay_alu instid0(SALU_CYCLE_1) | instskip(SKIP_1) | instid1(VALU_DEP_1)
	s_add_u32 s1, s10, s2
	s_addc_u32 s2, s11, s3
	v_add_co_u32 v37, vcc_lo, s1, v37
	s_delay_alu instid0(VALU_DEP_2)
	v_add_co_ci_u32_e32 v38, vcc_lo, s2, v38, vcc_lo
	global_store_b64 v[37:38], v[11:12], off
.LBB328_114:
	s_or_b32 exec_lo, exec_lo, s0
	v_cmp_lt_u64_e32 vcc_lo, v[25:26], v[21:22]
	s_or_b32 s1, s16, vcc_lo
	s_delay_alu instid0(SALU_CYCLE_1)
	;; [unrolled: 23-line block ×5, first 2 shown]
	s_and_saveexec_b32 s0, s1
	s_cbranch_execz .LBB328_126
; %bb.124:
	v_and_b32_e32 v20, 1, v32
	s_delay_alu instid0(VALU_DEP_1)
	v_cmp_eq_u32_e32 vcc_lo, 1, v20
	s_and_b32 exec_lo, exec_lo, vcc_lo
	s_cbranch_execz .LBB328_126
; %bb.125:
	v_lshlrev_b64 v[20:21], 3, v[17:18]
	s_lshl_b64 s[2:3], s[6:7], 3
	s_delay_alu instid0(SALU_CYCLE_1) | instskip(SKIP_1) | instid1(VALU_DEP_1)
	s_add_u32 s1, s10, s2
	s_addc_u32 s2, s11, s3
	v_add_co_u32 v20, vcc_lo, s1, v20
	s_delay_alu instid0(VALU_DEP_2)
	v_add_co_ci_u32_e32 v21, vcc_lo, s2, v21, vcc_lo
	global_store_b64 v[20:21], v[3:4], off
.LBB328_126:
	s_or_b32 exec_lo, exec_lo, s0
	s_branch .LBB328_82
.LBB328_127:
	v_and_b32_e32 v18, 1, v36
	s_mov_b32 s0, exec_lo
	s_delay_alu instid0(VALU_DEP_1)
	v_cmpx_eq_u32_e32 1, v18
	s_cbranch_execz .LBB328_129
; %bb.128:
	v_sub_nc_u32_e32 v18, v29, v15
	s_delay_alu instid0(VALU_DEP_1)
	v_lshlrev_b32_e32 v18, 3, v18
	ds_store_b64 v18, v[9:10]
.LBB328_129:
	s_or_b32 exec_lo, exec_lo, s0
	v_and_b32_e32 v9, 1, v34
	s_mov_b32 s0, exec_lo
	s_delay_alu instid0(VALU_DEP_1)
	v_cmpx_eq_u32_e32 1, v9
	s_cbranch_execz .LBB328_131
; %bb.130:
	v_sub_nc_u32_e32 v9, v27, v15
	s_delay_alu instid0(VALU_DEP_1)
	v_lshlrev_b32_e32 v9, 3, v9
	ds_store_b64 v9, v[11:12]
.LBB328_131:
	s_or_b32 exec_lo, exec_lo, s0
	;; [unrolled: 12-line block ×6, first 2 shown]
	v_mov_b32_e32 v3, 0
	s_mov_b32 s1, exec_lo
	s_waitcnt lgkmcnt(0)
	s_waitcnt_vscnt null, 0x0
	s_barrier
	buffer_gl0_inv
	v_mov_b32_e32 v1, v3
	s_delay_alu instid0(VALU_DEP_1)
	v_cmpx_gt_u64_e64 v[13:14], v[0:1]
	s_cbranch_execz .LBB328_142
; %bb.140:
	v_lshlrev_b64 v[4:5], 3, v[15:16]
	s_lshl_b64 s[2:3], s[6:7], 3
	v_or_b32_e32 v2, 0x80, v0
	s_delay_alu instid0(VALU_DEP_2) | instskip(NEXT) | instid1(VALU_DEP_3)
	v_add_co_u32 v4, vcc_lo, s10, v4
	v_add_co_ci_u32_e32 v5, vcc_lo, s11, v5, vcc_lo
	s_delay_alu instid0(VALU_DEP_2) | instskip(NEXT) | instid1(VALU_DEP_2)
	v_add_co_u32 v6, vcc_lo, v4, s2
	v_add_co_ci_u32_e32 v7, vcc_lo, s3, v5, vcc_lo
	v_dual_mov_b32 v5, v1 :: v_dual_mov_b32 v4, v0
	s_mov_b32 s2, 0
	.p2align	6
.LBB328_141:                            ; =>This Inner Loop Header: Depth=1
	s_delay_alu instid0(VALU_DEP_1) | instskip(NEXT) | instid1(VALU_DEP_2)
	v_lshlrev_b32_e32 v1, 3, v4
	v_lshlrev_b64 v[10:11], 3, v[4:5]
	v_dual_mov_b32 v5, v3 :: v_dual_mov_b32 v4, v2
	v_cmp_le_u64_e32 vcc_lo, v[13:14], v[2:3]
	v_add_nc_u32_e32 v2, 0x80, v2
	ds_load_b64 v[8:9], v1
	v_add_co_u32 v10, s0, v6, v10
	s_delay_alu instid0(VALU_DEP_1)
	v_add_co_ci_u32_e64 v11, s0, v7, v11, s0
	s_or_b32 s2, vcc_lo, s2
	s_waitcnt lgkmcnt(0)
	global_store_b64 v[10:11], v[8:9], off
	s_and_not1_b32 exec_lo, exec_lo, s2
	s_cbranch_execnz .LBB328_141
.LBB328_142:
	s_or_b32 exec_lo, exec_lo, s1
	v_cmp_eq_u32_e32 vcc_lo, 0, v0
	s_and_b32 s0, vcc_lo, s14
	s_delay_alu instid0(SALU_CYCLE_1)
	s_and_saveexec_b32 s1, s0
	s_cbranch_execz .LBB328_83
.LBB328_143:
	v_add_co_u32 v0, vcc_lo, v15, v13
	v_add_co_ci_u32_e32 v1, vcc_lo, v16, v14, vcc_lo
	v_mov_b32_e32 v2, 0
	s_delay_alu instid0(VALU_DEP_3) | instskip(NEXT) | instid1(VALU_DEP_3)
	v_add_co_u32 v0, vcc_lo, v0, s6
	v_add_co_ci_u32_e32 v1, vcc_lo, s7, v1, vcc_lo
	global_store_b64 v2, v[0:1], s[4:5]
	s_nop 0
	s_sendmsg sendmsg(MSG_DEALLOC_VGPRS)
	s_endpgm
	.section	.rodata,"a",@progbits
	.p2align	6, 0x0
	.amdhsa_kernel _ZN7rocprim17ROCPRIM_400000_NS6detail17trampoline_kernelINS0_14default_configENS1_25partition_config_selectorILNS1_17partition_subalgoE5ElNS0_10empty_typeEbEEZZNS1_14partition_implILS5_5ELb0ES3_mN6hipcub16HIPCUB_304000_NS21CountingInputIteratorIllEEPS6_NSA_22TransformInputIteratorIbN2at6native12_GLOBAL__N_19NonZeroOpIsEEPKslEENS0_5tupleIJPlS6_EEENSN_IJSD_SD_EEES6_PiJS6_EEE10hipError_tPvRmT3_T4_T5_T6_T7_T9_mT8_P12ihipStream_tbDpT10_ENKUlT_T0_E_clISt17integral_constantIbLb0EES1B_EEDaS16_S17_EUlS16_E_NS1_11comp_targetILNS1_3genE9ELNS1_11target_archE1100ELNS1_3gpuE3ELNS1_3repE0EEENS1_30default_config_static_selectorELNS0_4arch9wavefront6targetE0EEEvT1_
		.amdhsa_group_segment_fixed_size 6160
		.amdhsa_private_segment_fixed_size 0
		.amdhsa_kernarg_size 120
		.amdhsa_user_sgpr_count 15
		.amdhsa_user_sgpr_dispatch_ptr 0
		.amdhsa_user_sgpr_queue_ptr 0
		.amdhsa_user_sgpr_kernarg_segment_ptr 1
		.amdhsa_user_sgpr_dispatch_id 0
		.amdhsa_user_sgpr_private_segment_size 0
		.amdhsa_wavefront_size32 1
		.amdhsa_uses_dynamic_stack 0
		.amdhsa_enable_private_segment 0
		.amdhsa_system_sgpr_workgroup_id_x 1
		.amdhsa_system_sgpr_workgroup_id_y 0
		.amdhsa_system_sgpr_workgroup_id_z 0
		.amdhsa_system_sgpr_workgroup_info 0
		.amdhsa_system_vgpr_workitem_id 0
		.amdhsa_next_free_vgpr 57
		.amdhsa_next_free_sgpr 21
		.amdhsa_reserve_vcc 1
		.amdhsa_float_round_mode_32 0
		.amdhsa_float_round_mode_16_64 0
		.amdhsa_float_denorm_mode_32 3
		.amdhsa_float_denorm_mode_16_64 3
		.amdhsa_dx10_clamp 1
		.amdhsa_ieee_mode 1
		.amdhsa_fp16_overflow 0
		.amdhsa_workgroup_processor_mode 1
		.amdhsa_memory_ordered 1
		.amdhsa_forward_progress 0
		.amdhsa_shared_vgpr_count 0
		.amdhsa_exception_fp_ieee_invalid_op 0
		.amdhsa_exception_fp_denorm_src 0
		.amdhsa_exception_fp_ieee_div_zero 0
		.amdhsa_exception_fp_ieee_overflow 0
		.amdhsa_exception_fp_ieee_underflow 0
		.amdhsa_exception_fp_ieee_inexact 0
		.amdhsa_exception_int_div_zero 0
	.end_amdhsa_kernel
	.section	.text._ZN7rocprim17ROCPRIM_400000_NS6detail17trampoline_kernelINS0_14default_configENS1_25partition_config_selectorILNS1_17partition_subalgoE5ElNS0_10empty_typeEbEEZZNS1_14partition_implILS5_5ELb0ES3_mN6hipcub16HIPCUB_304000_NS21CountingInputIteratorIllEEPS6_NSA_22TransformInputIteratorIbN2at6native12_GLOBAL__N_19NonZeroOpIsEEPKslEENS0_5tupleIJPlS6_EEENSN_IJSD_SD_EEES6_PiJS6_EEE10hipError_tPvRmT3_T4_T5_T6_T7_T9_mT8_P12ihipStream_tbDpT10_ENKUlT_T0_E_clISt17integral_constantIbLb0EES1B_EEDaS16_S17_EUlS16_E_NS1_11comp_targetILNS1_3genE9ELNS1_11target_archE1100ELNS1_3gpuE3ELNS1_3repE0EEENS1_30default_config_static_selectorELNS0_4arch9wavefront6targetE0EEEvT1_,"axG",@progbits,_ZN7rocprim17ROCPRIM_400000_NS6detail17trampoline_kernelINS0_14default_configENS1_25partition_config_selectorILNS1_17partition_subalgoE5ElNS0_10empty_typeEbEEZZNS1_14partition_implILS5_5ELb0ES3_mN6hipcub16HIPCUB_304000_NS21CountingInputIteratorIllEEPS6_NSA_22TransformInputIteratorIbN2at6native12_GLOBAL__N_19NonZeroOpIsEEPKslEENS0_5tupleIJPlS6_EEENSN_IJSD_SD_EEES6_PiJS6_EEE10hipError_tPvRmT3_T4_T5_T6_T7_T9_mT8_P12ihipStream_tbDpT10_ENKUlT_T0_E_clISt17integral_constantIbLb0EES1B_EEDaS16_S17_EUlS16_E_NS1_11comp_targetILNS1_3genE9ELNS1_11target_archE1100ELNS1_3gpuE3ELNS1_3repE0EEENS1_30default_config_static_selectorELNS0_4arch9wavefront6targetE0EEEvT1_,comdat
.Lfunc_end328:
	.size	_ZN7rocprim17ROCPRIM_400000_NS6detail17trampoline_kernelINS0_14default_configENS1_25partition_config_selectorILNS1_17partition_subalgoE5ElNS0_10empty_typeEbEEZZNS1_14partition_implILS5_5ELb0ES3_mN6hipcub16HIPCUB_304000_NS21CountingInputIteratorIllEEPS6_NSA_22TransformInputIteratorIbN2at6native12_GLOBAL__N_19NonZeroOpIsEEPKslEENS0_5tupleIJPlS6_EEENSN_IJSD_SD_EEES6_PiJS6_EEE10hipError_tPvRmT3_T4_T5_T6_T7_T9_mT8_P12ihipStream_tbDpT10_ENKUlT_T0_E_clISt17integral_constantIbLb0EES1B_EEDaS16_S17_EUlS16_E_NS1_11comp_targetILNS1_3genE9ELNS1_11target_archE1100ELNS1_3gpuE3ELNS1_3repE0EEENS1_30default_config_static_selectorELNS0_4arch9wavefront6targetE0EEEvT1_, .Lfunc_end328-_ZN7rocprim17ROCPRIM_400000_NS6detail17trampoline_kernelINS0_14default_configENS1_25partition_config_selectorILNS1_17partition_subalgoE5ElNS0_10empty_typeEbEEZZNS1_14partition_implILS5_5ELb0ES3_mN6hipcub16HIPCUB_304000_NS21CountingInputIteratorIllEEPS6_NSA_22TransformInputIteratorIbN2at6native12_GLOBAL__N_19NonZeroOpIsEEPKslEENS0_5tupleIJPlS6_EEENSN_IJSD_SD_EEES6_PiJS6_EEE10hipError_tPvRmT3_T4_T5_T6_T7_T9_mT8_P12ihipStream_tbDpT10_ENKUlT_T0_E_clISt17integral_constantIbLb0EES1B_EEDaS16_S17_EUlS16_E_NS1_11comp_targetILNS1_3genE9ELNS1_11target_archE1100ELNS1_3gpuE3ELNS1_3repE0EEENS1_30default_config_static_selectorELNS0_4arch9wavefront6targetE0EEEvT1_
                                        ; -- End function
	.section	.AMDGPU.csdata,"",@progbits
; Kernel info:
; codeLenInByte = 6376
; NumSgprs: 23
; NumVgprs: 57
; ScratchSize: 0
; MemoryBound: 0
; FloatMode: 240
; IeeeMode: 1
; LDSByteSize: 6160 bytes/workgroup (compile time only)
; SGPRBlocks: 2
; VGPRBlocks: 7
; NumSGPRsForWavesPerEU: 23
; NumVGPRsForWavesPerEU: 57
; Occupancy: 16
; WaveLimiterHint : 1
; COMPUTE_PGM_RSRC2:SCRATCH_EN: 0
; COMPUTE_PGM_RSRC2:USER_SGPR: 15
; COMPUTE_PGM_RSRC2:TRAP_HANDLER: 0
; COMPUTE_PGM_RSRC2:TGID_X_EN: 1
; COMPUTE_PGM_RSRC2:TGID_Y_EN: 0
; COMPUTE_PGM_RSRC2:TGID_Z_EN: 0
; COMPUTE_PGM_RSRC2:TIDIG_COMP_CNT: 0
	.section	.text._ZN7rocprim17ROCPRIM_400000_NS6detail17trampoline_kernelINS0_14default_configENS1_25partition_config_selectorILNS1_17partition_subalgoE5ElNS0_10empty_typeEbEEZZNS1_14partition_implILS5_5ELb0ES3_mN6hipcub16HIPCUB_304000_NS21CountingInputIteratorIllEEPS6_NSA_22TransformInputIteratorIbN2at6native12_GLOBAL__N_19NonZeroOpIsEEPKslEENS0_5tupleIJPlS6_EEENSN_IJSD_SD_EEES6_PiJS6_EEE10hipError_tPvRmT3_T4_T5_T6_T7_T9_mT8_P12ihipStream_tbDpT10_ENKUlT_T0_E_clISt17integral_constantIbLb0EES1B_EEDaS16_S17_EUlS16_E_NS1_11comp_targetILNS1_3genE8ELNS1_11target_archE1030ELNS1_3gpuE2ELNS1_3repE0EEENS1_30default_config_static_selectorELNS0_4arch9wavefront6targetE0EEEvT1_,"axG",@progbits,_ZN7rocprim17ROCPRIM_400000_NS6detail17trampoline_kernelINS0_14default_configENS1_25partition_config_selectorILNS1_17partition_subalgoE5ElNS0_10empty_typeEbEEZZNS1_14partition_implILS5_5ELb0ES3_mN6hipcub16HIPCUB_304000_NS21CountingInputIteratorIllEEPS6_NSA_22TransformInputIteratorIbN2at6native12_GLOBAL__N_19NonZeroOpIsEEPKslEENS0_5tupleIJPlS6_EEENSN_IJSD_SD_EEES6_PiJS6_EEE10hipError_tPvRmT3_T4_T5_T6_T7_T9_mT8_P12ihipStream_tbDpT10_ENKUlT_T0_E_clISt17integral_constantIbLb0EES1B_EEDaS16_S17_EUlS16_E_NS1_11comp_targetILNS1_3genE8ELNS1_11target_archE1030ELNS1_3gpuE2ELNS1_3repE0EEENS1_30default_config_static_selectorELNS0_4arch9wavefront6targetE0EEEvT1_,comdat
	.globl	_ZN7rocprim17ROCPRIM_400000_NS6detail17trampoline_kernelINS0_14default_configENS1_25partition_config_selectorILNS1_17partition_subalgoE5ElNS0_10empty_typeEbEEZZNS1_14partition_implILS5_5ELb0ES3_mN6hipcub16HIPCUB_304000_NS21CountingInputIteratorIllEEPS6_NSA_22TransformInputIteratorIbN2at6native12_GLOBAL__N_19NonZeroOpIsEEPKslEENS0_5tupleIJPlS6_EEENSN_IJSD_SD_EEES6_PiJS6_EEE10hipError_tPvRmT3_T4_T5_T6_T7_T9_mT8_P12ihipStream_tbDpT10_ENKUlT_T0_E_clISt17integral_constantIbLb0EES1B_EEDaS16_S17_EUlS16_E_NS1_11comp_targetILNS1_3genE8ELNS1_11target_archE1030ELNS1_3gpuE2ELNS1_3repE0EEENS1_30default_config_static_selectorELNS0_4arch9wavefront6targetE0EEEvT1_ ; -- Begin function _ZN7rocprim17ROCPRIM_400000_NS6detail17trampoline_kernelINS0_14default_configENS1_25partition_config_selectorILNS1_17partition_subalgoE5ElNS0_10empty_typeEbEEZZNS1_14partition_implILS5_5ELb0ES3_mN6hipcub16HIPCUB_304000_NS21CountingInputIteratorIllEEPS6_NSA_22TransformInputIteratorIbN2at6native12_GLOBAL__N_19NonZeroOpIsEEPKslEENS0_5tupleIJPlS6_EEENSN_IJSD_SD_EEES6_PiJS6_EEE10hipError_tPvRmT3_T4_T5_T6_T7_T9_mT8_P12ihipStream_tbDpT10_ENKUlT_T0_E_clISt17integral_constantIbLb0EES1B_EEDaS16_S17_EUlS16_E_NS1_11comp_targetILNS1_3genE8ELNS1_11target_archE1030ELNS1_3gpuE2ELNS1_3repE0EEENS1_30default_config_static_selectorELNS0_4arch9wavefront6targetE0EEEvT1_
	.p2align	8
	.type	_ZN7rocprim17ROCPRIM_400000_NS6detail17trampoline_kernelINS0_14default_configENS1_25partition_config_selectorILNS1_17partition_subalgoE5ElNS0_10empty_typeEbEEZZNS1_14partition_implILS5_5ELb0ES3_mN6hipcub16HIPCUB_304000_NS21CountingInputIteratorIllEEPS6_NSA_22TransformInputIteratorIbN2at6native12_GLOBAL__N_19NonZeroOpIsEEPKslEENS0_5tupleIJPlS6_EEENSN_IJSD_SD_EEES6_PiJS6_EEE10hipError_tPvRmT3_T4_T5_T6_T7_T9_mT8_P12ihipStream_tbDpT10_ENKUlT_T0_E_clISt17integral_constantIbLb0EES1B_EEDaS16_S17_EUlS16_E_NS1_11comp_targetILNS1_3genE8ELNS1_11target_archE1030ELNS1_3gpuE2ELNS1_3repE0EEENS1_30default_config_static_selectorELNS0_4arch9wavefront6targetE0EEEvT1_,@function
_ZN7rocprim17ROCPRIM_400000_NS6detail17trampoline_kernelINS0_14default_configENS1_25partition_config_selectorILNS1_17partition_subalgoE5ElNS0_10empty_typeEbEEZZNS1_14partition_implILS5_5ELb0ES3_mN6hipcub16HIPCUB_304000_NS21CountingInputIteratorIllEEPS6_NSA_22TransformInputIteratorIbN2at6native12_GLOBAL__N_19NonZeroOpIsEEPKslEENS0_5tupleIJPlS6_EEENSN_IJSD_SD_EEES6_PiJS6_EEE10hipError_tPvRmT3_T4_T5_T6_T7_T9_mT8_P12ihipStream_tbDpT10_ENKUlT_T0_E_clISt17integral_constantIbLb0EES1B_EEDaS16_S17_EUlS16_E_NS1_11comp_targetILNS1_3genE8ELNS1_11target_archE1030ELNS1_3gpuE2ELNS1_3repE0EEENS1_30default_config_static_selectorELNS0_4arch9wavefront6targetE0EEEvT1_: ; @_ZN7rocprim17ROCPRIM_400000_NS6detail17trampoline_kernelINS0_14default_configENS1_25partition_config_selectorILNS1_17partition_subalgoE5ElNS0_10empty_typeEbEEZZNS1_14partition_implILS5_5ELb0ES3_mN6hipcub16HIPCUB_304000_NS21CountingInputIteratorIllEEPS6_NSA_22TransformInputIteratorIbN2at6native12_GLOBAL__N_19NonZeroOpIsEEPKslEENS0_5tupleIJPlS6_EEENSN_IJSD_SD_EEES6_PiJS6_EEE10hipError_tPvRmT3_T4_T5_T6_T7_T9_mT8_P12ihipStream_tbDpT10_ENKUlT_T0_E_clISt17integral_constantIbLb0EES1B_EEDaS16_S17_EUlS16_E_NS1_11comp_targetILNS1_3genE8ELNS1_11target_archE1030ELNS1_3gpuE2ELNS1_3repE0EEENS1_30default_config_static_selectorELNS0_4arch9wavefront6targetE0EEEvT1_
; %bb.0:
	.section	.rodata,"a",@progbits
	.p2align	6, 0x0
	.amdhsa_kernel _ZN7rocprim17ROCPRIM_400000_NS6detail17trampoline_kernelINS0_14default_configENS1_25partition_config_selectorILNS1_17partition_subalgoE5ElNS0_10empty_typeEbEEZZNS1_14partition_implILS5_5ELb0ES3_mN6hipcub16HIPCUB_304000_NS21CountingInputIteratorIllEEPS6_NSA_22TransformInputIteratorIbN2at6native12_GLOBAL__N_19NonZeroOpIsEEPKslEENS0_5tupleIJPlS6_EEENSN_IJSD_SD_EEES6_PiJS6_EEE10hipError_tPvRmT3_T4_T5_T6_T7_T9_mT8_P12ihipStream_tbDpT10_ENKUlT_T0_E_clISt17integral_constantIbLb0EES1B_EEDaS16_S17_EUlS16_E_NS1_11comp_targetILNS1_3genE8ELNS1_11target_archE1030ELNS1_3gpuE2ELNS1_3repE0EEENS1_30default_config_static_selectorELNS0_4arch9wavefront6targetE0EEEvT1_
		.amdhsa_group_segment_fixed_size 0
		.amdhsa_private_segment_fixed_size 0
		.amdhsa_kernarg_size 120
		.amdhsa_user_sgpr_count 15
		.amdhsa_user_sgpr_dispatch_ptr 0
		.amdhsa_user_sgpr_queue_ptr 0
		.amdhsa_user_sgpr_kernarg_segment_ptr 1
		.amdhsa_user_sgpr_dispatch_id 0
		.amdhsa_user_sgpr_private_segment_size 0
		.amdhsa_wavefront_size32 1
		.amdhsa_uses_dynamic_stack 0
		.amdhsa_enable_private_segment 0
		.amdhsa_system_sgpr_workgroup_id_x 1
		.amdhsa_system_sgpr_workgroup_id_y 0
		.amdhsa_system_sgpr_workgroup_id_z 0
		.amdhsa_system_sgpr_workgroup_info 0
		.amdhsa_system_vgpr_workitem_id 0
		.amdhsa_next_free_vgpr 1
		.amdhsa_next_free_sgpr 1
		.amdhsa_reserve_vcc 0
		.amdhsa_float_round_mode_32 0
		.amdhsa_float_round_mode_16_64 0
		.amdhsa_float_denorm_mode_32 3
		.amdhsa_float_denorm_mode_16_64 3
		.amdhsa_dx10_clamp 1
		.amdhsa_ieee_mode 1
		.amdhsa_fp16_overflow 0
		.amdhsa_workgroup_processor_mode 1
		.amdhsa_memory_ordered 1
		.amdhsa_forward_progress 0
		.amdhsa_shared_vgpr_count 0
		.amdhsa_exception_fp_ieee_invalid_op 0
		.amdhsa_exception_fp_denorm_src 0
		.amdhsa_exception_fp_ieee_div_zero 0
		.amdhsa_exception_fp_ieee_overflow 0
		.amdhsa_exception_fp_ieee_underflow 0
		.amdhsa_exception_fp_ieee_inexact 0
		.amdhsa_exception_int_div_zero 0
	.end_amdhsa_kernel
	.section	.text._ZN7rocprim17ROCPRIM_400000_NS6detail17trampoline_kernelINS0_14default_configENS1_25partition_config_selectorILNS1_17partition_subalgoE5ElNS0_10empty_typeEbEEZZNS1_14partition_implILS5_5ELb0ES3_mN6hipcub16HIPCUB_304000_NS21CountingInputIteratorIllEEPS6_NSA_22TransformInputIteratorIbN2at6native12_GLOBAL__N_19NonZeroOpIsEEPKslEENS0_5tupleIJPlS6_EEENSN_IJSD_SD_EEES6_PiJS6_EEE10hipError_tPvRmT3_T4_T5_T6_T7_T9_mT8_P12ihipStream_tbDpT10_ENKUlT_T0_E_clISt17integral_constantIbLb0EES1B_EEDaS16_S17_EUlS16_E_NS1_11comp_targetILNS1_3genE8ELNS1_11target_archE1030ELNS1_3gpuE2ELNS1_3repE0EEENS1_30default_config_static_selectorELNS0_4arch9wavefront6targetE0EEEvT1_,"axG",@progbits,_ZN7rocprim17ROCPRIM_400000_NS6detail17trampoline_kernelINS0_14default_configENS1_25partition_config_selectorILNS1_17partition_subalgoE5ElNS0_10empty_typeEbEEZZNS1_14partition_implILS5_5ELb0ES3_mN6hipcub16HIPCUB_304000_NS21CountingInputIteratorIllEEPS6_NSA_22TransformInputIteratorIbN2at6native12_GLOBAL__N_19NonZeroOpIsEEPKslEENS0_5tupleIJPlS6_EEENSN_IJSD_SD_EEES6_PiJS6_EEE10hipError_tPvRmT3_T4_T5_T6_T7_T9_mT8_P12ihipStream_tbDpT10_ENKUlT_T0_E_clISt17integral_constantIbLb0EES1B_EEDaS16_S17_EUlS16_E_NS1_11comp_targetILNS1_3genE8ELNS1_11target_archE1030ELNS1_3gpuE2ELNS1_3repE0EEENS1_30default_config_static_selectorELNS0_4arch9wavefront6targetE0EEEvT1_,comdat
.Lfunc_end329:
	.size	_ZN7rocprim17ROCPRIM_400000_NS6detail17trampoline_kernelINS0_14default_configENS1_25partition_config_selectorILNS1_17partition_subalgoE5ElNS0_10empty_typeEbEEZZNS1_14partition_implILS5_5ELb0ES3_mN6hipcub16HIPCUB_304000_NS21CountingInputIteratorIllEEPS6_NSA_22TransformInputIteratorIbN2at6native12_GLOBAL__N_19NonZeroOpIsEEPKslEENS0_5tupleIJPlS6_EEENSN_IJSD_SD_EEES6_PiJS6_EEE10hipError_tPvRmT3_T4_T5_T6_T7_T9_mT8_P12ihipStream_tbDpT10_ENKUlT_T0_E_clISt17integral_constantIbLb0EES1B_EEDaS16_S17_EUlS16_E_NS1_11comp_targetILNS1_3genE8ELNS1_11target_archE1030ELNS1_3gpuE2ELNS1_3repE0EEENS1_30default_config_static_selectorELNS0_4arch9wavefront6targetE0EEEvT1_, .Lfunc_end329-_ZN7rocprim17ROCPRIM_400000_NS6detail17trampoline_kernelINS0_14default_configENS1_25partition_config_selectorILNS1_17partition_subalgoE5ElNS0_10empty_typeEbEEZZNS1_14partition_implILS5_5ELb0ES3_mN6hipcub16HIPCUB_304000_NS21CountingInputIteratorIllEEPS6_NSA_22TransformInputIteratorIbN2at6native12_GLOBAL__N_19NonZeroOpIsEEPKslEENS0_5tupleIJPlS6_EEENSN_IJSD_SD_EEES6_PiJS6_EEE10hipError_tPvRmT3_T4_T5_T6_T7_T9_mT8_P12ihipStream_tbDpT10_ENKUlT_T0_E_clISt17integral_constantIbLb0EES1B_EEDaS16_S17_EUlS16_E_NS1_11comp_targetILNS1_3genE8ELNS1_11target_archE1030ELNS1_3gpuE2ELNS1_3repE0EEENS1_30default_config_static_selectorELNS0_4arch9wavefront6targetE0EEEvT1_
                                        ; -- End function
	.section	.AMDGPU.csdata,"",@progbits
; Kernel info:
; codeLenInByte = 0
; NumSgprs: 0
; NumVgprs: 0
; ScratchSize: 0
; MemoryBound: 0
; FloatMode: 240
; IeeeMode: 1
; LDSByteSize: 0 bytes/workgroup (compile time only)
; SGPRBlocks: 0
; VGPRBlocks: 0
; NumSGPRsForWavesPerEU: 1
; NumVGPRsForWavesPerEU: 1
; Occupancy: 16
; WaveLimiterHint : 0
; COMPUTE_PGM_RSRC2:SCRATCH_EN: 0
; COMPUTE_PGM_RSRC2:USER_SGPR: 15
; COMPUTE_PGM_RSRC2:TRAP_HANDLER: 0
; COMPUTE_PGM_RSRC2:TGID_X_EN: 1
; COMPUTE_PGM_RSRC2:TGID_Y_EN: 0
; COMPUTE_PGM_RSRC2:TGID_Z_EN: 0
; COMPUTE_PGM_RSRC2:TIDIG_COMP_CNT: 0
	.section	.text._ZN7rocprim17ROCPRIM_400000_NS6detail17trampoline_kernelINS0_14default_configENS1_25partition_config_selectorILNS1_17partition_subalgoE5ElNS0_10empty_typeEbEEZZNS1_14partition_implILS5_5ELb0ES3_mN6hipcub16HIPCUB_304000_NS21CountingInputIteratorIllEEPS6_NSA_22TransformInputIteratorIbN2at6native12_GLOBAL__N_19NonZeroOpIsEEPKslEENS0_5tupleIJPlS6_EEENSN_IJSD_SD_EEES6_PiJS6_EEE10hipError_tPvRmT3_T4_T5_T6_T7_T9_mT8_P12ihipStream_tbDpT10_ENKUlT_T0_E_clISt17integral_constantIbLb1EES1B_EEDaS16_S17_EUlS16_E_NS1_11comp_targetILNS1_3genE0ELNS1_11target_archE4294967295ELNS1_3gpuE0ELNS1_3repE0EEENS1_30default_config_static_selectorELNS0_4arch9wavefront6targetE0EEEvT1_,"axG",@progbits,_ZN7rocprim17ROCPRIM_400000_NS6detail17trampoline_kernelINS0_14default_configENS1_25partition_config_selectorILNS1_17partition_subalgoE5ElNS0_10empty_typeEbEEZZNS1_14partition_implILS5_5ELb0ES3_mN6hipcub16HIPCUB_304000_NS21CountingInputIteratorIllEEPS6_NSA_22TransformInputIteratorIbN2at6native12_GLOBAL__N_19NonZeroOpIsEEPKslEENS0_5tupleIJPlS6_EEENSN_IJSD_SD_EEES6_PiJS6_EEE10hipError_tPvRmT3_T4_T5_T6_T7_T9_mT8_P12ihipStream_tbDpT10_ENKUlT_T0_E_clISt17integral_constantIbLb1EES1B_EEDaS16_S17_EUlS16_E_NS1_11comp_targetILNS1_3genE0ELNS1_11target_archE4294967295ELNS1_3gpuE0ELNS1_3repE0EEENS1_30default_config_static_selectorELNS0_4arch9wavefront6targetE0EEEvT1_,comdat
	.globl	_ZN7rocprim17ROCPRIM_400000_NS6detail17trampoline_kernelINS0_14default_configENS1_25partition_config_selectorILNS1_17partition_subalgoE5ElNS0_10empty_typeEbEEZZNS1_14partition_implILS5_5ELb0ES3_mN6hipcub16HIPCUB_304000_NS21CountingInputIteratorIllEEPS6_NSA_22TransformInputIteratorIbN2at6native12_GLOBAL__N_19NonZeroOpIsEEPKslEENS0_5tupleIJPlS6_EEENSN_IJSD_SD_EEES6_PiJS6_EEE10hipError_tPvRmT3_T4_T5_T6_T7_T9_mT8_P12ihipStream_tbDpT10_ENKUlT_T0_E_clISt17integral_constantIbLb1EES1B_EEDaS16_S17_EUlS16_E_NS1_11comp_targetILNS1_3genE0ELNS1_11target_archE4294967295ELNS1_3gpuE0ELNS1_3repE0EEENS1_30default_config_static_selectorELNS0_4arch9wavefront6targetE0EEEvT1_ ; -- Begin function _ZN7rocprim17ROCPRIM_400000_NS6detail17trampoline_kernelINS0_14default_configENS1_25partition_config_selectorILNS1_17partition_subalgoE5ElNS0_10empty_typeEbEEZZNS1_14partition_implILS5_5ELb0ES3_mN6hipcub16HIPCUB_304000_NS21CountingInputIteratorIllEEPS6_NSA_22TransformInputIteratorIbN2at6native12_GLOBAL__N_19NonZeroOpIsEEPKslEENS0_5tupleIJPlS6_EEENSN_IJSD_SD_EEES6_PiJS6_EEE10hipError_tPvRmT3_T4_T5_T6_T7_T9_mT8_P12ihipStream_tbDpT10_ENKUlT_T0_E_clISt17integral_constantIbLb1EES1B_EEDaS16_S17_EUlS16_E_NS1_11comp_targetILNS1_3genE0ELNS1_11target_archE4294967295ELNS1_3gpuE0ELNS1_3repE0EEENS1_30default_config_static_selectorELNS0_4arch9wavefront6targetE0EEEvT1_
	.p2align	8
	.type	_ZN7rocprim17ROCPRIM_400000_NS6detail17trampoline_kernelINS0_14default_configENS1_25partition_config_selectorILNS1_17partition_subalgoE5ElNS0_10empty_typeEbEEZZNS1_14partition_implILS5_5ELb0ES3_mN6hipcub16HIPCUB_304000_NS21CountingInputIteratorIllEEPS6_NSA_22TransformInputIteratorIbN2at6native12_GLOBAL__N_19NonZeroOpIsEEPKslEENS0_5tupleIJPlS6_EEENSN_IJSD_SD_EEES6_PiJS6_EEE10hipError_tPvRmT3_T4_T5_T6_T7_T9_mT8_P12ihipStream_tbDpT10_ENKUlT_T0_E_clISt17integral_constantIbLb1EES1B_EEDaS16_S17_EUlS16_E_NS1_11comp_targetILNS1_3genE0ELNS1_11target_archE4294967295ELNS1_3gpuE0ELNS1_3repE0EEENS1_30default_config_static_selectorELNS0_4arch9wavefront6targetE0EEEvT1_,@function
_ZN7rocprim17ROCPRIM_400000_NS6detail17trampoline_kernelINS0_14default_configENS1_25partition_config_selectorILNS1_17partition_subalgoE5ElNS0_10empty_typeEbEEZZNS1_14partition_implILS5_5ELb0ES3_mN6hipcub16HIPCUB_304000_NS21CountingInputIteratorIllEEPS6_NSA_22TransformInputIteratorIbN2at6native12_GLOBAL__N_19NonZeroOpIsEEPKslEENS0_5tupleIJPlS6_EEENSN_IJSD_SD_EEES6_PiJS6_EEE10hipError_tPvRmT3_T4_T5_T6_T7_T9_mT8_P12ihipStream_tbDpT10_ENKUlT_T0_E_clISt17integral_constantIbLb1EES1B_EEDaS16_S17_EUlS16_E_NS1_11comp_targetILNS1_3genE0ELNS1_11target_archE4294967295ELNS1_3gpuE0ELNS1_3repE0EEENS1_30default_config_static_selectorELNS0_4arch9wavefront6targetE0EEEvT1_: ; @_ZN7rocprim17ROCPRIM_400000_NS6detail17trampoline_kernelINS0_14default_configENS1_25partition_config_selectorILNS1_17partition_subalgoE5ElNS0_10empty_typeEbEEZZNS1_14partition_implILS5_5ELb0ES3_mN6hipcub16HIPCUB_304000_NS21CountingInputIteratorIllEEPS6_NSA_22TransformInputIteratorIbN2at6native12_GLOBAL__N_19NonZeroOpIsEEPKslEENS0_5tupleIJPlS6_EEENSN_IJSD_SD_EEES6_PiJS6_EEE10hipError_tPvRmT3_T4_T5_T6_T7_T9_mT8_P12ihipStream_tbDpT10_ENKUlT_T0_E_clISt17integral_constantIbLb1EES1B_EEDaS16_S17_EUlS16_E_NS1_11comp_targetILNS1_3genE0ELNS1_11target_archE4294967295ELNS1_3gpuE0ELNS1_3repE0EEENS1_30default_config_static_selectorELNS0_4arch9wavefront6targetE0EEEvT1_
; %bb.0:
	.section	.rodata,"a",@progbits
	.p2align	6, 0x0
	.amdhsa_kernel _ZN7rocprim17ROCPRIM_400000_NS6detail17trampoline_kernelINS0_14default_configENS1_25partition_config_selectorILNS1_17partition_subalgoE5ElNS0_10empty_typeEbEEZZNS1_14partition_implILS5_5ELb0ES3_mN6hipcub16HIPCUB_304000_NS21CountingInputIteratorIllEEPS6_NSA_22TransformInputIteratorIbN2at6native12_GLOBAL__N_19NonZeroOpIsEEPKslEENS0_5tupleIJPlS6_EEENSN_IJSD_SD_EEES6_PiJS6_EEE10hipError_tPvRmT3_T4_T5_T6_T7_T9_mT8_P12ihipStream_tbDpT10_ENKUlT_T0_E_clISt17integral_constantIbLb1EES1B_EEDaS16_S17_EUlS16_E_NS1_11comp_targetILNS1_3genE0ELNS1_11target_archE4294967295ELNS1_3gpuE0ELNS1_3repE0EEENS1_30default_config_static_selectorELNS0_4arch9wavefront6targetE0EEEvT1_
		.amdhsa_group_segment_fixed_size 0
		.amdhsa_private_segment_fixed_size 0
		.amdhsa_kernarg_size 136
		.amdhsa_user_sgpr_count 15
		.amdhsa_user_sgpr_dispatch_ptr 0
		.amdhsa_user_sgpr_queue_ptr 0
		.amdhsa_user_sgpr_kernarg_segment_ptr 1
		.amdhsa_user_sgpr_dispatch_id 0
		.amdhsa_user_sgpr_private_segment_size 0
		.amdhsa_wavefront_size32 1
		.amdhsa_uses_dynamic_stack 0
		.amdhsa_enable_private_segment 0
		.amdhsa_system_sgpr_workgroup_id_x 1
		.amdhsa_system_sgpr_workgroup_id_y 0
		.amdhsa_system_sgpr_workgroup_id_z 0
		.amdhsa_system_sgpr_workgroup_info 0
		.amdhsa_system_vgpr_workitem_id 0
		.amdhsa_next_free_vgpr 1
		.amdhsa_next_free_sgpr 1
		.amdhsa_reserve_vcc 0
		.amdhsa_float_round_mode_32 0
		.amdhsa_float_round_mode_16_64 0
		.amdhsa_float_denorm_mode_32 3
		.amdhsa_float_denorm_mode_16_64 3
		.amdhsa_dx10_clamp 1
		.amdhsa_ieee_mode 1
		.amdhsa_fp16_overflow 0
		.amdhsa_workgroup_processor_mode 1
		.amdhsa_memory_ordered 1
		.amdhsa_forward_progress 0
		.amdhsa_shared_vgpr_count 0
		.amdhsa_exception_fp_ieee_invalid_op 0
		.amdhsa_exception_fp_denorm_src 0
		.amdhsa_exception_fp_ieee_div_zero 0
		.amdhsa_exception_fp_ieee_overflow 0
		.amdhsa_exception_fp_ieee_underflow 0
		.amdhsa_exception_fp_ieee_inexact 0
		.amdhsa_exception_int_div_zero 0
	.end_amdhsa_kernel
	.section	.text._ZN7rocprim17ROCPRIM_400000_NS6detail17trampoline_kernelINS0_14default_configENS1_25partition_config_selectorILNS1_17partition_subalgoE5ElNS0_10empty_typeEbEEZZNS1_14partition_implILS5_5ELb0ES3_mN6hipcub16HIPCUB_304000_NS21CountingInputIteratorIllEEPS6_NSA_22TransformInputIteratorIbN2at6native12_GLOBAL__N_19NonZeroOpIsEEPKslEENS0_5tupleIJPlS6_EEENSN_IJSD_SD_EEES6_PiJS6_EEE10hipError_tPvRmT3_T4_T5_T6_T7_T9_mT8_P12ihipStream_tbDpT10_ENKUlT_T0_E_clISt17integral_constantIbLb1EES1B_EEDaS16_S17_EUlS16_E_NS1_11comp_targetILNS1_3genE0ELNS1_11target_archE4294967295ELNS1_3gpuE0ELNS1_3repE0EEENS1_30default_config_static_selectorELNS0_4arch9wavefront6targetE0EEEvT1_,"axG",@progbits,_ZN7rocprim17ROCPRIM_400000_NS6detail17trampoline_kernelINS0_14default_configENS1_25partition_config_selectorILNS1_17partition_subalgoE5ElNS0_10empty_typeEbEEZZNS1_14partition_implILS5_5ELb0ES3_mN6hipcub16HIPCUB_304000_NS21CountingInputIteratorIllEEPS6_NSA_22TransformInputIteratorIbN2at6native12_GLOBAL__N_19NonZeroOpIsEEPKslEENS0_5tupleIJPlS6_EEENSN_IJSD_SD_EEES6_PiJS6_EEE10hipError_tPvRmT3_T4_T5_T6_T7_T9_mT8_P12ihipStream_tbDpT10_ENKUlT_T0_E_clISt17integral_constantIbLb1EES1B_EEDaS16_S17_EUlS16_E_NS1_11comp_targetILNS1_3genE0ELNS1_11target_archE4294967295ELNS1_3gpuE0ELNS1_3repE0EEENS1_30default_config_static_selectorELNS0_4arch9wavefront6targetE0EEEvT1_,comdat
.Lfunc_end330:
	.size	_ZN7rocprim17ROCPRIM_400000_NS6detail17trampoline_kernelINS0_14default_configENS1_25partition_config_selectorILNS1_17partition_subalgoE5ElNS0_10empty_typeEbEEZZNS1_14partition_implILS5_5ELb0ES3_mN6hipcub16HIPCUB_304000_NS21CountingInputIteratorIllEEPS6_NSA_22TransformInputIteratorIbN2at6native12_GLOBAL__N_19NonZeroOpIsEEPKslEENS0_5tupleIJPlS6_EEENSN_IJSD_SD_EEES6_PiJS6_EEE10hipError_tPvRmT3_T4_T5_T6_T7_T9_mT8_P12ihipStream_tbDpT10_ENKUlT_T0_E_clISt17integral_constantIbLb1EES1B_EEDaS16_S17_EUlS16_E_NS1_11comp_targetILNS1_3genE0ELNS1_11target_archE4294967295ELNS1_3gpuE0ELNS1_3repE0EEENS1_30default_config_static_selectorELNS0_4arch9wavefront6targetE0EEEvT1_, .Lfunc_end330-_ZN7rocprim17ROCPRIM_400000_NS6detail17trampoline_kernelINS0_14default_configENS1_25partition_config_selectorILNS1_17partition_subalgoE5ElNS0_10empty_typeEbEEZZNS1_14partition_implILS5_5ELb0ES3_mN6hipcub16HIPCUB_304000_NS21CountingInputIteratorIllEEPS6_NSA_22TransformInputIteratorIbN2at6native12_GLOBAL__N_19NonZeroOpIsEEPKslEENS0_5tupleIJPlS6_EEENSN_IJSD_SD_EEES6_PiJS6_EEE10hipError_tPvRmT3_T4_T5_T6_T7_T9_mT8_P12ihipStream_tbDpT10_ENKUlT_T0_E_clISt17integral_constantIbLb1EES1B_EEDaS16_S17_EUlS16_E_NS1_11comp_targetILNS1_3genE0ELNS1_11target_archE4294967295ELNS1_3gpuE0ELNS1_3repE0EEENS1_30default_config_static_selectorELNS0_4arch9wavefront6targetE0EEEvT1_
                                        ; -- End function
	.section	.AMDGPU.csdata,"",@progbits
; Kernel info:
; codeLenInByte = 0
; NumSgprs: 0
; NumVgprs: 0
; ScratchSize: 0
; MemoryBound: 0
; FloatMode: 240
; IeeeMode: 1
; LDSByteSize: 0 bytes/workgroup (compile time only)
; SGPRBlocks: 0
; VGPRBlocks: 0
; NumSGPRsForWavesPerEU: 1
; NumVGPRsForWavesPerEU: 1
; Occupancy: 16
; WaveLimiterHint : 0
; COMPUTE_PGM_RSRC2:SCRATCH_EN: 0
; COMPUTE_PGM_RSRC2:USER_SGPR: 15
; COMPUTE_PGM_RSRC2:TRAP_HANDLER: 0
; COMPUTE_PGM_RSRC2:TGID_X_EN: 1
; COMPUTE_PGM_RSRC2:TGID_Y_EN: 0
; COMPUTE_PGM_RSRC2:TGID_Z_EN: 0
; COMPUTE_PGM_RSRC2:TIDIG_COMP_CNT: 0
	.section	.text._ZN7rocprim17ROCPRIM_400000_NS6detail17trampoline_kernelINS0_14default_configENS1_25partition_config_selectorILNS1_17partition_subalgoE5ElNS0_10empty_typeEbEEZZNS1_14partition_implILS5_5ELb0ES3_mN6hipcub16HIPCUB_304000_NS21CountingInputIteratorIllEEPS6_NSA_22TransformInputIteratorIbN2at6native12_GLOBAL__N_19NonZeroOpIsEEPKslEENS0_5tupleIJPlS6_EEENSN_IJSD_SD_EEES6_PiJS6_EEE10hipError_tPvRmT3_T4_T5_T6_T7_T9_mT8_P12ihipStream_tbDpT10_ENKUlT_T0_E_clISt17integral_constantIbLb1EES1B_EEDaS16_S17_EUlS16_E_NS1_11comp_targetILNS1_3genE5ELNS1_11target_archE942ELNS1_3gpuE9ELNS1_3repE0EEENS1_30default_config_static_selectorELNS0_4arch9wavefront6targetE0EEEvT1_,"axG",@progbits,_ZN7rocprim17ROCPRIM_400000_NS6detail17trampoline_kernelINS0_14default_configENS1_25partition_config_selectorILNS1_17partition_subalgoE5ElNS0_10empty_typeEbEEZZNS1_14partition_implILS5_5ELb0ES3_mN6hipcub16HIPCUB_304000_NS21CountingInputIteratorIllEEPS6_NSA_22TransformInputIteratorIbN2at6native12_GLOBAL__N_19NonZeroOpIsEEPKslEENS0_5tupleIJPlS6_EEENSN_IJSD_SD_EEES6_PiJS6_EEE10hipError_tPvRmT3_T4_T5_T6_T7_T9_mT8_P12ihipStream_tbDpT10_ENKUlT_T0_E_clISt17integral_constantIbLb1EES1B_EEDaS16_S17_EUlS16_E_NS1_11comp_targetILNS1_3genE5ELNS1_11target_archE942ELNS1_3gpuE9ELNS1_3repE0EEENS1_30default_config_static_selectorELNS0_4arch9wavefront6targetE0EEEvT1_,comdat
	.globl	_ZN7rocprim17ROCPRIM_400000_NS6detail17trampoline_kernelINS0_14default_configENS1_25partition_config_selectorILNS1_17partition_subalgoE5ElNS0_10empty_typeEbEEZZNS1_14partition_implILS5_5ELb0ES3_mN6hipcub16HIPCUB_304000_NS21CountingInputIteratorIllEEPS6_NSA_22TransformInputIteratorIbN2at6native12_GLOBAL__N_19NonZeroOpIsEEPKslEENS0_5tupleIJPlS6_EEENSN_IJSD_SD_EEES6_PiJS6_EEE10hipError_tPvRmT3_T4_T5_T6_T7_T9_mT8_P12ihipStream_tbDpT10_ENKUlT_T0_E_clISt17integral_constantIbLb1EES1B_EEDaS16_S17_EUlS16_E_NS1_11comp_targetILNS1_3genE5ELNS1_11target_archE942ELNS1_3gpuE9ELNS1_3repE0EEENS1_30default_config_static_selectorELNS0_4arch9wavefront6targetE0EEEvT1_ ; -- Begin function _ZN7rocprim17ROCPRIM_400000_NS6detail17trampoline_kernelINS0_14default_configENS1_25partition_config_selectorILNS1_17partition_subalgoE5ElNS0_10empty_typeEbEEZZNS1_14partition_implILS5_5ELb0ES3_mN6hipcub16HIPCUB_304000_NS21CountingInputIteratorIllEEPS6_NSA_22TransformInputIteratorIbN2at6native12_GLOBAL__N_19NonZeroOpIsEEPKslEENS0_5tupleIJPlS6_EEENSN_IJSD_SD_EEES6_PiJS6_EEE10hipError_tPvRmT3_T4_T5_T6_T7_T9_mT8_P12ihipStream_tbDpT10_ENKUlT_T0_E_clISt17integral_constantIbLb1EES1B_EEDaS16_S17_EUlS16_E_NS1_11comp_targetILNS1_3genE5ELNS1_11target_archE942ELNS1_3gpuE9ELNS1_3repE0EEENS1_30default_config_static_selectorELNS0_4arch9wavefront6targetE0EEEvT1_
	.p2align	8
	.type	_ZN7rocprim17ROCPRIM_400000_NS6detail17trampoline_kernelINS0_14default_configENS1_25partition_config_selectorILNS1_17partition_subalgoE5ElNS0_10empty_typeEbEEZZNS1_14partition_implILS5_5ELb0ES3_mN6hipcub16HIPCUB_304000_NS21CountingInputIteratorIllEEPS6_NSA_22TransformInputIteratorIbN2at6native12_GLOBAL__N_19NonZeroOpIsEEPKslEENS0_5tupleIJPlS6_EEENSN_IJSD_SD_EEES6_PiJS6_EEE10hipError_tPvRmT3_T4_T5_T6_T7_T9_mT8_P12ihipStream_tbDpT10_ENKUlT_T0_E_clISt17integral_constantIbLb1EES1B_EEDaS16_S17_EUlS16_E_NS1_11comp_targetILNS1_3genE5ELNS1_11target_archE942ELNS1_3gpuE9ELNS1_3repE0EEENS1_30default_config_static_selectorELNS0_4arch9wavefront6targetE0EEEvT1_,@function
_ZN7rocprim17ROCPRIM_400000_NS6detail17trampoline_kernelINS0_14default_configENS1_25partition_config_selectorILNS1_17partition_subalgoE5ElNS0_10empty_typeEbEEZZNS1_14partition_implILS5_5ELb0ES3_mN6hipcub16HIPCUB_304000_NS21CountingInputIteratorIllEEPS6_NSA_22TransformInputIteratorIbN2at6native12_GLOBAL__N_19NonZeroOpIsEEPKslEENS0_5tupleIJPlS6_EEENSN_IJSD_SD_EEES6_PiJS6_EEE10hipError_tPvRmT3_T4_T5_T6_T7_T9_mT8_P12ihipStream_tbDpT10_ENKUlT_T0_E_clISt17integral_constantIbLb1EES1B_EEDaS16_S17_EUlS16_E_NS1_11comp_targetILNS1_3genE5ELNS1_11target_archE942ELNS1_3gpuE9ELNS1_3repE0EEENS1_30default_config_static_selectorELNS0_4arch9wavefront6targetE0EEEvT1_: ; @_ZN7rocprim17ROCPRIM_400000_NS6detail17trampoline_kernelINS0_14default_configENS1_25partition_config_selectorILNS1_17partition_subalgoE5ElNS0_10empty_typeEbEEZZNS1_14partition_implILS5_5ELb0ES3_mN6hipcub16HIPCUB_304000_NS21CountingInputIteratorIllEEPS6_NSA_22TransformInputIteratorIbN2at6native12_GLOBAL__N_19NonZeroOpIsEEPKslEENS0_5tupleIJPlS6_EEENSN_IJSD_SD_EEES6_PiJS6_EEE10hipError_tPvRmT3_T4_T5_T6_T7_T9_mT8_P12ihipStream_tbDpT10_ENKUlT_T0_E_clISt17integral_constantIbLb1EES1B_EEDaS16_S17_EUlS16_E_NS1_11comp_targetILNS1_3genE5ELNS1_11target_archE942ELNS1_3gpuE9ELNS1_3repE0EEENS1_30default_config_static_selectorELNS0_4arch9wavefront6targetE0EEEvT1_
; %bb.0:
	.section	.rodata,"a",@progbits
	.p2align	6, 0x0
	.amdhsa_kernel _ZN7rocprim17ROCPRIM_400000_NS6detail17trampoline_kernelINS0_14default_configENS1_25partition_config_selectorILNS1_17partition_subalgoE5ElNS0_10empty_typeEbEEZZNS1_14partition_implILS5_5ELb0ES3_mN6hipcub16HIPCUB_304000_NS21CountingInputIteratorIllEEPS6_NSA_22TransformInputIteratorIbN2at6native12_GLOBAL__N_19NonZeroOpIsEEPKslEENS0_5tupleIJPlS6_EEENSN_IJSD_SD_EEES6_PiJS6_EEE10hipError_tPvRmT3_T4_T5_T6_T7_T9_mT8_P12ihipStream_tbDpT10_ENKUlT_T0_E_clISt17integral_constantIbLb1EES1B_EEDaS16_S17_EUlS16_E_NS1_11comp_targetILNS1_3genE5ELNS1_11target_archE942ELNS1_3gpuE9ELNS1_3repE0EEENS1_30default_config_static_selectorELNS0_4arch9wavefront6targetE0EEEvT1_
		.amdhsa_group_segment_fixed_size 0
		.amdhsa_private_segment_fixed_size 0
		.amdhsa_kernarg_size 136
		.amdhsa_user_sgpr_count 15
		.amdhsa_user_sgpr_dispatch_ptr 0
		.amdhsa_user_sgpr_queue_ptr 0
		.amdhsa_user_sgpr_kernarg_segment_ptr 1
		.amdhsa_user_sgpr_dispatch_id 0
		.amdhsa_user_sgpr_private_segment_size 0
		.amdhsa_wavefront_size32 1
		.amdhsa_uses_dynamic_stack 0
		.amdhsa_enable_private_segment 0
		.amdhsa_system_sgpr_workgroup_id_x 1
		.amdhsa_system_sgpr_workgroup_id_y 0
		.amdhsa_system_sgpr_workgroup_id_z 0
		.amdhsa_system_sgpr_workgroup_info 0
		.amdhsa_system_vgpr_workitem_id 0
		.amdhsa_next_free_vgpr 1
		.amdhsa_next_free_sgpr 1
		.amdhsa_reserve_vcc 0
		.amdhsa_float_round_mode_32 0
		.amdhsa_float_round_mode_16_64 0
		.amdhsa_float_denorm_mode_32 3
		.amdhsa_float_denorm_mode_16_64 3
		.amdhsa_dx10_clamp 1
		.amdhsa_ieee_mode 1
		.amdhsa_fp16_overflow 0
		.amdhsa_workgroup_processor_mode 1
		.amdhsa_memory_ordered 1
		.amdhsa_forward_progress 0
		.amdhsa_shared_vgpr_count 0
		.amdhsa_exception_fp_ieee_invalid_op 0
		.amdhsa_exception_fp_denorm_src 0
		.amdhsa_exception_fp_ieee_div_zero 0
		.amdhsa_exception_fp_ieee_overflow 0
		.amdhsa_exception_fp_ieee_underflow 0
		.amdhsa_exception_fp_ieee_inexact 0
		.amdhsa_exception_int_div_zero 0
	.end_amdhsa_kernel
	.section	.text._ZN7rocprim17ROCPRIM_400000_NS6detail17trampoline_kernelINS0_14default_configENS1_25partition_config_selectorILNS1_17partition_subalgoE5ElNS0_10empty_typeEbEEZZNS1_14partition_implILS5_5ELb0ES3_mN6hipcub16HIPCUB_304000_NS21CountingInputIteratorIllEEPS6_NSA_22TransformInputIteratorIbN2at6native12_GLOBAL__N_19NonZeroOpIsEEPKslEENS0_5tupleIJPlS6_EEENSN_IJSD_SD_EEES6_PiJS6_EEE10hipError_tPvRmT3_T4_T5_T6_T7_T9_mT8_P12ihipStream_tbDpT10_ENKUlT_T0_E_clISt17integral_constantIbLb1EES1B_EEDaS16_S17_EUlS16_E_NS1_11comp_targetILNS1_3genE5ELNS1_11target_archE942ELNS1_3gpuE9ELNS1_3repE0EEENS1_30default_config_static_selectorELNS0_4arch9wavefront6targetE0EEEvT1_,"axG",@progbits,_ZN7rocprim17ROCPRIM_400000_NS6detail17trampoline_kernelINS0_14default_configENS1_25partition_config_selectorILNS1_17partition_subalgoE5ElNS0_10empty_typeEbEEZZNS1_14partition_implILS5_5ELb0ES3_mN6hipcub16HIPCUB_304000_NS21CountingInputIteratorIllEEPS6_NSA_22TransformInputIteratorIbN2at6native12_GLOBAL__N_19NonZeroOpIsEEPKslEENS0_5tupleIJPlS6_EEENSN_IJSD_SD_EEES6_PiJS6_EEE10hipError_tPvRmT3_T4_T5_T6_T7_T9_mT8_P12ihipStream_tbDpT10_ENKUlT_T0_E_clISt17integral_constantIbLb1EES1B_EEDaS16_S17_EUlS16_E_NS1_11comp_targetILNS1_3genE5ELNS1_11target_archE942ELNS1_3gpuE9ELNS1_3repE0EEENS1_30default_config_static_selectorELNS0_4arch9wavefront6targetE0EEEvT1_,comdat
.Lfunc_end331:
	.size	_ZN7rocprim17ROCPRIM_400000_NS6detail17trampoline_kernelINS0_14default_configENS1_25partition_config_selectorILNS1_17partition_subalgoE5ElNS0_10empty_typeEbEEZZNS1_14partition_implILS5_5ELb0ES3_mN6hipcub16HIPCUB_304000_NS21CountingInputIteratorIllEEPS6_NSA_22TransformInputIteratorIbN2at6native12_GLOBAL__N_19NonZeroOpIsEEPKslEENS0_5tupleIJPlS6_EEENSN_IJSD_SD_EEES6_PiJS6_EEE10hipError_tPvRmT3_T4_T5_T6_T7_T9_mT8_P12ihipStream_tbDpT10_ENKUlT_T0_E_clISt17integral_constantIbLb1EES1B_EEDaS16_S17_EUlS16_E_NS1_11comp_targetILNS1_3genE5ELNS1_11target_archE942ELNS1_3gpuE9ELNS1_3repE0EEENS1_30default_config_static_selectorELNS0_4arch9wavefront6targetE0EEEvT1_, .Lfunc_end331-_ZN7rocprim17ROCPRIM_400000_NS6detail17trampoline_kernelINS0_14default_configENS1_25partition_config_selectorILNS1_17partition_subalgoE5ElNS0_10empty_typeEbEEZZNS1_14partition_implILS5_5ELb0ES3_mN6hipcub16HIPCUB_304000_NS21CountingInputIteratorIllEEPS6_NSA_22TransformInputIteratorIbN2at6native12_GLOBAL__N_19NonZeroOpIsEEPKslEENS0_5tupleIJPlS6_EEENSN_IJSD_SD_EEES6_PiJS6_EEE10hipError_tPvRmT3_T4_T5_T6_T7_T9_mT8_P12ihipStream_tbDpT10_ENKUlT_T0_E_clISt17integral_constantIbLb1EES1B_EEDaS16_S17_EUlS16_E_NS1_11comp_targetILNS1_3genE5ELNS1_11target_archE942ELNS1_3gpuE9ELNS1_3repE0EEENS1_30default_config_static_selectorELNS0_4arch9wavefront6targetE0EEEvT1_
                                        ; -- End function
	.section	.AMDGPU.csdata,"",@progbits
; Kernel info:
; codeLenInByte = 0
; NumSgprs: 0
; NumVgprs: 0
; ScratchSize: 0
; MemoryBound: 0
; FloatMode: 240
; IeeeMode: 1
; LDSByteSize: 0 bytes/workgroup (compile time only)
; SGPRBlocks: 0
; VGPRBlocks: 0
; NumSGPRsForWavesPerEU: 1
; NumVGPRsForWavesPerEU: 1
; Occupancy: 16
; WaveLimiterHint : 0
; COMPUTE_PGM_RSRC2:SCRATCH_EN: 0
; COMPUTE_PGM_RSRC2:USER_SGPR: 15
; COMPUTE_PGM_RSRC2:TRAP_HANDLER: 0
; COMPUTE_PGM_RSRC2:TGID_X_EN: 1
; COMPUTE_PGM_RSRC2:TGID_Y_EN: 0
; COMPUTE_PGM_RSRC2:TGID_Z_EN: 0
; COMPUTE_PGM_RSRC2:TIDIG_COMP_CNT: 0
	.section	.text._ZN7rocprim17ROCPRIM_400000_NS6detail17trampoline_kernelINS0_14default_configENS1_25partition_config_selectorILNS1_17partition_subalgoE5ElNS0_10empty_typeEbEEZZNS1_14partition_implILS5_5ELb0ES3_mN6hipcub16HIPCUB_304000_NS21CountingInputIteratorIllEEPS6_NSA_22TransformInputIteratorIbN2at6native12_GLOBAL__N_19NonZeroOpIsEEPKslEENS0_5tupleIJPlS6_EEENSN_IJSD_SD_EEES6_PiJS6_EEE10hipError_tPvRmT3_T4_T5_T6_T7_T9_mT8_P12ihipStream_tbDpT10_ENKUlT_T0_E_clISt17integral_constantIbLb1EES1B_EEDaS16_S17_EUlS16_E_NS1_11comp_targetILNS1_3genE4ELNS1_11target_archE910ELNS1_3gpuE8ELNS1_3repE0EEENS1_30default_config_static_selectorELNS0_4arch9wavefront6targetE0EEEvT1_,"axG",@progbits,_ZN7rocprim17ROCPRIM_400000_NS6detail17trampoline_kernelINS0_14default_configENS1_25partition_config_selectorILNS1_17partition_subalgoE5ElNS0_10empty_typeEbEEZZNS1_14partition_implILS5_5ELb0ES3_mN6hipcub16HIPCUB_304000_NS21CountingInputIteratorIllEEPS6_NSA_22TransformInputIteratorIbN2at6native12_GLOBAL__N_19NonZeroOpIsEEPKslEENS0_5tupleIJPlS6_EEENSN_IJSD_SD_EEES6_PiJS6_EEE10hipError_tPvRmT3_T4_T5_T6_T7_T9_mT8_P12ihipStream_tbDpT10_ENKUlT_T0_E_clISt17integral_constantIbLb1EES1B_EEDaS16_S17_EUlS16_E_NS1_11comp_targetILNS1_3genE4ELNS1_11target_archE910ELNS1_3gpuE8ELNS1_3repE0EEENS1_30default_config_static_selectorELNS0_4arch9wavefront6targetE0EEEvT1_,comdat
	.globl	_ZN7rocprim17ROCPRIM_400000_NS6detail17trampoline_kernelINS0_14default_configENS1_25partition_config_selectorILNS1_17partition_subalgoE5ElNS0_10empty_typeEbEEZZNS1_14partition_implILS5_5ELb0ES3_mN6hipcub16HIPCUB_304000_NS21CountingInputIteratorIllEEPS6_NSA_22TransformInputIteratorIbN2at6native12_GLOBAL__N_19NonZeroOpIsEEPKslEENS0_5tupleIJPlS6_EEENSN_IJSD_SD_EEES6_PiJS6_EEE10hipError_tPvRmT3_T4_T5_T6_T7_T9_mT8_P12ihipStream_tbDpT10_ENKUlT_T0_E_clISt17integral_constantIbLb1EES1B_EEDaS16_S17_EUlS16_E_NS1_11comp_targetILNS1_3genE4ELNS1_11target_archE910ELNS1_3gpuE8ELNS1_3repE0EEENS1_30default_config_static_selectorELNS0_4arch9wavefront6targetE0EEEvT1_ ; -- Begin function _ZN7rocprim17ROCPRIM_400000_NS6detail17trampoline_kernelINS0_14default_configENS1_25partition_config_selectorILNS1_17partition_subalgoE5ElNS0_10empty_typeEbEEZZNS1_14partition_implILS5_5ELb0ES3_mN6hipcub16HIPCUB_304000_NS21CountingInputIteratorIllEEPS6_NSA_22TransformInputIteratorIbN2at6native12_GLOBAL__N_19NonZeroOpIsEEPKslEENS0_5tupleIJPlS6_EEENSN_IJSD_SD_EEES6_PiJS6_EEE10hipError_tPvRmT3_T4_T5_T6_T7_T9_mT8_P12ihipStream_tbDpT10_ENKUlT_T0_E_clISt17integral_constantIbLb1EES1B_EEDaS16_S17_EUlS16_E_NS1_11comp_targetILNS1_3genE4ELNS1_11target_archE910ELNS1_3gpuE8ELNS1_3repE0EEENS1_30default_config_static_selectorELNS0_4arch9wavefront6targetE0EEEvT1_
	.p2align	8
	.type	_ZN7rocprim17ROCPRIM_400000_NS6detail17trampoline_kernelINS0_14default_configENS1_25partition_config_selectorILNS1_17partition_subalgoE5ElNS0_10empty_typeEbEEZZNS1_14partition_implILS5_5ELb0ES3_mN6hipcub16HIPCUB_304000_NS21CountingInputIteratorIllEEPS6_NSA_22TransformInputIteratorIbN2at6native12_GLOBAL__N_19NonZeroOpIsEEPKslEENS0_5tupleIJPlS6_EEENSN_IJSD_SD_EEES6_PiJS6_EEE10hipError_tPvRmT3_T4_T5_T6_T7_T9_mT8_P12ihipStream_tbDpT10_ENKUlT_T0_E_clISt17integral_constantIbLb1EES1B_EEDaS16_S17_EUlS16_E_NS1_11comp_targetILNS1_3genE4ELNS1_11target_archE910ELNS1_3gpuE8ELNS1_3repE0EEENS1_30default_config_static_selectorELNS0_4arch9wavefront6targetE0EEEvT1_,@function
_ZN7rocprim17ROCPRIM_400000_NS6detail17trampoline_kernelINS0_14default_configENS1_25partition_config_selectorILNS1_17partition_subalgoE5ElNS0_10empty_typeEbEEZZNS1_14partition_implILS5_5ELb0ES3_mN6hipcub16HIPCUB_304000_NS21CountingInputIteratorIllEEPS6_NSA_22TransformInputIteratorIbN2at6native12_GLOBAL__N_19NonZeroOpIsEEPKslEENS0_5tupleIJPlS6_EEENSN_IJSD_SD_EEES6_PiJS6_EEE10hipError_tPvRmT3_T4_T5_T6_T7_T9_mT8_P12ihipStream_tbDpT10_ENKUlT_T0_E_clISt17integral_constantIbLb1EES1B_EEDaS16_S17_EUlS16_E_NS1_11comp_targetILNS1_3genE4ELNS1_11target_archE910ELNS1_3gpuE8ELNS1_3repE0EEENS1_30default_config_static_selectorELNS0_4arch9wavefront6targetE0EEEvT1_: ; @_ZN7rocprim17ROCPRIM_400000_NS6detail17trampoline_kernelINS0_14default_configENS1_25partition_config_selectorILNS1_17partition_subalgoE5ElNS0_10empty_typeEbEEZZNS1_14partition_implILS5_5ELb0ES3_mN6hipcub16HIPCUB_304000_NS21CountingInputIteratorIllEEPS6_NSA_22TransformInputIteratorIbN2at6native12_GLOBAL__N_19NonZeroOpIsEEPKslEENS0_5tupleIJPlS6_EEENSN_IJSD_SD_EEES6_PiJS6_EEE10hipError_tPvRmT3_T4_T5_T6_T7_T9_mT8_P12ihipStream_tbDpT10_ENKUlT_T0_E_clISt17integral_constantIbLb1EES1B_EEDaS16_S17_EUlS16_E_NS1_11comp_targetILNS1_3genE4ELNS1_11target_archE910ELNS1_3gpuE8ELNS1_3repE0EEENS1_30default_config_static_selectorELNS0_4arch9wavefront6targetE0EEEvT1_
; %bb.0:
	.section	.rodata,"a",@progbits
	.p2align	6, 0x0
	.amdhsa_kernel _ZN7rocprim17ROCPRIM_400000_NS6detail17trampoline_kernelINS0_14default_configENS1_25partition_config_selectorILNS1_17partition_subalgoE5ElNS0_10empty_typeEbEEZZNS1_14partition_implILS5_5ELb0ES3_mN6hipcub16HIPCUB_304000_NS21CountingInputIteratorIllEEPS6_NSA_22TransformInputIteratorIbN2at6native12_GLOBAL__N_19NonZeroOpIsEEPKslEENS0_5tupleIJPlS6_EEENSN_IJSD_SD_EEES6_PiJS6_EEE10hipError_tPvRmT3_T4_T5_T6_T7_T9_mT8_P12ihipStream_tbDpT10_ENKUlT_T0_E_clISt17integral_constantIbLb1EES1B_EEDaS16_S17_EUlS16_E_NS1_11comp_targetILNS1_3genE4ELNS1_11target_archE910ELNS1_3gpuE8ELNS1_3repE0EEENS1_30default_config_static_selectorELNS0_4arch9wavefront6targetE0EEEvT1_
		.amdhsa_group_segment_fixed_size 0
		.amdhsa_private_segment_fixed_size 0
		.amdhsa_kernarg_size 136
		.amdhsa_user_sgpr_count 15
		.amdhsa_user_sgpr_dispatch_ptr 0
		.amdhsa_user_sgpr_queue_ptr 0
		.amdhsa_user_sgpr_kernarg_segment_ptr 1
		.amdhsa_user_sgpr_dispatch_id 0
		.amdhsa_user_sgpr_private_segment_size 0
		.amdhsa_wavefront_size32 1
		.amdhsa_uses_dynamic_stack 0
		.amdhsa_enable_private_segment 0
		.amdhsa_system_sgpr_workgroup_id_x 1
		.amdhsa_system_sgpr_workgroup_id_y 0
		.amdhsa_system_sgpr_workgroup_id_z 0
		.amdhsa_system_sgpr_workgroup_info 0
		.amdhsa_system_vgpr_workitem_id 0
		.amdhsa_next_free_vgpr 1
		.amdhsa_next_free_sgpr 1
		.amdhsa_reserve_vcc 0
		.amdhsa_float_round_mode_32 0
		.amdhsa_float_round_mode_16_64 0
		.amdhsa_float_denorm_mode_32 3
		.amdhsa_float_denorm_mode_16_64 3
		.amdhsa_dx10_clamp 1
		.amdhsa_ieee_mode 1
		.amdhsa_fp16_overflow 0
		.amdhsa_workgroup_processor_mode 1
		.amdhsa_memory_ordered 1
		.amdhsa_forward_progress 0
		.amdhsa_shared_vgpr_count 0
		.amdhsa_exception_fp_ieee_invalid_op 0
		.amdhsa_exception_fp_denorm_src 0
		.amdhsa_exception_fp_ieee_div_zero 0
		.amdhsa_exception_fp_ieee_overflow 0
		.amdhsa_exception_fp_ieee_underflow 0
		.amdhsa_exception_fp_ieee_inexact 0
		.amdhsa_exception_int_div_zero 0
	.end_amdhsa_kernel
	.section	.text._ZN7rocprim17ROCPRIM_400000_NS6detail17trampoline_kernelINS0_14default_configENS1_25partition_config_selectorILNS1_17partition_subalgoE5ElNS0_10empty_typeEbEEZZNS1_14partition_implILS5_5ELb0ES3_mN6hipcub16HIPCUB_304000_NS21CountingInputIteratorIllEEPS6_NSA_22TransformInputIteratorIbN2at6native12_GLOBAL__N_19NonZeroOpIsEEPKslEENS0_5tupleIJPlS6_EEENSN_IJSD_SD_EEES6_PiJS6_EEE10hipError_tPvRmT3_T4_T5_T6_T7_T9_mT8_P12ihipStream_tbDpT10_ENKUlT_T0_E_clISt17integral_constantIbLb1EES1B_EEDaS16_S17_EUlS16_E_NS1_11comp_targetILNS1_3genE4ELNS1_11target_archE910ELNS1_3gpuE8ELNS1_3repE0EEENS1_30default_config_static_selectorELNS0_4arch9wavefront6targetE0EEEvT1_,"axG",@progbits,_ZN7rocprim17ROCPRIM_400000_NS6detail17trampoline_kernelINS0_14default_configENS1_25partition_config_selectorILNS1_17partition_subalgoE5ElNS0_10empty_typeEbEEZZNS1_14partition_implILS5_5ELb0ES3_mN6hipcub16HIPCUB_304000_NS21CountingInputIteratorIllEEPS6_NSA_22TransformInputIteratorIbN2at6native12_GLOBAL__N_19NonZeroOpIsEEPKslEENS0_5tupleIJPlS6_EEENSN_IJSD_SD_EEES6_PiJS6_EEE10hipError_tPvRmT3_T4_T5_T6_T7_T9_mT8_P12ihipStream_tbDpT10_ENKUlT_T0_E_clISt17integral_constantIbLb1EES1B_EEDaS16_S17_EUlS16_E_NS1_11comp_targetILNS1_3genE4ELNS1_11target_archE910ELNS1_3gpuE8ELNS1_3repE0EEENS1_30default_config_static_selectorELNS0_4arch9wavefront6targetE0EEEvT1_,comdat
.Lfunc_end332:
	.size	_ZN7rocprim17ROCPRIM_400000_NS6detail17trampoline_kernelINS0_14default_configENS1_25partition_config_selectorILNS1_17partition_subalgoE5ElNS0_10empty_typeEbEEZZNS1_14partition_implILS5_5ELb0ES3_mN6hipcub16HIPCUB_304000_NS21CountingInputIteratorIllEEPS6_NSA_22TransformInputIteratorIbN2at6native12_GLOBAL__N_19NonZeroOpIsEEPKslEENS0_5tupleIJPlS6_EEENSN_IJSD_SD_EEES6_PiJS6_EEE10hipError_tPvRmT3_T4_T5_T6_T7_T9_mT8_P12ihipStream_tbDpT10_ENKUlT_T0_E_clISt17integral_constantIbLb1EES1B_EEDaS16_S17_EUlS16_E_NS1_11comp_targetILNS1_3genE4ELNS1_11target_archE910ELNS1_3gpuE8ELNS1_3repE0EEENS1_30default_config_static_selectorELNS0_4arch9wavefront6targetE0EEEvT1_, .Lfunc_end332-_ZN7rocprim17ROCPRIM_400000_NS6detail17trampoline_kernelINS0_14default_configENS1_25partition_config_selectorILNS1_17partition_subalgoE5ElNS0_10empty_typeEbEEZZNS1_14partition_implILS5_5ELb0ES3_mN6hipcub16HIPCUB_304000_NS21CountingInputIteratorIllEEPS6_NSA_22TransformInputIteratorIbN2at6native12_GLOBAL__N_19NonZeroOpIsEEPKslEENS0_5tupleIJPlS6_EEENSN_IJSD_SD_EEES6_PiJS6_EEE10hipError_tPvRmT3_T4_T5_T6_T7_T9_mT8_P12ihipStream_tbDpT10_ENKUlT_T0_E_clISt17integral_constantIbLb1EES1B_EEDaS16_S17_EUlS16_E_NS1_11comp_targetILNS1_3genE4ELNS1_11target_archE910ELNS1_3gpuE8ELNS1_3repE0EEENS1_30default_config_static_selectorELNS0_4arch9wavefront6targetE0EEEvT1_
                                        ; -- End function
	.section	.AMDGPU.csdata,"",@progbits
; Kernel info:
; codeLenInByte = 0
; NumSgprs: 0
; NumVgprs: 0
; ScratchSize: 0
; MemoryBound: 0
; FloatMode: 240
; IeeeMode: 1
; LDSByteSize: 0 bytes/workgroup (compile time only)
; SGPRBlocks: 0
; VGPRBlocks: 0
; NumSGPRsForWavesPerEU: 1
; NumVGPRsForWavesPerEU: 1
; Occupancy: 15
; WaveLimiterHint : 0
; COMPUTE_PGM_RSRC2:SCRATCH_EN: 0
; COMPUTE_PGM_RSRC2:USER_SGPR: 15
; COMPUTE_PGM_RSRC2:TRAP_HANDLER: 0
; COMPUTE_PGM_RSRC2:TGID_X_EN: 1
; COMPUTE_PGM_RSRC2:TGID_Y_EN: 0
; COMPUTE_PGM_RSRC2:TGID_Z_EN: 0
; COMPUTE_PGM_RSRC2:TIDIG_COMP_CNT: 0
	.section	.text._ZN7rocprim17ROCPRIM_400000_NS6detail17trampoline_kernelINS0_14default_configENS1_25partition_config_selectorILNS1_17partition_subalgoE5ElNS0_10empty_typeEbEEZZNS1_14partition_implILS5_5ELb0ES3_mN6hipcub16HIPCUB_304000_NS21CountingInputIteratorIllEEPS6_NSA_22TransformInputIteratorIbN2at6native12_GLOBAL__N_19NonZeroOpIsEEPKslEENS0_5tupleIJPlS6_EEENSN_IJSD_SD_EEES6_PiJS6_EEE10hipError_tPvRmT3_T4_T5_T6_T7_T9_mT8_P12ihipStream_tbDpT10_ENKUlT_T0_E_clISt17integral_constantIbLb1EES1B_EEDaS16_S17_EUlS16_E_NS1_11comp_targetILNS1_3genE3ELNS1_11target_archE908ELNS1_3gpuE7ELNS1_3repE0EEENS1_30default_config_static_selectorELNS0_4arch9wavefront6targetE0EEEvT1_,"axG",@progbits,_ZN7rocprim17ROCPRIM_400000_NS6detail17trampoline_kernelINS0_14default_configENS1_25partition_config_selectorILNS1_17partition_subalgoE5ElNS0_10empty_typeEbEEZZNS1_14partition_implILS5_5ELb0ES3_mN6hipcub16HIPCUB_304000_NS21CountingInputIteratorIllEEPS6_NSA_22TransformInputIteratorIbN2at6native12_GLOBAL__N_19NonZeroOpIsEEPKslEENS0_5tupleIJPlS6_EEENSN_IJSD_SD_EEES6_PiJS6_EEE10hipError_tPvRmT3_T4_T5_T6_T7_T9_mT8_P12ihipStream_tbDpT10_ENKUlT_T0_E_clISt17integral_constantIbLb1EES1B_EEDaS16_S17_EUlS16_E_NS1_11comp_targetILNS1_3genE3ELNS1_11target_archE908ELNS1_3gpuE7ELNS1_3repE0EEENS1_30default_config_static_selectorELNS0_4arch9wavefront6targetE0EEEvT1_,comdat
	.globl	_ZN7rocprim17ROCPRIM_400000_NS6detail17trampoline_kernelINS0_14default_configENS1_25partition_config_selectorILNS1_17partition_subalgoE5ElNS0_10empty_typeEbEEZZNS1_14partition_implILS5_5ELb0ES3_mN6hipcub16HIPCUB_304000_NS21CountingInputIteratorIllEEPS6_NSA_22TransformInputIteratorIbN2at6native12_GLOBAL__N_19NonZeroOpIsEEPKslEENS0_5tupleIJPlS6_EEENSN_IJSD_SD_EEES6_PiJS6_EEE10hipError_tPvRmT3_T4_T5_T6_T7_T9_mT8_P12ihipStream_tbDpT10_ENKUlT_T0_E_clISt17integral_constantIbLb1EES1B_EEDaS16_S17_EUlS16_E_NS1_11comp_targetILNS1_3genE3ELNS1_11target_archE908ELNS1_3gpuE7ELNS1_3repE0EEENS1_30default_config_static_selectorELNS0_4arch9wavefront6targetE0EEEvT1_ ; -- Begin function _ZN7rocprim17ROCPRIM_400000_NS6detail17trampoline_kernelINS0_14default_configENS1_25partition_config_selectorILNS1_17partition_subalgoE5ElNS0_10empty_typeEbEEZZNS1_14partition_implILS5_5ELb0ES3_mN6hipcub16HIPCUB_304000_NS21CountingInputIteratorIllEEPS6_NSA_22TransformInputIteratorIbN2at6native12_GLOBAL__N_19NonZeroOpIsEEPKslEENS0_5tupleIJPlS6_EEENSN_IJSD_SD_EEES6_PiJS6_EEE10hipError_tPvRmT3_T4_T5_T6_T7_T9_mT8_P12ihipStream_tbDpT10_ENKUlT_T0_E_clISt17integral_constantIbLb1EES1B_EEDaS16_S17_EUlS16_E_NS1_11comp_targetILNS1_3genE3ELNS1_11target_archE908ELNS1_3gpuE7ELNS1_3repE0EEENS1_30default_config_static_selectorELNS0_4arch9wavefront6targetE0EEEvT1_
	.p2align	8
	.type	_ZN7rocprim17ROCPRIM_400000_NS6detail17trampoline_kernelINS0_14default_configENS1_25partition_config_selectorILNS1_17partition_subalgoE5ElNS0_10empty_typeEbEEZZNS1_14partition_implILS5_5ELb0ES3_mN6hipcub16HIPCUB_304000_NS21CountingInputIteratorIllEEPS6_NSA_22TransformInputIteratorIbN2at6native12_GLOBAL__N_19NonZeroOpIsEEPKslEENS0_5tupleIJPlS6_EEENSN_IJSD_SD_EEES6_PiJS6_EEE10hipError_tPvRmT3_T4_T5_T6_T7_T9_mT8_P12ihipStream_tbDpT10_ENKUlT_T0_E_clISt17integral_constantIbLb1EES1B_EEDaS16_S17_EUlS16_E_NS1_11comp_targetILNS1_3genE3ELNS1_11target_archE908ELNS1_3gpuE7ELNS1_3repE0EEENS1_30default_config_static_selectorELNS0_4arch9wavefront6targetE0EEEvT1_,@function
_ZN7rocprim17ROCPRIM_400000_NS6detail17trampoline_kernelINS0_14default_configENS1_25partition_config_selectorILNS1_17partition_subalgoE5ElNS0_10empty_typeEbEEZZNS1_14partition_implILS5_5ELb0ES3_mN6hipcub16HIPCUB_304000_NS21CountingInputIteratorIllEEPS6_NSA_22TransformInputIteratorIbN2at6native12_GLOBAL__N_19NonZeroOpIsEEPKslEENS0_5tupleIJPlS6_EEENSN_IJSD_SD_EEES6_PiJS6_EEE10hipError_tPvRmT3_T4_T5_T6_T7_T9_mT8_P12ihipStream_tbDpT10_ENKUlT_T0_E_clISt17integral_constantIbLb1EES1B_EEDaS16_S17_EUlS16_E_NS1_11comp_targetILNS1_3genE3ELNS1_11target_archE908ELNS1_3gpuE7ELNS1_3repE0EEENS1_30default_config_static_selectorELNS0_4arch9wavefront6targetE0EEEvT1_: ; @_ZN7rocprim17ROCPRIM_400000_NS6detail17trampoline_kernelINS0_14default_configENS1_25partition_config_selectorILNS1_17partition_subalgoE5ElNS0_10empty_typeEbEEZZNS1_14partition_implILS5_5ELb0ES3_mN6hipcub16HIPCUB_304000_NS21CountingInputIteratorIllEEPS6_NSA_22TransformInputIteratorIbN2at6native12_GLOBAL__N_19NonZeroOpIsEEPKslEENS0_5tupleIJPlS6_EEENSN_IJSD_SD_EEES6_PiJS6_EEE10hipError_tPvRmT3_T4_T5_T6_T7_T9_mT8_P12ihipStream_tbDpT10_ENKUlT_T0_E_clISt17integral_constantIbLb1EES1B_EEDaS16_S17_EUlS16_E_NS1_11comp_targetILNS1_3genE3ELNS1_11target_archE908ELNS1_3gpuE7ELNS1_3repE0EEENS1_30default_config_static_selectorELNS0_4arch9wavefront6targetE0EEEvT1_
; %bb.0:
	.section	.rodata,"a",@progbits
	.p2align	6, 0x0
	.amdhsa_kernel _ZN7rocprim17ROCPRIM_400000_NS6detail17trampoline_kernelINS0_14default_configENS1_25partition_config_selectorILNS1_17partition_subalgoE5ElNS0_10empty_typeEbEEZZNS1_14partition_implILS5_5ELb0ES3_mN6hipcub16HIPCUB_304000_NS21CountingInputIteratorIllEEPS6_NSA_22TransformInputIteratorIbN2at6native12_GLOBAL__N_19NonZeroOpIsEEPKslEENS0_5tupleIJPlS6_EEENSN_IJSD_SD_EEES6_PiJS6_EEE10hipError_tPvRmT3_T4_T5_T6_T7_T9_mT8_P12ihipStream_tbDpT10_ENKUlT_T0_E_clISt17integral_constantIbLb1EES1B_EEDaS16_S17_EUlS16_E_NS1_11comp_targetILNS1_3genE3ELNS1_11target_archE908ELNS1_3gpuE7ELNS1_3repE0EEENS1_30default_config_static_selectorELNS0_4arch9wavefront6targetE0EEEvT1_
		.amdhsa_group_segment_fixed_size 0
		.amdhsa_private_segment_fixed_size 0
		.amdhsa_kernarg_size 136
		.amdhsa_user_sgpr_count 15
		.amdhsa_user_sgpr_dispatch_ptr 0
		.amdhsa_user_sgpr_queue_ptr 0
		.amdhsa_user_sgpr_kernarg_segment_ptr 1
		.amdhsa_user_sgpr_dispatch_id 0
		.amdhsa_user_sgpr_private_segment_size 0
		.amdhsa_wavefront_size32 1
		.amdhsa_uses_dynamic_stack 0
		.amdhsa_enable_private_segment 0
		.amdhsa_system_sgpr_workgroup_id_x 1
		.amdhsa_system_sgpr_workgroup_id_y 0
		.amdhsa_system_sgpr_workgroup_id_z 0
		.amdhsa_system_sgpr_workgroup_info 0
		.amdhsa_system_vgpr_workitem_id 0
		.amdhsa_next_free_vgpr 1
		.amdhsa_next_free_sgpr 1
		.amdhsa_reserve_vcc 0
		.amdhsa_float_round_mode_32 0
		.amdhsa_float_round_mode_16_64 0
		.amdhsa_float_denorm_mode_32 3
		.amdhsa_float_denorm_mode_16_64 3
		.amdhsa_dx10_clamp 1
		.amdhsa_ieee_mode 1
		.amdhsa_fp16_overflow 0
		.amdhsa_workgroup_processor_mode 1
		.amdhsa_memory_ordered 1
		.amdhsa_forward_progress 0
		.amdhsa_shared_vgpr_count 0
		.amdhsa_exception_fp_ieee_invalid_op 0
		.amdhsa_exception_fp_denorm_src 0
		.amdhsa_exception_fp_ieee_div_zero 0
		.amdhsa_exception_fp_ieee_overflow 0
		.amdhsa_exception_fp_ieee_underflow 0
		.amdhsa_exception_fp_ieee_inexact 0
		.amdhsa_exception_int_div_zero 0
	.end_amdhsa_kernel
	.section	.text._ZN7rocprim17ROCPRIM_400000_NS6detail17trampoline_kernelINS0_14default_configENS1_25partition_config_selectorILNS1_17partition_subalgoE5ElNS0_10empty_typeEbEEZZNS1_14partition_implILS5_5ELb0ES3_mN6hipcub16HIPCUB_304000_NS21CountingInputIteratorIllEEPS6_NSA_22TransformInputIteratorIbN2at6native12_GLOBAL__N_19NonZeroOpIsEEPKslEENS0_5tupleIJPlS6_EEENSN_IJSD_SD_EEES6_PiJS6_EEE10hipError_tPvRmT3_T4_T5_T6_T7_T9_mT8_P12ihipStream_tbDpT10_ENKUlT_T0_E_clISt17integral_constantIbLb1EES1B_EEDaS16_S17_EUlS16_E_NS1_11comp_targetILNS1_3genE3ELNS1_11target_archE908ELNS1_3gpuE7ELNS1_3repE0EEENS1_30default_config_static_selectorELNS0_4arch9wavefront6targetE0EEEvT1_,"axG",@progbits,_ZN7rocprim17ROCPRIM_400000_NS6detail17trampoline_kernelINS0_14default_configENS1_25partition_config_selectorILNS1_17partition_subalgoE5ElNS0_10empty_typeEbEEZZNS1_14partition_implILS5_5ELb0ES3_mN6hipcub16HIPCUB_304000_NS21CountingInputIteratorIllEEPS6_NSA_22TransformInputIteratorIbN2at6native12_GLOBAL__N_19NonZeroOpIsEEPKslEENS0_5tupleIJPlS6_EEENSN_IJSD_SD_EEES6_PiJS6_EEE10hipError_tPvRmT3_T4_T5_T6_T7_T9_mT8_P12ihipStream_tbDpT10_ENKUlT_T0_E_clISt17integral_constantIbLb1EES1B_EEDaS16_S17_EUlS16_E_NS1_11comp_targetILNS1_3genE3ELNS1_11target_archE908ELNS1_3gpuE7ELNS1_3repE0EEENS1_30default_config_static_selectorELNS0_4arch9wavefront6targetE0EEEvT1_,comdat
.Lfunc_end333:
	.size	_ZN7rocprim17ROCPRIM_400000_NS6detail17trampoline_kernelINS0_14default_configENS1_25partition_config_selectorILNS1_17partition_subalgoE5ElNS0_10empty_typeEbEEZZNS1_14partition_implILS5_5ELb0ES3_mN6hipcub16HIPCUB_304000_NS21CountingInputIteratorIllEEPS6_NSA_22TransformInputIteratorIbN2at6native12_GLOBAL__N_19NonZeroOpIsEEPKslEENS0_5tupleIJPlS6_EEENSN_IJSD_SD_EEES6_PiJS6_EEE10hipError_tPvRmT3_T4_T5_T6_T7_T9_mT8_P12ihipStream_tbDpT10_ENKUlT_T0_E_clISt17integral_constantIbLb1EES1B_EEDaS16_S17_EUlS16_E_NS1_11comp_targetILNS1_3genE3ELNS1_11target_archE908ELNS1_3gpuE7ELNS1_3repE0EEENS1_30default_config_static_selectorELNS0_4arch9wavefront6targetE0EEEvT1_, .Lfunc_end333-_ZN7rocprim17ROCPRIM_400000_NS6detail17trampoline_kernelINS0_14default_configENS1_25partition_config_selectorILNS1_17partition_subalgoE5ElNS0_10empty_typeEbEEZZNS1_14partition_implILS5_5ELb0ES3_mN6hipcub16HIPCUB_304000_NS21CountingInputIteratorIllEEPS6_NSA_22TransformInputIteratorIbN2at6native12_GLOBAL__N_19NonZeroOpIsEEPKslEENS0_5tupleIJPlS6_EEENSN_IJSD_SD_EEES6_PiJS6_EEE10hipError_tPvRmT3_T4_T5_T6_T7_T9_mT8_P12ihipStream_tbDpT10_ENKUlT_T0_E_clISt17integral_constantIbLb1EES1B_EEDaS16_S17_EUlS16_E_NS1_11comp_targetILNS1_3genE3ELNS1_11target_archE908ELNS1_3gpuE7ELNS1_3repE0EEENS1_30default_config_static_selectorELNS0_4arch9wavefront6targetE0EEEvT1_
                                        ; -- End function
	.section	.AMDGPU.csdata,"",@progbits
; Kernel info:
; codeLenInByte = 0
; NumSgprs: 0
; NumVgprs: 0
; ScratchSize: 0
; MemoryBound: 0
; FloatMode: 240
; IeeeMode: 1
; LDSByteSize: 0 bytes/workgroup (compile time only)
; SGPRBlocks: 0
; VGPRBlocks: 0
; NumSGPRsForWavesPerEU: 1
; NumVGPRsForWavesPerEU: 1
; Occupancy: 16
; WaveLimiterHint : 0
; COMPUTE_PGM_RSRC2:SCRATCH_EN: 0
; COMPUTE_PGM_RSRC2:USER_SGPR: 15
; COMPUTE_PGM_RSRC2:TRAP_HANDLER: 0
; COMPUTE_PGM_RSRC2:TGID_X_EN: 1
; COMPUTE_PGM_RSRC2:TGID_Y_EN: 0
; COMPUTE_PGM_RSRC2:TGID_Z_EN: 0
; COMPUTE_PGM_RSRC2:TIDIG_COMP_CNT: 0
	.section	.text._ZN7rocprim17ROCPRIM_400000_NS6detail17trampoline_kernelINS0_14default_configENS1_25partition_config_selectorILNS1_17partition_subalgoE5ElNS0_10empty_typeEbEEZZNS1_14partition_implILS5_5ELb0ES3_mN6hipcub16HIPCUB_304000_NS21CountingInputIteratorIllEEPS6_NSA_22TransformInputIteratorIbN2at6native12_GLOBAL__N_19NonZeroOpIsEEPKslEENS0_5tupleIJPlS6_EEENSN_IJSD_SD_EEES6_PiJS6_EEE10hipError_tPvRmT3_T4_T5_T6_T7_T9_mT8_P12ihipStream_tbDpT10_ENKUlT_T0_E_clISt17integral_constantIbLb1EES1B_EEDaS16_S17_EUlS16_E_NS1_11comp_targetILNS1_3genE2ELNS1_11target_archE906ELNS1_3gpuE6ELNS1_3repE0EEENS1_30default_config_static_selectorELNS0_4arch9wavefront6targetE0EEEvT1_,"axG",@progbits,_ZN7rocprim17ROCPRIM_400000_NS6detail17trampoline_kernelINS0_14default_configENS1_25partition_config_selectorILNS1_17partition_subalgoE5ElNS0_10empty_typeEbEEZZNS1_14partition_implILS5_5ELb0ES3_mN6hipcub16HIPCUB_304000_NS21CountingInputIteratorIllEEPS6_NSA_22TransformInputIteratorIbN2at6native12_GLOBAL__N_19NonZeroOpIsEEPKslEENS0_5tupleIJPlS6_EEENSN_IJSD_SD_EEES6_PiJS6_EEE10hipError_tPvRmT3_T4_T5_T6_T7_T9_mT8_P12ihipStream_tbDpT10_ENKUlT_T0_E_clISt17integral_constantIbLb1EES1B_EEDaS16_S17_EUlS16_E_NS1_11comp_targetILNS1_3genE2ELNS1_11target_archE906ELNS1_3gpuE6ELNS1_3repE0EEENS1_30default_config_static_selectorELNS0_4arch9wavefront6targetE0EEEvT1_,comdat
	.globl	_ZN7rocprim17ROCPRIM_400000_NS6detail17trampoline_kernelINS0_14default_configENS1_25partition_config_selectorILNS1_17partition_subalgoE5ElNS0_10empty_typeEbEEZZNS1_14partition_implILS5_5ELb0ES3_mN6hipcub16HIPCUB_304000_NS21CountingInputIteratorIllEEPS6_NSA_22TransformInputIteratorIbN2at6native12_GLOBAL__N_19NonZeroOpIsEEPKslEENS0_5tupleIJPlS6_EEENSN_IJSD_SD_EEES6_PiJS6_EEE10hipError_tPvRmT3_T4_T5_T6_T7_T9_mT8_P12ihipStream_tbDpT10_ENKUlT_T0_E_clISt17integral_constantIbLb1EES1B_EEDaS16_S17_EUlS16_E_NS1_11comp_targetILNS1_3genE2ELNS1_11target_archE906ELNS1_3gpuE6ELNS1_3repE0EEENS1_30default_config_static_selectorELNS0_4arch9wavefront6targetE0EEEvT1_ ; -- Begin function _ZN7rocprim17ROCPRIM_400000_NS6detail17trampoline_kernelINS0_14default_configENS1_25partition_config_selectorILNS1_17partition_subalgoE5ElNS0_10empty_typeEbEEZZNS1_14partition_implILS5_5ELb0ES3_mN6hipcub16HIPCUB_304000_NS21CountingInputIteratorIllEEPS6_NSA_22TransformInputIteratorIbN2at6native12_GLOBAL__N_19NonZeroOpIsEEPKslEENS0_5tupleIJPlS6_EEENSN_IJSD_SD_EEES6_PiJS6_EEE10hipError_tPvRmT3_T4_T5_T6_T7_T9_mT8_P12ihipStream_tbDpT10_ENKUlT_T0_E_clISt17integral_constantIbLb1EES1B_EEDaS16_S17_EUlS16_E_NS1_11comp_targetILNS1_3genE2ELNS1_11target_archE906ELNS1_3gpuE6ELNS1_3repE0EEENS1_30default_config_static_selectorELNS0_4arch9wavefront6targetE0EEEvT1_
	.p2align	8
	.type	_ZN7rocprim17ROCPRIM_400000_NS6detail17trampoline_kernelINS0_14default_configENS1_25partition_config_selectorILNS1_17partition_subalgoE5ElNS0_10empty_typeEbEEZZNS1_14partition_implILS5_5ELb0ES3_mN6hipcub16HIPCUB_304000_NS21CountingInputIteratorIllEEPS6_NSA_22TransformInputIteratorIbN2at6native12_GLOBAL__N_19NonZeroOpIsEEPKslEENS0_5tupleIJPlS6_EEENSN_IJSD_SD_EEES6_PiJS6_EEE10hipError_tPvRmT3_T4_T5_T6_T7_T9_mT8_P12ihipStream_tbDpT10_ENKUlT_T0_E_clISt17integral_constantIbLb1EES1B_EEDaS16_S17_EUlS16_E_NS1_11comp_targetILNS1_3genE2ELNS1_11target_archE906ELNS1_3gpuE6ELNS1_3repE0EEENS1_30default_config_static_selectorELNS0_4arch9wavefront6targetE0EEEvT1_,@function
_ZN7rocprim17ROCPRIM_400000_NS6detail17trampoline_kernelINS0_14default_configENS1_25partition_config_selectorILNS1_17partition_subalgoE5ElNS0_10empty_typeEbEEZZNS1_14partition_implILS5_5ELb0ES3_mN6hipcub16HIPCUB_304000_NS21CountingInputIteratorIllEEPS6_NSA_22TransformInputIteratorIbN2at6native12_GLOBAL__N_19NonZeroOpIsEEPKslEENS0_5tupleIJPlS6_EEENSN_IJSD_SD_EEES6_PiJS6_EEE10hipError_tPvRmT3_T4_T5_T6_T7_T9_mT8_P12ihipStream_tbDpT10_ENKUlT_T0_E_clISt17integral_constantIbLb1EES1B_EEDaS16_S17_EUlS16_E_NS1_11comp_targetILNS1_3genE2ELNS1_11target_archE906ELNS1_3gpuE6ELNS1_3repE0EEENS1_30default_config_static_selectorELNS0_4arch9wavefront6targetE0EEEvT1_: ; @_ZN7rocprim17ROCPRIM_400000_NS6detail17trampoline_kernelINS0_14default_configENS1_25partition_config_selectorILNS1_17partition_subalgoE5ElNS0_10empty_typeEbEEZZNS1_14partition_implILS5_5ELb0ES3_mN6hipcub16HIPCUB_304000_NS21CountingInputIteratorIllEEPS6_NSA_22TransformInputIteratorIbN2at6native12_GLOBAL__N_19NonZeroOpIsEEPKslEENS0_5tupleIJPlS6_EEENSN_IJSD_SD_EEES6_PiJS6_EEE10hipError_tPvRmT3_T4_T5_T6_T7_T9_mT8_P12ihipStream_tbDpT10_ENKUlT_T0_E_clISt17integral_constantIbLb1EES1B_EEDaS16_S17_EUlS16_E_NS1_11comp_targetILNS1_3genE2ELNS1_11target_archE906ELNS1_3gpuE6ELNS1_3repE0EEENS1_30default_config_static_selectorELNS0_4arch9wavefront6targetE0EEEvT1_
; %bb.0:
	.section	.rodata,"a",@progbits
	.p2align	6, 0x0
	.amdhsa_kernel _ZN7rocprim17ROCPRIM_400000_NS6detail17trampoline_kernelINS0_14default_configENS1_25partition_config_selectorILNS1_17partition_subalgoE5ElNS0_10empty_typeEbEEZZNS1_14partition_implILS5_5ELb0ES3_mN6hipcub16HIPCUB_304000_NS21CountingInputIteratorIllEEPS6_NSA_22TransformInputIteratorIbN2at6native12_GLOBAL__N_19NonZeroOpIsEEPKslEENS0_5tupleIJPlS6_EEENSN_IJSD_SD_EEES6_PiJS6_EEE10hipError_tPvRmT3_T4_T5_T6_T7_T9_mT8_P12ihipStream_tbDpT10_ENKUlT_T0_E_clISt17integral_constantIbLb1EES1B_EEDaS16_S17_EUlS16_E_NS1_11comp_targetILNS1_3genE2ELNS1_11target_archE906ELNS1_3gpuE6ELNS1_3repE0EEENS1_30default_config_static_selectorELNS0_4arch9wavefront6targetE0EEEvT1_
		.amdhsa_group_segment_fixed_size 0
		.amdhsa_private_segment_fixed_size 0
		.amdhsa_kernarg_size 136
		.amdhsa_user_sgpr_count 15
		.amdhsa_user_sgpr_dispatch_ptr 0
		.amdhsa_user_sgpr_queue_ptr 0
		.amdhsa_user_sgpr_kernarg_segment_ptr 1
		.amdhsa_user_sgpr_dispatch_id 0
		.amdhsa_user_sgpr_private_segment_size 0
		.amdhsa_wavefront_size32 1
		.amdhsa_uses_dynamic_stack 0
		.amdhsa_enable_private_segment 0
		.amdhsa_system_sgpr_workgroup_id_x 1
		.amdhsa_system_sgpr_workgroup_id_y 0
		.amdhsa_system_sgpr_workgroup_id_z 0
		.amdhsa_system_sgpr_workgroup_info 0
		.amdhsa_system_vgpr_workitem_id 0
		.amdhsa_next_free_vgpr 1
		.amdhsa_next_free_sgpr 1
		.amdhsa_reserve_vcc 0
		.amdhsa_float_round_mode_32 0
		.amdhsa_float_round_mode_16_64 0
		.amdhsa_float_denorm_mode_32 3
		.amdhsa_float_denorm_mode_16_64 3
		.amdhsa_dx10_clamp 1
		.amdhsa_ieee_mode 1
		.amdhsa_fp16_overflow 0
		.amdhsa_workgroup_processor_mode 1
		.amdhsa_memory_ordered 1
		.amdhsa_forward_progress 0
		.amdhsa_shared_vgpr_count 0
		.amdhsa_exception_fp_ieee_invalid_op 0
		.amdhsa_exception_fp_denorm_src 0
		.amdhsa_exception_fp_ieee_div_zero 0
		.amdhsa_exception_fp_ieee_overflow 0
		.amdhsa_exception_fp_ieee_underflow 0
		.amdhsa_exception_fp_ieee_inexact 0
		.amdhsa_exception_int_div_zero 0
	.end_amdhsa_kernel
	.section	.text._ZN7rocprim17ROCPRIM_400000_NS6detail17trampoline_kernelINS0_14default_configENS1_25partition_config_selectorILNS1_17partition_subalgoE5ElNS0_10empty_typeEbEEZZNS1_14partition_implILS5_5ELb0ES3_mN6hipcub16HIPCUB_304000_NS21CountingInputIteratorIllEEPS6_NSA_22TransformInputIteratorIbN2at6native12_GLOBAL__N_19NonZeroOpIsEEPKslEENS0_5tupleIJPlS6_EEENSN_IJSD_SD_EEES6_PiJS6_EEE10hipError_tPvRmT3_T4_T5_T6_T7_T9_mT8_P12ihipStream_tbDpT10_ENKUlT_T0_E_clISt17integral_constantIbLb1EES1B_EEDaS16_S17_EUlS16_E_NS1_11comp_targetILNS1_3genE2ELNS1_11target_archE906ELNS1_3gpuE6ELNS1_3repE0EEENS1_30default_config_static_selectorELNS0_4arch9wavefront6targetE0EEEvT1_,"axG",@progbits,_ZN7rocprim17ROCPRIM_400000_NS6detail17trampoline_kernelINS0_14default_configENS1_25partition_config_selectorILNS1_17partition_subalgoE5ElNS0_10empty_typeEbEEZZNS1_14partition_implILS5_5ELb0ES3_mN6hipcub16HIPCUB_304000_NS21CountingInputIteratorIllEEPS6_NSA_22TransformInputIteratorIbN2at6native12_GLOBAL__N_19NonZeroOpIsEEPKslEENS0_5tupleIJPlS6_EEENSN_IJSD_SD_EEES6_PiJS6_EEE10hipError_tPvRmT3_T4_T5_T6_T7_T9_mT8_P12ihipStream_tbDpT10_ENKUlT_T0_E_clISt17integral_constantIbLb1EES1B_EEDaS16_S17_EUlS16_E_NS1_11comp_targetILNS1_3genE2ELNS1_11target_archE906ELNS1_3gpuE6ELNS1_3repE0EEENS1_30default_config_static_selectorELNS0_4arch9wavefront6targetE0EEEvT1_,comdat
.Lfunc_end334:
	.size	_ZN7rocprim17ROCPRIM_400000_NS6detail17trampoline_kernelINS0_14default_configENS1_25partition_config_selectorILNS1_17partition_subalgoE5ElNS0_10empty_typeEbEEZZNS1_14partition_implILS5_5ELb0ES3_mN6hipcub16HIPCUB_304000_NS21CountingInputIteratorIllEEPS6_NSA_22TransformInputIteratorIbN2at6native12_GLOBAL__N_19NonZeroOpIsEEPKslEENS0_5tupleIJPlS6_EEENSN_IJSD_SD_EEES6_PiJS6_EEE10hipError_tPvRmT3_T4_T5_T6_T7_T9_mT8_P12ihipStream_tbDpT10_ENKUlT_T0_E_clISt17integral_constantIbLb1EES1B_EEDaS16_S17_EUlS16_E_NS1_11comp_targetILNS1_3genE2ELNS1_11target_archE906ELNS1_3gpuE6ELNS1_3repE0EEENS1_30default_config_static_selectorELNS0_4arch9wavefront6targetE0EEEvT1_, .Lfunc_end334-_ZN7rocprim17ROCPRIM_400000_NS6detail17trampoline_kernelINS0_14default_configENS1_25partition_config_selectorILNS1_17partition_subalgoE5ElNS0_10empty_typeEbEEZZNS1_14partition_implILS5_5ELb0ES3_mN6hipcub16HIPCUB_304000_NS21CountingInputIteratorIllEEPS6_NSA_22TransformInputIteratorIbN2at6native12_GLOBAL__N_19NonZeroOpIsEEPKslEENS0_5tupleIJPlS6_EEENSN_IJSD_SD_EEES6_PiJS6_EEE10hipError_tPvRmT3_T4_T5_T6_T7_T9_mT8_P12ihipStream_tbDpT10_ENKUlT_T0_E_clISt17integral_constantIbLb1EES1B_EEDaS16_S17_EUlS16_E_NS1_11comp_targetILNS1_3genE2ELNS1_11target_archE906ELNS1_3gpuE6ELNS1_3repE0EEENS1_30default_config_static_selectorELNS0_4arch9wavefront6targetE0EEEvT1_
                                        ; -- End function
	.section	.AMDGPU.csdata,"",@progbits
; Kernel info:
; codeLenInByte = 0
; NumSgprs: 0
; NumVgprs: 0
; ScratchSize: 0
; MemoryBound: 0
; FloatMode: 240
; IeeeMode: 1
; LDSByteSize: 0 bytes/workgroup (compile time only)
; SGPRBlocks: 0
; VGPRBlocks: 0
; NumSGPRsForWavesPerEU: 1
; NumVGPRsForWavesPerEU: 1
; Occupancy: 16
; WaveLimiterHint : 0
; COMPUTE_PGM_RSRC2:SCRATCH_EN: 0
; COMPUTE_PGM_RSRC2:USER_SGPR: 15
; COMPUTE_PGM_RSRC2:TRAP_HANDLER: 0
; COMPUTE_PGM_RSRC2:TGID_X_EN: 1
; COMPUTE_PGM_RSRC2:TGID_Y_EN: 0
; COMPUTE_PGM_RSRC2:TGID_Z_EN: 0
; COMPUTE_PGM_RSRC2:TIDIG_COMP_CNT: 0
	.section	.text._ZN7rocprim17ROCPRIM_400000_NS6detail17trampoline_kernelINS0_14default_configENS1_25partition_config_selectorILNS1_17partition_subalgoE5ElNS0_10empty_typeEbEEZZNS1_14partition_implILS5_5ELb0ES3_mN6hipcub16HIPCUB_304000_NS21CountingInputIteratorIllEEPS6_NSA_22TransformInputIteratorIbN2at6native12_GLOBAL__N_19NonZeroOpIsEEPKslEENS0_5tupleIJPlS6_EEENSN_IJSD_SD_EEES6_PiJS6_EEE10hipError_tPvRmT3_T4_T5_T6_T7_T9_mT8_P12ihipStream_tbDpT10_ENKUlT_T0_E_clISt17integral_constantIbLb1EES1B_EEDaS16_S17_EUlS16_E_NS1_11comp_targetILNS1_3genE10ELNS1_11target_archE1200ELNS1_3gpuE4ELNS1_3repE0EEENS1_30default_config_static_selectorELNS0_4arch9wavefront6targetE0EEEvT1_,"axG",@progbits,_ZN7rocprim17ROCPRIM_400000_NS6detail17trampoline_kernelINS0_14default_configENS1_25partition_config_selectorILNS1_17partition_subalgoE5ElNS0_10empty_typeEbEEZZNS1_14partition_implILS5_5ELb0ES3_mN6hipcub16HIPCUB_304000_NS21CountingInputIteratorIllEEPS6_NSA_22TransformInputIteratorIbN2at6native12_GLOBAL__N_19NonZeroOpIsEEPKslEENS0_5tupleIJPlS6_EEENSN_IJSD_SD_EEES6_PiJS6_EEE10hipError_tPvRmT3_T4_T5_T6_T7_T9_mT8_P12ihipStream_tbDpT10_ENKUlT_T0_E_clISt17integral_constantIbLb1EES1B_EEDaS16_S17_EUlS16_E_NS1_11comp_targetILNS1_3genE10ELNS1_11target_archE1200ELNS1_3gpuE4ELNS1_3repE0EEENS1_30default_config_static_selectorELNS0_4arch9wavefront6targetE0EEEvT1_,comdat
	.globl	_ZN7rocprim17ROCPRIM_400000_NS6detail17trampoline_kernelINS0_14default_configENS1_25partition_config_selectorILNS1_17partition_subalgoE5ElNS0_10empty_typeEbEEZZNS1_14partition_implILS5_5ELb0ES3_mN6hipcub16HIPCUB_304000_NS21CountingInputIteratorIllEEPS6_NSA_22TransformInputIteratorIbN2at6native12_GLOBAL__N_19NonZeroOpIsEEPKslEENS0_5tupleIJPlS6_EEENSN_IJSD_SD_EEES6_PiJS6_EEE10hipError_tPvRmT3_T4_T5_T6_T7_T9_mT8_P12ihipStream_tbDpT10_ENKUlT_T0_E_clISt17integral_constantIbLb1EES1B_EEDaS16_S17_EUlS16_E_NS1_11comp_targetILNS1_3genE10ELNS1_11target_archE1200ELNS1_3gpuE4ELNS1_3repE0EEENS1_30default_config_static_selectorELNS0_4arch9wavefront6targetE0EEEvT1_ ; -- Begin function _ZN7rocprim17ROCPRIM_400000_NS6detail17trampoline_kernelINS0_14default_configENS1_25partition_config_selectorILNS1_17partition_subalgoE5ElNS0_10empty_typeEbEEZZNS1_14partition_implILS5_5ELb0ES3_mN6hipcub16HIPCUB_304000_NS21CountingInputIteratorIllEEPS6_NSA_22TransformInputIteratorIbN2at6native12_GLOBAL__N_19NonZeroOpIsEEPKslEENS0_5tupleIJPlS6_EEENSN_IJSD_SD_EEES6_PiJS6_EEE10hipError_tPvRmT3_T4_T5_T6_T7_T9_mT8_P12ihipStream_tbDpT10_ENKUlT_T0_E_clISt17integral_constantIbLb1EES1B_EEDaS16_S17_EUlS16_E_NS1_11comp_targetILNS1_3genE10ELNS1_11target_archE1200ELNS1_3gpuE4ELNS1_3repE0EEENS1_30default_config_static_selectorELNS0_4arch9wavefront6targetE0EEEvT1_
	.p2align	8
	.type	_ZN7rocprim17ROCPRIM_400000_NS6detail17trampoline_kernelINS0_14default_configENS1_25partition_config_selectorILNS1_17partition_subalgoE5ElNS0_10empty_typeEbEEZZNS1_14partition_implILS5_5ELb0ES3_mN6hipcub16HIPCUB_304000_NS21CountingInputIteratorIllEEPS6_NSA_22TransformInputIteratorIbN2at6native12_GLOBAL__N_19NonZeroOpIsEEPKslEENS0_5tupleIJPlS6_EEENSN_IJSD_SD_EEES6_PiJS6_EEE10hipError_tPvRmT3_T4_T5_T6_T7_T9_mT8_P12ihipStream_tbDpT10_ENKUlT_T0_E_clISt17integral_constantIbLb1EES1B_EEDaS16_S17_EUlS16_E_NS1_11comp_targetILNS1_3genE10ELNS1_11target_archE1200ELNS1_3gpuE4ELNS1_3repE0EEENS1_30default_config_static_selectorELNS0_4arch9wavefront6targetE0EEEvT1_,@function
_ZN7rocprim17ROCPRIM_400000_NS6detail17trampoline_kernelINS0_14default_configENS1_25partition_config_selectorILNS1_17partition_subalgoE5ElNS0_10empty_typeEbEEZZNS1_14partition_implILS5_5ELb0ES3_mN6hipcub16HIPCUB_304000_NS21CountingInputIteratorIllEEPS6_NSA_22TransformInputIteratorIbN2at6native12_GLOBAL__N_19NonZeroOpIsEEPKslEENS0_5tupleIJPlS6_EEENSN_IJSD_SD_EEES6_PiJS6_EEE10hipError_tPvRmT3_T4_T5_T6_T7_T9_mT8_P12ihipStream_tbDpT10_ENKUlT_T0_E_clISt17integral_constantIbLb1EES1B_EEDaS16_S17_EUlS16_E_NS1_11comp_targetILNS1_3genE10ELNS1_11target_archE1200ELNS1_3gpuE4ELNS1_3repE0EEENS1_30default_config_static_selectorELNS0_4arch9wavefront6targetE0EEEvT1_: ; @_ZN7rocprim17ROCPRIM_400000_NS6detail17trampoline_kernelINS0_14default_configENS1_25partition_config_selectorILNS1_17partition_subalgoE5ElNS0_10empty_typeEbEEZZNS1_14partition_implILS5_5ELb0ES3_mN6hipcub16HIPCUB_304000_NS21CountingInputIteratorIllEEPS6_NSA_22TransformInputIteratorIbN2at6native12_GLOBAL__N_19NonZeroOpIsEEPKslEENS0_5tupleIJPlS6_EEENSN_IJSD_SD_EEES6_PiJS6_EEE10hipError_tPvRmT3_T4_T5_T6_T7_T9_mT8_P12ihipStream_tbDpT10_ENKUlT_T0_E_clISt17integral_constantIbLb1EES1B_EEDaS16_S17_EUlS16_E_NS1_11comp_targetILNS1_3genE10ELNS1_11target_archE1200ELNS1_3gpuE4ELNS1_3repE0EEENS1_30default_config_static_selectorELNS0_4arch9wavefront6targetE0EEEvT1_
; %bb.0:
	.section	.rodata,"a",@progbits
	.p2align	6, 0x0
	.amdhsa_kernel _ZN7rocprim17ROCPRIM_400000_NS6detail17trampoline_kernelINS0_14default_configENS1_25partition_config_selectorILNS1_17partition_subalgoE5ElNS0_10empty_typeEbEEZZNS1_14partition_implILS5_5ELb0ES3_mN6hipcub16HIPCUB_304000_NS21CountingInputIteratorIllEEPS6_NSA_22TransformInputIteratorIbN2at6native12_GLOBAL__N_19NonZeroOpIsEEPKslEENS0_5tupleIJPlS6_EEENSN_IJSD_SD_EEES6_PiJS6_EEE10hipError_tPvRmT3_T4_T5_T6_T7_T9_mT8_P12ihipStream_tbDpT10_ENKUlT_T0_E_clISt17integral_constantIbLb1EES1B_EEDaS16_S17_EUlS16_E_NS1_11comp_targetILNS1_3genE10ELNS1_11target_archE1200ELNS1_3gpuE4ELNS1_3repE0EEENS1_30default_config_static_selectorELNS0_4arch9wavefront6targetE0EEEvT1_
		.amdhsa_group_segment_fixed_size 0
		.amdhsa_private_segment_fixed_size 0
		.amdhsa_kernarg_size 136
		.amdhsa_user_sgpr_count 15
		.amdhsa_user_sgpr_dispatch_ptr 0
		.amdhsa_user_sgpr_queue_ptr 0
		.amdhsa_user_sgpr_kernarg_segment_ptr 1
		.amdhsa_user_sgpr_dispatch_id 0
		.amdhsa_user_sgpr_private_segment_size 0
		.amdhsa_wavefront_size32 1
		.amdhsa_uses_dynamic_stack 0
		.amdhsa_enable_private_segment 0
		.amdhsa_system_sgpr_workgroup_id_x 1
		.amdhsa_system_sgpr_workgroup_id_y 0
		.amdhsa_system_sgpr_workgroup_id_z 0
		.amdhsa_system_sgpr_workgroup_info 0
		.amdhsa_system_vgpr_workitem_id 0
		.amdhsa_next_free_vgpr 1
		.amdhsa_next_free_sgpr 1
		.amdhsa_reserve_vcc 0
		.amdhsa_float_round_mode_32 0
		.amdhsa_float_round_mode_16_64 0
		.amdhsa_float_denorm_mode_32 3
		.amdhsa_float_denorm_mode_16_64 3
		.amdhsa_dx10_clamp 1
		.amdhsa_ieee_mode 1
		.amdhsa_fp16_overflow 0
		.amdhsa_workgroup_processor_mode 1
		.amdhsa_memory_ordered 1
		.amdhsa_forward_progress 0
		.amdhsa_shared_vgpr_count 0
		.amdhsa_exception_fp_ieee_invalid_op 0
		.amdhsa_exception_fp_denorm_src 0
		.amdhsa_exception_fp_ieee_div_zero 0
		.amdhsa_exception_fp_ieee_overflow 0
		.amdhsa_exception_fp_ieee_underflow 0
		.amdhsa_exception_fp_ieee_inexact 0
		.amdhsa_exception_int_div_zero 0
	.end_amdhsa_kernel
	.section	.text._ZN7rocprim17ROCPRIM_400000_NS6detail17trampoline_kernelINS0_14default_configENS1_25partition_config_selectorILNS1_17partition_subalgoE5ElNS0_10empty_typeEbEEZZNS1_14partition_implILS5_5ELb0ES3_mN6hipcub16HIPCUB_304000_NS21CountingInputIteratorIllEEPS6_NSA_22TransformInputIteratorIbN2at6native12_GLOBAL__N_19NonZeroOpIsEEPKslEENS0_5tupleIJPlS6_EEENSN_IJSD_SD_EEES6_PiJS6_EEE10hipError_tPvRmT3_T4_T5_T6_T7_T9_mT8_P12ihipStream_tbDpT10_ENKUlT_T0_E_clISt17integral_constantIbLb1EES1B_EEDaS16_S17_EUlS16_E_NS1_11comp_targetILNS1_3genE10ELNS1_11target_archE1200ELNS1_3gpuE4ELNS1_3repE0EEENS1_30default_config_static_selectorELNS0_4arch9wavefront6targetE0EEEvT1_,"axG",@progbits,_ZN7rocprim17ROCPRIM_400000_NS6detail17trampoline_kernelINS0_14default_configENS1_25partition_config_selectorILNS1_17partition_subalgoE5ElNS0_10empty_typeEbEEZZNS1_14partition_implILS5_5ELb0ES3_mN6hipcub16HIPCUB_304000_NS21CountingInputIteratorIllEEPS6_NSA_22TransformInputIteratorIbN2at6native12_GLOBAL__N_19NonZeroOpIsEEPKslEENS0_5tupleIJPlS6_EEENSN_IJSD_SD_EEES6_PiJS6_EEE10hipError_tPvRmT3_T4_T5_T6_T7_T9_mT8_P12ihipStream_tbDpT10_ENKUlT_T0_E_clISt17integral_constantIbLb1EES1B_EEDaS16_S17_EUlS16_E_NS1_11comp_targetILNS1_3genE10ELNS1_11target_archE1200ELNS1_3gpuE4ELNS1_3repE0EEENS1_30default_config_static_selectorELNS0_4arch9wavefront6targetE0EEEvT1_,comdat
.Lfunc_end335:
	.size	_ZN7rocprim17ROCPRIM_400000_NS6detail17trampoline_kernelINS0_14default_configENS1_25partition_config_selectorILNS1_17partition_subalgoE5ElNS0_10empty_typeEbEEZZNS1_14partition_implILS5_5ELb0ES3_mN6hipcub16HIPCUB_304000_NS21CountingInputIteratorIllEEPS6_NSA_22TransformInputIteratorIbN2at6native12_GLOBAL__N_19NonZeroOpIsEEPKslEENS0_5tupleIJPlS6_EEENSN_IJSD_SD_EEES6_PiJS6_EEE10hipError_tPvRmT3_T4_T5_T6_T7_T9_mT8_P12ihipStream_tbDpT10_ENKUlT_T0_E_clISt17integral_constantIbLb1EES1B_EEDaS16_S17_EUlS16_E_NS1_11comp_targetILNS1_3genE10ELNS1_11target_archE1200ELNS1_3gpuE4ELNS1_3repE0EEENS1_30default_config_static_selectorELNS0_4arch9wavefront6targetE0EEEvT1_, .Lfunc_end335-_ZN7rocprim17ROCPRIM_400000_NS6detail17trampoline_kernelINS0_14default_configENS1_25partition_config_selectorILNS1_17partition_subalgoE5ElNS0_10empty_typeEbEEZZNS1_14partition_implILS5_5ELb0ES3_mN6hipcub16HIPCUB_304000_NS21CountingInputIteratorIllEEPS6_NSA_22TransformInputIteratorIbN2at6native12_GLOBAL__N_19NonZeroOpIsEEPKslEENS0_5tupleIJPlS6_EEENSN_IJSD_SD_EEES6_PiJS6_EEE10hipError_tPvRmT3_T4_T5_T6_T7_T9_mT8_P12ihipStream_tbDpT10_ENKUlT_T0_E_clISt17integral_constantIbLb1EES1B_EEDaS16_S17_EUlS16_E_NS1_11comp_targetILNS1_3genE10ELNS1_11target_archE1200ELNS1_3gpuE4ELNS1_3repE0EEENS1_30default_config_static_selectorELNS0_4arch9wavefront6targetE0EEEvT1_
                                        ; -- End function
	.section	.AMDGPU.csdata,"",@progbits
; Kernel info:
; codeLenInByte = 0
; NumSgprs: 0
; NumVgprs: 0
; ScratchSize: 0
; MemoryBound: 0
; FloatMode: 240
; IeeeMode: 1
; LDSByteSize: 0 bytes/workgroup (compile time only)
; SGPRBlocks: 0
; VGPRBlocks: 0
; NumSGPRsForWavesPerEU: 1
; NumVGPRsForWavesPerEU: 1
; Occupancy: 16
; WaveLimiterHint : 0
; COMPUTE_PGM_RSRC2:SCRATCH_EN: 0
; COMPUTE_PGM_RSRC2:USER_SGPR: 15
; COMPUTE_PGM_RSRC2:TRAP_HANDLER: 0
; COMPUTE_PGM_RSRC2:TGID_X_EN: 1
; COMPUTE_PGM_RSRC2:TGID_Y_EN: 0
; COMPUTE_PGM_RSRC2:TGID_Z_EN: 0
; COMPUTE_PGM_RSRC2:TIDIG_COMP_CNT: 0
	.section	.text._ZN7rocprim17ROCPRIM_400000_NS6detail17trampoline_kernelINS0_14default_configENS1_25partition_config_selectorILNS1_17partition_subalgoE5ElNS0_10empty_typeEbEEZZNS1_14partition_implILS5_5ELb0ES3_mN6hipcub16HIPCUB_304000_NS21CountingInputIteratorIllEEPS6_NSA_22TransformInputIteratorIbN2at6native12_GLOBAL__N_19NonZeroOpIsEEPKslEENS0_5tupleIJPlS6_EEENSN_IJSD_SD_EEES6_PiJS6_EEE10hipError_tPvRmT3_T4_T5_T6_T7_T9_mT8_P12ihipStream_tbDpT10_ENKUlT_T0_E_clISt17integral_constantIbLb1EES1B_EEDaS16_S17_EUlS16_E_NS1_11comp_targetILNS1_3genE9ELNS1_11target_archE1100ELNS1_3gpuE3ELNS1_3repE0EEENS1_30default_config_static_selectorELNS0_4arch9wavefront6targetE0EEEvT1_,"axG",@progbits,_ZN7rocprim17ROCPRIM_400000_NS6detail17trampoline_kernelINS0_14default_configENS1_25partition_config_selectorILNS1_17partition_subalgoE5ElNS0_10empty_typeEbEEZZNS1_14partition_implILS5_5ELb0ES3_mN6hipcub16HIPCUB_304000_NS21CountingInputIteratorIllEEPS6_NSA_22TransformInputIteratorIbN2at6native12_GLOBAL__N_19NonZeroOpIsEEPKslEENS0_5tupleIJPlS6_EEENSN_IJSD_SD_EEES6_PiJS6_EEE10hipError_tPvRmT3_T4_T5_T6_T7_T9_mT8_P12ihipStream_tbDpT10_ENKUlT_T0_E_clISt17integral_constantIbLb1EES1B_EEDaS16_S17_EUlS16_E_NS1_11comp_targetILNS1_3genE9ELNS1_11target_archE1100ELNS1_3gpuE3ELNS1_3repE0EEENS1_30default_config_static_selectorELNS0_4arch9wavefront6targetE0EEEvT1_,comdat
	.globl	_ZN7rocprim17ROCPRIM_400000_NS6detail17trampoline_kernelINS0_14default_configENS1_25partition_config_selectorILNS1_17partition_subalgoE5ElNS0_10empty_typeEbEEZZNS1_14partition_implILS5_5ELb0ES3_mN6hipcub16HIPCUB_304000_NS21CountingInputIteratorIllEEPS6_NSA_22TransformInputIteratorIbN2at6native12_GLOBAL__N_19NonZeroOpIsEEPKslEENS0_5tupleIJPlS6_EEENSN_IJSD_SD_EEES6_PiJS6_EEE10hipError_tPvRmT3_T4_T5_T6_T7_T9_mT8_P12ihipStream_tbDpT10_ENKUlT_T0_E_clISt17integral_constantIbLb1EES1B_EEDaS16_S17_EUlS16_E_NS1_11comp_targetILNS1_3genE9ELNS1_11target_archE1100ELNS1_3gpuE3ELNS1_3repE0EEENS1_30default_config_static_selectorELNS0_4arch9wavefront6targetE0EEEvT1_ ; -- Begin function _ZN7rocprim17ROCPRIM_400000_NS6detail17trampoline_kernelINS0_14default_configENS1_25partition_config_selectorILNS1_17partition_subalgoE5ElNS0_10empty_typeEbEEZZNS1_14partition_implILS5_5ELb0ES3_mN6hipcub16HIPCUB_304000_NS21CountingInputIteratorIllEEPS6_NSA_22TransformInputIteratorIbN2at6native12_GLOBAL__N_19NonZeroOpIsEEPKslEENS0_5tupleIJPlS6_EEENSN_IJSD_SD_EEES6_PiJS6_EEE10hipError_tPvRmT3_T4_T5_T6_T7_T9_mT8_P12ihipStream_tbDpT10_ENKUlT_T0_E_clISt17integral_constantIbLb1EES1B_EEDaS16_S17_EUlS16_E_NS1_11comp_targetILNS1_3genE9ELNS1_11target_archE1100ELNS1_3gpuE3ELNS1_3repE0EEENS1_30default_config_static_selectorELNS0_4arch9wavefront6targetE0EEEvT1_
	.p2align	8
	.type	_ZN7rocprim17ROCPRIM_400000_NS6detail17trampoline_kernelINS0_14default_configENS1_25partition_config_selectorILNS1_17partition_subalgoE5ElNS0_10empty_typeEbEEZZNS1_14partition_implILS5_5ELb0ES3_mN6hipcub16HIPCUB_304000_NS21CountingInputIteratorIllEEPS6_NSA_22TransformInputIteratorIbN2at6native12_GLOBAL__N_19NonZeroOpIsEEPKslEENS0_5tupleIJPlS6_EEENSN_IJSD_SD_EEES6_PiJS6_EEE10hipError_tPvRmT3_T4_T5_T6_T7_T9_mT8_P12ihipStream_tbDpT10_ENKUlT_T0_E_clISt17integral_constantIbLb1EES1B_EEDaS16_S17_EUlS16_E_NS1_11comp_targetILNS1_3genE9ELNS1_11target_archE1100ELNS1_3gpuE3ELNS1_3repE0EEENS1_30default_config_static_selectorELNS0_4arch9wavefront6targetE0EEEvT1_,@function
_ZN7rocprim17ROCPRIM_400000_NS6detail17trampoline_kernelINS0_14default_configENS1_25partition_config_selectorILNS1_17partition_subalgoE5ElNS0_10empty_typeEbEEZZNS1_14partition_implILS5_5ELb0ES3_mN6hipcub16HIPCUB_304000_NS21CountingInputIteratorIllEEPS6_NSA_22TransformInputIteratorIbN2at6native12_GLOBAL__N_19NonZeroOpIsEEPKslEENS0_5tupleIJPlS6_EEENSN_IJSD_SD_EEES6_PiJS6_EEE10hipError_tPvRmT3_T4_T5_T6_T7_T9_mT8_P12ihipStream_tbDpT10_ENKUlT_T0_E_clISt17integral_constantIbLb1EES1B_EEDaS16_S17_EUlS16_E_NS1_11comp_targetILNS1_3genE9ELNS1_11target_archE1100ELNS1_3gpuE3ELNS1_3repE0EEENS1_30default_config_static_selectorELNS0_4arch9wavefront6targetE0EEEvT1_: ; @_ZN7rocprim17ROCPRIM_400000_NS6detail17trampoline_kernelINS0_14default_configENS1_25partition_config_selectorILNS1_17partition_subalgoE5ElNS0_10empty_typeEbEEZZNS1_14partition_implILS5_5ELb0ES3_mN6hipcub16HIPCUB_304000_NS21CountingInputIteratorIllEEPS6_NSA_22TransformInputIteratorIbN2at6native12_GLOBAL__N_19NonZeroOpIsEEPKslEENS0_5tupleIJPlS6_EEENSN_IJSD_SD_EEES6_PiJS6_EEE10hipError_tPvRmT3_T4_T5_T6_T7_T9_mT8_P12ihipStream_tbDpT10_ENKUlT_T0_E_clISt17integral_constantIbLb1EES1B_EEDaS16_S17_EUlS16_E_NS1_11comp_targetILNS1_3genE9ELNS1_11target_archE1100ELNS1_3gpuE3ELNS1_3repE0EEENS1_30default_config_static_selectorELNS0_4arch9wavefront6targetE0EEEvT1_
; %bb.0:
	s_clause 0x4
	s_load_b64 s[18:19], s[0:1], 0x20
	s_load_b64 s[12:13], s[0:1], 0x30
	;; [unrolled: 1-line block ×3, first 2 shown]
	s_load_b128 s[4:7], s[0:1], 0x48
	s_load_b64 s[14:15], s[0:1], 0x68
	v_cmp_eq_u32_e64 s2, 0, v0
	s_delay_alu instid0(VALU_DEP_1)
	s_and_saveexec_b32 s3, s2
	s_cbranch_execz .LBB336_4
; %bb.1:
	s_mov_b32 s9, exec_lo
	s_mov_b32 s8, exec_lo
	v_mbcnt_lo_u32_b32 v1, s9, 0
                                        ; implicit-def: $vgpr2
	s_delay_alu instid0(VALU_DEP_1)
	v_cmpx_eq_u32_e32 0, v1
	s_cbranch_execz .LBB336_3
; %bb.2:
	s_load_b64 s[10:11], s[0:1], 0x78
	s_bcnt1_i32_b32 s9, s9
	s_delay_alu instid0(SALU_CYCLE_1)
	v_dual_mov_b32 v2, 0 :: v_dual_mov_b32 v3, s9
	s_waitcnt lgkmcnt(0)
	global_atomic_add_u32 v2, v2, v3, s[10:11] glc
.LBB336_3:
	s_or_b32 exec_lo, exec_lo, s8
	s_waitcnt vmcnt(0)
	v_readfirstlane_b32 s8, v2
	s_delay_alu instid0(VALU_DEP_1)
	v_dual_mov_b32 v2, 0 :: v_dual_add_nc_u32 v1, s8, v1
	ds_store_b32 v2, v1
.LBB336_4:
	s_or_b32 exec_lo, exec_lo, s3
	v_mov_b32_e32 v1, 0
	s_clause 0x1
	s_load_b128 s[8:11], s[0:1], 0x8
	s_load_b32 s0, s[0:1], 0x70
	s_waitcnt lgkmcnt(0)
	s_barrier
	buffer_gl0_inv
	ds_load_b32 v3, v1
	s_waitcnt lgkmcnt(0)
	s_barrier
	buffer_gl0_inv
	global_load_b64 v[1:2], v1, s[6:7]
	s_add_u32 s21, s10, s8
	s_mul_i32 s20, s0, 0x300
	s_addc_u32 s22, s11, s9
	s_add_i32 s3, s0, -1
	s_add_u32 s0, s10, s20
	v_readfirstlane_b32 s9, v3
	s_addc_u32 s1, s11, 0
	s_delay_alu instid0(SALU_CYCLE_1) | instskip(SKIP_1) | instid1(VALU_DEP_2)
	v_cmp_ge_u64_e64 s0, s[0:1], s[16:17]
	s_mov_b32 s17, -1
	s_cmp_eq_u32 s9, s3
	s_cselect_b32 s3, -1, 0
	s_delay_alu instid0(VALU_DEP_1) | instid1(SALU_CYCLE_1)
	s_and_b32 s1, s0, s3
	s_mul_i32 s0, s9, 0x300
	s_xor_b32 s8, s1, -1
	s_mov_b32 s1, 0
	s_and_b32 vcc_lo, exec_lo, s8
	s_waitcnt vmcnt(0)
	v_readfirstlane_b32 s6, v1
	v_readfirstlane_b32 s7, v2
	s_cbranch_vccz .LBB336_6
; %bb.5:
	s_add_u32 s17, s0, s21
	s_addc_u32 s23, 0, s22
	v_add_co_u32 v1, s17, s17, v0
	s_delay_alu instid0(VALU_DEP_1) | instskip(SKIP_1) | instid1(VALU_DEP_3)
	v_add_co_ci_u32_e64 v2, null, s23, 0, s17
	v_lshlrev_b32_e32 v13, 3, v0
	v_add_co_u32 v3, vcc_lo, 0x80, v1
	s_delay_alu instid0(VALU_DEP_3)
	v_add_co_ci_u32_e32 v4, vcc_lo, 0, v2, vcc_lo
	v_add_co_u32 v5, vcc_lo, 0x100, v1
	v_add_co_ci_u32_e32 v6, vcc_lo, 0, v2, vcc_lo
	v_add_co_u32 v7, vcc_lo, 0x180, v1
	;; [unrolled: 2-line block ×4, first 2 shown]
	v_add_co_ci_u32_e32 v12, vcc_lo, 0, v2, vcc_lo
	ds_store_2addr_stride64_b64 v13, v[1:2], v[3:4] offset1:2
	ds_store_2addr_stride64_b64 v13, v[5:6], v[7:8] offset0:4 offset1:6
	ds_store_2addr_stride64_b64 v13, v[9:10], v[11:12] offset0:8 offset1:10
	s_waitcnt lgkmcnt(0)
	s_mov_b32 s17, s1
	s_barrier
.LBB336_6:
	v_or_b32_e32 v17, 0x100, v0
	v_or_b32_e32 v16, 0x180, v0
	;; [unrolled: 1-line block ×4, first 2 shown]
	s_and_not1_b32 vcc_lo, exec_lo, s17
	s_cbranch_vccnz .LBB336_8
; %bb.7:
	v_or_b32_e32 v3, 0x80, v0
	s_add_u32 s17, s21, s0
	s_addc_u32 s21, s22, 0
	v_add_co_u32 v1, s22, s17, v0
	s_delay_alu instid0(VALU_DEP_1) | instskip(SKIP_1) | instid1(VALU_DEP_1)
	v_add_co_ci_u32_e64 v2, null, s21, 0, s22
	v_add_co_u32 v3, s22, s17, v3
	v_add_co_ci_u32_e64 v4, null, s21, 0, s22
	v_add_co_u32 v5, s22, s17, v17
	s_delay_alu instid0(VALU_DEP_1) | instskip(SKIP_1) | instid1(VALU_DEP_1)
	v_add_co_ci_u32_e64 v6, null, s21, 0, s22
	v_add_co_u32 v7, s22, s17, v16
	v_add_co_ci_u32_e64 v8, null, s21, 0, s22
	v_add_co_u32 v9, s22, s17, v14
	v_lshlrev_b32_e32 v15, 3, v0
	v_add_co_u32 v11, s17, s17, v13
	v_add_co_ci_u32_e64 v10, null, s21, 0, s22
	v_add_co_ci_u32_e64 v12, null, s21, 0, s17
	ds_store_2addr_stride64_b64 v15, v[1:2], v[3:4] offset1:2
	ds_store_2addr_stride64_b64 v15, v[5:6], v[7:8] offset0:4 offset1:6
	ds_store_2addr_stride64_b64 v15, v[9:10], v[11:12] offset0:8 offset1:10
	s_waitcnt lgkmcnt(0)
	s_barrier
.LBB336_8:
	v_mul_u32_u24_e32 v1, 6, v0
	buffer_gl0_inv
	s_lshl_b64 s[22:23], s[10:11], 1
	s_delay_alu instid0(SALU_CYCLE_1)
	s_add_u32 s11, s18, s22
	v_lshlrev_b32_e32 v15, 3, v1
	s_addc_u32 s17, s19, s23
	s_lshl_b64 s[0:1], s[0:1], 1
	ds_load_b128 v[9:12], v15
	ds_load_b128 v[5:8], v15 offset:16
	ds_load_b128 v[1:4], v15 offset:32
	s_add_u32 s0, s11, s0
	s_addc_u32 s1, s17, s1
	s_and_b32 vcc_lo, exec_lo, s8
	s_mov_b32 s11, -1
	s_waitcnt lgkmcnt(0)
	s_barrier
	buffer_gl0_inv
	s_cbranch_vccz .LBB336_10
; %bb.9:
	v_lshlrev_b32_e32 v18, 1, v0
	s_mov_b32 s11, 0
	s_clause 0x5
	global_load_u16 v19, v18, s[0:1]
	global_load_u16 v20, v18, s[0:1] offset:256
	global_load_u16 v21, v18, s[0:1] offset:512
	;; [unrolled: 1-line block ×5, first 2 shown]
	s_waitcnt vmcnt(5)
	v_cmp_ne_u16_e32 vcc_lo, 0, v19
	v_cndmask_b32_e64 v19, 0, 1, vcc_lo
	s_waitcnt vmcnt(4)
	v_cmp_ne_u16_e32 vcc_lo, 0, v20
	v_cndmask_b32_e64 v20, 0, 1, vcc_lo
	;; [unrolled: 3-line block ×6, first 2 shown]
	ds_store_b8 v0, v19
	ds_store_b8 v0, v20 offset:128
	ds_store_b8 v0, v21 offset:256
	;; [unrolled: 1-line block ×5, first 2 shown]
	s_waitcnt lgkmcnt(0)
	s_barrier
.LBB336_10:
	s_and_not1_b32 vcc_lo, exec_lo, s11
	s_cbranch_vccnz .LBB336_24
; %bb.11:
	s_add_i32 s20, s20, s10
	v_dual_mov_b32 v18, 0 :: v_dual_mov_b32 v19, 0
	s_sub_i32 s10, s16, s20
	s_mov_b32 s11, exec_lo
	s_addk_i32 s10, 0x300
	s_delay_alu instid0(SALU_CYCLE_1)
	v_cmpx_gt_u32_e64 s10, v0
	s_cbranch_execz .LBB336_13
; %bb.12:
	v_lshlrev_b32_e32 v19, 1, v0
	global_load_u16 v19, v19, s[0:1]
	s_waitcnt vmcnt(0)
	v_cmp_ne_u16_e32 vcc_lo, 0, v19
	v_cndmask_b32_e64 v19, 0, 1, vcc_lo
.LBB336_13:
	s_or_b32 exec_lo, exec_lo, s11
	v_or_b32_e32 v20, 0x80, v0
	s_mov_b32 s11, exec_lo
	s_delay_alu instid0(VALU_DEP_1)
	v_cmpx_gt_u32_e64 s10, v20
	s_cbranch_execz .LBB336_15
; %bb.14:
	v_lshlrev_b32_e32 v18, 1, v0
	global_load_u16 v18, v18, s[0:1] offset:256
	s_waitcnt vmcnt(0)
	v_cmp_ne_u16_e32 vcc_lo, 0, v18
	v_cndmask_b32_e64 v18, 0, 1, vcc_lo
.LBB336_15:
	s_or_b32 exec_lo, exec_lo, s11
	v_cmp_gt_u32_e32 vcc_lo, s10, v17
	v_dual_mov_b32 v17, 0 :: v_dual_mov_b32 v20, 0
	s_and_saveexec_b32 s11, vcc_lo
	s_cbranch_execz .LBB336_17
; %bb.16:
	v_lshlrev_b32_e32 v20, 1, v0
	global_load_u16 v20, v20, s[0:1] offset:512
	s_waitcnt vmcnt(0)
	v_cmp_ne_u16_e32 vcc_lo, 0, v20
	v_cndmask_b32_e64 v20, 0, 1, vcc_lo
.LBB336_17:
	s_or_b32 exec_lo, exec_lo, s11
	s_delay_alu instid0(SALU_CYCLE_1)
	s_mov_b32 s11, exec_lo
	v_cmpx_gt_u32_e64 s10, v16
	s_cbranch_execz .LBB336_19
; %bb.18:
	v_lshlrev_b32_e32 v16, 1, v0
	global_load_u16 v16, v16, s[0:1] offset:768
	s_waitcnt vmcnt(0)
	v_cmp_ne_u16_e32 vcc_lo, 0, v16
	v_cndmask_b32_e64 v17, 0, 1, vcc_lo
.LBB336_19:
	s_or_b32 exec_lo, exec_lo, s11
	v_cmp_gt_u32_e32 vcc_lo, s10, v14
	v_mov_b32_e32 v14, 0
	v_mov_b32_e32 v16, 0
	s_and_saveexec_b32 s11, vcc_lo
	s_cbranch_execz .LBB336_21
; %bb.20:
	v_lshlrev_b32_e32 v16, 1, v0
	global_load_u16 v16, v16, s[0:1] offset:1024
	s_waitcnt vmcnt(0)
	v_cmp_ne_u16_e32 vcc_lo, 0, v16
	v_cndmask_b32_e64 v16, 0, 1, vcc_lo
.LBB336_21:
	s_or_b32 exec_lo, exec_lo, s11
	v_cmp_gt_u32_e32 vcc_lo, s10, v13
	s_and_saveexec_b32 s10, vcc_lo
	s_cbranch_execz .LBB336_23
; %bb.22:
	v_lshlrev_b32_e32 v13, 1, v0
	global_load_u16 v13, v13, s[0:1] offset:1280
	s_waitcnt vmcnt(0)
	v_cmp_ne_u16_e32 vcc_lo, 0, v13
	v_cndmask_b32_e64 v14, 0, 1, vcc_lo
.LBB336_23:
	s_or_b32 exec_lo, exec_lo, s10
	ds_store_b8 v0, v19
	ds_store_b8 v0, v18 offset:128
	ds_store_b8 v0, v20 offset:256
	;; [unrolled: 1-line block ×5, first 2 shown]
	s_waitcnt lgkmcnt(0)
	s_barrier
.LBB336_24:
	v_mad_i32_i24 v43, 0xffffffd6, v0, v15
	buffer_gl0_inv
	v_mbcnt_lo_u32_b32 v42, -1, 0
	s_cmp_lg_u32 s9, 0
	s_mov_b32 s1, -1
	ds_load_u16 v36, v43
	ds_load_u16 v33, v43 offset:2
	ds_load_u16 v31, v43 offset:4
	v_mov_b32_e32 v14, 0
	v_and_b32_e32 v44, 15, v42
	s_waitcnt lgkmcnt(0)
	s_barrier
	buffer_gl0_inv
	v_and_b32_e32 v41, 0xff, v36
	v_lshrrev_b16 v34, 8, v36
	v_lshrrev_b16 v35, 8, v33
	v_and_b32_e32 v39, 0xff, v33
	v_lshrrev_b16 v32, 8, v31
	v_and_b32_e32 v37, 0xff, v31
	v_and_b32_e32 v40, 0xffff, v34
	;; [unrolled: 1-line block ×3, first 2 shown]
	s_delay_alu instid0(VALU_DEP_4) | instskip(NEXT) | instid1(VALU_DEP_3)
	v_and_b32_e32 v16, 0xffff, v32
	v_add_co_u32 v13, s0, v40, v41
	s_delay_alu instid0(VALU_DEP_1) | instskip(SKIP_1) | instid1(VALU_DEP_3)
	v_add_co_ci_u32_e64 v15, null, 0, 0, s0
	v_cmp_ne_u32_e64 s0, 0, v44
	v_add_co_u32 v13, vcc_lo, v13, v39
	s_delay_alu instid0(VALU_DEP_3) | instskip(NEXT) | instid1(VALU_DEP_2)
	v_add_co_ci_u32_e32 v15, vcc_lo, 0, v15, vcc_lo
	v_add_co_u32 v13, vcc_lo, v13, v38
	s_delay_alu instid0(VALU_DEP_2) | instskip(NEXT) | instid1(VALU_DEP_2)
	v_add_co_ci_u32_e32 v15, vcc_lo, 0, v15, vcc_lo
	v_add_co_u32 v13, vcc_lo, v13, v37
	s_delay_alu instid0(VALU_DEP_2) | instskip(NEXT) | instid1(VALU_DEP_2)
	v_add_co_ci_u32_e32 v15, vcc_lo, 0, v15, vcc_lo
	v_add_co_u32 v21, vcc_lo, v13, v16
	s_delay_alu instid0(VALU_DEP_2)
	v_add_co_ci_u32_e32 v22, vcc_lo, 0, v15, vcc_lo
	s_cbranch_scc0 .LBB336_93
; %bb.25:
	s_delay_alu instid0(VALU_DEP_2)
	v_mov_b32_e32 v15, v21
	v_mov_b32_dpp v13, v21 row_shr:1 row_mask:0xf bank_mask:0xf
	v_mov_b32_dpp v18, v14 row_shr:1 row_mask:0xf bank_mask:0xf
	v_dual_mov_b32 v17, v21 :: v_dual_mov_b32 v16, v22
	s_and_saveexec_b32 s1, s0
; %bb.26:
	s_delay_alu instid0(VALU_DEP_3) | instskip(SKIP_1) | instid1(VALU_DEP_2)
	v_add_co_u32 v17, vcc_lo, v21, v13
	v_add_co_ci_u32_e32 v14, vcc_lo, 0, v22, vcc_lo
	v_add_co_u32 v13, vcc_lo, 0, v17
	s_delay_alu instid0(VALU_DEP_2) | instskip(NEXT) | instid1(VALU_DEP_1)
	v_add_co_ci_u32_e32 v14, vcc_lo, v18, v14, vcc_lo
	v_dual_mov_b32 v16, v14 :: v_dual_mov_b32 v15, v13
; %bb.27:
	s_or_b32 exec_lo, exec_lo, s1
	v_mov_b32_dpp v13, v17 row_shr:2 row_mask:0xf bank_mask:0xf
	v_mov_b32_dpp v18, v14 row_shr:2 row_mask:0xf bank_mask:0xf
	s_mov_b32 s1, exec_lo
	v_cmpx_lt_u32_e32 1, v44
; %bb.28:
	s_delay_alu instid0(VALU_DEP_3) | instskip(SKIP_1) | instid1(VALU_DEP_2)
	v_add_co_u32 v17, vcc_lo, v15, v13
	v_add_co_ci_u32_e32 v14, vcc_lo, 0, v16, vcc_lo
	v_add_co_u32 v13, vcc_lo, 0, v17
	s_delay_alu instid0(VALU_DEP_2) | instskip(NEXT) | instid1(VALU_DEP_1)
	v_add_co_ci_u32_e32 v14, vcc_lo, v18, v14, vcc_lo
	v_dual_mov_b32 v16, v14 :: v_dual_mov_b32 v15, v13
; %bb.29:
	s_or_b32 exec_lo, exec_lo, s1
	v_mov_b32_dpp v13, v17 row_shr:4 row_mask:0xf bank_mask:0xf
	v_mov_b32_dpp v18, v14 row_shr:4 row_mask:0xf bank_mask:0xf
	s_mov_b32 s1, exec_lo
	v_cmpx_lt_u32_e32 3, v44
	;; [unrolled: 14-line block ×3, first 2 shown]
; %bb.32:
	s_delay_alu instid0(VALU_DEP_3) | instskip(SKIP_1) | instid1(VALU_DEP_2)
	v_add_co_u32 v17, vcc_lo, v15, v18
	v_add_co_ci_u32_e32 v14, vcc_lo, 0, v16, vcc_lo
	v_add_co_u32 v15, vcc_lo, 0, v17
	s_delay_alu instid0(VALU_DEP_2) | instskip(NEXT) | instid1(VALU_DEP_1)
	v_add_co_ci_u32_e32 v16, vcc_lo, v13, v14, vcc_lo
	v_mov_b32_e32 v14, v16
; %bb.33:
	s_or_b32 exec_lo, exec_lo, s1
	ds_swizzle_b32 v13, v17 offset:swizzle(BROADCAST,32,15)
	ds_swizzle_b32 v18, v14 offset:swizzle(BROADCAST,32,15)
	v_and_b32_e32 v19, 16, v42
	s_mov_b32 s1, exec_lo
	s_delay_alu instid0(VALU_DEP_1)
	v_cmpx_ne_u32_e32 0, v19
	s_cbranch_execz .LBB336_35
; %bb.34:
	s_waitcnt lgkmcnt(1)
	v_add_co_u32 v17, vcc_lo, v15, v13
	v_add_co_ci_u32_e32 v14, vcc_lo, 0, v16, vcc_lo
	s_delay_alu instid0(VALU_DEP_2) | instskip(SKIP_1) | instid1(VALU_DEP_2)
	v_add_co_u32 v13, vcc_lo, 0, v17
	s_waitcnt lgkmcnt(0)
	v_add_co_ci_u32_e32 v14, vcc_lo, v18, v14, vcc_lo
	s_delay_alu instid0(VALU_DEP_1)
	v_dual_mov_b32 v16, v14 :: v_dual_mov_b32 v15, v13
.LBB336_35:
	s_or_b32 exec_lo, exec_lo, s1
	s_waitcnt lgkmcnt(0)
	v_or_b32_e32 v18, 31, v0
	v_lshrrev_b32_e32 v13, 5, v0
	s_mov_b32 s1, exec_lo
	s_delay_alu instid0(VALU_DEP_2)
	v_cmpx_eq_u32_e64 v18, v0
	s_cbranch_execz .LBB336_37
; %bb.36:
	s_delay_alu instid0(VALU_DEP_2)
	v_lshlrev_b32_e32 v18, 3, v13
	ds_store_b64 v18, v[15:16]
.LBB336_37:
	s_or_b32 exec_lo, exec_lo, s1
	s_delay_alu instid0(SALU_CYCLE_1)
	s_mov_b32 s1, exec_lo
	s_waitcnt lgkmcnt(0)
	s_barrier
	buffer_gl0_inv
	v_cmpx_gt_u32_e32 4, v0
	s_cbranch_execz .LBB336_43
; %bb.38:
	v_lshlrev_b32_e32 v18, 3, v0
	s_mov_b32 s10, exec_lo
	ds_load_b64 v[15:16], v18
	s_waitcnt lgkmcnt(0)
	v_dual_mov_b32 v20, v15 :: v_dual_and_b32 v19, 3, v42
	v_mov_b32_dpp v24, v15 row_shr:1 row_mask:0xf bank_mask:0xf
	v_mov_b32_dpp v23, v16 row_shr:1 row_mask:0xf bank_mask:0xf
	s_delay_alu instid0(VALU_DEP_3)
	v_cmpx_ne_u32_e32 0, v19
; %bb.39:
	s_delay_alu instid0(VALU_DEP_3) | instskip(SKIP_1) | instid1(VALU_DEP_2)
	v_add_co_u32 v20, vcc_lo, v15, v24
	v_add_co_ci_u32_e32 v16, vcc_lo, 0, v16, vcc_lo
	v_add_co_u32 v15, vcc_lo, 0, v20
	s_delay_alu instid0(VALU_DEP_2)
	v_add_co_ci_u32_e32 v16, vcc_lo, v23, v16, vcc_lo
; %bb.40:
	s_or_b32 exec_lo, exec_lo, s10
	v_mov_b32_dpp v23, v20 row_shr:2 row_mask:0xf bank_mask:0xf
	s_delay_alu instid0(VALU_DEP_2)
	v_mov_b32_dpp v20, v16 row_shr:2 row_mask:0xf bank_mask:0xf
	s_mov_b32 s10, exec_lo
	v_cmpx_lt_u32_e32 1, v19
; %bb.41:
	s_delay_alu instid0(VALU_DEP_3) | instskip(SKIP_1) | instid1(VALU_DEP_2)
	v_add_co_u32 v15, vcc_lo, v15, v23
	v_add_co_ci_u32_e32 v16, vcc_lo, 0, v16, vcc_lo
	v_add_co_u32 v15, vcc_lo, v15, 0
	s_delay_alu instid0(VALU_DEP_2)
	v_add_co_ci_u32_e32 v16, vcc_lo, v16, v20, vcc_lo
; %bb.42:
	s_or_b32 exec_lo, exec_lo, s10
	ds_store_b64 v18, v[15:16]
.LBB336_43:
	s_or_b32 exec_lo, exec_lo, s1
	v_cmp_gt_u32_e32 vcc_lo, 32, v0
	s_mov_b32 s10, exec_lo
	s_waitcnt lgkmcnt(0)
	s_barrier
	buffer_gl0_inv
                                        ; implicit-def: $vgpr23_vgpr24
	v_cmpx_lt_u32_e32 31, v0
	s_cbranch_execz .LBB336_45
; %bb.44:
	v_lshl_add_u32 v13, v13, 3, -8
	ds_load_b64 v[23:24], v13
	s_waitcnt lgkmcnt(0)
	v_add_co_u32 v17, s1, v17, v23
	s_delay_alu instid0(VALU_DEP_1)
	v_add_co_ci_u32_e64 v14, s1, v14, v24, s1
.LBB336_45:
	s_or_b32 exec_lo, exec_lo, s10
	v_add_nc_u32_e32 v13, -1, v42
	s_delay_alu instid0(VALU_DEP_1) | instskip(NEXT) | instid1(VALU_DEP_1)
	v_cmp_gt_i32_e64 s1, 0, v13
	v_cndmask_b32_e64 v13, v13, v42, s1
	v_cmp_eq_u32_e64 s1, 0, v42
	s_delay_alu instid0(VALU_DEP_2)
	v_lshlrev_b32_e32 v13, 2, v13
	ds_bpermute_b32 v29, v13, v17
	ds_bpermute_b32 v30, v13, v14
	s_and_saveexec_b32 s10, vcc_lo
	s_cbranch_execz .LBB336_88
; %bb.46:
	v_mov_b32_e32 v16, 0
	ds_load_b64 v[13:14], v16 offset:24
	s_and_saveexec_b32 s11, s1
	s_cbranch_execz .LBB336_48
; %bb.47:
	s_add_i32 s16, s9, 32
	s_mov_b32 s17, 0
	s_delay_alu instid0(SALU_CYCLE_1) | instskip(NEXT) | instid1(SALU_CYCLE_1)
	s_lshl_b64 s[16:17], s[16:17], 4
	s_add_u32 s16, s14, s16
	s_addc_u32 s17, s15, s17
	s_delay_alu instid0(SALU_CYCLE_1)
	v_dual_mov_b32 v15, 1 :: v_dual_mov_b32 v18, s17
	v_mov_b32_e32 v17, s16
	s_waitcnt lgkmcnt(0)
	;;#ASMSTART
	global_store_dwordx4 v[17:18], v[13:16] off	
s_waitcnt vmcnt(0)
	;;#ASMEND
.LBB336_48:
	s_or_b32 exec_lo, exec_lo, s11
	v_xad_u32 v25, v42, -1, s9
	s_mov_b32 s16, 0
	s_mov_b32 s11, exec_lo
	s_delay_alu instid0(VALU_DEP_1) | instskip(NEXT) | instid1(VALU_DEP_1)
	v_add_nc_u32_e32 v15, 32, v25
	v_lshlrev_b64 v[15:16], 4, v[15:16]
	s_delay_alu instid0(VALU_DEP_1) | instskip(NEXT) | instid1(VALU_DEP_2)
	v_add_co_u32 v15, vcc_lo, s14, v15
	v_add_co_ci_u32_e32 v16, vcc_lo, s15, v16, vcc_lo
	;;#ASMSTART
	global_load_dwordx4 v[17:20], v[15:16] off glc	
s_waitcnt vmcnt(0)
	;;#ASMEND
	v_and_b32_e32 v20, 0xff, v18
	v_and_b32_e32 v26, 0xff00, v18
	v_or3_b32 v17, v17, 0, 0
	v_and_b32_e32 v27, 0xff000000, v18
	v_and_b32_e32 v18, 0xff0000, v18
	s_delay_alu instid0(VALU_DEP_4) | instskip(SKIP_2) | instid1(VALU_DEP_3)
	v_or3_b32 v20, 0, v20, v26
	v_and_b32_e32 v26, 0xff, v19
	v_or3_b32 v17, v17, 0, 0
	v_or3_b32 v18, v20, v18, v27
	s_delay_alu instid0(VALU_DEP_3)
	v_cmpx_eq_u16_e32 0, v26
	s_cbranch_execz .LBB336_54
; %bb.49:
	s_mov_b32 s17, 1
	.p2align	6
.LBB336_50:                             ; =>This Loop Header: Depth=1
                                        ;     Child Loop BB336_51 Depth 2
	s_delay_alu instid0(SALU_CYCLE_1)
	s_max_u32 s18, s17, 1
.LBB336_51:                             ;   Parent Loop BB336_50 Depth=1
                                        ; =>  This Inner Loop Header: Depth=2
	s_delay_alu instid0(SALU_CYCLE_1)
	s_add_i32 s18, s18, -1
	s_sleep 1
	s_cmp_eq_u32 s18, 0
	s_cbranch_scc0 .LBB336_51
; %bb.52:                               ;   in Loop: Header=BB336_50 Depth=1
	;;#ASMSTART
	global_load_dwordx4 v[17:20], v[15:16] off glc	
s_waitcnt vmcnt(0)
	;;#ASMEND
	v_and_b32_e32 v20, 0xff, v19
	s_cmp_lt_u32 s17, 32
	s_cselect_b32 s18, -1, 0
	s_delay_alu instid0(SALU_CYCLE_1) | instskip(NEXT) | instid1(VALU_DEP_1)
	s_cmp_lg_u32 s18, 0
	v_cmp_ne_u16_e32 vcc_lo, 0, v20
	s_addc_u32 s17, s17, 0
	s_or_b32 s16, vcc_lo, s16
	s_delay_alu instid0(SALU_CYCLE_1)
	s_and_not1_b32 exec_lo, exec_lo, s16
	s_cbranch_execnz .LBB336_50
; %bb.53:
	s_or_b32 exec_lo, exec_lo, s16
.LBB336_54:
	s_delay_alu instid0(SALU_CYCLE_1)
	s_or_b32 exec_lo, exec_lo, s11
	v_cmp_ne_u32_e32 vcc_lo, 31, v42
	v_and_b32_e32 v16, 0xff, v19
	v_lshlrev_b32_e64 v46, v42, -1
	s_mov_b32 s11, exec_lo
	v_add_co_ci_u32_e32 v15, vcc_lo, 0, v42, vcc_lo
	s_delay_alu instid0(VALU_DEP_3) | instskip(NEXT) | instid1(VALU_DEP_2)
	v_cmp_eq_u16_e32 vcc_lo, 2, v16
	v_dual_mov_b32 v16, v17 :: v_dual_lshlrev_b32 v45, 2, v15
	v_and_or_b32 v15, vcc_lo, v46, 0x80000000
	ds_bpermute_b32 v26, v45, v17
	ds_bpermute_b32 v20, v45, v18
	v_ctz_i32_b32_e32 v15, v15
	s_delay_alu instid0(VALU_DEP_1)
	v_cmpx_lt_u32_e64 v42, v15
	s_cbranch_execz .LBB336_56
; %bb.55:
	s_waitcnt lgkmcnt(1)
	v_add_co_u32 v16, vcc_lo, v17, v26
	v_add_co_ci_u32_e32 v18, vcc_lo, 0, v18, vcc_lo
	s_delay_alu instid0(VALU_DEP_2) | instskip(SKIP_1) | instid1(VALU_DEP_2)
	v_add_co_u32 v17, vcc_lo, 0, v16
	s_waitcnt lgkmcnt(0)
	v_add_co_ci_u32_e32 v18, vcc_lo, v20, v18, vcc_lo
.LBB336_56:
	s_or_b32 exec_lo, exec_lo, s11
	v_cmp_gt_u32_e32 vcc_lo, 30, v42
	v_add_nc_u32_e32 v48, 2, v42
	s_mov_b32 s11, exec_lo
	s_waitcnt lgkmcnt(0)
	v_cndmask_b32_e64 v20, 0, 1, vcc_lo
	s_delay_alu instid0(VALU_DEP_1) | instskip(NEXT) | instid1(VALU_DEP_1)
	v_lshlrev_b32_e32 v20, 1, v20
	v_add_lshl_u32 v47, v20, v42, 2
	ds_bpermute_b32 v26, v47, v16
	ds_bpermute_b32 v20, v47, v18
	v_cmpx_le_u32_e64 v48, v15
	s_cbranch_execz .LBB336_58
; %bb.57:
	s_waitcnt lgkmcnt(1)
	v_add_co_u32 v16, vcc_lo, v17, v26
	v_add_co_ci_u32_e32 v18, vcc_lo, 0, v18, vcc_lo
	s_delay_alu instid0(VALU_DEP_2) | instskip(SKIP_1) | instid1(VALU_DEP_2)
	v_add_co_u32 v17, vcc_lo, 0, v16
	s_waitcnt lgkmcnt(0)
	v_add_co_ci_u32_e32 v18, vcc_lo, v20, v18, vcc_lo
.LBB336_58:
	s_or_b32 exec_lo, exec_lo, s11
	v_cmp_gt_u32_e32 vcc_lo, 28, v42
	v_add_nc_u32_e32 v50, 4, v42
	s_mov_b32 s11, exec_lo
	s_waitcnt lgkmcnt(0)
	v_cndmask_b32_e64 v20, 0, 1, vcc_lo
	s_delay_alu instid0(VALU_DEP_1) | instskip(NEXT) | instid1(VALU_DEP_1)
	v_lshlrev_b32_e32 v20, 2, v20
	v_add_lshl_u32 v49, v20, v42, 2
	ds_bpermute_b32 v26, v49, v16
	ds_bpermute_b32 v20, v49, v18
	v_cmpx_le_u32_e64 v50, v15
	;; [unrolled: 22-line block ×4, first 2 shown]
	s_cbranch_execz .LBB336_64
; %bb.63:
	s_waitcnt lgkmcnt(1)
	v_add_co_u32 v15, vcc_lo, v17, v20
	v_add_co_ci_u32_e32 v18, vcc_lo, 0, v18, vcc_lo
	s_delay_alu instid0(VALU_DEP_2) | instskip(SKIP_1) | instid1(VALU_DEP_2)
	v_add_co_u32 v17, vcc_lo, v15, 0
	s_waitcnt lgkmcnt(0)
	v_add_co_ci_u32_e32 v18, vcc_lo, v18, v16, vcc_lo
.LBB336_64:
	s_or_b32 exec_lo, exec_lo, s11
	v_mov_b32_e32 v26, 0
	s_branch .LBB336_66
.LBB336_65:                             ;   in Loop: Header=BB336_66 Depth=1
	s_or_b32 exec_lo, exec_lo, s11
	v_add_co_u32 v17, vcc_lo, v17, v15
	v_subrev_nc_u32_e32 v25, 32, v25
	v_add_co_ci_u32_e32 v18, vcc_lo, v18, v16, vcc_lo
.LBB336_66:                             ; =>This Loop Header: Depth=1
                                        ;     Child Loop BB336_69 Depth 2
                                        ;       Child Loop BB336_70 Depth 3
	v_and_b32_e32 v15, 0xff, v19
	s_delay_alu instid0(VALU_DEP_1) | instskip(SKIP_2) | instid1(VALU_DEP_1)
	v_cmp_ne_u16_e32 vcc_lo, 2, v15
	v_cndmask_b32_e64 v15, 0, 1, vcc_lo
	;;#ASMSTART
	;;#ASMEND
	v_cmp_ne_u32_e32 vcc_lo, 0, v15
	s_waitcnt lgkmcnt(0)
	v_dual_mov_b32 v15, v17 :: v_dual_mov_b32 v16, v18
	s_cmp_lg_u32 vcc_lo, exec_lo
	s_cbranch_scc1 .LBB336_83
; %bb.67:                               ;   in Loop: Header=BB336_66 Depth=1
	v_lshlrev_b64 v[17:18], 4, v[25:26]
	s_mov_b32 s11, exec_lo
	s_delay_alu instid0(VALU_DEP_1) | instskip(NEXT) | instid1(VALU_DEP_2)
	v_add_co_u32 v27, vcc_lo, s14, v17
	v_add_co_ci_u32_e32 v28, vcc_lo, s15, v18, vcc_lo
	;;#ASMSTART
	global_load_dwordx4 v[17:20], v[27:28] off glc	
s_waitcnt vmcnt(0)
	;;#ASMEND
	v_and_b32_e32 v20, 0xff, v18
	v_and_b32_e32 v55, 0xff00, v18
	v_or3_b32 v17, v17, 0, 0
	v_and_b32_e32 v56, 0xff000000, v18
	v_and_b32_e32 v18, 0xff0000, v18
	s_delay_alu instid0(VALU_DEP_4) | instskip(SKIP_2) | instid1(VALU_DEP_3)
	v_or3_b32 v20, 0, v20, v55
	v_and_b32_e32 v55, 0xff, v19
	v_or3_b32 v17, v17, 0, 0
	v_or3_b32 v18, v20, v18, v56
	s_delay_alu instid0(VALU_DEP_3)
	v_cmpx_eq_u16_e32 0, v55
	s_cbranch_execz .LBB336_73
; %bb.68:                               ;   in Loop: Header=BB336_66 Depth=1
	s_mov_b32 s17, 1
	s_mov_b32 s16, 0
	.p2align	6
.LBB336_69:                             ;   Parent Loop BB336_66 Depth=1
                                        ; =>  This Loop Header: Depth=2
                                        ;       Child Loop BB336_70 Depth 3
	s_max_u32 s18, s17, 1
.LBB336_70:                             ;   Parent Loop BB336_66 Depth=1
                                        ;     Parent Loop BB336_69 Depth=2
                                        ; =>    This Inner Loop Header: Depth=3
	s_delay_alu instid0(SALU_CYCLE_1)
	s_add_i32 s18, s18, -1
	s_sleep 1
	s_cmp_eq_u32 s18, 0
	s_cbranch_scc0 .LBB336_70
; %bb.71:                               ;   in Loop: Header=BB336_69 Depth=2
	;;#ASMSTART
	global_load_dwordx4 v[17:20], v[27:28] off glc	
s_waitcnt vmcnt(0)
	;;#ASMEND
	v_and_b32_e32 v20, 0xff, v19
	s_cmp_lt_u32 s17, 32
	s_cselect_b32 s18, -1, 0
	s_delay_alu instid0(SALU_CYCLE_1) | instskip(NEXT) | instid1(VALU_DEP_1)
	s_cmp_lg_u32 s18, 0
	v_cmp_ne_u16_e32 vcc_lo, 0, v20
	s_addc_u32 s17, s17, 0
	s_or_b32 s16, vcc_lo, s16
	s_delay_alu instid0(SALU_CYCLE_1)
	s_and_not1_b32 exec_lo, exec_lo, s16
	s_cbranch_execnz .LBB336_69
; %bb.72:                               ;   in Loop: Header=BB336_66 Depth=1
	s_or_b32 exec_lo, exec_lo, s16
.LBB336_73:                             ;   in Loop: Header=BB336_66 Depth=1
	s_delay_alu instid0(SALU_CYCLE_1)
	s_or_b32 exec_lo, exec_lo, s11
	v_dual_mov_b32 v27, v17 :: v_dual_and_b32 v20, 0xff, v19
	ds_bpermute_b32 v55, v45, v17
	ds_bpermute_b32 v28, v45, v18
	s_mov_b32 s11, exec_lo
	v_cmp_eq_u16_e32 vcc_lo, 2, v20
	v_and_or_b32 v20, vcc_lo, v46, 0x80000000
	s_delay_alu instid0(VALU_DEP_1) | instskip(NEXT) | instid1(VALU_DEP_1)
	v_ctz_i32_b32_e32 v20, v20
	v_cmpx_lt_u32_e64 v42, v20
	s_cbranch_execz .LBB336_75
; %bb.74:                               ;   in Loop: Header=BB336_66 Depth=1
	s_waitcnt lgkmcnt(1)
	v_add_co_u32 v27, vcc_lo, v17, v55
	v_add_co_ci_u32_e32 v18, vcc_lo, 0, v18, vcc_lo
	s_delay_alu instid0(VALU_DEP_2) | instskip(SKIP_1) | instid1(VALU_DEP_2)
	v_add_co_u32 v17, vcc_lo, 0, v27
	s_waitcnt lgkmcnt(0)
	v_add_co_ci_u32_e32 v18, vcc_lo, v28, v18, vcc_lo
.LBB336_75:                             ;   in Loop: Header=BB336_66 Depth=1
	s_or_b32 exec_lo, exec_lo, s11
	s_waitcnt lgkmcnt(1)
	ds_bpermute_b32 v55, v47, v27
	s_waitcnt lgkmcnt(1)
	ds_bpermute_b32 v28, v47, v18
	s_mov_b32 s11, exec_lo
	v_cmpx_le_u32_e64 v48, v20
	s_cbranch_execz .LBB336_77
; %bb.76:                               ;   in Loop: Header=BB336_66 Depth=1
	s_waitcnt lgkmcnt(1)
	v_add_co_u32 v27, vcc_lo, v17, v55
	v_add_co_ci_u32_e32 v18, vcc_lo, 0, v18, vcc_lo
	s_delay_alu instid0(VALU_DEP_2) | instskip(SKIP_1) | instid1(VALU_DEP_2)
	v_add_co_u32 v17, vcc_lo, 0, v27
	s_waitcnt lgkmcnt(0)
	v_add_co_ci_u32_e32 v18, vcc_lo, v28, v18, vcc_lo
.LBB336_77:                             ;   in Loop: Header=BB336_66 Depth=1
	s_or_b32 exec_lo, exec_lo, s11
	s_waitcnt lgkmcnt(1)
	ds_bpermute_b32 v55, v49, v27
	s_waitcnt lgkmcnt(1)
	ds_bpermute_b32 v28, v49, v18
	s_mov_b32 s11, exec_lo
	v_cmpx_le_u32_e64 v50, v20
	;; [unrolled: 17-line block ×3, first 2 shown]
	s_cbranch_execz .LBB336_81
; %bb.80:                               ;   in Loop: Header=BB336_66 Depth=1
	s_waitcnt lgkmcnt(1)
	v_add_co_u32 v27, vcc_lo, v17, v55
	v_add_co_ci_u32_e32 v18, vcc_lo, 0, v18, vcc_lo
	s_delay_alu instid0(VALU_DEP_2) | instskip(SKIP_1) | instid1(VALU_DEP_2)
	v_add_co_u32 v17, vcc_lo, 0, v27
	s_waitcnt lgkmcnt(0)
	v_add_co_ci_u32_e32 v18, vcc_lo, v28, v18, vcc_lo
.LBB336_81:                             ;   in Loop: Header=BB336_66 Depth=1
	s_or_b32 exec_lo, exec_lo, s11
	s_waitcnt lgkmcnt(0)
	ds_bpermute_b32 v28, v53, v27
	ds_bpermute_b32 v27, v53, v18
	s_mov_b32 s11, exec_lo
	v_cmpx_le_u32_e64 v54, v20
	s_cbranch_execz .LBB336_65
; %bb.82:                               ;   in Loop: Header=BB336_66 Depth=1
	s_waitcnt lgkmcnt(1)
	v_add_co_u32 v17, vcc_lo, v17, v28
	v_add_co_ci_u32_e32 v18, vcc_lo, 0, v18, vcc_lo
	s_delay_alu instid0(VALU_DEP_2) | instskip(SKIP_1) | instid1(VALU_DEP_2)
	v_add_co_u32 v17, vcc_lo, v17, 0
	s_waitcnt lgkmcnt(0)
	v_add_co_ci_u32_e32 v18, vcc_lo, v18, v27, vcc_lo
	s_branch .LBB336_65
.LBB336_83:                             ;   in Loop: Header=BB336_66 Depth=1
                                        ; implicit-def: $vgpr17_vgpr18
	s_cbranch_execz .LBB336_66
; %bb.84:
	s_and_saveexec_b32 s11, s1
	s_cbranch_execz .LBB336_86
; %bb.85:
	s_add_i32 s16, s9, 32
	s_mov_b32 s17, 0
	v_add_co_u32 v17, vcc_lo, v15, v13
	s_lshl_b64 s[16:17], s[16:17], 4
	v_dual_mov_b32 v19, 2 :: v_dual_mov_b32 v20, 0
	s_add_u32 s16, s14, s16
	s_addc_u32 s17, s15, s17
	v_add_co_ci_u32_e32 v18, vcc_lo, v16, v14, vcc_lo
	v_dual_mov_b32 v26, s17 :: v_dual_mov_b32 v25, s16
	;;#ASMSTART
	global_store_dwordx4 v[25:26], v[17:20] off	
s_waitcnt vmcnt(0)
	;;#ASMEND
	ds_store_b128 v20, v[13:16] offset:6144
.LBB336_86:
	s_or_b32 exec_lo, exec_lo, s11
	s_delay_alu instid0(SALU_CYCLE_1)
	s_and_b32 exec_lo, exec_lo, s2
	s_cbranch_execz .LBB336_88
; %bb.87:
	v_mov_b32_e32 v13, 0
	ds_store_b64 v13, v[15:16] offset:24
.LBB336_88:
	s_or_b32 exec_lo, exec_lo, s10
	v_mov_b32_e32 v15, 0
	s_waitcnt lgkmcnt(0)
	s_barrier
	buffer_gl0_inv
	v_cndmask_b32_e64 v16, v29, v23, s1
	ds_load_b64 v[13:14], v15 offset:24
	v_cndmask_b32_e64 v17, v30, v24, s1
	s_waitcnt lgkmcnt(0)
	s_barrier
	v_cndmask_b32_e64 v16, v16, 0, s2
	buffer_gl0_inv
	v_cndmask_b32_e64 v17, v17, 0, s2
	v_add_co_u32 v29, vcc_lo, v13, v16
	s_delay_alu instid0(VALU_DEP_2) | instskip(SKIP_3) | instid1(VALU_DEP_2)
	v_add_co_ci_u32_e32 v30, vcc_lo, v14, v17, vcc_lo
	ds_load_b128 v[13:16], v15 offset:6144
	v_add_co_u32 v27, vcc_lo, v29, v41
	v_add_co_ci_u32_e32 v28, vcc_lo, 0, v30, vcc_lo
	v_add_co_u32 v25, vcc_lo, v27, v40
	s_delay_alu instid0(VALU_DEP_2) | instskip(NEXT) | instid1(VALU_DEP_2)
	v_add_co_ci_u32_e32 v26, vcc_lo, 0, v28, vcc_lo
	v_add_co_u32 v23, vcc_lo, v25, v39
	s_delay_alu instid0(VALU_DEP_2) | instskip(NEXT) | instid1(VALU_DEP_2)
	;; [unrolled: 3-line block ×3, first 2 shown]
	v_add_co_ci_u32_e32 v20, vcc_lo, 0, v24, vcc_lo
	v_add_co_u32 v17, vcc_lo, v19, v37
	s_delay_alu instid0(VALU_DEP_2)
	v_add_co_ci_u32_e32 v18, vcc_lo, 0, v20, vcc_lo
.LBB336_89:
	s_waitcnt lgkmcnt(0)
	v_cmp_gt_u64_e32 vcc_lo, 0x81, v[13:14]
	s_mov_b32 s0, -1
	s_cbranch_vccnz .LBB336_117
.LBB336_90:
	s_and_b32 vcc_lo, exec_lo, s0
	s_cbranch_vccnz .LBB336_136
.LBB336_91:
	s_and_b32 s0, s2, s3
	s_delay_alu instid0(SALU_CYCLE_1)
	s_and_saveexec_b32 s1, s0
	s_cbranch_execnz .LBB336_152
.LBB336_92:
	s_nop 0
	s_sendmsg sendmsg(MSG_DEALLOC_VGPRS)
	s_endpgm
.LBB336_93:
                                        ; kill: def $vgpr13_vgpr14 killed $sgpr0_sgpr1 killed $exec
                                        ; implicit-def: $vgpr17_vgpr18
                                        ; implicit-def: $vgpr19_vgpr20
                                        ; implicit-def: $vgpr23_vgpr24
                                        ; implicit-def: $vgpr25_vgpr26
                                        ; implicit-def: $vgpr27_vgpr28
                                        ; implicit-def: $vgpr29_vgpr30
                                        ; implicit-def: $vgpr15_vgpr16
	s_and_b32 vcc_lo, exec_lo, s1
	s_cbranch_vccz .LBB336_89
; %bb.94:
	s_waitcnt lgkmcnt(0)
	v_dual_mov_b32 v14, 0 :: v_dual_mov_b32 v15, v21
	v_mov_b32_dpp v16, v21 row_shr:1 row_mask:0xf bank_mask:0xf
	s_delay_alu instid0(VALU_DEP_2)
	v_mov_b32_dpp v13, v14 row_shr:1 row_mask:0xf bank_mask:0xf
	s_and_saveexec_b32 s1, s0
; %bb.95:
	s_delay_alu instid0(VALU_DEP_2) | instskip(SKIP_1) | instid1(VALU_DEP_2)
	v_add_co_u32 v15, vcc_lo, v21, v16
	v_add_co_ci_u32_e32 v14, vcc_lo, 0, v22, vcc_lo
	v_add_co_u32 v21, vcc_lo, 0, v15
	s_delay_alu instid0(VALU_DEP_2) | instskip(NEXT) | instid1(VALU_DEP_1)
	v_add_co_ci_u32_e32 v22, vcc_lo, v13, v14, vcc_lo
	v_mov_b32_e32 v14, v22
; %bb.96:
	s_or_b32 exec_lo, exec_lo, s1
	v_mov_b32_dpp v13, v15 row_shr:2 row_mask:0xf bank_mask:0xf
	s_delay_alu instid0(VALU_DEP_2)
	v_mov_b32_dpp v16, v14 row_shr:2 row_mask:0xf bank_mask:0xf
	s_mov_b32 s0, exec_lo
	v_cmpx_lt_u32_e32 1, v44
; %bb.97:
	s_delay_alu instid0(VALU_DEP_3) | instskip(SKIP_1) | instid1(VALU_DEP_2)
	v_add_co_u32 v15, vcc_lo, v21, v13
	v_add_co_ci_u32_e32 v14, vcc_lo, 0, v22, vcc_lo
	v_add_co_u32 v13, vcc_lo, 0, v15
	s_delay_alu instid0(VALU_DEP_2) | instskip(NEXT) | instid1(VALU_DEP_1)
	v_add_co_ci_u32_e32 v14, vcc_lo, v16, v14, vcc_lo
	v_dual_mov_b32 v22, v14 :: v_dual_mov_b32 v21, v13
; %bb.98:
	s_or_b32 exec_lo, exec_lo, s0
	v_mov_b32_dpp v13, v15 row_shr:4 row_mask:0xf bank_mask:0xf
	v_mov_b32_dpp v16, v14 row_shr:4 row_mask:0xf bank_mask:0xf
	s_mov_b32 s0, exec_lo
	v_cmpx_lt_u32_e32 3, v44
; %bb.99:
	s_delay_alu instid0(VALU_DEP_3) | instskip(SKIP_1) | instid1(VALU_DEP_2)
	v_add_co_u32 v15, vcc_lo, v21, v13
	v_add_co_ci_u32_e32 v14, vcc_lo, 0, v22, vcc_lo
	v_add_co_u32 v13, vcc_lo, 0, v15
	s_delay_alu instid0(VALU_DEP_2) | instskip(NEXT) | instid1(VALU_DEP_1)
	v_add_co_ci_u32_e32 v14, vcc_lo, v16, v14, vcc_lo
	v_dual_mov_b32 v22, v14 :: v_dual_mov_b32 v21, v13
; %bb.100:
	s_or_b32 exec_lo, exec_lo, s0
	v_mov_b32_dpp v16, v15 row_shr:8 row_mask:0xf bank_mask:0xf
	v_mov_b32_dpp v13, v14 row_shr:8 row_mask:0xf bank_mask:0xf
	s_mov_b32 s0, exec_lo
	v_cmpx_lt_u32_e32 7, v44
; %bb.101:
	s_delay_alu instid0(VALU_DEP_3) | instskip(SKIP_1) | instid1(VALU_DEP_2)
	v_add_co_u32 v15, vcc_lo, v21, v16
	v_add_co_ci_u32_e32 v14, vcc_lo, 0, v22, vcc_lo
	v_add_co_u32 v21, vcc_lo, 0, v15
	s_delay_alu instid0(VALU_DEP_2) | instskip(NEXT) | instid1(VALU_DEP_1)
	v_add_co_ci_u32_e32 v22, vcc_lo, v13, v14, vcc_lo
	v_mov_b32_e32 v14, v22
; %bb.102:
	s_or_b32 exec_lo, exec_lo, s0
	ds_swizzle_b32 v15, v15 offset:swizzle(BROADCAST,32,15)
	ds_swizzle_b32 v13, v14 offset:swizzle(BROADCAST,32,15)
	v_and_b32_e32 v14, 16, v42
	s_mov_b32 s0, exec_lo
	s_delay_alu instid0(VALU_DEP_1)
	v_cmpx_ne_u32_e32 0, v14
	s_cbranch_execz .LBB336_104
; %bb.103:
	s_waitcnt lgkmcnt(1)
	v_add_co_u32 v14, vcc_lo, v21, v15
	v_add_co_ci_u32_e32 v15, vcc_lo, 0, v22, vcc_lo
	s_delay_alu instid0(VALU_DEP_2) | instskip(SKIP_1) | instid1(VALU_DEP_2)
	v_add_co_u32 v21, vcc_lo, v14, 0
	s_waitcnt lgkmcnt(0)
	v_add_co_ci_u32_e32 v22, vcc_lo, v15, v13, vcc_lo
.LBB336_104:
	s_or_b32 exec_lo, exec_lo, s0
	s_waitcnt lgkmcnt(0)
	v_or_b32_e32 v13, 31, v0
	v_lshrrev_b32_e32 v15, 5, v0
	s_mov_b32 s0, exec_lo
	s_delay_alu instid0(VALU_DEP_2)
	v_cmpx_eq_u32_e64 v13, v0
	s_cbranch_execz .LBB336_106
; %bb.105:
	s_delay_alu instid0(VALU_DEP_2)
	v_lshlrev_b32_e32 v13, 3, v15
	ds_store_b64 v13, v[21:22]
.LBB336_106:
	s_or_b32 exec_lo, exec_lo, s0
	s_delay_alu instid0(SALU_CYCLE_1)
	s_mov_b32 s0, exec_lo
	s_waitcnt lgkmcnt(0)
	s_barrier
	buffer_gl0_inv
	v_cmpx_gt_u32_e32 4, v0
	s_cbranch_execz .LBB336_112
; %bb.107:
	v_lshlrev_b32_e32 v13, 1, v0
	s_mov_b32 s1, exec_lo
	s_delay_alu instid0(VALU_DEP_1)
	v_add_nc_u32_e32 v16, v43, v13
	ds_load_b64 v[13:14], v16
	s_waitcnt lgkmcnt(0)
	v_dual_mov_b32 v18, v13 :: v_dual_and_b32 v17, 3, v42
	v_mov_b32_dpp v20, v13 row_shr:1 row_mask:0xf bank_mask:0xf
	v_mov_b32_dpp v19, v14 row_shr:1 row_mask:0xf bank_mask:0xf
	s_delay_alu instid0(VALU_DEP_3)
	v_cmpx_ne_u32_e32 0, v17
; %bb.108:
	s_delay_alu instid0(VALU_DEP_3) | instskip(SKIP_1) | instid1(VALU_DEP_2)
	v_add_co_u32 v18, vcc_lo, v13, v20
	v_add_co_ci_u32_e32 v14, vcc_lo, 0, v14, vcc_lo
	v_add_co_u32 v13, vcc_lo, 0, v18
	s_delay_alu instid0(VALU_DEP_2)
	v_add_co_ci_u32_e32 v14, vcc_lo, v19, v14, vcc_lo
; %bb.109:
	s_or_b32 exec_lo, exec_lo, s1
	v_mov_b32_dpp v19, v18 row_shr:2 row_mask:0xf bank_mask:0xf
	s_delay_alu instid0(VALU_DEP_2)
	v_mov_b32_dpp v18, v14 row_shr:2 row_mask:0xf bank_mask:0xf
	s_mov_b32 s1, exec_lo
	v_cmpx_lt_u32_e32 1, v17
; %bb.110:
	s_delay_alu instid0(VALU_DEP_3) | instskip(SKIP_1) | instid1(VALU_DEP_2)
	v_add_co_u32 v13, vcc_lo, v13, v19
	v_add_co_ci_u32_e32 v14, vcc_lo, 0, v14, vcc_lo
	v_add_co_u32 v13, vcc_lo, v13, 0
	s_delay_alu instid0(VALU_DEP_2)
	v_add_co_ci_u32_e32 v14, vcc_lo, v14, v18, vcc_lo
; %bb.111:
	s_or_b32 exec_lo, exec_lo, s1
	ds_store_b64 v16, v[13:14]
.LBB336_112:
	s_or_b32 exec_lo, exec_lo, s0
	v_mov_b32_e32 v17, 0
	v_mov_b32_e32 v18, 0
	s_mov_b32 s0, exec_lo
	s_waitcnt lgkmcnt(0)
	s_barrier
	buffer_gl0_inv
	v_cmpx_lt_u32_e32 31, v0
	s_cbranch_execz .LBB336_114
; %bb.113:
	v_lshl_add_u32 v13, v15, 3, -8
	ds_load_b64 v[17:18], v13
.LBB336_114:
	s_or_b32 exec_lo, exec_lo, s0
	v_dual_mov_b32 v16, 0 :: v_dual_add_nc_u32 v13, -1, v42
	s_delay_alu instid0(VALU_DEP_1) | instskip(SKIP_4) | instid1(VALU_DEP_3)
	v_cmp_gt_i32_e32 vcc_lo, 0, v13
	v_cndmask_b32_e32 v13, v13, v42, vcc_lo
	s_waitcnt lgkmcnt(0)
	v_add_co_u32 v14, vcc_lo, v17, v21
	v_add_co_ci_u32_e32 v15, vcc_lo, v18, v22, vcc_lo
	v_lshlrev_b32_e32 v13, 2, v13
	ds_bpermute_b32 v19, v13, v14
	ds_bpermute_b32 v20, v13, v15
	ds_load_b64 v[13:14], v16 offset:24
	s_and_saveexec_b32 s0, s2
	s_cbranch_execz .LBB336_116
; %bb.115:
	s_add_u32 s10, s14, 0x200
	s_addc_u32 s11, s15, 0
	s_delay_alu instid0(SALU_CYCLE_1)
	v_dual_mov_b32 v15, 2 :: v_dual_mov_b32 v22, s11
	v_mov_b32_e32 v21, s10
	s_waitcnt lgkmcnt(0)
	;;#ASMSTART
	global_store_dwordx4 v[21:22], v[13:16] off	
s_waitcnt vmcnt(0)
	;;#ASMEND
.LBB336_116:
	s_or_b32 exec_lo, exec_lo, s0
	v_cmp_eq_u32_e32 vcc_lo, 0, v42
	s_waitcnt lgkmcnt(0)
	s_barrier
	buffer_gl0_inv
	v_dual_cndmask_b32 v15, v19, v17 :: v_dual_cndmask_b32 v16, v20, v18
	s_delay_alu instid0(VALU_DEP_1) | instskip(NEXT) | instid1(VALU_DEP_2)
	v_cndmask_b32_e64 v29, v15, 0, s2
	v_cndmask_b32_e64 v30, v16, 0, s2
	v_mov_b32_e32 v15, 0
	v_mov_b32_e32 v16, 0
	s_delay_alu instid0(VALU_DEP_4) | instskip(NEXT) | instid1(VALU_DEP_4)
	v_add_co_u32 v27, vcc_lo, v29, v41
	v_add_co_ci_u32_e32 v28, vcc_lo, 0, v30, vcc_lo
	s_delay_alu instid0(VALU_DEP_2) | instskip(NEXT) | instid1(VALU_DEP_2)
	v_add_co_u32 v25, vcc_lo, v27, v40
	v_add_co_ci_u32_e32 v26, vcc_lo, 0, v28, vcc_lo
	s_delay_alu instid0(VALU_DEP_2) | instskip(NEXT) | instid1(VALU_DEP_2)
	;; [unrolled: 3-line block ×4, first 2 shown]
	v_add_co_u32 v17, vcc_lo, v19, v37
	v_add_co_ci_u32_e32 v18, vcc_lo, 0, v20, vcc_lo
	v_cmp_gt_u64_e32 vcc_lo, 0x81, v[13:14]
	s_mov_b32 s0, -1
	s_cbranch_vccz .LBB336_90
.LBB336_117:
	v_add_co_u32 v21, vcc_lo, v15, v13
	v_add_co_ci_u32_e32 v22, vcc_lo, v16, v14, vcc_lo
	s_delay_alu instid0(VALU_DEP_1) | instskip(SKIP_1) | instid1(SALU_CYCLE_1)
	v_cmp_lt_u64_e32 vcc_lo, v[29:30], v[21:22]
	s_or_b32 s1, s8, vcc_lo
	s_and_saveexec_b32 s0, s1
	s_cbranch_execz .LBB336_120
; %bb.118:
	v_and_b32_e32 v37, 1, v36
	s_delay_alu instid0(VALU_DEP_1)
	v_cmp_eq_u32_e32 vcc_lo, 1, v37
	s_and_b32 exec_lo, exec_lo, vcc_lo
	s_cbranch_execz .LBB336_120
; %bb.119:
	v_lshlrev_b64 v[37:38], 3, v[29:30]
	s_lshl_b64 s[10:11], s[6:7], 3
	s_delay_alu instid0(SALU_CYCLE_1) | instskip(SKIP_1) | instid1(VALU_DEP_1)
	s_add_u32 s1, s12, s10
	s_addc_u32 s9, s13, s11
	v_add_co_u32 v37, vcc_lo, s1, v37
	s_delay_alu instid0(VALU_DEP_2)
	v_add_co_ci_u32_e32 v38, vcc_lo, s9, v38, vcc_lo
	global_store_b64 v[37:38], v[9:10], off
.LBB336_120:
	s_or_b32 exec_lo, exec_lo, s0
	v_cmp_lt_u64_e32 vcc_lo, v[27:28], v[21:22]
	s_or_b32 s1, s8, vcc_lo
	s_delay_alu instid0(SALU_CYCLE_1)
	s_and_saveexec_b32 s0, s1
	s_cbranch_execz .LBB336_123
; %bb.121:
	v_and_b32_e32 v30, 1, v34
	s_delay_alu instid0(VALU_DEP_1)
	v_cmp_eq_u32_e32 vcc_lo, 1, v30
	s_and_b32 exec_lo, exec_lo, vcc_lo
	s_cbranch_execz .LBB336_123
; %bb.122:
	v_lshlrev_b64 v[37:38], 3, v[27:28]
	s_lshl_b64 s[10:11], s[6:7], 3
	s_delay_alu instid0(SALU_CYCLE_1) | instskip(SKIP_1) | instid1(VALU_DEP_1)
	s_add_u32 s1, s12, s10
	s_addc_u32 s9, s13, s11
	v_add_co_u32 v37, vcc_lo, s1, v37
	s_delay_alu instid0(VALU_DEP_2)
	v_add_co_ci_u32_e32 v38, vcc_lo, s9, v38, vcc_lo
	global_store_b64 v[37:38], v[11:12], off
.LBB336_123:
	s_or_b32 exec_lo, exec_lo, s0
	v_cmp_lt_u64_e32 vcc_lo, v[25:26], v[21:22]
	s_or_b32 s1, s8, vcc_lo
	s_delay_alu instid0(SALU_CYCLE_1)
	;; [unrolled: 23-line block ×5, first 2 shown]
	s_and_saveexec_b32 s0, s1
	s_cbranch_execz .LBB336_135
; %bb.133:
	v_and_b32_e32 v20, 1, v32
	s_delay_alu instid0(VALU_DEP_1)
	v_cmp_eq_u32_e32 vcc_lo, 1, v20
	s_and_b32 exec_lo, exec_lo, vcc_lo
	s_cbranch_execz .LBB336_135
; %bb.134:
	v_lshlrev_b64 v[20:21], 3, v[17:18]
	s_lshl_b64 s[8:9], s[6:7], 3
	s_delay_alu instid0(SALU_CYCLE_1) | instskip(SKIP_1) | instid1(VALU_DEP_1)
	s_add_u32 s1, s12, s8
	s_addc_u32 s8, s13, s9
	v_add_co_u32 v20, vcc_lo, s1, v20
	s_delay_alu instid0(VALU_DEP_2)
	v_add_co_ci_u32_e32 v21, vcc_lo, s8, v21, vcc_lo
	global_store_b64 v[20:21], v[3:4], off
.LBB336_135:
	s_or_b32 exec_lo, exec_lo, s0
	s_branch .LBB336_91
.LBB336_136:
	v_and_b32_e32 v18, 1, v36
	s_mov_b32 s0, exec_lo
	s_delay_alu instid0(VALU_DEP_1)
	v_cmpx_eq_u32_e32 1, v18
	s_cbranch_execz .LBB336_138
; %bb.137:
	v_sub_nc_u32_e32 v18, v29, v15
	s_delay_alu instid0(VALU_DEP_1)
	v_lshlrev_b32_e32 v18, 3, v18
	ds_store_b64 v18, v[9:10]
.LBB336_138:
	s_or_b32 exec_lo, exec_lo, s0
	v_and_b32_e32 v9, 1, v34
	s_mov_b32 s0, exec_lo
	s_delay_alu instid0(VALU_DEP_1)
	v_cmpx_eq_u32_e32 1, v9
	s_cbranch_execz .LBB336_140
; %bb.139:
	v_sub_nc_u32_e32 v9, v27, v15
	s_delay_alu instid0(VALU_DEP_1)
	v_lshlrev_b32_e32 v9, 3, v9
	ds_store_b64 v9, v[11:12]
.LBB336_140:
	s_or_b32 exec_lo, exec_lo, s0
	;; [unrolled: 12-line block ×6, first 2 shown]
	v_mov_b32_e32 v1, 0
	s_mov_b32 s1, exec_lo
	s_waitcnt lgkmcnt(0)
	s_waitcnt_vscnt null, 0x0
	s_barrier
	buffer_gl0_inv
	v_cmpx_gt_u64_e64 v[13:14], v[0:1]
	s_cbranch_execz .LBB336_151
; %bb.149:
	v_lshlrev_b64 v[4:5], 3, v[15:16]
	s_lshl_b64 s[8:9], s[6:7], 3
	v_dual_mov_b32 v3, v1 :: v_dual_mov_b32 v2, v0
	v_or_b32_e32 v0, 0x80, v0
	s_delay_alu instid0(VALU_DEP_3) | instskip(NEXT) | instid1(VALU_DEP_4)
	v_add_co_u32 v4, vcc_lo, s12, v4
	v_add_co_ci_u32_e32 v5, vcc_lo, s13, v5, vcc_lo
	s_delay_alu instid0(VALU_DEP_2) | instskip(NEXT) | instid1(VALU_DEP_2)
	v_add_co_u32 v4, vcc_lo, v4, s8
	v_add_co_ci_u32_e32 v5, vcc_lo, s9, v5, vcc_lo
	s_mov_b32 s8, 0
	.p2align	6
.LBB336_150:                            ; =>This Inner Loop Header: Depth=1
	v_lshlrev_b32_e32 v6, 3, v2
	v_lshlrev_b64 v[8:9], 3, v[2:3]
	v_mov_b32_e32 v3, v1
	v_cmp_le_u64_e32 vcc_lo, v[13:14], v[0:1]
	v_mov_b32_e32 v2, v0
	ds_load_b64 v[6:7], v6
	v_add_nc_u32_e32 v0, 0x80, v0
	v_add_co_u32 v8, s0, v4, v8
	s_delay_alu instid0(VALU_DEP_1)
	v_add_co_ci_u32_e64 v9, s0, v5, v9, s0
	s_or_b32 s8, vcc_lo, s8
	s_waitcnt lgkmcnt(0)
	global_store_b64 v[8:9], v[6:7], off
	s_and_not1_b32 exec_lo, exec_lo, s8
	s_cbranch_execnz .LBB336_150
.LBB336_151:
	s_or_b32 exec_lo, exec_lo, s1
	s_and_b32 s0, s2, s3
	s_delay_alu instid0(SALU_CYCLE_1)
	s_and_saveexec_b32 s1, s0
	s_cbranch_execz .LBB336_92
.LBB336_152:
	v_add_co_u32 v0, vcc_lo, v15, v13
	v_add_co_ci_u32_e32 v1, vcc_lo, v16, v14, vcc_lo
	v_mov_b32_e32 v2, 0
	s_delay_alu instid0(VALU_DEP_3) | instskip(NEXT) | instid1(VALU_DEP_3)
	v_add_co_u32 v0, vcc_lo, v0, s6
	v_add_co_ci_u32_e32 v1, vcc_lo, s7, v1, vcc_lo
	global_store_b64 v2, v[0:1], s[4:5]
	s_nop 0
	s_sendmsg sendmsg(MSG_DEALLOC_VGPRS)
	s_endpgm
	.section	.rodata,"a",@progbits
	.p2align	6, 0x0
	.amdhsa_kernel _ZN7rocprim17ROCPRIM_400000_NS6detail17trampoline_kernelINS0_14default_configENS1_25partition_config_selectorILNS1_17partition_subalgoE5ElNS0_10empty_typeEbEEZZNS1_14partition_implILS5_5ELb0ES3_mN6hipcub16HIPCUB_304000_NS21CountingInputIteratorIllEEPS6_NSA_22TransformInputIteratorIbN2at6native12_GLOBAL__N_19NonZeroOpIsEEPKslEENS0_5tupleIJPlS6_EEENSN_IJSD_SD_EEES6_PiJS6_EEE10hipError_tPvRmT3_T4_T5_T6_T7_T9_mT8_P12ihipStream_tbDpT10_ENKUlT_T0_E_clISt17integral_constantIbLb1EES1B_EEDaS16_S17_EUlS16_E_NS1_11comp_targetILNS1_3genE9ELNS1_11target_archE1100ELNS1_3gpuE3ELNS1_3repE0EEENS1_30default_config_static_selectorELNS0_4arch9wavefront6targetE0EEEvT1_
		.amdhsa_group_segment_fixed_size 6160
		.amdhsa_private_segment_fixed_size 0
		.amdhsa_kernarg_size 136
		.amdhsa_user_sgpr_count 15
		.amdhsa_user_sgpr_dispatch_ptr 0
		.amdhsa_user_sgpr_queue_ptr 0
		.amdhsa_user_sgpr_kernarg_segment_ptr 1
		.amdhsa_user_sgpr_dispatch_id 0
		.amdhsa_user_sgpr_private_segment_size 0
		.amdhsa_wavefront_size32 1
		.amdhsa_uses_dynamic_stack 0
		.amdhsa_enable_private_segment 0
		.amdhsa_system_sgpr_workgroup_id_x 1
		.amdhsa_system_sgpr_workgroup_id_y 0
		.amdhsa_system_sgpr_workgroup_id_z 0
		.amdhsa_system_sgpr_workgroup_info 0
		.amdhsa_system_vgpr_workitem_id 0
		.amdhsa_next_free_vgpr 57
		.amdhsa_next_free_sgpr 24
		.amdhsa_reserve_vcc 1
		.amdhsa_float_round_mode_32 0
		.amdhsa_float_round_mode_16_64 0
		.amdhsa_float_denorm_mode_32 3
		.amdhsa_float_denorm_mode_16_64 3
		.amdhsa_dx10_clamp 1
		.amdhsa_ieee_mode 1
		.amdhsa_fp16_overflow 0
		.amdhsa_workgroup_processor_mode 1
		.amdhsa_memory_ordered 1
		.amdhsa_forward_progress 0
		.amdhsa_shared_vgpr_count 0
		.amdhsa_exception_fp_ieee_invalid_op 0
		.amdhsa_exception_fp_denorm_src 0
		.amdhsa_exception_fp_ieee_div_zero 0
		.amdhsa_exception_fp_ieee_overflow 0
		.amdhsa_exception_fp_ieee_underflow 0
		.amdhsa_exception_fp_ieee_inexact 0
		.amdhsa_exception_int_div_zero 0
	.end_amdhsa_kernel
	.section	.text._ZN7rocprim17ROCPRIM_400000_NS6detail17trampoline_kernelINS0_14default_configENS1_25partition_config_selectorILNS1_17partition_subalgoE5ElNS0_10empty_typeEbEEZZNS1_14partition_implILS5_5ELb0ES3_mN6hipcub16HIPCUB_304000_NS21CountingInputIteratorIllEEPS6_NSA_22TransformInputIteratorIbN2at6native12_GLOBAL__N_19NonZeroOpIsEEPKslEENS0_5tupleIJPlS6_EEENSN_IJSD_SD_EEES6_PiJS6_EEE10hipError_tPvRmT3_T4_T5_T6_T7_T9_mT8_P12ihipStream_tbDpT10_ENKUlT_T0_E_clISt17integral_constantIbLb1EES1B_EEDaS16_S17_EUlS16_E_NS1_11comp_targetILNS1_3genE9ELNS1_11target_archE1100ELNS1_3gpuE3ELNS1_3repE0EEENS1_30default_config_static_selectorELNS0_4arch9wavefront6targetE0EEEvT1_,"axG",@progbits,_ZN7rocprim17ROCPRIM_400000_NS6detail17trampoline_kernelINS0_14default_configENS1_25partition_config_selectorILNS1_17partition_subalgoE5ElNS0_10empty_typeEbEEZZNS1_14partition_implILS5_5ELb0ES3_mN6hipcub16HIPCUB_304000_NS21CountingInputIteratorIllEEPS6_NSA_22TransformInputIteratorIbN2at6native12_GLOBAL__N_19NonZeroOpIsEEPKslEENS0_5tupleIJPlS6_EEENSN_IJSD_SD_EEES6_PiJS6_EEE10hipError_tPvRmT3_T4_T5_T6_T7_T9_mT8_P12ihipStream_tbDpT10_ENKUlT_T0_E_clISt17integral_constantIbLb1EES1B_EEDaS16_S17_EUlS16_E_NS1_11comp_targetILNS1_3genE9ELNS1_11target_archE1100ELNS1_3gpuE3ELNS1_3repE0EEENS1_30default_config_static_selectorELNS0_4arch9wavefront6targetE0EEEvT1_,comdat
.Lfunc_end336:
	.size	_ZN7rocprim17ROCPRIM_400000_NS6detail17trampoline_kernelINS0_14default_configENS1_25partition_config_selectorILNS1_17partition_subalgoE5ElNS0_10empty_typeEbEEZZNS1_14partition_implILS5_5ELb0ES3_mN6hipcub16HIPCUB_304000_NS21CountingInputIteratorIllEEPS6_NSA_22TransformInputIteratorIbN2at6native12_GLOBAL__N_19NonZeroOpIsEEPKslEENS0_5tupleIJPlS6_EEENSN_IJSD_SD_EEES6_PiJS6_EEE10hipError_tPvRmT3_T4_T5_T6_T7_T9_mT8_P12ihipStream_tbDpT10_ENKUlT_T0_E_clISt17integral_constantIbLb1EES1B_EEDaS16_S17_EUlS16_E_NS1_11comp_targetILNS1_3genE9ELNS1_11target_archE1100ELNS1_3gpuE3ELNS1_3repE0EEENS1_30default_config_static_selectorELNS0_4arch9wavefront6targetE0EEEvT1_, .Lfunc_end336-_ZN7rocprim17ROCPRIM_400000_NS6detail17trampoline_kernelINS0_14default_configENS1_25partition_config_selectorILNS1_17partition_subalgoE5ElNS0_10empty_typeEbEEZZNS1_14partition_implILS5_5ELb0ES3_mN6hipcub16HIPCUB_304000_NS21CountingInputIteratorIllEEPS6_NSA_22TransformInputIteratorIbN2at6native12_GLOBAL__N_19NonZeroOpIsEEPKslEENS0_5tupleIJPlS6_EEENSN_IJSD_SD_EEES6_PiJS6_EEE10hipError_tPvRmT3_T4_T5_T6_T7_T9_mT8_P12ihipStream_tbDpT10_ENKUlT_T0_E_clISt17integral_constantIbLb1EES1B_EEDaS16_S17_EUlS16_E_NS1_11comp_targetILNS1_3genE9ELNS1_11target_archE1100ELNS1_3gpuE3ELNS1_3repE0EEENS1_30default_config_static_selectorELNS0_4arch9wavefront6targetE0EEEvT1_
                                        ; -- End function
	.section	.AMDGPU.csdata,"",@progbits
; Kernel info:
; codeLenInByte = 6608
; NumSgprs: 26
; NumVgprs: 57
; ScratchSize: 0
; MemoryBound: 0
; FloatMode: 240
; IeeeMode: 1
; LDSByteSize: 6160 bytes/workgroup (compile time only)
; SGPRBlocks: 3
; VGPRBlocks: 7
; NumSGPRsForWavesPerEU: 26
; NumVGPRsForWavesPerEU: 57
; Occupancy: 16
; WaveLimiterHint : 1
; COMPUTE_PGM_RSRC2:SCRATCH_EN: 0
; COMPUTE_PGM_RSRC2:USER_SGPR: 15
; COMPUTE_PGM_RSRC2:TRAP_HANDLER: 0
; COMPUTE_PGM_RSRC2:TGID_X_EN: 1
; COMPUTE_PGM_RSRC2:TGID_Y_EN: 0
; COMPUTE_PGM_RSRC2:TGID_Z_EN: 0
; COMPUTE_PGM_RSRC2:TIDIG_COMP_CNT: 0
	.section	.text._ZN7rocprim17ROCPRIM_400000_NS6detail17trampoline_kernelINS0_14default_configENS1_25partition_config_selectorILNS1_17partition_subalgoE5ElNS0_10empty_typeEbEEZZNS1_14partition_implILS5_5ELb0ES3_mN6hipcub16HIPCUB_304000_NS21CountingInputIteratorIllEEPS6_NSA_22TransformInputIteratorIbN2at6native12_GLOBAL__N_19NonZeroOpIsEEPKslEENS0_5tupleIJPlS6_EEENSN_IJSD_SD_EEES6_PiJS6_EEE10hipError_tPvRmT3_T4_T5_T6_T7_T9_mT8_P12ihipStream_tbDpT10_ENKUlT_T0_E_clISt17integral_constantIbLb1EES1B_EEDaS16_S17_EUlS16_E_NS1_11comp_targetILNS1_3genE8ELNS1_11target_archE1030ELNS1_3gpuE2ELNS1_3repE0EEENS1_30default_config_static_selectorELNS0_4arch9wavefront6targetE0EEEvT1_,"axG",@progbits,_ZN7rocprim17ROCPRIM_400000_NS6detail17trampoline_kernelINS0_14default_configENS1_25partition_config_selectorILNS1_17partition_subalgoE5ElNS0_10empty_typeEbEEZZNS1_14partition_implILS5_5ELb0ES3_mN6hipcub16HIPCUB_304000_NS21CountingInputIteratorIllEEPS6_NSA_22TransformInputIteratorIbN2at6native12_GLOBAL__N_19NonZeroOpIsEEPKslEENS0_5tupleIJPlS6_EEENSN_IJSD_SD_EEES6_PiJS6_EEE10hipError_tPvRmT3_T4_T5_T6_T7_T9_mT8_P12ihipStream_tbDpT10_ENKUlT_T0_E_clISt17integral_constantIbLb1EES1B_EEDaS16_S17_EUlS16_E_NS1_11comp_targetILNS1_3genE8ELNS1_11target_archE1030ELNS1_3gpuE2ELNS1_3repE0EEENS1_30default_config_static_selectorELNS0_4arch9wavefront6targetE0EEEvT1_,comdat
	.globl	_ZN7rocprim17ROCPRIM_400000_NS6detail17trampoline_kernelINS0_14default_configENS1_25partition_config_selectorILNS1_17partition_subalgoE5ElNS0_10empty_typeEbEEZZNS1_14partition_implILS5_5ELb0ES3_mN6hipcub16HIPCUB_304000_NS21CountingInputIteratorIllEEPS6_NSA_22TransformInputIteratorIbN2at6native12_GLOBAL__N_19NonZeroOpIsEEPKslEENS0_5tupleIJPlS6_EEENSN_IJSD_SD_EEES6_PiJS6_EEE10hipError_tPvRmT3_T4_T5_T6_T7_T9_mT8_P12ihipStream_tbDpT10_ENKUlT_T0_E_clISt17integral_constantIbLb1EES1B_EEDaS16_S17_EUlS16_E_NS1_11comp_targetILNS1_3genE8ELNS1_11target_archE1030ELNS1_3gpuE2ELNS1_3repE0EEENS1_30default_config_static_selectorELNS0_4arch9wavefront6targetE0EEEvT1_ ; -- Begin function _ZN7rocprim17ROCPRIM_400000_NS6detail17trampoline_kernelINS0_14default_configENS1_25partition_config_selectorILNS1_17partition_subalgoE5ElNS0_10empty_typeEbEEZZNS1_14partition_implILS5_5ELb0ES3_mN6hipcub16HIPCUB_304000_NS21CountingInputIteratorIllEEPS6_NSA_22TransformInputIteratorIbN2at6native12_GLOBAL__N_19NonZeroOpIsEEPKslEENS0_5tupleIJPlS6_EEENSN_IJSD_SD_EEES6_PiJS6_EEE10hipError_tPvRmT3_T4_T5_T6_T7_T9_mT8_P12ihipStream_tbDpT10_ENKUlT_T0_E_clISt17integral_constantIbLb1EES1B_EEDaS16_S17_EUlS16_E_NS1_11comp_targetILNS1_3genE8ELNS1_11target_archE1030ELNS1_3gpuE2ELNS1_3repE0EEENS1_30default_config_static_selectorELNS0_4arch9wavefront6targetE0EEEvT1_
	.p2align	8
	.type	_ZN7rocprim17ROCPRIM_400000_NS6detail17trampoline_kernelINS0_14default_configENS1_25partition_config_selectorILNS1_17partition_subalgoE5ElNS0_10empty_typeEbEEZZNS1_14partition_implILS5_5ELb0ES3_mN6hipcub16HIPCUB_304000_NS21CountingInputIteratorIllEEPS6_NSA_22TransformInputIteratorIbN2at6native12_GLOBAL__N_19NonZeroOpIsEEPKslEENS0_5tupleIJPlS6_EEENSN_IJSD_SD_EEES6_PiJS6_EEE10hipError_tPvRmT3_T4_T5_T6_T7_T9_mT8_P12ihipStream_tbDpT10_ENKUlT_T0_E_clISt17integral_constantIbLb1EES1B_EEDaS16_S17_EUlS16_E_NS1_11comp_targetILNS1_3genE8ELNS1_11target_archE1030ELNS1_3gpuE2ELNS1_3repE0EEENS1_30default_config_static_selectorELNS0_4arch9wavefront6targetE0EEEvT1_,@function
_ZN7rocprim17ROCPRIM_400000_NS6detail17trampoline_kernelINS0_14default_configENS1_25partition_config_selectorILNS1_17partition_subalgoE5ElNS0_10empty_typeEbEEZZNS1_14partition_implILS5_5ELb0ES3_mN6hipcub16HIPCUB_304000_NS21CountingInputIteratorIllEEPS6_NSA_22TransformInputIteratorIbN2at6native12_GLOBAL__N_19NonZeroOpIsEEPKslEENS0_5tupleIJPlS6_EEENSN_IJSD_SD_EEES6_PiJS6_EEE10hipError_tPvRmT3_T4_T5_T6_T7_T9_mT8_P12ihipStream_tbDpT10_ENKUlT_T0_E_clISt17integral_constantIbLb1EES1B_EEDaS16_S17_EUlS16_E_NS1_11comp_targetILNS1_3genE8ELNS1_11target_archE1030ELNS1_3gpuE2ELNS1_3repE0EEENS1_30default_config_static_selectorELNS0_4arch9wavefront6targetE0EEEvT1_: ; @_ZN7rocprim17ROCPRIM_400000_NS6detail17trampoline_kernelINS0_14default_configENS1_25partition_config_selectorILNS1_17partition_subalgoE5ElNS0_10empty_typeEbEEZZNS1_14partition_implILS5_5ELb0ES3_mN6hipcub16HIPCUB_304000_NS21CountingInputIteratorIllEEPS6_NSA_22TransformInputIteratorIbN2at6native12_GLOBAL__N_19NonZeroOpIsEEPKslEENS0_5tupleIJPlS6_EEENSN_IJSD_SD_EEES6_PiJS6_EEE10hipError_tPvRmT3_T4_T5_T6_T7_T9_mT8_P12ihipStream_tbDpT10_ENKUlT_T0_E_clISt17integral_constantIbLb1EES1B_EEDaS16_S17_EUlS16_E_NS1_11comp_targetILNS1_3genE8ELNS1_11target_archE1030ELNS1_3gpuE2ELNS1_3repE0EEENS1_30default_config_static_selectorELNS0_4arch9wavefront6targetE0EEEvT1_
; %bb.0:
	.section	.rodata,"a",@progbits
	.p2align	6, 0x0
	.amdhsa_kernel _ZN7rocprim17ROCPRIM_400000_NS6detail17trampoline_kernelINS0_14default_configENS1_25partition_config_selectorILNS1_17partition_subalgoE5ElNS0_10empty_typeEbEEZZNS1_14partition_implILS5_5ELb0ES3_mN6hipcub16HIPCUB_304000_NS21CountingInputIteratorIllEEPS6_NSA_22TransformInputIteratorIbN2at6native12_GLOBAL__N_19NonZeroOpIsEEPKslEENS0_5tupleIJPlS6_EEENSN_IJSD_SD_EEES6_PiJS6_EEE10hipError_tPvRmT3_T4_T5_T6_T7_T9_mT8_P12ihipStream_tbDpT10_ENKUlT_T0_E_clISt17integral_constantIbLb1EES1B_EEDaS16_S17_EUlS16_E_NS1_11comp_targetILNS1_3genE8ELNS1_11target_archE1030ELNS1_3gpuE2ELNS1_3repE0EEENS1_30default_config_static_selectorELNS0_4arch9wavefront6targetE0EEEvT1_
		.amdhsa_group_segment_fixed_size 0
		.amdhsa_private_segment_fixed_size 0
		.amdhsa_kernarg_size 136
		.amdhsa_user_sgpr_count 15
		.amdhsa_user_sgpr_dispatch_ptr 0
		.amdhsa_user_sgpr_queue_ptr 0
		.amdhsa_user_sgpr_kernarg_segment_ptr 1
		.amdhsa_user_sgpr_dispatch_id 0
		.amdhsa_user_sgpr_private_segment_size 0
		.amdhsa_wavefront_size32 1
		.amdhsa_uses_dynamic_stack 0
		.amdhsa_enable_private_segment 0
		.amdhsa_system_sgpr_workgroup_id_x 1
		.amdhsa_system_sgpr_workgroup_id_y 0
		.amdhsa_system_sgpr_workgroup_id_z 0
		.amdhsa_system_sgpr_workgroup_info 0
		.amdhsa_system_vgpr_workitem_id 0
		.amdhsa_next_free_vgpr 1
		.amdhsa_next_free_sgpr 1
		.amdhsa_reserve_vcc 0
		.amdhsa_float_round_mode_32 0
		.amdhsa_float_round_mode_16_64 0
		.amdhsa_float_denorm_mode_32 3
		.amdhsa_float_denorm_mode_16_64 3
		.amdhsa_dx10_clamp 1
		.amdhsa_ieee_mode 1
		.amdhsa_fp16_overflow 0
		.amdhsa_workgroup_processor_mode 1
		.amdhsa_memory_ordered 1
		.amdhsa_forward_progress 0
		.amdhsa_shared_vgpr_count 0
		.amdhsa_exception_fp_ieee_invalid_op 0
		.amdhsa_exception_fp_denorm_src 0
		.amdhsa_exception_fp_ieee_div_zero 0
		.amdhsa_exception_fp_ieee_overflow 0
		.amdhsa_exception_fp_ieee_underflow 0
		.amdhsa_exception_fp_ieee_inexact 0
		.amdhsa_exception_int_div_zero 0
	.end_amdhsa_kernel
	.section	.text._ZN7rocprim17ROCPRIM_400000_NS6detail17trampoline_kernelINS0_14default_configENS1_25partition_config_selectorILNS1_17partition_subalgoE5ElNS0_10empty_typeEbEEZZNS1_14partition_implILS5_5ELb0ES3_mN6hipcub16HIPCUB_304000_NS21CountingInputIteratorIllEEPS6_NSA_22TransformInputIteratorIbN2at6native12_GLOBAL__N_19NonZeroOpIsEEPKslEENS0_5tupleIJPlS6_EEENSN_IJSD_SD_EEES6_PiJS6_EEE10hipError_tPvRmT3_T4_T5_T6_T7_T9_mT8_P12ihipStream_tbDpT10_ENKUlT_T0_E_clISt17integral_constantIbLb1EES1B_EEDaS16_S17_EUlS16_E_NS1_11comp_targetILNS1_3genE8ELNS1_11target_archE1030ELNS1_3gpuE2ELNS1_3repE0EEENS1_30default_config_static_selectorELNS0_4arch9wavefront6targetE0EEEvT1_,"axG",@progbits,_ZN7rocprim17ROCPRIM_400000_NS6detail17trampoline_kernelINS0_14default_configENS1_25partition_config_selectorILNS1_17partition_subalgoE5ElNS0_10empty_typeEbEEZZNS1_14partition_implILS5_5ELb0ES3_mN6hipcub16HIPCUB_304000_NS21CountingInputIteratorIllEEPS6_NSA_22TransformInputIteratorIbN2at6native12_GLOBAL__N_19NonZeroOpIsEEPKslEENS0_5tupleIJPlS6_EEENSN_IJSD_SD_EEES6_PiJS6_EEE10hipError_tPvRmT3_T4_T5_T6_T7_T9_mT8_P12ihipStream_tbDpT10_ENKUlT_T0_E_clISt17integral_constantIbLb1EES1B_EEDaS16_S17_EUlS16_E_NS1_11comp_targetILNS1_3genE8ELNS1_11target_archE1030ELNS1_3gpuE2ELNS1_3repE0EEENS1_30default_config_static_selectorELNS0_4arch9wavefront6targetE0EEEvT1_,comdat
.Lfunc_end337:
	.size	_ZN7rocprim17ROCPRIM_400000_NS6detail17trampoline_kernelINS0_14default_configENS1_25partition_config_selectorILNS1_17partition_subalgoE5ElNS0_10empty_typeEbEEZZNS1_14partition_implILS5_5ELb0ES3_mN6hipcub16HIPCUB_304000_NS21CountingInputIteratorIllEEPS6_NSA_22TransformInputIteratorIbN2at6native12_GLOBAL__N_19NonZeroOpIsEEPKslEENS0_5tupleIJPlS6_EEENSN_IJSD_SD_EEES6_PiJS6_EEE10hipError_tPvRmT3_T4_T5_T6_T7_T9_mT8_P12ihipStream_tbDpT10_ENKUlT_T0_E_clISt17integral_constantIbLb1EES1B_EEDaS16_S17_EUlS16_E_NS1_11comp_targetILNS1_3genE8ELNS1_11target_archE1030ELNS1_3gpuE2ELNS1_3repE0EEENS1_30default_config_static_selectorELNS0_4arch9wavefront6targetE0EEEvT1_, .Lfunc_end337-_ZN7rocprim17ROCPRIM_400000_NS6detail17trampoline_kernelINS0_14default_configENS1_25partition_config_selectorILNS1_17partition_subalgoE5ElNS0_10empty_typeEbEEZZNS1_14partition_implILS5_5ELb0ES3_mN6hipcub16HIPCUB_304000_NS21CountingInputIteratorIllEEPS6_NSA_22TransformInputIteratorIbN2at6native12_GLOBAL__N_19NonZeroOpIsEEPKslEENS0_5tupleIJPlS6_EEENSN_IJSD_SD_EEES6_PiJS6_EEE10hipError_tPvRmT3_T4_T5_T6_T7_T9_mT8_P12ihipStream_tbDpT10_ENKUlT_T0_E_clISt17integral_constantIbLb1EES1B_EEDaS16_S17_EUlS16_E_NS1_11comp_targetILNS1_3genE8ELNS1_11target_archE1030ELNS1_3gpuE2ELNS1_3repE0EEENS1_30default_config_static_selectorELNS0_4arch9wavefront6targetE0EEEvT1_
                                        ; -- End function
	.section	.AMDGPU.csdata,"",@progbits
; Kernel info:
; codeLenInByte = 0
; NumSgprs: 0
; NumVgprs: 0
; ScratchSize: 0
; MemoryBound: 0
; FloatMode: 240
; IeeeMode: 1
; LDSByteSize: 0 bytes/workgroup (compile time only)
; SGPRBlocks: 0
; VGPRBlocks: 0
; NumSGPRsForWavesPerEU: 1
; NumVGPRsForWavesPerEU: 1
; Occupancy: 16
; WaveLimiterHint : 0
; COMPUTE_PGM_RSRC2:SCRATCH_EN: 0
; COMPUTE_PGM_RSRC2:USER_SGPR: 15
; COMPUTE_PGM_RSRC2:TRAP_HANDLER: 0
; COMPUTE_PGM_RSRC2:TGID_X_EN: 1
; COMPUTE_PGM_RSRC2:TGID_Y_EN: 0
; COMPUTE_PGM_RSRC2:TGID_Z_EN: 0
; COMPUTE_PGM_RSRC2:TIDIG_COMP_CNT: 0
	.section	.text._ZN7rocprim17ROCPRIM_400000_NS6detail17trampoline_kernelINS0_14default_configENS1_25partition_config_selectorILNS1_17partition_subalgoE5ElNS0_10empty_typeEbEEZZNS1_14partition_implILS5_5ELb0ES3_mN6hipcub16HIPCUB_304000_NS21CountingInputIteratorIllEEPS6_NSA_22TransformInputIteratorIbN2at6native12_GLOBAL__N_19NonZeroOpIsEEPKslEENS0_5tupleIJPlS6_EEENSN_IJSD_SD_EEES6_PiJS6_EEE10hipError_tPvRmT3_T4_T5_T6_T7_T9_mT8_P12ihipStream_tbDpT10_ENKUlT_T0_E_clISt17integral_constantIbLb1EES1A_IbLb0EEEEDaS16_S17_EUlS16_E_NS1_11comp_targetILNS1_3genE0ELNS1_11target_archE4294967295ELNS1_3gpuE0ELNS1_3repE0EEENS1_30default_config_static_selectorELNS0_4arch9wavefront6targetE0EEEvT1_,"axG",@progbits,_ZN7rocprim17ROCPRIM_400000_NS6detail17trampoline_kernelINS0_14default_configENS1_25partition_config_selectorILNS1_17partition_subalgoE5ElNS0_10empty_typeEbEEZZNS1_14partition_implILS5_5ELb0ES3_mN6hipcub16HIPCUB_304000_NS21CountingInputIteratorIllEEPS6_NSA_22TransformInputIteratorIbN2at6native12_GLOBAL__N_19NonZeroOpIsEEPKslEENS0_5tupleIJPlS6_EEENSN_IJSD_SD_EEES6_PiJS6_EEE10hipError_tPvRmT3_T4_T5_T6_T7_T9_mT8_P12ihipStream_tbDpT10_ENKUlT_T0_E_clISt17integral_constantIbLb1EES1A_IbLb0EEEEDaS16_S17_EUlS16_E_NS1_11comp_targetILNS1_3genE0ELNS1_11target_archE4294967295ELNS1_3gpuE0ELNS1_3repE0EEENS1_30default_config_static_selectorELNS0_4arch9wavefront6targetE0EEEvT1_,comdat
	.globl	_ZN7rocprim17ROCPRIM_400000_NS6detail17trampoline_kernelINS0_14default_configENS1_25partition_config_selectorILNS1_17partition_subalgoE5ElNS0_10empty_typeEbEEZZNS1_14partition_implILS5_5ELb0ES3_mN6hipcub16HIPCUB_304000_NS21CountingInputIteratorIllEEPS6_NSA_22TransformInputIteratorIbN2at6native12_GLOBAL__N_19NonZeroOpIsEEPKslEENS0_5tupleIJPlS6_EEENSN_IJSD_SD_EEES6_PiJS6_EEE10hipError_tPvRmT3_T4_T5_T6_T7_T9_mT8_P12ihipStream_tbDpT10_ENKUlT_T0_E_clISt17integral_constantIbLb1EES1A_IbLb0EEEEDaS16_S17_EUlS16_E_NS1_11comp_targetILNS1_3genE0ELNS1_11target_archE4294967295ELNS1_3gpuE0ELNS1_3repE0EEENS1_30default_config_static_selectorELNS0_4arch9wavefront6targetE0EEEvT1_ ; -- Begin function _ZN7rocprim17ROCPRIM_400000_NS6detail17trampoline_kernelINS0_14default_configENS1_25partition_config_selectorILNS1_17partition_subalgoE5ElNS0_10empty_typeEbEEZZNS1_14partition_implILS5_5ELb0ES3_mN6hipcub16HIPCUB_304000_NS21CountingInputIteratorIllEEPS6_NSA_22TransformInputIteratorIbN2at6native12_GLOBAL__N_19NonZeroOpIsEEPKslEENS0_5tupleIJPlS6_EEENSN_IJSD_SD_EEES6_PiJS6_EEE10hipError_tPvRmT3_T4_T5_T6_T7_T9_mT8_P12ihipStream_tbDpT10_ENKUlT_T0_E_clISt17integral_constantIbLb1EES1A_IbLb0EEEEDaS16_S17_EUlS16_E_NS1_11comp_targetILNS1_3genE0ELNS1_11target_archE4294967295ELNS1_3gpuE0ELNS1_3repE0EEENS1_30default_config_static_selectorELNS0_4arch9wavefront6targetE0EEEvT1_
	.p2align	8
	.type	_ZN7rocprim17ROCPRIM_400000_NS6detail17trampoline_kernelINS0_14default_configENS1_25partition_config_selectorILNS1_17partition_subalgoE5ElNS0_10empty_typeEbEEZZNS1_14partition_implILS5_5ELb0ES3_mN6hipcub16HIPCUB_304000_NS21CountingInputIteratorIllEEPS6_NSA_22TransformInputIteratorIbN2at6native12_GLOBAL__N_19NonZeroOpIsEEPKslEENS0_5tupleIJPlS6_EEENSN_IJSD_SD_EEES6_PiJS6_EEE10hipError_tPvRmT3_T4_T5_T6_T7_T9_mT8_P12ihipStream_tbDpT10_ENKUlT_T0_E_clISt17integral_constantIbLb1EES1A_IbLb0EEEEDaS16_S17_EUlS16_E_NS1_11comp_targetILNS1_3genE0ELNS1_11target_archE4294967295ELNS1_3gpuE0ELNS1_3repE0EEENS1_30default_config_static_selectorELNS0_4arch9wavefront6targetE0EEEvT1_,@function
_ZN7rocprim17ROCPRIM_400000_NS6detail17trampoline_kernelINS0_14default_configENS1_25partition_config_selectorILNS1_17partition_subalgoE5ElNS0_10empty_typeEbEEZZNS1_14partition_implILS5_5ELb0ES3_mN6hipcub16HIPCUB_304000_NS21CountingInputIteratorIllEEPS6_NSA_22TransformInputIteratorIbN2at6native12_GLOBAL__N_19NonZeroOpIsEEPKslEENS0_5tupleIJPlS6_EEENSN_IJSD_SD_EEES6_PiJS6_EEE10hipError_tPvRmT3_T4_T5_T6_T7_T9_mT8_P12ihipStream_tbDpT10_ENKUlT_T0_E_clISt17integral_constantIbLb1EES1A_IbLb0EEEEDaS16_S17_EUlS16_E_NS1_11comp_targetILNS1_3genE0ELNS1_11target_archE4294967295ELNS1_3gpuE0ELNS1_3repE0EEENS1_30default_config_static_selectorELNS0_4arch9wavefront6targetE0EEEvT1_: ; @_ZN7rocprim17ROCPRIM_400000_NS6detail17trampoline_kernelINS0_14default_configENS1_25partition_config_selectorILNS1_17partition_subalgoE5ElNS0_10empty_typeEbEEZZNS1_14partition_implILS5_5ELb0ES3_mN6hipcub16HIPCUB_304000_NS21CountingInputIteratorIllEEPS6_NSA_22TransformInputIteratorIbN2at6native12_GLOBAL__N_19NonZeroOpIsEEPKslEENS0_5tupleIJPlS6_EEENSN_IJSD_SD_EEES6_PiJS6_EEE10hipError_tPvRmT3_T4_T5_T6_T7_T9_mT8_P12ihipStream_tbDpT10_ENKUlT_T0_E_clISt17integral_constantIbLb1EES1A_IbLb0EEEEDaS16_S17_EUlS16_E_NS1_11comp_targetILNS1_3genE0ELNS1_11target_archE4294967295ELNS1_3gpuE0ELNS1_3repE0EEENS1_30default_config_static_selectorELNS0_4arch9wavefront6targetE0EEEvT1_
; %bb.0:
	.section	.rodata,"a",@progbits
	.p2align	6, 0x0
	.amdhsa_kernel _ZN7rocprim17ROCPRIM_400000_NS6detail17trampoline_kernelINS0_14default_configENS1_25partition_config_selectorILNS1_17partition_subalgoE5ElNS0_10empty_typeEbEEZZNS1_14partition_implILS5_5ELb0ES3_mN6hipcub16HIPCUB_304000_NS21CountingInputIteratorIllEEPS6_NSA_22TransformInputIteratorIbN2at6native12_GLOBAL__N_19NonZeroOpIsEEPKslEENS0_5tupleIJPlS6_EEENSN_IJSD_SD_EEES6_PiJS6_EEE10hipError_tPvRmT3_T4_T5_T6_T7_T9_mT8_P12ihipStream_tbDpT10_ENKUlT_T0_E_clISt17integral_constantIbLb1EES1A_IbLb0EEEEDaS16_S17_EUlS16_E_NS1_11comp_targetILNS1_3genE0ELNS1_11target_archE4294967295ELNS1_3gpuE0ELNS1_3repE0EEENS1_30default_config_static_selectorELNS0_4arch9wavefront6targetE0EEEvT1_
		.amdhsa_group_segment_fixed_size 0
		.amdhsa_private_segment_fixed_size 0
		.amdhsa_kernarg_size 120
		.amdhsa_user_sgpr_count 15
		.amdhsa_user_sgpr_dispatch_ptr 0
		.amdhsa_user_sgpr_queue_ptr 0
		.amdhsa_user_sgpr_kernarg_segment_ptr 1
		.amdhsa_user_sgpr_dispatch_id 0
		.amdhsa_user_sgpr_private_segment_size 0
		.amdhsa_wavefront_size32 1
		.amdhsa_uses_dynamic_stack 0
		.amdhsa_enable_private_segment 0
		.amdhsa_system_sgpr_workgroup_id_x 1
		.amdhsa_system_sgpr_workgroup_id_y 0
		.amdhsa_system_sgpr_workgroup_id_z 0
		.amdhsa_system_sgpr_workgroup_info 0
		.amdhsa_system_vgpr_workitem_id 0
		.amdhsa_next_free_vgpr 1
		.amdhsa_next_free_sgpr 1
		.amdhsa_reserve_vcc 0
		.amdhsa_float_round_mode_32 0
		.amdhsa_float_round_mode_16_64 0
		.amdhsa_float_denorm_mode_32 3
		.amdhsa_float_denorm_mode_16_64 3
		.amdhsa_dx10_clamp 1
		.amdhsa_ieee_mode 1
		.amdhsa_fp16_overflow 0
		.amdhsa_workgroup_processor_mode 1
		.amdhsa_memory_ordered 1
		.amdhsa_forward_progress 0
		.amdhsa_shared_vgpr_count 0
		.amdhsa_exception_fp_ieee_invalid_op 0
		.amdhsa_exception_fp_denorm_src 0
		.amdhsa_exception_fp_ieee_div_zero 0
		.amdhsa_exception_fp_ieee_overflow 0
		.amdhsa_exception_fp_ieee_underflow 0
		.amdhsa_exception_fp_ieee_inexact 0
		.amdhsa_exception_int_div_zero 0
	.end_amdhsa_kernel
	.section	.text._ZN7rocprim17ROCPRIM_400000_NS6detail17trampoline_kernelINS0_14default_configENS1_25partition_config_selectorILNS1_17partition_subalgoE5ElNS0_10empty_typeEbEEZZNS1_14partition_implILS5_5ELb0ES3_mN6hipcub16HIPCUB_304000_NS21CountingInputIteratorIllEEPS6_NSA_22TransformInputIteratorIbN2at6native12_GLOBAL__N_19NonZeroOpIsEEPKslEENS0_5tupleIJPlS6_EEENSN_IJSD_SD_EEES6_PiJS6_EEE10hipError_tPvRmT3_T4_T5_T6_T7_T9_mT8_P12ihipStream_tbDpT10_ENKUlT_T0_E_clISt17integral_constantIbLb1EES1A_IbLb0EEEEDaS16_S17_EUlS16_E_NS1_11comp_targetILNS1_3genE0ELNS1_11target_archE4294967295ELNS1_3gpuE0ELNS1_3repE0EEENS1_30default_config_static_selectorELNS0_4arch9wavefront6targetE0EEEvT1_,"axG",@progbits,_ZN7rocprim17ROCPRIM_400000_NS6detail17trampoline_kernelINS0_14default_configENS1_25partition_config_selectorILNS1_17partition_subalgoE5ElNS0_10empty_typeEbEEZZNS1_14partition_implILS5_5ELb0ES3_mN6hipcub16HIPCUB_304000_NS21CountingInputIteratorIllEEPS6_NSA_22TransformInputIteratorIbN2at6native12_GLOBAL__N_19NonZeroOpIsEEPKslEENS0_5tupleIJPlS6_EEENSN_IJSD_SD_EEES6_PiJS6_EEE10hipError_tPvRmT3_T4_T5_T6_T7_T9_mT8_P12ihipStream_tbDpT10_ENKUlT_T0_E_clISt17integral_constantIbLb1EES1A_IbLb0EEEEDaS16_S17_EUlS16_E_NS1_11comp_targetILNS1_3genE0ELNS1_11target_archE4294967295ELNS1_3gpuE0ELNS1_3repE0EEENS1_30default_config_static_selectorELNS0_4arch9wavefront6targetE0EEEvT1_,comdat
.Lfunc_end338:
	.size	_ZN7rocprim17ROCPRIM_400000_NS6detail17trampoline_kernelINS0_14default_configENS1_25partition_config_selectorILNS1_17partition_subalgoE5ElNS0_10empty_typeEbEEZZNS1_14partition_implILS5_5ELb0ES3_mN6hipcub16HIPCUB_304000_NS21CountingInputIteratorIllEEPS6_NSA_22TransformInputIteratorIbN2at6native12_GLOBAL__N_19NonZeroOpIsEEPKslEENS0_5tupleIJPlS6_EEENSN_IJSD_SD_EEES6_PiJS6_EEE10hipError_tPvRmT3_T4_T5_T6_T7_T9_mT8_P12ihipStream_tbDpT10_ENKUlT_T0_E_clISt17integral_constantIbLb1EES1A_IbLb0EEEEDaS16_S17_EUlS16_E_NS1_11comp_targetILNS1_3genE0ELNS1_11target_archE4294967295ELNS1_3gpuE0ELNS1_3repE0EEENS1_30default_config_static_selectorELNS0_4arch9wavefront6targetE0EEEvT1_, .Lfunc_end338-_ZN7rocprim17ROCPRIM_400000_NS6detail17trampoline_kernelINS0_14default_configENS1_25partition_config_selectorILNS1_17partition_subalgoE5ElNS0_10empty_typeEbEEZZNS1_14partition_implILS5_5ELb0ES3_mN6hipcub16HIPCUB_304000_NS21CountingInputIteratorIllEEPS6_NSA_22TransformInputIteratorIbN2at6native12_GLOBAL__N_19NonZeroOpIsEEPKslEENS0_5tupleIJPlS6_EEENSN_IJSD_SD_EEES6_PiJS6_EEE10hipError_tPvRmT3_T4_T5_T6_T7_T9_mT8_P12ihipStream_tbDpT10_ENKUlT_T0_E_clISt17integral_constantIbLb1EES1A_IbLb0EEEEDaS16_S17_EUlS16_E_NS1_11comp_targetILNS1_3genE0ELNS1_11target_archE4294967295ELNS1_3gpuE0ELNS1_3repE0EEENS1_30default_config_static_selectorELNS0_4arch9wavefront6targetE0EEEvT1_
                                        ; -- End function
	.section	.AMDGPU.csdata,"",@progbits
; Kernel info:
; codeLenInByte = 0
; NumSgprs: 0
; NumVgprs: 0
; ScratchSize: 0
; MemoryBound: 0
; FloatMode: 240
; IeeeMode: 1
; LDSByteSize: 0 bytes/workgroup (compile time only)
; SGPRBlocks: 0
; VGPRBlocks: 0
; NumSGPRsForWavesPerEU: 1
; NumVGPRsForWavesPerEU: 1
; Occupancy: 16
; WaveLimiterHint : 0
; COMPUTE_PGM_RSRC2:SCRATCH_EN: 0
; COMPUTE_PGM_RSRC2:USER_SGPR: 15
; COMPUTE_PGM_RSRC2:TRAP_HANDLER: 0
; COMPUTE_PGM_RSRC2:TGID_X_EN: 1
; COMPUTE_PGM_RSRC2:TGID_Y_EN: 0
; COMPUTE_PGM_RSRC2:TGID_Z_EN: 0
; COMPUTE_PGM_RSRC2:TIDIG_COMP_CNT: 0
	.section	.text._ZN7rocprim17ROCPRIM_400000_NS6detail17trampoline_kernelINS0_14default_configENS1_25partition_config_selectorILNS1_17partition_subalgoE5ElNS0_10empty_typeEbEEZZNS1_14partition_implILS5_5ELb0ES3_mN6hipcub16HIPCUB_304000_NS21CountingInputIteratorIllEEPS6_NSA_22TransformInputIteratorIbN2at6native12_GLOBAL__N_19NonZeroOpIsEEPKslEENS0_5tupleIJPlS6_EEENSN_IJSD_SD_EEES6_PiJS6_EEE10hipError_tPvRmT3_T4_T5_T6_T7_T9_mT8_P12ihipStream_tbDpT10_ENKUlT_T0_E_clISt17integral_constantIbLb1EES1A_IbLb0EEEEDaS16_S17_EUlS16_E_NS1_11comp_targetILNS1_3genE5ELNS1_11target_archE942ELNS1_3gpuE9ELNS1_3repE0EEENS1_30default_config_static_selectorELNS0_4arch9wavefront6targetE0EEEvT1_,"axG",@progbits,_ZN7rocprim17ROCPRIM_400000_NS6detail17trampoline_kernelINS0_14default_configENS1_25partition_config_selectorILNS1_17partition_subalgoE5ElNS0_10empty_typeEbEEZZNS1_14partition_implILS5_5ELb0ES3_mN6hipcub16HIPCUB_304000_NS21CountingInputIteratorIllEEPS6_NSA_22TransformInputIteratorIbN2at6native12_GLOBAL__N_19NonZeroOpIsEEPKslEENS0_5tupleIJPlS6_EEENSN_IJSD_SD_EEES6_PiJS6_EEE10hipError_tPvRmT3_T4_T5_T6_T7_T9_mT8_P12ihipStream_tbDpT10_ENKUlT_T0_E_clISt17integral_constantIbLb1EES1A_IbLb0EEEEDaS16_S17_EUlS16_E_NS1_11comp_targetILNS1_3genE5ELNS1_11target_archE942ELNS1_3gpuE9ELNS1_3repE0EEENS1_30default_config_static_selectorELNS0_4arch9wavefront6targetE0EEEvT1_,comdat
	.globl	_ZN7rocprim17ROCPRIM_400000_NS6detail17trampoline_kernelINS0_14default_configENS1_25partition_config_selectorILNS1_17partition_subalgoE5ElNS0_10empty_typeEbEEZZNS1_14partition_implILS5_5ELb0ES3_mN6hipcub16HIPCUB_304000_NS21CountingInputIteratorIllEEPS6_NSA_22TransformInputIteratorIbN2at6native12_GLOBAL__N_19NonZeroOpIsEEPKslEENS0_5tupleIJPlS6_EEENSN_IJSD_SD_EEES6_PiJS6_EEE10hipError_tPvRmT3_T4_T5_T6_T7_T9_mT8_P12ihipStream_tbDpT10_ENKUlT_T0_E_clISt17integral_constantIbLb1EES1A_IbLb0EEEEDaS16_S17_EUlS16_E_NS1_11comp_targetILNS1_3genE5ELNS1_11target_archE942ELNS1_3gpuE9ELNS1_3repE0EEENS1_30default_config_static_selectorELNS0_4arch9wavefront6targetE0EEEvT1_ ; -- Begin function _ZN7rocprim17ROCPRIM_400000_NS6detail17trampoline_kernelINS0_14default_configENS1_25partition_config_selectorILNS1_17partition_subalgoE5ElNS0_10empty_typeEbEEZZNS1_14partition_implILS5_5ELb0ES3_mN6hipcub16HIPCUB_304000_NS21CountingInputIteratorIllEEPS6_NSA_22TransformInputIteratorIbN2at6native12_GLOBAL__N_19NonZeroOpIsEEPKslEENS0_5tupleIJPlS6_EEENSN_IJSD_SD_EEES6_PiJS6_EEE10hipError_tPvRmT3_T4_T5_T6_T7_T9_mT8_P12ihipStream_tbDpT10_ENKUlT_T0_E_clISt17integral_constantIbLb1EES1A_IbLb0EEEEDaS16_S17_EUlS16_E_NS1_11comp_targetILNS1_3genE5ELNS1_11target_archE942ELNS1_3gpuE9ELNS1_3repE0EEENS1_30default_config_static_selectorELNS0_4arch9wavefront6targetE0EEEvT1_
	.p2align	8
	.type	_ZN7rocprim17ROCPRIM_400000_NS6detail17trampoline_kernelINS0_14default_configENS1_25partition_config_selectorILNS1_17partition_subalgoE5ElNS0_10empty_typeEbEEZZNS1_14partition_implILS5_5ELb0ES3_mN6hipcub16HIPCUB_304000_NS21CountingInputIteratorIllEEPS6_NSA_22TransformInputIteratorIbN2at6native12_GLOBAL__N_19NonZeroOpIsEEPKslEENS0_5tupleIJPlS6_EEENSN_IJSD_SD_EEES6_PiJS6_EEE10hipError_tPvRmT3_T4_T5_T6_T7_T9_mT8_P12ihipStream_tbDpT10_ENKUlT_T0_E_clISt17integral_constantIbLb1EES1A_IbLb0EEEEDaS16_S17_EUlS16_E_NS1_11comp_targetILNS1_3genE5ELNS1_11target_archE942ELNS1_3gpuE9ELNS1_3repE0EEENS1_30default_config_static_selectorELNS0_4arch9wavefront6targetE0EEEvT1_,@function
_ZN7rocprim17ROCPRIM_400000_NS6detail17trampoline_kernelINS0_14default_configENS1_25partition_config_selectorILNS1_17partition_subalgoE5ElNS0_10empty_typeEbEEZZNS1_14partition_implILS5_5ELb0ES3_mN6hipcub16HIPCUB_304000_NS21CountingInputIteratorIllEEPS6_NSA_22TransformInputIteratorIbN2at6native12_GLOBAL__N_19NonZeroOpIsEEPKslEENS0_5tupleIJPlS6_EEENSN_IJSD_SD_EEES6_PiJS6_EEE10hipError_tPvRmT3_T4_T5_T6_T7_T9_mT8_P12ihipStream_tbDpT10_ENKUlT_T0_E_clISt17integral_constantIbLb1EES1A_IbLb0EEEEDaS16_S17_EUlS16_E_NS1_11comp_targetILNS1_3genE5ELNS1_11target_archE942ELNS1_3gpuE9ELNS1_3repE0EEENS1_30default_config_static_selectorELNS0_4arch9wavefront6targetE0EEEvT1_: ; @_ZN7rocprim17ROCPRIM_400000_NS6detail17trampoline_kernelINS0_14default_configENS1_25partition_config_selectorILNS1_17partition_subalgoE5ElNS0_10empty_typeEbEEZZNS1_14partition_implILS5_5ELb0ES3_mN6hipcub16HIPCUB_304000_NS21CountingInputIteratorIllEEPS6_NSA_22TransformInputIteratorIbN2at6native12_GLOBAL__N_19NonZeroOpIsEEPKslEENS0_5tupleIJPlS6_EEENSN_IJSD_SD_EEES6_PiJS6_EEE10hipError_tPvRmT3_T4_T5_T6_T7_T9_mT8_P12ihipStream_tbDpT10_ENKUlT_T0_E_clISt17integral_constantIbLb1EES1A_IbLb0EEEEDaS16_S17_EUlS16_E_NS1_11comp_targetILNS1_3genE5ELNS1_11target_archE942ELNS1_3gpuE9ELNS1_3repE0EEENS1_30default_config_static_selectorELNS0_4arch9wavefront6targetE0EEEvT1_
; %bb.0:
	.section	.rodata,"a",@progbits
	.p2align	6, 0x0
	.amdhsa_kernel _ZN7rocprim17ROCPRIM_400000_NS6detail17trampoline_kernelINS0_14default_configENS1_25partition_config_selectorILNS1_17partition_subalgoE5ElNS0_10empty_typeEbEEZZNS1_14partition_implILS5_5ELb0ES3_mN6hipcub16HIPCUB_304000_NS21CountingInputIteratorIllEEPS6_NSA_22TransformInputIteratorIbN2at6native12_GLOBAL__N_19NonZeroOpIsEEPKslEENS0_5tupleIJPlS6_EEENSN_IJSD_SD_EEES6_PiJS6_EEE10hipError_tPvRmT3_T4_T5_T6_T7_T9_mT8_P12ihipStream_tbDpT10_ENKUlT_T0_E_clISt17integral_constantIbLb1EES1A_IbLb0EEEEDaS16_S17_EUlS16_E_NS1_11comp_targetILNS1_3genE5ELNS1_11target_archE942ELNS1_3gpuE9ELNS1_3repE0EEENS1_30default_config_static_selectorELNS0_4arch9wavefront6targetE0EEEvT1_
		.amdhsa_group_segment_fixed_size 0
		.amdhsa_private_segment_fixed_size 0
		.amdhsa_kernarg_size 120
		.amdhsa_user_sgpr_count 15
		.amdhsa_user_sgpr_dispatch_ptr 0
		.amdhsa_user_sgpr_queue_ptr 0
		.amdhsa_user_sgpr_kernarg_segment_ptr 1
		.amdhsa_user_sgpr_dispatch_id 0
		.amdhsa_user_sgpr_private_segment_size 0
		.amdhsa_wavefront_size32 1
		.amdhsa_uses_dynamic_stack 0
		.amdhsa_enable_private_segment 0
		.amdhsa_system_sgpr_workgroup_id_x 1
		.amdhsa_system_sgpr_workgroup_id_y 0
		.amdhsa_system_sgpr_workgroup_id_z 0
		.amdhsa_system_sgpr_workgroup_info 0
		.amdhsa_system_vgpr_workitem_id 0
		.amdhsa_next_free_vgpr 1
		.amdhsa_next_free_sgpr 1
		.amdhsa_reserve_vcc 0
		.amdhsa_float_round_mode_32 0
		.amdhsa_float_round_mode_16_64 0
		.amdhsa_float_denorm_mode_32 3
		.amdhsa_float_denorm_mode_16_64 3
		.amdhsa_dx10_clamp 1
		.amdhsa_ieee_mode 1
		.amdhsa_fp16_overflow 0
		.amdhsa_workgroup_processor_mode 1
		.amdhsa_memory_ordered 1
		.amdhsa_forward_progress 0
		.amdhsa_shared_vgpr_count 0
		.amdhsa_exception_fp_ieee_invalid_op 0
		.amdhsa_exception_fp_denorm_src 0
		.amdhsa_exception_fp_ieee_div_zero 0
		.amdhsa_exception_fp_ieee_overflow 0
		.amdhsa_exception_fp_ieee_underflow 0
		.amdhsa_exception_fp_ieee_inexact 0
		.amdhsa_exception_int_div_zero 0
	.end_amdhsa_kernel
	.section	.text._ZN7rocprim17ROCPRIM_400000_NS6detail17trampoline_kernelINS0_14default_configENS1_25partition_config_selectorILNS1_17partition_subalgoE5ElNS0_10empty_typeEbEEZZNS1_14partition_implILS5_5ELb0ES3_mN6hipcub16HIPCUB_304000_NS21CountingInputIteratorIllEEPS6_NSA_22TransformInputIteratorIbN2at6native12_GLOBAL__N_19NonZeroOpIsEEPKslEENS0_5tupleIJPlS6_EEENSN_IJSD_SD_EEES6_PiJS6_EEE10hipError_tPvRmT3_T4_T5_T6_T7_T9_mT8_P12ihipStream_tbDpT10_ENKUlT_T0_E_clISt17integral_constantIbLb1EES1A_IbLb0EEEEDaS16_S17_EUlS16_E_NS1_11comp_targetILNS1_3genE5ELNS1_11target_archE942ELNS1_3gpuE9ELNS1_3repE0EEENS1_30default_config_static_selectorELNS0_4arch9wavefront6targetE0EEEvT1_,"axG",@progbits,_ZN7rocprim17ROCPRIM_400000_NS6detail17trampoline_kernelINS0_14default_configENS1_25partition_config_selectorILNS1_17partition_subalgoE5ElNS0_10empty_typeEbEEZZNS1_14partition_implILS5_5ELb0ES3_mN6hipcub16HIPCUB_304000_NS21CountingInputIteratorIllEEPS6_NSA_22TransformInputIteratorIbN2at6native12_GLOBAL__N_19NonZeroOpIsEEPKslEENS0_5tupleIJPlS6_EEENSN_IJSD_SD_EEES6_PiJS6_EEE10hipError_tPvRmT3_T4_T5_T6_T7_T9_mT8_P12ihipStream_tbDpT10_ENKUlT_T0_E_clISt17integral_constantIbLb1EES1A_IbLb0EEEEDaS16_S17_EUlS16_E_NS1_11comp_targetILNS1_3genE5ELNS1_11target_archE942ELNS1_3gpuE9ELNS1_3repE0EEENS1_30default_config_static_selectorELNS0_4arch9wavefront6targetE0EEEvT1_,comdat
.Lfunc_end339:
	.size	_ZN7rocprim17ROCPRIM_400000_NS6detail17trampoline_kernelINS0_14default_configENS1_25partition_config_selectorILNS1_17partition_subalgoE5ElNS0_10empty_typeEbEEZZNS1_14partition_implILS5_5ELb0ES3_mN6hipcub16HIPCUB_304000_NS21CountingInputIteratorIllEEPS6_NSA_22TransformInputIteratorIbN2at6native12_GLOBAL__N_19NonZeroOpIsEEPKslEENS0_5tupleIJPlS6_EEENSN_IJSD_SD_EEES6_PiJS6_EEE10hipError_tPvRmT3_T4_T5_T6_T7_T9_mT8_P12ihipStream_tbDpT10_ENKUlT_T0_E_clISt17integral_constantIbLb1EES1A_IbLb0EEEEDaS16_S17_EUlS16_E_NS1_11comp_targetILNS1_3genE5ELNS1_11target_archE942ELNS1_3gpuE9ELNS1_3repE0EEENS1_30default_config_static_selectorELNS0_4arch9wavefront6targetE0EEEvT1_, .Lfunc_end339-_ZN7rocprim17ROCPRIM_400000_NS6detail17trampoline_kernelINS0_14default_configENS1_25partition_config_selectorILNS1_17partition_subalgoE5ElNS0_10empty_typeEbEEZZNS1_14partition_implILS5_5ELb0ES3_mN6hipcub16HIPCUB_304000_NS21CountingInputIteratorIllEEPS6_NSA_22TransformInputIteratorIbN2at6native12_GLOBAL__N_19NonZeroOpIsEEPKslEENS0_5tupleIJPlS6_EEENSN_IJSD_SD_EEES6_PiJS6_EEE10hipError_tPvRmT3_T4_T5_T6_T7_T9_mT8_P12ihipStream_tbDpT10_ENKUlT_T0_E_clISt17integral_constantIbLb1EES1A_IbLb0EEEEDaS16_S17_EUlS16_E_NS1_11comp_targetILNS1_3genE5ELNS1_11target_archE942ELNS1_3gpuE9ELNS1_3repE0EEENS1_30default_config_static_selectorELNS0_4arch9wavefront6targetE0EEEvT1_
                                        ; -- End function
	.section	.AMDGPU.csdata,"",@progbits
; Kernel info:
; codeLenInByte = 0
; NumSgprs: 0
; NumVgprs: 0
; ScratchSize: 0
; MemoryBound: 0
; FloatMode: 240
; IeeeMode: 1
; LDSByteSize: 0 bytes/workgroup (compile time only)
; SGPRBlocks: 0
; VGPRBlocks: 0
; NumSGPRsForWavesPerEU: 1
; NumVGPRsForWavesPerEU: 1
; Occupancy: 16
; WaveLimiterHint : 0
; COMPUTE_PGM_RSRC2:SCRATCH_EN: 0
; COMPUTE_PGM_RSRC2:USER_SGPR: 15
; COMPUTE_PGM_RSRC2:TRAP_HANDLER: 0
; COMPUTE_PGM_RSRC2:TGID_X_EN: 1
; COMPUTE_PGM_RSRC2:TGID_Y_EN: 0
; COMPUTE_PGM_RSRC2:TGID_Z_EN: 0
; COMPUTE_PGM_RSRC2:TIDIG_COMP_CNT: 0
	.section	.text._ZN7rocprim17ROCPRIM_400000_NS6detail17trampoline_kernelINS0_14default_configENS1_25partition_config_selectorILNS1_17partition_subalgoE5ElNS0_10empty_typeEbEEZZNS1_14partition_implILS5_5ELb0ES3_mN6hipcub16HIPCUB_304000_NS21CountingInputIteratorIllEEPS6_NSA_22TransformInputIteratorIbN2at6native12_GLOBAL__N_19NonZeroOpIsEEPKslEENS0_5tupleIJPlS6_EEENSN_IJSD_SD_EEES6_PiJS6_EEE10hipError_tPvRmT3_T4_T5_T6_T7_T9_mT8_P12ihipStream_tbDpT10_ENKUlT_T0_E_clISt17integral_constantIbLb1EES1A_IbLb0EEEEDaS16_S17_EUlS16_E_NS1_11comp_targetILNS1_3genE4ELNS1_11target_archE910ELNS1_3gpuE8ELNS1_3repE0EEENS1_30default_config_static_selectorELNS0_4arch9wavefront6targetE0EEEvT1_,"axG",@progbits,_ZN7rocprim17ROCPRIM_400000_NS6detail17trampoline_kernelINS0_14default_configENS1_25partition_config_selectorILNS1_17partition_subalgoE5ElNS0_10empty_typeEbEEZZNS1_14partition_implILS5_5ELb0ES3_mN6hipcub16HIPCUB_304000_NS21CountingInputIteratorIllEEPS6_NSA_22TransformInputIteratorIbN2at6native12_GLOBAL__N_19NonZeroOpIsEEPKslEENS0_5tupleIJPlS6_EEENSN_IJSD_SD_EEES6_PiJS6_EEE10hipError_tPvRmT3_T4_T5_T6_T7_T9_mT8_P12ihipStream_tbDpT10_ENKUlT_T0_E_clISt17integral_constantIbLb1EES1A_IbLb0EEEEDaS16_S17_EUlS16_E_NS1_11comp_targetILNS1_3genE4ELNS1_11target_archE910ELNS1_3gpuE8ELNS1_3repE0EEENS1_30default_config_static_selectorELNS0_4arch9wavefront6targetE0EEEvT1_,comdat
	.globl	_ZN7rocprim17ROCPRIM_400000_NS6detail17trampoline_kernelINS0_14default_configENS1_25partition_config_selectorILNS1_17partition_subalgoE5ElNS0_10empty_typeEbEEZZNS1_14partition_implILS5_5ELb0ES3_mN6hipcub16HIPCUB_304000_NS21CountingInputIteratorIllEEPS6_NSA_22TransformInputIteratorIbN2at6native12_GLOBAL__N_19NonZeroOpIsEEPKslEENS0_5tupleIJPlS6_EEENSN_IJSD_SD_EEES6_PiJS6_EEE10hipError_tPvRmT3_T4_T5_T6_T7_T9_mT8_P12ihipStream_tbDpT10_ENKUlT_T0_E_clISt17integral_constantIbLb1EES1A_IbLb0EEEEDaS16_S17_EUlS16_E_NS1_11comp_targetILNS1_3genE4ELNS1_11target_archE910ELNS1_3gpuE8ELNS1_3repE0EEENS1_30default_config_static_selectorELNS0_4arch9wavefront6targetE0EEEvT1_ ; -- Begin function _ZN7rocprim17ROCPRIM_400000_NS6detail17trampoline_kernelINS0_14default_configENS1_25partition_config_selectorILNS1_17partition_subalgoE5ElNS0_10empty_typeEbEEZZNS1_14partition_implILS5_5ELb0ES3_mN6hipcub16HIPCUB_304000_NS21CountingInputIteratorIllEEPS6_NSA_22TransformInputIteratorIbN2at6native12_GLOBAL__N_19NonZeroOpIsEEPKslEENS0_5tupleIJPlS6_EEENSN_IJSD_SD_EEES6_PiJS6_EEE10hipError_tPvRmT3_T4_T5_T6_T7_T9_mT8_P12ihipStream_tbDpT10_ENKUlT_T0_E_clISt17integral_constantIbLb1EES1A_IbLb0EEEEDaS16_S17_EUlS16_E_NS1_11comp_targetILNS1_3genE4ELNS1_11target_archE910ELNS1_3gpuE8ELNS1_3repE0EEENS1_30default_config_static_selectorELNS0_4arch9wavefront6targetE0EEEvT1_
	.p2align	8
	.type	_ZN7rocprim17ROCPRIM_400000_NS6detail17trampoline_kernelINS0_14default_configENS1_25partition_config_selectorILNS1_17partition_subalgoE5ElNS0_10empty_typeEbEEZZNS1_14partition_implILS5_5ELb0ES3_mN6hipcub16HIPCUB_304000_NS21CountingInputIteratorIllEEPS6_NSA_22TransformInputIteratorIbN2at6native12_GLOBAL__N_19NonZeroOpIsEEPKslEENS0_5tupleIJPlS6_EEENSN_IJSD_SD_EEES6_PiJS6_EEE10hipError_tPvRmT3_T4_T5_T6_T7_T9_mT8_P12ihipStream_tbDpT10_ENKUlT_T0_E_clISt17integral_constantIbLb1EES1A_IbLb0EEEEDaS16_S17_EUlS16_E_NS1_11comp_targetILNS1_3genE4ELNS1_11target_archE910ELNS1_3gpuE8ELNS1_3repE0EEENS1_30default_config_static_selectorELNS0_4arch9wavefront6targetE0EEEvT1_,@function
_ZN7rocprim17ROCPRIM_400000_NS6detail17trampoline_kernelINS0_14default_configENS1_25partition_config_selectorILNS1_17partition_subalgoE5ElNS0_10empty_typeEbEEZZNS1_14partition_implILS5_5ELb0ES3_mN6hipcub16HIPCUB_304000_NS21CountingInputIteratorIllEEPS6_NSA_22TransformInputIteratorIbN2at6native12_GLOBAL__N_19NonZeroOpIsEEPKslEENS0_5tupleIJPlS6_EEENSN_IJSD_SD_EEES6_PiJS6_EEE10hipError_tPvRmT3_T4_T5_T6_T7_T9_mT8_P12ihipStream_tbDpT10_ENKUlT_T0_E_clISt17integral_constantIbLb1EES1A_IbLb0EEEEDaS16_S17_EUlS16_E_NS1_11comp_targetILNS1_3genE4ELNS1_11target_archE910ELNS1_3gpuE8ELNS1_3repE0EEENS1_30default_config_static_selectorELNS0_4arch9wavefront6targetE0EEEvT1_: ; @_ZN7rocprim17ROCPRIM_400000_NS6detail17trampoline_kernelINS0_14default_configENS1_25partition_config_selectorILNS1_17partition_subalgoE5ElNS0_10empty_typeEbEEZZNS1_14partition_implILS5_5ELb0ES3_mN6hipcub16HIPCUB_304000_NS21CountingInputIteratorIllEEPS6_NSA_22TransformInputIteratorIbN2at6native12_GLOBAL__N_19NonZeroOpIsEEPKslEENS0_5tupleIJPlS6_EEENSN_IJSD_SD_EEES6_PiJS6_EEE10hipError_tPvRmT3_T4_T5_T6_T7_T9_mT8_P12ihipStream_tbDpT10_ENKUlT_T0_E_clISt17integral_constantIbLb1EES1A_IbLb0EEEEDaS16_S17_EUlS16_E_NS1_11comp_targetILNS1_3genE4ELNS1_11target_archE910ELNS1_3gpuE8ELNS1_3repE0EEENS1_30default_config_static_selectorELNS0_4arch9wavefront6targetE0EEEvT1_
; %bb.0:
	.section	.rodata,"a",@progbits
	.p2align	6, 0x0
	.amdhsa_kernel _ZN7rocprim17ROCPRIM_400000_NS6detail17trampoline_kernelINS0_14default_configENS1_25partition_config_selectorILNS1_17partition_subalgoE5ElNS0_10empty_typeEbEEZZNS1_14partition_implILS5_5ELb0ES3_mN6hipcub16HIPCUB_304000_NS21CountingInputIteratorIllEEPS6_NSA_22TransformInputIteratorIbN2at6native12_GLOBAL__N_19NonZeroOpIsEEPKslEENS0_5tupleIJPlS6_EEENSN_IJSD_SD_EEES6_PiJS6_EEE10hipError_tPvRmT3_T4_T5_T6_T7_T9_mT8_P12ihipStream_tbDpT10_ENKUlT_T0_E_clISt17integral_constantIbLb1EES1A_IbLb0EEEEDaS16_S17_EUlS16_E_NS1_11comp_targetILNS1_3genE4ELNS1_11target_archE910ELNS1_3gpuE8ELNS1_3repE0EEENS1_30default_config_static_selectorELNS0_4arch9wavefront6targetE0EEEvT1_
		.amdhsa_group_segment_fixed_size 0
		.amdhsa_private_segment_fixed_size 0
		.amdhsa_kernarg_size 120
		.amdhsa_user_sgpr_count 15
		.amdhsa_user_sgpr_dispatch_ptr 0
		.amdhsa_user_sgpr_queue_ptr 0
		.amdhsa_user_sgpr_kernarg_segment_ptr 1
		.amdhsa_user_sgpr_dispatch_id 0
		.amdhsa_user_sgpr_private_segment_size 0
		.amdhsa_wavefront_size32 1
		.amdhsa_uses_dynamic_stack 0
		.amdhsa_enable_private_segment 0
		.amdhsa_system_sgpr_workgroup_id_x 1
		.amdhsa_system_sgpr_workgroup_id_y 0
		.amdhsa_system_sgpr_workgroup_id_z 0
		.amdhsa_system_sgpr_workgroup_info 0
		.amdhsa_system_vgpr_workitem_id 0
		.amdhsa_next_free_vgpr 1
		.amdhsa_next_free_sgpr 1
		.amdhsa_reserve_vcc 0
		.amdhsa_float_round_mode_32 0
		.amdhsa_float_round_mode_16_64 0
		.amdhsa_float_denorm_mode_32 3
		.amdhsa_float_denorm_mode_16_64 3
		.amdhsa_dx10_clamp 1
		.amdhsa_ieee_mode 1
		.amdhsa_fp16_overflow 0
		.amdhsa_workgroup_processor_mode 1
		.amdhsa_memory_ordered 1
		.amdhsa_forward_progress 0
		.amdhsa_shared_vgpr_count 0
		.amdhsa_exception_fp_ieee_invalid_op 0
		.amdhsa_exception_fp_denorm_src 0
		.amdhsa_exception_fp_ieee_div_zero 0
		.amdhsa_exception_fp_ieee_overflow 0
		.amdhsa_exception_fp_ieee_underflow 0
		.amdhsa_exception_fp_ieee_inexact 0
		.amdhsa_exception_int_div_zero 0
	.end_amdhsa_kernel
	.section	.text._ZN7rocprim17ROCPRIM_400000_NS6detail17trampoline_kernelINS0_14default_configENS1_25partition_config_selectorILNS1_17partition_subalgoE5ElNS0_10empty_typeEbEEZZNS1_14partition_implILS5_5ELb0ES3_mN6hipcub16HIPCUB_304000_NS21CountingInputIteratorIllEEPS6_NSA_22TransformInputIteratorIbN2at6native12_GLOBAL__N_19NonZeroOpIsEEPKslEENS0_5tupleIJPlS6_EEENSN_IJSD_SD_EEES6_PiJS6_EEE10hipError_tPvRmT3_T4_T5_T6_T7_T9_mT8_P12ihipStream_tbDpT10_ENKUlT_T0_E_clISt17integral_constantIbLb1EES1A_IbLb0EEEEDaS16_S17_EUlS16_E_NS1_11comp_targetILNS1_3genE4ELNS1_11target_archE910ELNS1_3gpuE8ELNS1_3repE0EEENS1_30default_config_static_selectorELNS0_4arch9wavefront6targetE0EEEvT1_,"axG",@progbits,_ZN7rocprim17ROCPRIM_400000_NS6detail17trampoline_kernelINS0_14default_configENS1_25partition_config_selectorILNS1_17partition_subalgoE5ElNS0_10empty_typeEbEEZZNS1_14partition_implILS5_5ELb0ES3_mN6hipcub16HIPCUB_304000_NS21CountingInputIteratorIllEEPS6_NSA_22TransformInputIteratorIbN2at6native12_GLOBAL__N_19NonZeroOpIsEEPKslEENS0_5tupleIJPlS6_EEENSN_IJSD_SD_EEES6_PiJS6_EEE10hipError_tPvRmT3_T4_T5_T6_T7_T9_mT8_P12ihipStream_tbDpT10_ENKUlT_T0_E_clISt17integral_constantIbLb1EES1A_IbLb0EEEEDaS16_S17_EUlS16_E_NS1_11comp_targetILNS1_3genE4ELNS1_11target_archE910ELNS1_3gpuE8ELNS1_3repE0EEENS1_30default_config_static_selectorELNS0_4arch9wavefront6targetE0EEEvT1_,comdat
.Lfunc_end340:
	.size	_ZN7rocprim17ROCPRIM_400000_NS6detail17trampoline_kernelINS0_14default_configENS1_25partition_config_selectorILNS1_17partition_subalgoE5ElNS0_10empty_typeEbEEZZNS1_14partition_implILS5_5ELb0ES3_mN6hipcub16HIPCUB_304000_NS21CountingInputIteratorIllEEPS6_NSA_22TransformInputIteratorIbN2at6native12_GLOBAL__N_19NonZeroOpIsEEPKslEENS0_5tupleIJPlS6_EEENSN_IJSD_SD_EEES6_PiJS6_EEE10hipError_tPvRmT3_T4_T5_T6_T7_T9_mT8_P12ihipStream_tbDpT10_ENKUlT_T0_E_clISt17integral_constantIbLb1EES1A_IbLb0EEEEDaS16_S17_EUlS16_E_NS1_11comp_targetILNS1_3genE4ELNS1_11target_archE910ELNS1_3gpuE8ELNS1_3repE0EEENS1_30default_config_static_selectorELNS0_4arch9wavefront6targetE0EEEvT1_, .Lfunc_end340-_ZN7rocprim17ROCPRIM_400000_NS6detail17trampoline_kernelINS0_14default_configENS1_25partition_config_selectorILNS1_17partition_subalgoE5ElNS0_10empty_typeEbEEZZNS1_14partition_implILS5_5ELb0ES3_mN6hipcub16HIPCUB_304000_NS21CountingInputIteratorIllEEPS6_NSA_22TransformInputIteratorIbN2at6native12_GLOBAL__N_19NonZeroOpIsEEPKslEENS0_5tupleIJPlS6_EEENSN_IJSD_SD_EEES6_PiJS6_EEE10hipError_tPvRmT3_T4_T5_T6_T7_T9_mT8_P12ihipStream_tbDpT10_ENKUlT_T0_E_clISt17integral_constantIbLb1EES1A_IbLb0EEEEDaS16_S17_EUlS16_E_NS1_11comp_targetILNS1_3genE4ELNS1_11target_archE910ELNS1_3gpuE8ELNS1_3repE0EEENS1_30default_config_static_selectorELNS0_4arch9wavefront6targetE0EEEvT1_
                                        ; -- End function
	.section	.AMDGPU.csdata,"",@progbits
; Kernel info:
; codeLenInByte = 0
; NumSgprs: 0
; NumVgprs: 0
; ScratchSize: 0
; MemoryBound: 0
; FloatMode: 240
; IeeeMode: 1
; LDSByteSize: 0 bytes/workgroup (compile time only)
; SGPRBlocks: 0
; VGPRBlocks: 0
; NumSGPRsForWavesPerEU: 1
; NumVGPRsForWavesPerEU: 1
; Occupancy: 15
; WaveLimiterHint : 0
; COMPUTE_PGM_RSRC2:SCRATCH_EN: 0
; COMPUTE_PGM_RSRC2:USER_SGPR: 15
; COMPUTE_PGM_RSRC2:TRAP_HANDLER: 0
; COMPUTE_PGM_RSRC2:TGID_X_EN: 1
; COMPUTE_PGM_RSRC2:TGID_Y_EN: 0
; COMPUTE_PGM_RSRC2:TGID_Z_EN: 0
; COMPUTE_PGM_RSRC2:TIDIG_COMP_CNT: 0
	.section	.text._ZN7rocprim17ROCPRIM_400000_NS6detail17trampoline_kernelINS0_14default_configENS1_25partition_config_selectorILNS1_17partition_subalgoE5ElNS0_10empty_typeEbEEZZNS1_14partition_implILS5_5ELb0ES3_mN6hipcub16HIPCUB_304000_NS21CountingInputIteratorIllEEPS6_NSA_22TransformInputIteratorIbN2at6native12_GLOBAL__N_19NonZeroOpIsEEPKslEENS0_5tupleIJPlS6_EEENSN_IJSD_SD_EEES6_PiJS6_EEE10hipError_tPvRmT3_T4_T5_T6_T7_T9_mT8_P12ihipStream_tbDpT10_ENKUlT_T0_E_clISt17integral_constantIbLb1EES1A_IbLb0EEEEDaS16_S17_EUlS16_E_NS1_11comp_targetILNS1_3genE3ELNS1_11target_archE908ELNS1_3gpuE7ELNS1_3repE0EEENS1_30default_config_static_selectorELNS0_4arch9wavefront6targetE0EEEvT1_,"axG",@progbits,_ZN7rocprim17ROCPRIM_400000_NS6detail17trampoline_kernelINS0_14default_configENS1_25partition_config_selectorILNS1_17partition_subalgoE5ElNS0_10empty_typeEbEEZZNS1_14partition_implILS5_5ELb0ES3_mN6hipcub16HIPCUB_304000_NS21CountingInputIteratorIllEEPS6_NSA_22TransformInputIteratorIbN2at6native12_GLOBAL__N_19NonZeroOpIsEEPKslEENS0_5tupleIJPlS6_EEENSN_IJSD_SD_EEES6_PiJS6_EEE10hipError_tPvRmT3_T4_T5_T6_T7_T9_mT8_P12ihipStream_tbDpT10_ENKUlT_T0_E_clISt17integral_constantIbLb1EES1A_IbLb0EEEEDaS16_S17_EUlS16_E_NS1_11comp_targetILNS1_3genE3ELNS1_11target_archE908ELNS1_3gpuE7ELNS1_3repE0EEENS1_30default_config_static_selectorELNS0_4arch9wavefront6targetE0EEEvT1_,comdat
	.globl	_ZN7rocprim17ROCPRIM_400000_NS6detail17trampoline_kernelINS0_14default_configENS1_25partition_config_selectorILNS1_17partition_subalgoE5ElNS0_10empty_typeEbEEZZNS1_14partition_implILS5_5ELb0ES3_mN6hipcub16HIPCUB_304000_NS21CountingInputIteratorIllEEPS6_NSA_22TransformInputIteratorIbN2at6native12_GLOBAL__N_19NonZeroOpIsEEPKslEENS0_5tupleIJPlS6_EEENSN_IJSD_SD_EEES6_PiJS6_EEE10hipError_tPvRmT3_T4_T5_T6_T7_T9_mT8_P12ihipStream_tbDpT10_ENKUlT_T0_E_clISt17integral_constantIbLb1EES1A_IbLb0EEEEDaS16_S17_EUlS16_E_NS1_11comp_targetILNS1_3genE3ELNS1_11target_archE908ELNS1_3gpuE7ELNS1_3repE0EEENS1_30default_config_static_selectorELNS0_4arch9wavefront6targetE0EEEvT1_ ; -- Begin function _ZN7rocprim17ROCPRIM_400000_NS6detail17trampoline_kernelINS0_14default_configENS1_25partition_config_selectorILNS1_17partition_subalgoE5ElNS0_10empty_typeEbEEZZNS1_14partition_implILS5_5ELb0ES3_mN6hipcub16HIPCUB_304000_NS21CountingInputIteratorIllEEPS6_NSA_22TransformInputIteratorIbN2at6native12_GLOBAL__N_19NonZeroOpIsEEPKslEENS0_5tupleIJPlS6_EEENSN_IJSD_SD_EEES6_PiJS6_EEE10hipError_tPvRmT3_T4_T5_T6_T7_T9_mT8_P12ihipStream_tbDpT10_ENKUlT_T0_E_clISt17integral_constantIbLb1EES1A_IbLb0EEEEDaS16_S17_EUlS16_E_NS1_11comp_targetILNS1_3genE3ELNS1_11target_archE908ELNS1_3gpuE7ELNS1_3repE0EEENS1_30default_config_static_selectorELNS0_4arch9wavefront6targetE0EEEvT1_
	.p2align	8
	.type	_ZN7rocprim17ROCPRIM_400000_NS6detail17trampoline_kernelINS0_14default_configENS1_25partition_config_selectorILNS1_17partition_subalgoE5ElNS0_10empty_typeEbEEZZNS1_14partition_implILS5_5ELb0ES3_mN6hipcub16HIPCUB_304000_NS21CountingInputIteratorIllEEPS6_NSA_22TransformInputIteratorIbN2at6native12_GLOBAL__N_19NonZeroOpIsEEPKslEENS0_5tupleIJPlS6_EEENSN_IJSD_SD_EEES6_PiJS6_EEE10hipError_tPvRmT3_T4_T5_T6_T7_T9_mT8_P12ihipStream_tbDpT10_ENKUlT_T0_E_clISt17integral_constantIbLb1EES1A_IbLb0EEEEDaS16_S17_EUlS16_E_NS1_11comp_targetILNS1_3genE3ELNS1_11target_archE908ELNS1_3gpuE7ELNS1_3repE0EEENS1_30default_config_static_selectorELNS0_4arch9wavefront6targetE0EEEvT1_,@function
_ZN7rocprim17ROCPRIM_400000_NS6detail17trampoline_kernelINS0_14default_configENS1_25partition_config_selectorILNS1_17partition_subalgoE5ElNS0_10empty_typeEbEEZZNS1_14partition_implILS5_5ELb0ES3_mN6hipcub16HIPCUB_304000_NS21CountingInputIteratorIllEEPS6_NSA_22TransformInputIteratorIbN2at6native12_GLOBAL__N_19NonZeroOpIsEEPKslEENS0_5tupleIJPlS6_EEENSN_IJSD_SD_EEES6_PiJS6_EEE10hipError_tPvRmT3_T4_T5_T6_T7_T9_mT8_P12ihipStream_tbDpT10_ENKUlT_T0_E_clISt17integral_constantIbLb1EES1A_IbLb0EEEEDaS16_S17_EUlS16_E_NS1_11comp_targetILNS1_3genE3ELNS1_11target_archE908ELNS1_3gpuE7ELNS1_3repE0EEENS1_30default_config_static_selectorELNS0_4arch9wavefront6targetE0EEEvT1_: ; @_ZN7rocprim17ROCPRIM_400000_NS6detail17trampoline_kernelINS0_14default_configENS1_25partition_config_selectorILNS1_17partition_subalgoE5ElNS0_10empty_typeEbEEZZNS1_14partition_implILS5_5ELb0ES3_mN6hipcub16HIPCUB_304000_NS21CountingInputIteratorIllEEPS6_NSA_22TransformInputIteratorIbN2at6native12_GLOBAL__N_19NonZeroOpIsEEPKslEENS0_5tupleIJPlS6_EEENSN_IJSD_SD_EEES6_PiJS6_EEE10hipError_tPvRmT3_T4_T5_T6_T7_T9_mT8_P12ihipStream_tbDpT10_ENKUlT_T0_E_clISt17integral_constantIbLb1EES1A_IbLb0EEEEDaS16_S17_EUlS16_E_NS1_11comp_targetILNS1_3genE3ELNS1_11target_archE908ELNS1_3gpuE7ELNS1_3repE0EEENS1_30default_config_static_selectorELNS0_4arch9wavefront6targetE0EEEvT1_
; %bb.0:
	.section	.rodata,"a",@progbits
	.p2align	6, 0x0
	.amdhsa_kernel _ZN7rocprim17ROCPRIM_400000_NS6detail17trampoline_kernelINS0_14default_configENS1_25partition_config_selectorILNS1_17partition_subalgoE5ElNS0_10empty_typeEbEEZZNS1_14partition_implILS5_5ELb0ES3_mN6hipcub16HIPCUB_304000_NS21CountingInputIteratorIllEEPS6_NSA_22TransformInputIteratorIbN2at6native12_GLOBAL__N_19NonZeroOpIsEEPKslEENS0_5tupleIJPlS6_EEENSN_IJSD_SD_EEES6_PiJS6_EEE10hipError_tPvRmT3_T4_T5_T6_T7_T9_mT8_P12ihipStream_tbDpT10_ENKUlT_T0_E_clISt17integral_constantIbLb1EES1A_IbLb0EEEEDaS16_S17_EUlS16_E_NS1_11comp_targetILNS1_3genE3ELNS1_11target_archE908ELNS1_3gpuE7ELNS1_3repE0EEENS1_30default_config_static_selectorELNS0_4arch9wavefront6targetE0EEEvT1_
		.amdhsa_group_segment_fixed_size 0
		.amdhsa_private_segment_fixed_size 0
		.amdhsa_kernarg_size 120
		.amdhsa_user_sgpr_count 15
		.amdhsa_user_sgpr_dispatch_ptr 0
		.amdhsa_user_sgpr_queue_ptr 0
		.amdhsa_user_sgpr_kernarg_segment_ptr 1
		.amdhsa_user_sgpr_dispatch_id 0
		.amdhsa_user_sgpr_private_segment_size 0
		.amdhsa_wavefront_size32 1
		.amdhsa_uses_dynamic_stack 0
		.amdhsa_enable_private_segment 0
		.amdhsa_system_sgpr_workgroup_id_x 1
		.amdhsa_system_sgpr_workgroup_id_y 0
		.amdhsa_system_sgpr_workgroup_id_z 0
		.amdhsa_system_sgpr_workgroup_info 0
		.amdhsa_system_vgpr_workitem_id 0
		.amdhsa_next_free_vgpr 1
		.amdhsa_next_free_sgpr 1
		.amdhsa_reserve_vcc 0
		.amdhsa_float_round_mode_32 0
		.amdhsa_float_round_mode_16_64 0
		.amdhsa_float_denorm_mode_32 3
		.amdhsa_float_denorm_mode_16_64 3
		.amdhsa_dx10_clamp 1
		.amdhsa_ieee_mode 1
		.amdhsa_fp16_overflow 0
		.amdhsa_workgroup_processor_mode 1
		.amdhsa_memory_ordered 1
		.amdhsa_forward_progress 0
		.amdhsa_shared_vgpr_count 0
		.amdhsa_exception_fp_ieee_invalid_op 0
		.amdhsa_exception_fp_denorm_src 0
		.amdhsa_exception_fp_ieee_div_zero 0
		.amdhsa_exception_fp_ieee_overflow 0
		.amdhsa_exception_fp_ieee_underflow 0
		.amdhsa_exception_fp_ieee_inexact 0
		.amdhsa_exception_int_div_zero 0
	.end_amdhsa_kernel
	.section	.text._ZN7rocprim17ROCPRIM_400000_NS6detail17trampoline_kernelINS0_14default_configENS1_25partition_config_selectorILNS1_17partition_subalgoE5ElNS0_10empty_typeEbEEZZNS1_14partition_implILS5_5ELb0ES3_mN6hipcub16HIPCUB_304000_NS21CountingInputIteratorIllEEPS6_NSA_22TransformInputIteratorIbN2at6native12_GLOBAL__N_19NonZeroOpIsEEPKslEENS0_5tupleIJPlS6_EEENSN_IJSD_SD_EEES6_PiJS6_EEE10hipError_tPvRmT3_T4_T5_T6_T7_T9_mT8_P12ihipStream_tbDpT10_ENKUlT_T0_E_clISt17integral_constantIbLb1EES1A_IbLb0EEEEDaS16_S17_EUlS16_E_NS1_11comp_targetILNS1_3genE3ELNS1_11target_archE908ELNS1_3gpuE7ELNS1_3repE0EEENS1_30default_config_static_selectorELNS0_4arch9wavefront6targetE0EEEvT1_,"axG",@progbits,_ZN7rocprim17ROCPRIM_400000_NS6detail17trampoline_kernelINS0_14default_configENS1_25partition_config_selectorILNS1_17partition_subalgoE5ElNS0_10empty_typeEbEEZZNS1_14partition_implILS5_5ELb0ES3_mN6hipcub16HIPCUB_304000_NS21CountingInputIteratorIllEEPS6_NSA_22TransformInputIteratorIbN2at6native12_GLOBAL__N_19NonZeroOpIsEEPKslEENS0_5tupleIJPlS6_EEENSN_IJSD_SD_EEES6_PiJS6_EEE10hipError_tPvRmT3_T4_T5_T6_T7_T9_mT8_P12ihipStream_tbDpT10_ENKUlT_T0_E_clISt17integral_constantIbLb1EES1A_IbLb0EEEEDaS16_S17_EUlS16_E_NS1_11comp_targetILNS1_3genE3ELNS1_11target_archE908ELNS1_3gpuE7ELNS1_3repE0EEENS1_30default_config_static_selectorELNS0_4arch9wavefront6targetE0EEEvT1_,comdat
.Lfunc_end341:
	.size	_ZN7rocprim17ROCPRIM_400000_NS6detail17trampoline_kernelINS0_14default_configENS1_25partition_config_selectorILNS1_17partition_subalgoE5ElNS0_10empty_typeEbEEZZNS1_14partition_implILS5_5ELb0ES3_mN6hipcub16HIPCUB_304000_NS21CountingInputIteratorIllEEPS6_NSA_22TransformInputIteratorIbN2at6native12_GLOBAL__N_19NonZeroOpIsEEPKslEENS0_5tupleIJPlS6_EEENSN_IJSD_SD_EEES6_PiJS6_EEE10hipError_tPvRmT3_T4_T5_T6_T7_T9_mT8_P12ihipStream_tbDpT10_ENKUlT_T0_E_clISt17integral_constantIbLb1EES1A_IbLb0EEEEDaS16_S17_EUlS16_E_NS1_11comp_targetILNS1_3genE3ELNS1_11target_archE908ELNS1_3gpuE7ELNS1_3repE0EEENS1_30default_config_static_selectorELNS0_4arch9wavefront6targetE0EEEvT1_, .Lfunc_end341-_ZN7rocprim17ROCPRIM_400000_NS6detail17trampoline_kernelINS0_14default_configENS1_25partition_config_selectorILNS1_17partition_subalgoE5ElNS0_10empty_typeEbEEZZNS1_14partition_implILS5_5ELb0ES3_mN6hipcub16HIPCUB_304000_NS21CountingInputIteratorIllEEPS6_NSA_22TransformInputIteratorIbN2at6native12_GLOBAL__N_19NonZeroOpIsEEPKslEENS0_5tupleIJPlS6_EEENSN_IJSD_SD_EEES6_PiJS6_EEE10hipError_tPvRmT3_T4_T5_T6_T7_T9_mT8_P12ihipStream_tbDpT10_ENKUlT_T0_E_clISt17integral_constantIbLb1EES1A_IbLb0EEEEDaS16_S17_EUlS16_E_NS1_11comp_targetILNS1_3genE3ELNS1_11target_archE908ELNS1_3gpuE7ELNS1_3repE0EEENS1_30default_config_static_selectorELNS0_4arch9wavefront6targetE0EEEvT1_
                                        ; -- End function
	.section	.AMDGPU.csdata,"",@progbits
; Kernel info:
; codeLenInByte = 0
; NumSgprs: 0
; NumVgprs: 0
; ScratchSize: 0
; MemoryBound: 0
; FloatMode: 240
; IeeeMode: 1
; LDSByteSize: 0 bytes/workgroup (compile time only)
; SGPRBlocks: 0
; VGPRBlocks: 0
; NumSGPRsForWavesPerEU: 1
; NumVGPRsForWavesPerEU: 1
; Occupancy: 16
; WaveLimiterHint : 0
; COMPUTE_PGM_RSRC2:SCRATCH_EN: 0
; COMPUTE_PGM_RSRC2:USER_SGPR: 15
; COMPUTE_PGM_RSRC2:TRAP_HANDLER: 0
; COMPUTE_PGM_RSRC2:TGID_X_EN: 1
; COMPUTE_PGM_RSRC2:TGID_Y_EN: 0
; COMPUTE_PGM_RSRC2:TGID_Z_EN: 0
; COMPUTE_PGM_RSRC2:TIDIG_COMP_CNT: 0
	.section	.text._ZN7rocprim17ROCPRIM_400000_NS6detail17trampoline_kernelINS0_14default_configENS1_25partition_config_selectorILNS1_17partition_subalgoE5ElNS0_10empty_typeEbEEZZNS1_14partition_implILS5_5ELb0ES3_mN6hipcub16HIPCUB_304000_NS21CountingInputIteratorIllEEPS6_NSA_22TransformInputIteratorIbN2at6native12_GLOBAL__N_19NonZeroOpIsEEPKslEENS0_5tupleIJPlS6_EEENSN_IJSD_SD_EEES6_PiJS6_EEE10hipError_tPvRmT3_T4_T5_T6_T7_T9_mT8_P12ihipStream_tbDpT10_ENKUlT_T0_E_clISt17integral_constantIbLb1EES1A_IbLb0EEEEDaS16_S17_EUlS16_E_NS1_11comp_targetILNS1_3genE2ELNS1_11target_archE906ELNS1_3gpuE6ELNS1_3repE0EEENS1_30default_config_static_selectorELNS0_4arch9wavefront6targetE0EEEvT1_,"axG",@progbits,_ZN7rocprim17ROCPRIM_400000_NS6detail17trampoline_kernelINS0_14default_configENS1_25partition_config_selectorILNS1_17partition_subalgoE5ElNS0_10empty_typeEbEEZZNS1_14partition_implILS5_5ELb0ES3_mN6hipcub16HIPCUB_304000_NS21CountingInputIteratorIllEEPS6_NSA_22TransformInputIteratorIbN2at6native12_GLOBAL__N_19NonZeroOpIsEEPKslEENS0_5tupleIJPlS6_EEENSN_IJSD_SD_EEES6_PiJS6_EEE10hipError_tPvRmT3_T4_T5_T6_T7_T9_mT8_P12ihipStream_tbDpT10_ENKUlT_T0_E_clISt17integral_constantIbLb1EES1A_IbLb0EEEEDaS16_S17_EUlS16_E_NS1_11comp_targetILNS1_3genE2ELNS1_11target_archE906ELNS1_3gpuE6ELNS1_3repE0EEENS1_30default_config_static_selectorELNS0_4arch9wavefront6targetE0EEEvT1_,comdat
	.globl	_ZN7rocprim17ROCPRIM_400000_NS6detail17trampoline_kernelINS0_14default_configENS1_25partition_config_selectorILNS1_17partition_subalgoE5ElNS0_10empty_typeEbEEZZNS1_14partition_implILS5_5ELb0ES3_mN6hipcub16HIPCUB_304000_NS21CountingInputIteratorIllEEPS6_NSA_22TransformInputIteratorIbN2at6native12_GLOBAL__N_19NonZeroOpIsEEPKslEENS0_5tupleIJPlS6_EEENSN_IJSD_SD_EEES6_PiJS6_EEE10hipError_tPvRmT3_T4_T5_T6_T7_T9_mT8_P12ihipStream_tbDpT10_ENKUlT_T0_E_clISt17integral_constantIbLb1EES1A_IbLb0EEEEDaS16_S17_EUlS16_E_NS1_11comp_targetILNS1_3genE2ELNS1_11target_archE906ELNS1_3gpuE6ELNS1_3repE0EEENS1_30default_config_static_selectorELNS0_4arch9wavefront6targetE0EEEvT1_ ; -- Begin function _ZN7rocprim17ROCPRIM_400000_NS6detail17trampoline_kernelINS0_14default_configENS1_25partition_config_selectorILNS1_17partition_subalgoE5ElNS0_10empty_typeEbEEZZNS1_14partition_implILS5_5ELb0ES3_mN6hipcub16HIPCUB_304000_NS21CountingInputIteratorIllEEPS6_NSA_22TransformInputIteratorIbN2at6native12_GLOBAL__N_19NonZeroOpIsEEPKslEENS0_5tupleIJPlS6_EEENSN_IJSD_SD_EEES6_PiJS6_EEE10hipError_tPvRmT3_T4_T5_T6_T7_T9_mT8_P12ihipStream_tbDpT10_ENKUlT_T0_E_clISt17integral_constantIbLb1EES1A_IbLb0EEEEDaS16_S17_EUlS16_E_NS1_11comp_targetILNS1_3genE2ELNS1_11target_archE906ELNS1_3gpuE6ELNS1_3repE0EEENS1_30default_config_static_selectorELNS0_4arch9wavefront6targetE0EEEvT1_
	.p2align	8
	.type	_ZN7rocprim17ROCPRIM_400000_NS6detail17trampoline_kernelINS0_14default_configENS1_25partition_config_selectorILNS1_17partition_subalgoE5ElNS0_10empty_typeEbEEZZNS1_14partition_implILS5_5ELb0ES3_mN6hipcub16HIPCUB_304000_NS21CountingInputIteratorIllEEPS6_NSA_22TransformInputIteratorIbN2at6native12_GLOBAL__N_19NonZeroOpIsEEPKslEENS0_5tupleIJPlS6_EEENSN_IJSD_SD_EEES6_PiJS6_EEE10hipError_tPvRmT3_T4_T5_T6_T7_T9_mT8_P12ihipStream_tbDpT10_ENKUlT_T0_E_clISt17integral_constantIbLb1EES1A_IbLb0EEEEDaS16_S17_EUlS16_E_NS1_11comp_targetILNS1_3genE2ELNS1_11target_archE906ELNS1_3gpuE6ELNS1_3repE0EEENS1_30default_config_static_selectorELNS0_4arch9wavefront6targetE0EEEvT1_,@function
_ZN7rocprim17ROCPRIM_400000_NS6detail17trampoline_kernelINS0_14default_configENS1_25partition_config_selectorILNS1_17partition_subalgoE5ElNS0_10empty_typeEbEEZZNS1_14partition_implILS5_5ELb0ES3_mN6hipcub16HIPCUB_304000_NS21CountingInputIteratorIllEEPS6_NSA_22TransformInputIteratorIbN2at6native12_GLOBAL__N_19NonZeroOpIsEEPKslEENS0_5tupleIJPlS6_EEENSN_IJSD_SD_EEES6_PiJS6_EEE10hipError_tPvRmT3_T4_T5_T6_T7_T9_mT8_P12ihipStream_tbDpT10_ENKUlT_T0_E_clISt17integral_constantIbLb1EES1A_IbLb0EEEEDaS16_S17_EUlS16_E_NS1_11comp_targetILNS1_3genE2ELNS1_11target_archE906ELNS1_3gpuE6ELNS1_3repE0EEENS1_30default_config_static_selectorELNS0_4arch9wavefront6targetE0EEEvT1_: ; @_ZN7rocprim17ROCPRIM_400000_NS6detail17trampoline_kernelINS0_14default_configENS1_25partition_config_selectorILNS1_17partition_subalgoE5ElNS0_10empty_typeEbEEZZNS1_14partition_implILS5_5ELb0ES3_mN6hipcub16HIPCUB_304000_NS21CountingInputIteratorIllEEPS6_NSA_22TransformInputIteratorIbN2at6native12_GLOBAL__N_19NonZeroOpIsEEPKslEENS0_5tupleIJPlS6_EEENSN_IJSD_SD_EEES6_PiJS6_EEE10hipError_tPvRmT3_T4_T5_T6_T7_T9_mT8_P12ihipStream_tbDpT10_ENKUlT_T0_E_clISt17integral_constantIbLb1EES1A_IbLb0EEEEDaS16_S17_EUlS16_E_NS1_11comp_targetILNS1_3genE2ELNS1_11target_archE906ELNS1_3gpuE6ELNS1_3repE0EEENS1_30default_config_static_selectorELNS0_4arch9wavefront6targetE0EEEvT1_
; %bb.0:
	.section	.rodata,"a",@progbits
	.p2align	6, 0x0
	.amdhsa_kernel _ZN7rocprim17ROCPRIM_400000_NS6detail17trampoline_kernelINS0_14default_configENS1_25partition_config_selectorILNS1_17partition_subalgoE5ElNS0_10empty_typeEbEEZZNS1_14partition_implILS5_5ELb0ES3_mN6hipcub16HIPCUB_304000_NS21CountingInputIteratorIllEEPS6_NSA_22TransformInputIteratorIbN2at6native12_GLOBAL__N_19NonZeroOpIsEEPKslEENS0_5tupleIJPlS6_EEENSN_IJSD_SD_EEES6_PiJS6_EEE10hipError_tPvRmT3_T4_T5_T6_T7_T9_mT8_P12ihipStream_tbDpT10_ENKUlT_T0_E_clISt17integral_constantIbLb1EES1A_IbLb0EEEEDaS16_S17_EUlS16_E_NS1_11comp_targetILNS1_3genE2ELNS1_11target_archE906ELNS1_3gpuE6ELNS1_3repE0EEENS1_30default_config_static_selectorELNS0_4arch9wavefront6targetE0EEEvT1_
		.amdhsa_group_segment_fixed_size 0
		.amdhsa_private_segment_fixed_size 0
		.amdhsa_kernarg_size 120
		.amdhsa_user_sgpr_count 15
		.amdhsa_user_sgpr_dispatch_ptr 0
		.amdhsa_user_sgpr_queue_ptr 0
		.amdhsa_user_sgpr_kernarg_segment_ptr 1
		.amdhsa_user_sgpr_dispatch_id 0
		.amdhsa_user_sgpr_private_segment_size 0
		.amdhsa_wavefront_size32 1
		.amdhsa_uses_dynamic_stack 0
		.amdhsa_enable_private_segment 0
		.amdhsa_system_sgpr_workgroup_id_x 1
		.amdhsa_system_sgpr_workgroup_id_y 0
		.amdhsa_system_sgpr_workgroup_id_z 0
		.amdhsa_system_sgpr_workgroup_info 0
		.amdhsa_system_vgpr_workitem_id 0
		.amdhsa_next_free_vgpr 1
		.amdhsa_next_free_sgpr 1
		.amdhsa_reserve_vcc 0
		.amdhsa_float_round_mode_32 0
		.amdhsa_float_round_mode_16_64 0
		.amdhsa_float_denorm_mode_32 3
		.amdhsa_float_denorm_mode_16_64 3
		.amdhsa_dx10_clamp 1
		.amdhsa_ieee_mode 1
		.amdhsa_fp16_overflow 0
		.amdhsa_workgroup_processor_mode 1
		.amdhsa_memory_ordered 1
		.amdhsa_forward_progress 0
		.amdhsa_shared_vgpr_count 0
		.amdhsa_exception_fp_ieee_invalid_op 0
		.amdhsa_exception_fp_denorm_src 0
		.amdhsa_exception_fp_ieee_div_zero 0
		.amdhsa_exception_fp_ieee_overflow 0
		.amdhsa_exception_fp_ieee_underflow 0
		.amdhsa_exception_fp_ieee_inexact 0
		.amdhsa_exception_int_div_zero 0
	.end_amdhsa_kernel
	.section	.text._ZN7rocprim17ROCPRIM_400000_NS6detail17trampoline_kernelINS0_14default_configENS1_25partition_config_selectorILNS1_17partition_subalgoE5ElNS0_10empty_typeEbEEZZNS1_14partition_implILS5_5ELb0ES3_mN6hipcub16HIPCUB_304000_NS21CountingInputIteratorIllEEPS6_NSA_22TransformInputIteratorIbN2at6native12_GLOBAL__N_19NonZeroOpIsEEPKslEENS0_5tupleIJPlS6_EEENSN_IJSD_SD_EEES6_PiJS6_EEE10hipError_tPvRmT3_T4_T5_T6_T7_T9_mT8_P12ihipStream_tbDpT10_ENKUlT_T0_E_clISt17integral_constantIbLb1EES1A_IbLb0EEEEDaS16_S17_EUlS16_E_NS1_11comp_targetILNS1_3genE2ELNS1_11target_archE906ELNS1_3gpuE6ELNS1_3repE0EEENS1_30default_config_static_selectorELNS0_4arch9wavefront6targetE0EEEvT1_,"axG",@progbits,_ZN7rocprim17ROCPRIM_400000_NS6detail17trampoline_kernelINS0_14default_configENS1_25partition_config_selectorILNS1_17partition_subalgoE5ElNS0_10empty_typeEbEEZZNS1_14partition_implILS5_5ELb0ES3_mN6hipcub16HIPCUB_304000_NS21CountingInputIteratorIllEEPS6_NSA_22TransformInputIteratorIbN2at6native12_GLOBAL__N_19NonZeroOpIsEEPKslEENS0_5tupleIJPlS6_EEENSN_IJSD_SD_EEES6_PiJS6_EEE10hipError_tPvRmT3_T4_T5_T6_T7_T9_mT8_P12ihipStream_tbDpT10_ENKUlT_T0_E_clISt17integral_constantIbLb1EES1A_IbLb0EEEEDaS16_S17_EUlS16_E_NS1_11comp_targetILNS1_3genE2ELNS1_11target_archE906ELNS1_3gpuE6ELNS1_3repE0EEENS1_30default_config_static_selectorELNS0_4arch9wavefront6targetE0EEEvT1_,comdat
.Lfunc_end342:
	.size	_ZN7rocprim17ROCPRIM_400000_NS6detail17trampoline_kernelINS0_14default_configENS1_25partition_config_selectorILNS1_17partition_subalgoE5ElNS0_10empty_typeEbEEZZNS1_14partition_implILS5_5ELb0ES3_mN6hipcub16HIPCUB_304000_NS21CountingInputIteratorIllEEPS6_NSA_22TransformInputIteratorIbN2at6native12_GLOBAL__N_19NonZeroOpIsEEPKslEENS0_5tupleIJPlS6_EEENSN_IJSD_SD_EEES6_PiJS6_EEE10hipError_tPvRmT3_T4_T5_T6_T7_T9_mT8_P12ihipStream_tbDpT10_ENKUlT_T0_E_clISt17integral_constantIbLb1EES1A_IbLb0EEEEDaS16_S17_EUlS16_E_NS1_11comp_targetILNS1_3genE2ELNS1_11target_archE906ELNS1_3gpuE6ELNS1_3repE0EEENS1_30default_config_static_selectorELNS0_4arch9wavefront6targetE0EEEvT1_, .Lfunc_end342-_ZN7rocprim17ROCPRIM_400000_NS6detail17trampoline_kernelINS0_14default_configENS1_25partition_config_selectorILNS1_17partition_subalgoE5ElNS0_10empty_typeEbEEZZNS1_14partition_implILS5_5ELb0ES3_mN6hipcub16HIPCUB_304000_NS21CountingInputIteratorIllEEPS6_NSA_22TransformInputIteratorIbN2at6native12_GLOBAL__N_19NonZeroOpIsEEPKslEENS0_5tupleIJPlS6_EEENSN_IJSD_SD_EEES6_PiJS6_EEE10hipError_tPvRmT3_T4_T5_T6_T7_T9_mT8_P12ihipStream_tbDpT10_ENKUlT_T0_E_clISt17integral_constantIbLb1EES1A_IbLb0EEEEDaS16_S17_EUlS16_E_NS1_11comp_targetILNS1_3genE2ELNS1_11target_archE906ELNS1_3gpuE6ELNS1_3repE0EEENS1_30default_config_static_selectorELNS0_4arch9wavefront6targetE0EEEvT1_
                                        ; -- End function
	.section	.AMDGPU.csdata,"",@progbits
; Kernel info:
; codeLenInByte = 0
; NumSgprs: 0
; NumVgprs: 0
; ScratchSize: 0
; MemoryBound: 0
; FloatMode: 240
; IeeeMode: 1
; LDSByteSize: 0 bytes/workgroup (compile time only)
; SGPRBlocks: 0
; VGPRBlocks: 0
; NumSGPRsForWavesPerEU: 1
; NumVGPRsForWavesPerEU: 1
; Occupancy: 16
; WaveLimiterHint : 0
; COMPUTE_PGM_RSRC2:SCRATCH_EN: 0
; COMPUTE_PGM_RSRC2:USER_SGPR: 15
; COMPUTE_PGM_RSRC2:TRAP_HANDLER: 0
; COMPUTE_PGM_RSRC2:TGID_X_EN: 1
; COMPUTE_PGM_RSRC2:TGID_Y_EN: 0
; COMPUTE_PGM_RSRC2:TGID_Z_EN: 0
; COMPUTE_PGM_RSRC2:TIDIG_COMP_CNT: 0
	.section	.text._ZN7rocprim17ROCPRIM_400000_NS6detail17trampoline_kernelINS0_14default_configENS1_25partition_config_selectorILNS1_17partition_subalgoE5ElNS0_10empty_typeEbEEZZNS1_14partition_implILS5_5ELb0ES3_mN6hipcub16HIPCUB_304000_NS21CountingInputIteratorIllEEPS6_NSA_22TransformInputIteratorIbN2at6native12_GLOBAL__N_19NonZeroOpIsEEPKslEENS0_5tupleIJPlS6_EEENSN_IJSD_SD_EEES6_PiJS6_EEE10hipError_tPvRmT3_T4_T5_T6_T7_T9_mT8_P12ihipStream_tbDpT10_ENKUlT_T0_E_clISt17integral_constantIbLb1EES1A_IbLb0EEEEDaS16_S17_EUlS16_E_NS1_11comp_targetILNS1_3genE10ELNS1_11target_archE1200ELNS1_3gpuE4ELNS1_3repE0EEENS1_30default_config_static_selectorELNS0_4arch9wavefront6targetE0EEEvT1_,"axG",@progbits,_ZN7rocprim17ROCPRIM_400000_NS6detail17trampoline_kernelINS0_14default_configENS1_25partition_config_selectorILNS1_17partition_subalgoE5ElNS0_10empty_typeEbEEZZNS1_14partition_implILS5_5ELb0ES3_mN6hipcub16HIPCUB_304000_NS21CountingInputIteratorIllEEPS6_NSA_22TransformInputIteratorIbN2at6native12_GLOBAL__N_19NonZeroOpIsEEPKslEENS0_5tupleIJPlS6_EEENSN_IJSD_SD_EEES6_PiJS6_EEE10hipError_tPvRmT3_T4_T5_T6_T7_T9_mT8_P12ihipStream_tbDpT10_ENKUlT_T0_E_clISt17integral_constantIbLb1EES1A_IbLb0EEEEDaS16_S17_EUlS16_E_NS1_11comp_targetILNS1_3genE10ELNS1_11target_archE1200ELNS1_3gpuE4ELNS1_3repE0EEENS1_30default_config_static_selectorELNS0_4arch9wavefront6targetE0EEEvT1_,comdat
	.globl	_ZN7rocprim17ROCPRIM_400000_NS6detail17trampoline_kernelINS0_14default_configENS1_25partition_config_selectorILNS1_17partition_subalgoE5ElNS0_10empty_typeEbEEZZNS1_14partition_implILS5_5ELb0ES3_mN6hipcub16HIPCUB_304000_NS21CountingInputIteratorIllEEPS6_NSA_22TransformInputIteratorIbN2at6native12_GLOBAL__N_19NonZeroOpIsEEPKslEENS0_5tupleIJPlS6_EEENSN_IJSD_SD_EEES6_PiJS6_EEE10hipError_tPvRmT3_T4_T5_T6_T7_T9_mT8_P12ihipStream_tbDpT10_ENKUlT_T0_E_clISt17integral_constantIbLb1EES1A_IbLb0EEEEDaS16_S17_EUlS16_E_NS1_11comp_targetILNS1_3genE10ELNS1_11target_archE1200ELNS1_3gpuE4ELNS1_3repE0EEENS1_30default_config_static_selectorELNS0_4arch9wavefront6targetE0EEEvT1_ ; -- Begin function _ZN7rocprim17ROCPRIM_400000_NS6detail17trampoline_kernelINS0_14default_configENS1_25partition_config_selectorILNS1_17partition_subalgoE5ElNS0_10empty_typeEbEEZZNS1_14partition_implILS5_5ELb0ES3_mN6hipcub16HIPCUB_304000_NS21CountingInputIteratorIllEEPS6_NSA_22TransformInputIteratorIbN2at6native12_GLOBAL__N_19NonZeroOpIsEEPKslEENS0_5tupleIJPlS6_EEENSN_IJSD_SD_EEES6_PiJS6_EEE10hipError_tPvRmT3_T4_T5_T6_T7_T9_mT8_P12ihipStream_tbDpT10_ENKUlT_T0_E_clISt17integral_constantIbLb1EES1A_IbLb0EEEEDaS16_S17_EUlS16_E_NS1_11comp_targetILNS1_3genE10ELNS1_11target_archE1200ELNS1_3gpuE4ELNS1_3repE0EEENS1_30default_config_static_selectorELNS0_4arch9wavefront6targetE0EEEvT1_
	.p2align	8
	.type	_ZN7rocprim17ROCPRIM_400000_NS6detail17trampoline_kernelINS0_14default_configENS1_25partition_config_selectorILNS1_17partition_subalgoE5ElNS0_10empty_typeEbEEZZNS1_14partition_implILS5_5ELb0ES3_mN6hipcub16HIPCUB_304000_NS21CountingInputIteratorIllEEPS6_NSA_22TransformInputIteratorIbN2at6native12_GLOBAL__N_19NonZeroOpIsEEPKslEENS0_5tupleIJPlS6_EEENSN_IJSD_SD_EEES6_PiJS6_EEE10hipError_tPvRmT3_T4_T5_T6_T7_T9_mT8_P12ihipStream_tbDpT10_ENKUlT_T0_E_clISt17integral_constantIbLb1EES1A_IbLb0EEEEDaS16_S17_EUlS16_E_NS1_11comp_targetILNS1_3genE10ELNS1_11target_archE1200ELNS1_3gpuE4ELNS1_3repE0EEENS1_30default_config_static_selectorELNS0_4arch9wavefront6targetE0EEEvT1_,@function
_ZN7rocprim17ROCPRIM_400000_NS6detail17trampoline_kernelINS0_14default_configENS1_25partition_config_selectorILNS1_17partition_subalgoE5ElNS0_10empty_typeEbEEZZNS1_14partition_implILS5_5ELb0ES3_mN6hipcub16HIPCUB_304000_NS21CountingInputIteratorIllEEPS6_NSA_22TransformInputIteratorIbN2at6native12_GLOBAL__N_19NonZeroOpIsEEPKslEENS0_5tupleIJPlS6_EEENSN_IJSD_SD_EEES6_PiJS6_EEE10hipError_tPvRmT3_T4_T5_T6_T7_T9_mT8_P12ihipStream_tbDpT10_ENKUlT_T0_E_clISt17integral_constantIbLb1EES1A_IbLb0EEEEDaS16_S17_EUlS16_E_NS1_11comp_targetILNS1_3genE10ELNS1_11target_archE1200ELNS1_3gpuE4ELNS1_3repE0EEENS1_30default_config_static_selectorELNS0_4arch9wavefront6targetE0EEEvT1_: ; @_ZN7rocprim17ROCPRIM_400000_NS6detail17trampoline_kernelINS0_14default_configENS1_25partition_config_selectorILNS1_17partition_subalgoE5ElNS0_10empty_typeEbEEZZNS1_14partition_implILS5_5ELb0ES3_mN6hipcub16HIPCUB_304000_NS21CountingInputIteratorIllEEPS6_NSA_22TransformInputIteratorIbN2at6native12_GLOBAL__N_19NonZeroOpIsEEPKslEENS0_5tupleIJPlS6_EEENSN_IJSD_SD_EEES6_PiJS6_EEE10hipError_tPvRmT3_T4_T5_T6_T7_T9_mT8_P12ihipStream_tbDpT10_ENKUlT_T0_E_clISt17integral_constantIbLb1EES1A_IbLb0EEEEDaS16_S17_EUlS16_E_NS1_11comp_targetILNS1_3genE10ELNS1_11target_archE1200ELNS1_3gpuE4ELNS1_3repE0EEENS1_30default_config_static_selectorELNS0_4arch9wavefront6targetE0EEEvT1_
; %bb.0:
	.section	.rodata,"a",@progbits
	.p2align	6, 0x0
	.amdhsa_kernel _ZN7rocprim17ROCPRIM_400000_NS6detail17trampoline_kernelINS0_14default_configENS1_25partition_config_selectorILNS1_17partition_subalgoE5ElNS0_10empty_typeEbEEZZNS1_14partition_implILS5_5ELb0ES3_mN6hipcub16HIPCUB_304000_NS21CountingInputIteratorIllEEPS6_NSA_22TransformInputIteratorIbN2at6native12_GLOBAL__N_19NonZeroOpIsEEPKslEENS0_5tupleIJPlS6_EEENSN_IJSD_SD_EEES6_PiJS6_EEE10hipError_tPvRmT3_T4_T5_T6_T7_T9_mT8_P12ihipStream_tbDpT10_ENKUlT_T0_E_clISt17integral_constantIbLb1EES1A_IbLb0EEEEDaS16_S17_EUlS16_E_NS1_11comp_targetILNS1_3genE10ELNS1_11target_archE1200ELNS1_3gpuE4ELNS1_3repE0EEENS1_30default_config_static_selectorELNS0_4arch9wavefront6targetE0EEEvT1_
		.amdhsa_group_segment_fixed_size 0
		.amdhsa_private_segment_fixed_size 0
		.amdhsa_kernarg_size 120
		.amdhsa_user_sgpr_count 15
		.amdhsa_user_sgpr_dispatch_ptr 0
		.amdhsa_user_sgpr_queue_ptr 0
		.amdhsa_user_sgpr_kernarg_segment_ptr 1
		.amdhsa_user_sgpr_dispatch_id 0
		.amdhsa_user_sgpr_private_segment_size 0
		.amdhsa_wavefront_size32 1
		.amdhsa_uses_dynamic_stack 0
		.amdhsa_enable_private_segment 0
		.amdhsa_system_sgpr_workgroup_id_x 1
		.amdhsa_system_sgpr_workgroup_id_y 0
		.amdhsa_system_sgpr_workgroup_id_z 0
		.amdhsa_system_sgpr_workgroup_info 0
		.amdhsa_system_vgpr_workitem_id 0
		.amdhsa_next_free_vgpr 1
		.amdhsa_next_free_sgpr 1
		.amdhsa_reserve_vcc 0
		.amdhsa_float_round_mode_32 0
		.amdhsa_float_round_mode_16_64 0
		.amdhsa_float_denorm_mode_32 3
		.amdhsa_float_denorm_mode_16_64 3
		.amdhsa_dx10_clamp 1
		.amdhsa_ieee_mode 1
		.amdhsa_fp16_overflow 0
		.amdhsa_workgroup_processor_mode 1
		.amdhsa_memory_ordered 1
		.amdhsa_forward_progress 0
		.amdhsa_shared_vgpr_count 0
		.amdhsa_exception_fp_ieee_invalid_op 0
		.amdhsa_exception_fp_denorm_src 0
		.amdhsa_exception_fp_ieee_div_zero 0
		.amdhsa_exception_fp_ieee_overflow 0
		.amdhsa_exception_fp_ieee_underflow 0
		.amdhsa_exception_fp_ieee_inexact 0
		.amdhsa_exception_int_div_zero 0
	.end_amdhsa_kernel
	.section	.text._ZN7rocprim17ROCPRIM_400000_NS6detail17trampoline_kernelINS0_14default_configENS1_25partition_config_selectorILNS1_17partition_subalgoE5ElNS0_10empty_typeEbEEZZNS1_14partition_implILS5_5ELb0ES3_mN6hipcub16HIPCUB_304000_NS21CountingInputIteratorIllEEPS6_NSA_22TransformInputIteratorIbN2at6native12_GLOBAL__N_19NonZeroOpIsEEPKslEENS0_5tupleIJPlS6_EEENSN_IJSD_SD_EEES6_PiJS6_EEE10hipError_tPvRmT3_T4_T5_T6_T7_T9_mT8_P12ihipStream_tbDpT10_ENKUlT_T0_E_clISt17integral_constantIbLb1EES1A_IbLb0EEEEDaS16_S17_EUlS16_E_NS1_11comp_targetILNS1_3genE10ELNS1_11target_archE1200ELNS1_3gpuE4ELNS1_3repE0EEENS1_30default_config_static_selectorELNS0_4arch9wavefront6targetE0EEEvT1_,"axG",@progbits,_ZN7rocprim17ROCPRIM_400000_NS6detail17trampoline_kernelINS0_14default_configENS1_25partition_config_selectorILNS1_17partition_subalgoE5ElNS0_10empty_typeEbEEZZNS1_14partition_implILS5_5ELb0ES3_mN6hipcub16HIPCUB_304000_NS21CountingInputIteratorIllEEPS6_NSA_22TransformInputIteratorIbN2at6native12_GLOBAL__N_19NonZeroOpIsEEPKslEENS0_5tupleIJPlS6_EEENSN_IJSD_SD_EEES6_PiJS6_EEE10hipError_tPvRmT3_T4_T5_T6_T7_T9_mT8_P12ihipStream_tbDpT10_ENKUlT_T0_E_clISt17integral_constantIbLb1EES1A_IbLb0EEEEDaS16_S17_EUlS16_E_NS1_11comp_targetILNS1_3genE10ELNS1_11target_archE1200ELNS1_3gpuE4ELNS1_3repE0EEENS1_30default_config_static_selectorELNS0_4arch9wavefront6targetE0EEEvT1_,comdat
.Lfunc_end343:
	.size	_ZN7rocprim17ROCPRIM_400000_NS6detail17trampoline_kernelINS0_14default_configENS1_25partition_config_selectorILNS1_17partition_subalgoE5ElNS0_10empty_typeEbEEZZNS1_14partition_implILS5_5ELb0ES3_mN6hipcub16HIPCUB_304000_NS21CountingInputIteratorIllEEPS6_NSA_22TransformInputIteratorIbN2at6native12_GLOBAL__N_19NonZeroOpIsEEPKslEENS0_5tupleIJPlS6_EEENSN_IJSD_SD_EEES6_PiJS6_EEE10hipError_tPvRmT3_T4_T5_T6_T7_T9_mT8_P12ihipStream_tbDpT10_ENKUlT_T0_E_clISt17integral_constantIbLb1EES1A_IbLb0EEEEDaS16_S17_EUlS16_E_NS1_11comp_targetILNS1_3genE10ELNS1_11target_archE1200ELNS1_3gpuE4ELNS1_3repE0EEENS1_30default_config_static_selectorELNS0_4arch9wavefront6targetE0EEEvT1_, .Lfunc_end343-_ZN7rocprim17ROCPRIM_400000_NS6detail17trampoline_kernelINS0_14default_configENS1_25partition_config_selectorILNS1_17partition_subalgoE5ElNS0_10empty_typeEbEEZZNS1_14partition_implILS5_5ELb0ES3_mN6hipcub16HIPCUB_304000_NS21CountingInputIteratorIllEEPS6_NSA_22TransformInputIteratorIbN2at6native12_GLOBAL__N_19NonZeroOpIsEEPKslEENS0_5tupleIJPlS6_EEENSN_IJSD_SD_EEES6_PiJS6_EEE10hipError_tPvRmT3_T4_T5_T6_T7_T9_mT8_P12ihipStream_tbDpT10_ENKUlT_T0_E_clISt17integral_constantIbLb1EES1A_IbLb0EEEEDaS16_S17_EUlS16_E_NS1_11comp_targetILNS1_3genE10ELNS1_11target_archE1200ELNS1_3gpuE4ELNS1_3repE0EEENS1_30default_config_static_selectorELNS0_4arch9wavefront6targetE0EEEvT1_
                                        ; -- End function
	.section	.AMDGPU.csdata,"",@progbits
; Kernel info:
; codeLenInByte = 0
; NumSgprs: 0
; NumVgprs: 0
; ScratchSize: 0
; MemoryBound: 0
; FloatMode: 240
; IeeeMode: 1
; LDSByteSize: 0 bytes/workgroup (compile time only)
; SGPRBlocks: 0
; VGPRBlocks: 0
; NumSGPRsForWavesPerEU: 1
; NumVGPRsForWavesPerEU: 1
; Occupancy: 16
; WaveLimiterHint : 0
; COMPUTE_PGM_RSRC2:SCRATCH_EN: 0
; COMPUTE_PGM_RSRC2:USER_SGPR: 15
; COMPUTE_PGM_RSRC2:TRAP_HANDLER: 0
; COMPUTE_PGM_RSRC2:TGID_X_EN: 1
; COMPUTE_PGM_RSRC2:TGID_Y_EN: 0
; COMPUTE_PGM_RSRC2:TGID_Z_EN: 0
; COMPUTE_PGM_RSRC2:TIDIG_COMP_CNT: 0
	.section	.text._ZN7rocprim17ROCPRIM_400000_NS6detail17trampoline_kernelINS0_14default_configENS1_25partition_config_selectorILNS1_17partition_subalgoE5ElNS0_10empty_typeEbEEZZNS1_14partition_implILS5_5ELb0ES3_mN6hipcub16HIPCUB_304000_NS21CountingInputIteratorIllEEPS6_NSA_22TransformInputIteratorIbN2at6native12_GLOBAL__N_19NonZeroOpIsEEPKslEENS0_5tupleIJPlS6_EEENSN_IJSD_SD_EEES6_PiJS6_EEE10hipError_tPvRmT3_T4_T5_T6_T7_T9_mT8_P12ihipStream_tbDpT10_ENKUlT_T0_E_clISt17integral_constantIbLb1EES1A_IbLb0EEEEDaS16_S17_EUlS16_E_NS1_11comp_targetILNS1_3genE9ELNS1_11target_archE1100ELNS1_3gpuE3ELNS1_3repE0EEENS1_30default_config_static_selectorELNS0_4arch9wavefront6targetE0EEEvT1_,"axG",@progbits,_ZN7rocprim17ROCPRIM_400000_NS6detail17trampoline_kernelINS0_14default_configENS1_25partition_config_selectorILNS1_17partition_subalgoE5ElNS0_10empty_typeEbEEZZNS1_14partition_implILS5_5ELb0ES3_mN6hipcub16HIPCUB_304000_NS21CountingInputIteratorIllEEPS6_NSA_22TransformInputIteratorIbN2at6native12_GLOBAL__N_19NonZeroOpIsEEPKslEENS0_5tupleIJPlS6_EEENSN_IJSD_SD_EEES6_PiJS6_EEE10hipError_tPvRmT3_T4_T5_T6_T7_T9_mT8_P12ihipStream_tbDpT10_ENKUlT_T0_E_clISt17integral_constantIbLb1EES1A_IbLb0EEEEDaS16_S17_EUlS16_E_NS1_11comp_targetILNS1_3genE9ELNS1_11target_archE1100ELNS1_3gpuE3ELNS1_3repE0EEENS1_30default_config_static_selectorELNS0_4arch9wavefront6targetE0EEEvT1_,comdat
	.globl	_ZN7rocprim17ROCPRIM_400000_NS6detail17trampoline_kernelINS0_14default_configENS1_25partition_config_selectorILNS1_17partition_subalgoE5ElNS0_10empty_typeEbEEZZNS1_14partition_implILS5_5ELb0ES3_mN6hipcub16HIPCUB_304000_NS21CountingInputIteratorIllEEPS6_NSA_22TransformInputIteratorIbN2at6native12_GLOBAL__N_19NonZeroOpIsEEPKslEENS0_5tupleIJPlS6_EEENSN_IJSD_SD_EEES6_PiJS6_EEE10hipError_tPvRmT3_T4_T5_T6_T7_T9_mT8_P12ihipStream_tbDpT10_ENKUlT_T0_E_clISt17integral_constantIbLb1EES1A_IbLb0EEEEDaS16_S17_EUlS16_E_NS1_11comp_targetILNS1_3genE9ELNS1_11target_archE1100ELNS1_3gpuE3ELNS1_3repE0EEENS1_30default_config_static_selectorELNS0_4arch9wavefront6targetE0EEEvT1_ ; -- Begin function _ZN7rocprim17ROCPRIM_400000_NS6detail17trampoline_kernelINS0_14default_configENS1_25partition_config_selectorILNS1_17partition_subalgoE5ElNS0_10empty_typeEbEEZZNS1_14partition_implILS5_5ELb0ES3_mN6hipcub16HIPCUB_304000_NS21CountingInputIteratorIllEEPS6_NSA_22TransformInputIteratorIbN2at6native12_GLOBAL__N_19NonZeroOpIsEEPKslEENS0_5tupleIJPlS6_EEENSN_IJSD_SD_EEES6_PiJS6_EEE10hipError_tPvRmT3_T4_T5_T6_T7_T9_mT8_P12ihipStream_tbDpT10_ENKUlT_T0_E_clISt17integral_constantIbLb1EES1A_IbLb0EEEEDaS16_S17_EUlS16_E_NS1_11comp_targetILNS1_3genE9ELNS1_11target_archE1100ELNS1_3gpuE3ELNS1_3repE0EEENS1_30default_config_static_selectorELNS0_4arch9wavefront6targetE0EEEvT1_
	.p2align	8
	.type	_ZN7rocprim17ROCPRIM_400000_NS6detail17trampoline_kernelINS0_14default_configENS1_25partition_config_selectorILNS1_17partition_subalgoE5ElNS0_10empty_typeEbEEZZNS1_14partition_implILS5_5ELb0ES3_mN6hipcub16HIPCUB_304000_NS21CountingInputIteratorIllEEPS6_NSA_22TransformInputIteratorIbN2at6native12_GLOBAL__N_19NonZeroOpIsEEPKslEENS0_5tupleIJPlS6_EEENSN_IJSD_SD_EEES6_PiJS6_EEE10hipError_tPvRmT3_T4_T5_T6_T7_T9_mT8_P12ihipStream_tbDpT10_ENKUlT_T0_E_clISt17integral_constantIbLb1EES1A_IbLb0EEEEDaS16_S17_EUlS16_E_NS1_11comp_targetILNS1_3genE9ELNS1_11target_archE1100ELNS1_3gpuE3ELNS1_3repE0EEENS1_30default_config_static_selectorELNS0_4arch9wavefront6targetE0EEEvT1_,@function
_ZN7rocprim17ROCPRIM_400000_NS6detail17trampoline_kernelINS0_14default_configENS1_25partition_config_selectorILNS1_17partition_subalgoE5ElNS0_10empty_typeEbEEZZNS1_14partition_implILS5_5ELb0ES3_mN6hipcub16HIPCUB_304000_NS21CountingInputIteratorIllEEPS6_NSA_22TransformInputIteratorIbN2at6native12_GLOBAL__N_19NonZeroOpIsEEPKslEENS0_5tupleIJPlS6_EEENSN_IJSD_SD_EEES6_PiJS6_EEE10hipError_tPvRmT3_T4_T5_T6_T7_T9_mT8_P12ihipStream_tbDpT10_ENKUlT_T0_E_clISt17integral_constantIbLb1EES1A_IbLb0EEEEDaS16_S17_EUlS16_E_NS1_11comp_targetILNS1_3genE9ELNS1_11target_archE1100ELNS1_3gpuE3ELNS1_3repE0EEENS1_30default_config_static_selectorELNS0_4arch9wavefront6targetE0EEEvT1_: ; @_ZN7rocprim17ROCPRIM_400000_NS6detail17trampoline_kernelINS0_14default_configENS1_25partition_config_selectorILNS1_17partition_subalgoE5ElNS0_10empty_typeEbEEZZNS1_14partition_implILS5_5ELb0ES3_mN6hipcub16HIPCUB_304000_NS21CountingInputIteratorIllEEPS6_NSA_22TransformInputIteratorIbN2at6native12_GLOBAL__N_19NonZeroOpIsEEPKslEENS0_5tupleIJPlS6_EEENSN_IJSD_SD_EEES6_PiJS6_EEE10hipError_tPvRmT3_T4_T5_T6_T7_T9_mT8_P12ihipStream_tbDpT10_ENKUlT_T0_E_clISt17integral_constantIbLb1EES1A_IbLb0EEEEDaS16_S17_EUlS16_E_NS1_11comp_targetILNS1_3genE9ELNS1_11target_archE1100ELNS1_3gpuE3ELNS1_3repE0EEENS1_30default_config_static_selectorELNS0_4arch9wavefront6targetE0EEEvT1_
; %bb.0:
	s_clause 0x4
	s_load_b128 s[8:11], s[0:1], 0x8
	s_load_b128 s[4:7], s[0:1], 0x48
	s_load_b32 s14, s[0:1], 0x70
	s_load_b64 s[2:3], s[0:1], 0x58
	s_load_b64 s[12:13], s[0:1], 0x20
	s_waitcnt lgkmcnt(0)
	s_add_u32 s18, s10, s8
	s_load_b64 s[6:7], s[6:7], 0x0
	s_mul_i32 s17, s14, 0x300
	s_addc_u32 s19, s11, s9
	s_add_i32 s14, s14, -1
	s_add_u32 s8, s10, s17
	s_addc_u32 s9, s11, 0
	s_cmp_eq_u32 s15, s14
	v_cmp_ge_u64_e64 s3, s[8:9], s[2:3]
	s_cselect_b32 s14, -1, 0
	s_mul_i32 s8, s15, 0x300
	s_mov_b32 s9, 0
	s_delay_alu instid0(VALU_DEP_1) | instskip(NEXT) | instid1(SALU_CYCLE_1)
	s_and_b32 s3, s14, s3
	s_xor_b32 s16, s3, -1
	s_mov_b32 s3, -1
	s_and_b32 vcc_lo, exec_lo, s16
	s_cbranch_vccz .LBB344_2
; %bb.1:
	s_add_u32 s3, s18, s8
	s_addc_u32 s20, s19, 0
	v_add_co_u32 v1, s3, s3, v0
	s_delay_alu instid0(VALU_DEP_1) | instskip(SKIP_1) | instid1(VALU_DEP_3)
	v_add_co_ci_u32_e64 v2, null, s20, 0, s3
	v_lshlrev_b32_e32 v13, 3, v0
	v_add_co_u32 v3, vcc_lo, 0x80, v1
	s_delay_alu instid0(VALU_DEP_3)
	v_add_co_ci_u32_e32 v4, vcc_lo, 0, v2, vcc_lo
	v_add_co_u32 v5, vcc_lo, 0x100, v1
	v_add_co_ci_u32_e32 v6, vcc_lo, 0, v2, vcc_lo
	v_add_co_u32 v7, vcc_lo, 0x180, v1
	;; [unrolled: 2-line block ×4, first 2 shown]
	v_add_co_ci_u32_e32 v12, vcc_lo, 0, v2, vcc_lo
	ds_store_2addr_stride64_b64 v13, v[1:2], v[3:4] offset1:2
	ds_store_2addr_stride64_b64 v13, v[5:6], v[7:8] offset0:4 offset1:6
	ds_store_2addr_stride64_b64 v13, v[9:10], v[11:12] offset0:8 offset1:10
	s_waitcnt lgkmcnt(0)
	s_mov_b32 s3, s9
	s_barrier
.LBB344_2:
	v_or_b32_e32 v17, 0x100, v0
	v_or_b32_e32 v16, 0x180, v0
	;; [unrolled: 1-line block ×4, first 2 shown]
	s_and_not1_b32 vcc_lo, exec_lo, s3
	s_cbranch_vccnz .LBB344_4
; %bb.3:
	v_or_b32_e32 v3, 0x80, v0
	s_add_u32 s3, s18, s8
	s_addc_u32 s18, s19, 0
	v_add_co_u32 v1, s19, s3, v0
	s_delay_alu instid0(VALU_DEP_1) | instskip(SKIP_1) | instid1(VALU_DEP_1)
	v_add_co_ci_u32_e64 v2, null, s18, 0, s19
	v_add_co_u32 v3, s19, s3, v3
	v_add_co_ci_u32_e64 v4, null, s18, 0, s19
	v_add_co_u32 v5, s19, s3, v17
	s_delay_alu instid0(VALU_DEP_1) | instskip(SKIP_1) | instid1(VALU_DEP_1)
	v_add_co_ci_u32_e64 v6, null, s18, 0, s19
	v_add_co_u32 v7, s19, s3, v16
	v_add_co_ci_u32_e64 v8, null, s18, 0, s19
	v_add_co_u32 v9, s19, s3, v14
	v_lshlrev_b32_e32 v15, 3, v0
	v_add_co_u32 v11, s3, s3, v13
	v_add_co_ci_u32_e64 v10, null, s18, 0, s19
	v_add_co_ci_u32_e64 v12, null, s18, 0, s3
	ds_store_2addr_stride64_b64 v15, v[1:2], v[3:4] offset1:2
	ds_store_2addr_stride64_b64 v15, v[5:6], v[7:8] offset0:4 offset1:6
	ds_store_2addr_stride64_b64 v15, v[9:10], v[11:12] offset0:8 offset1:10
	s_waitcnt lgkmcnt(0)
	s_barrier
.LBB344_4:
	v_mul_u32_u24_e32 v1, 6, v0
	s_waitcnt lgkmcnt(0)
	buffer_gl0_inv
	s_lshl_b64 s[18:19], s[10:11], 1
	s_delay_alu instid0(SALU_CYCLE_1)
	s_add_u32 s3, s12, s18
	v_lshlrev_b32_e32 v15, 3, v1
	s_addc_u32 s11, s13, s19
	s_lshl_b64 s[8:9], s[8:9], 1
	ds_load_b128 v[9:12], v15
	ds_load_b128 v[5:8], v15 offset:16
	ds_load_b128 v[1:4], v15 offset:32
	s_add_u32 s12, s3, s8
	s_addc_u32 s13, s11, s9
	s_and_b32 vcc_lo, exec_lo, s16
	s_mov_b32 s3, -1
	s_waitcnt lgkmcnt(0)
	s_barrier
	buffer_gl0_inv
	s_cbranch_vccz .LBB344_6
; %bb.5:
	v_lshlrev_b32_e32 v18, 1, v0
	s_mov_b32 s3, 0
	s_clause 0x5
	global_load_u16 v19, v18, s[12:13]
	global_load_u16 v20, v18, s[12:13] offset:256
	global_load_u16 v21, v18, s[12:13] offset:512
	;; [unrolled: 1-line block ×5, first 2 shown]
	s_waitcnt vmcnt(5)
	v_cmp_ne_u16_e32 vcc_lo, 0, v19
	v_cndmask_b32_e64 v19, 0, 1, vcc_lo
	s_waitcnt vmcnt(4)
	v_cmp_ne_u16_e32 vcc_lo, 0, v20
	v_cndmask_b32_e64 v20, 0, 1, vcc_lo
	;; [unrolled: 3-line block ×6, first 2 shown]
	ds_store_b8 v0, v19
	ds_store_b8 v0, v20 offset:128
	ds_store_b8 v0, v21 offset:256
	;; [unrolled: 1-line block ×5, first 2 shown]
	s_waitcnt lgkmcnt(0)
	s_barrier
.LBB344_6:
	s_load_b64 s[8:9], s[0:1], 0x68
	s_and_not1_b32 vcc_lo, exec_lo, s3
	s_cbranch_vccnz .LBB344_20
; %bb.7:
	s_add_i32 s17, s17, s10
	v_dual_mov_b32 v18, 0 :: v_dual_mov_b32 v19, 0
	s_sub_i32 s2, s2, s17
	s_mov_b32 s3, exec_lo
	s_addk_i32 s2, 0x300
	s_delay_alu instid0(SALU_CYCLE_1)
	v_cmpx_gt_u32_e64 s2, v0
	s_cbranch_execz .LBB344_9
; %bb.8:
	v_lshlrev_b32_e32 v19, 1, v0
	global_load_u16 v19, v19, s[12:13]
	s_waitcnt vmcnt(0)
	v_cmp_ne_u16_e32 vcc_lo, 0, v19
	v_cndmask_b32_e64 v19, 0, 1, vcc_lo
.LBB344_9:
	s_or_b32 exec_lo, exec_lo, s3
	v_or_b32_e32 v20, 0x80, v0
	s_mov_b32 s3, exec_lo
	s_delay_alu instid0(VALU_DEP_1)
	v_cmpx_gt_u32_e64 s2, v20
	s_cbranch_execz .LBB344_11
; %bb.10:
	v_lshlrev_b32_e32 v18, 1, v0
	global_load_u16 v18, v18, s[12:13] offset:256
	s_waitcnt vmcnt(0)
	v_cmp_ne_u16_e32 vcc_lo, 0, v18
	v_cndmask_b32_e64 v18, 0, 1, vcc_lo
.LBB344_11:
	s_or_b32 exec_lo, exec_lo, s3
	v_cmp_gt_u32_e32 vcc_lo, s2, v17
	v_dual_mov_b32 v17, 0 :: v_dual_mov_b32 v20, 0
	s_and_saveexec_b32 s3, vcc_lo
	s_cbranch_execz .LBB344_13
; %bb.12:
	v_lshlrev_b32_e32 v20, 1, v0
	global_load_u16 v20, v20, s[12:13] offset:512
	s_waitcnt vmcnt(0)
	v_cmp_ne_u16_e32 vcc_lo, 0, v20
	v_cndmask_b32_e64 v20, 0, 1, vcc_lo
.LBB344_13:
	s_or_b32 exec_lo, exec_lo, s3
	s_delay_alu instid0(SALU_CYCLE_1)
	s_mov_b32 s3, exec_lo
	v_cmpx_gt_u32_e64 s2, v16
	s_cbranch_execz .LBB344_15
; %bb.14:
	v_lshlrev_b32_e32 v16, 1, v0
	global_load_u16 v16, v16, s[12:13] offset:768
	s_waitcnt vmcnt(0)
	v_cmp_ne_u16_e32 vcc_lo, 0, v16
	v_cndmask_b32_e64 v17, 0, 1, vcc_lo
.LBB344_15:
	s_or_b32 exec_lo, exec_lo, s3
	v_cmp_gt_u32_e32 vcc_lo, s2, v14
	v_mov_b32_e32 v14, 0
	v_mov_b32_e32 v16, 0
	s_and_saveexec_b32 s3, vcc_lo
	s_cbranch_execz .LBB344_17
; %bb.16:
	v_lshlrev_b32_e32 v16, 1, v0
	global_load_u16 v16, v16, s[12:13] offset:1024
	s_waitcnt vmcnt(0)
	v_cmp_ne_u16_e32 vcc_lo, 0, v16
	v_cndmask_b32_e64 v16, 0, 1, vcc_lo
.LBB344_17:
	s_or_b32 exec_lo, exec_lo, s3
	v_cmp_gt_u32_e32 vcc_lo, s2, v13
	s_and_saveexec_b32 s2, vcc_lo
	s_cbranch_execz .LBB344_19
; %bb.18:
	v_lshlrev_b32_e32 v13, 1, v0
	global_load_u16 v13, v13, s[12:13] offset:1280
	s_waitcnt vmcnt(0)
	v_cmp_ne_u16_e32 vcc_lo, 0, v13
	v_cndmask_b32_e64 v14, 0, 1, vcc_lo
.LBB344_19:
	s_or_b32 exec_lo, exec_lo, s2
	ds_store_b8 v0, v19
	ds_store_b8 v0, v18 offset:128
	ds_store_b8 v0, v20 offset:256
	;; [unrolled: 1-line block ×5, first 2 shown]
	s_waitcnt lgkmcnt(0)
	s_barrier
.LBB344_20:
	v_mad_i32_i24 v43, 0xffffffd6, v0, v15
	s_waitcnt lgkmcnt(0)
	buffer_gl0_inv
	v_mbcnt_lo_u32_b32 v42, -1, 0
	s_cmp_lg_u32 s15, 0
	s_mov_b32 s3, -1
	ds_load_u16 v36, v43
	ds_load_u16 v33, v43 offset:2
	ds_load_u16 v31, v43 offset:4
	v_mov_b32_e32 v14, 0
	v_and_b32_e32 v44, 15, v42
	s_waitcnt lgkmcnt(0)
	s_barrier
	buffer_gl0_inv
	v_and_b32_e32 v41, 0xff, v36
	v_lshrrev_b16 v34, 8, v36
	v_lshrrev_b16 v35, 8, v33
	v_and_b32_e32 v39, 0xff, v33
	v_lshrrev_b16 v32, 8, v31
	v_and_b32_e32 v37, 0xff, v31
	v_and_b32_e32 v40, 0xffff, v34
	;; [unrolled: 1-line block ×3, first 2 shown]
	s_delay_alu instid0(VALU_DEP_4) | instskip(NEXT) | instid1(VALU_DEP_3)
	v_and_b32_e32 v16, 0xffff, v32
	v_add_co_u32 v13, s2, v40, v41
	s_delay_alu instid0(VALU_DEP_1) | instskip(SKIP_1) | instid1(VALU_DEP_3)
	v_add_co_ci_u32_e64 v15, null, 0, 0, s2
	v_cmp_ne_u32_e64 s2, 0, v44
	v_add_co_u32 v13, vcc_lo, v13, v39
	s_delay_alu instid0(VALU_DEP_3) | instskip(NEXT) | instid1(VALU_DEP_2)
	v_add_co_ci_u32_e32 v15, vcc_lo, 0, v15, vcc_lo
	v_add_co_u32 v13, vcc_lo, v13, v38
	s_delay_alu instid0(VALU_DEP_2) | instskip(NEXT) | instid1(VALU_DEP_2)
	v_add_co_ci_u32_e32 v15, vcc_lo, 0, v15, vcc_lo
	v_add_co_u32 v13, vcc_lo, v13, v37
	s_delay_alu instid0(VALU_DEP_2) | instskip(NEXT) | instid1(VALU_DEP_2)
	v_add_co_ci_u32_e32 v15, vcc_lo, 0, v15, vcc_lo
	v_add_co_u32 v21, vcc_lo, v13, v16
	s_delay_alu instid0(VALU_DEP_2)
	v_add_co_ci_u32_e32 v22, vcc_lo, 0, v15, vcc_lo
	s_cbranch_scc0 .LBB344_89
; %bb.21:
	s_delay_alu instid0(VALU_DEP_2)
	v_mov_b32_e32 v15, v21
	v_mov_b32_dpp v13, v21 row_shr:1 row_mask:0xf bank_mask:0xf
	v_mov_b32_dpp v18, v14 row_shr:1 row_mask:0xf bank_mask:0xf
	v_dual_mov_b32 v17, v21 :: v_dual_mov_b32 v16, v22
	s_and_saveexec_b32 s3, s2
; %bb.22:
	s_delay_alu instid0(VALU_DEP_3) | instskip(SKIP_1) | instid1(VALU_DEP_2)
	v_add_co_u32 v17, vcc_lo, v21, v13
	v_add_co_ci_u32_e32 v14, vcc_lo, 0, v22, vcc_lo
	v_add_co_u32 v13, vcc_lo, 0, v17
	s_delay_alu instid0(VALU_DEP_2) | instskip(NEXT) | instid1(VALU_DEP_1)
	v_add_co_ci_u32_e32 v14, vcc_lo, v18, v14, vcc_lo
	v_dual_mov_b32 v16, v14 :: v_dual_mov_b32 v15, v13
; %bb.23:
	s_or_b32 exec_lo, exec_lo, s3
	v_mov_b32_dpp v13, v17 row_shr:2 row_mask:0xf bank_mask:0xf
	v_mov_b32_dpp v18, v14 row_shr:2 row_mask:0xf bank_mask:0xf
	s_mov_b32 s3, exec_lo
	v_cmpx_lt_u32_e32 1, v44
; %bb.24:
	s_delay_alu instid0(VALU_DEP_3) | instskip(SKIP_1) | instid1(VALU_DEP_2)
	v_add_co_u32 v17, vcc_lo, v15, v13
	v_add_co_ci_u32_e32 v14, vcc_lo, 0, v16, vcc_lo
	v_add_co_u32 v13, vcc_lo, 0, v17
	s_delay_alu instid0(VALU_DEP_2) | instskip(NEXT) | instid1(VALU_DEP_1)
	v_add_co_ci_u32_e32 v14, vcc_lo, v18, v14, vcc_lo
	v_dual_mov_b32 v16, v14 :: v_dual_mov_b32 v15, v13
; %bb.25:
	s_or_b32 exec_lo, exec_lo, s3
	v_mov_b32_dpp v13, v17 row_shr:4 row_mask:0xf bank_mask:0xf
	v_mov_b32_dpp v18, v14 row_shr:4 row_mask:0xf bank_mask:0xf
	s_mov_b32 s3, exec_lo
	v_cmpx_lt_u32_e32 3, v44
	;; [unrolled: 14-line block ×3, first 2 shown]
; %bb.28:
	s_delay_alu instid0(VALU_DEP_3) | instskip(SKIP_1) | instid1(VALU_DEP_2)
	v_add_co_u32 v17, vcc_lo, v15, v18
	v_add_co_ci_u32_e32 v14, vcc_lo, 0, v16, vcc_lo
	v_add_co_u32 v15, vcc_lo, 0, v17
	s_delay_alu instid0(VALU_DEP_2) | instskip(NEXT) | instid1(VALU_DEP_1)
	v_add_co_ci_u32_e32 v16, vcc_lo, v13, v14, vcc_lo
	v_mov_b32_e32 v14, v16
; %bb.29:
	s_or_b32 exec_lo, exec_lo, s3
	ds_swizzle_b32 v13, v17 offset:swizzle(BROADCAST,32,15)
	ds_swizzle_b32 v18, v14 offset:swizzle(BROADCAST,32,15)
	v_and_b32_e32 v19, 16, v42
	s_mov_b32 s3, exec_lo
	s_delay_alu instid0(VALU_DEP_1)
	v_cmpx_ne_u32_e32 0, v19
	s_cbranch_execz .LBB344_31
; %bb.30:
	s_waitcnt lgkmcnt(1)
	v_add_co_u32 v17, vcc_lo, v15, v13
	v_add_co_ci_u32_e32 v14, vcc_lo, 0, v16, vcc_lo
	s_delay_alu instid0(VALU_DEP_2) | instskip(SKIP_1) | instid1(VALU_DEP_2)
	v_add_co_u32 v13, vcc_lo, 0, v17
	s_waitcnt lgkmcnt(0)
	v_add_co_ci_u32_e32 v14, vcc_lo, v18, v14, vcc_lo
	s_delay_alu instid0(VALU_DEP_1)
	v_dual_mov_b32 v16, v14 :: v_dual_mov_b32 v15, v13
.LBB344_31:
	s_or_b32 exec_lo, exec_lo, s3
	s_waitcnt lgkmcnt(0)
	v_or_b32_e32 v18, 31, v0
	v_lshrrev_b32_e32 v13, 5, v0
	s_mov_b32 s3, exec_lo
	s_delay_alu instid0(VALU_DEP_2)
	v_cmpx_eq_u32_e64 v18, v0
	s_cbranch_execz .LBB344_33
; %bb.32:
	s_delay_alu instid0(VALU_DEP_2)
	v_lshlrev_b32_e32 v18, 3, v13
	ds_store_b64 v18, v[15:16]
.LBB344_33:
	s_or_b32 exec_lo, exec_lo, s3
	s_delay_alu instid0(SALU_CYCLE_1)
	s_mov_b32 s3, exec_lo
	s_waitcnt lgkmcnt(0)
	s_barrier
	buffer_gl0_inv
	v_cmpx_gt_u32_e32 4, v0
	s_cbranch_execz .LBB344_39
; %bb.34:
	v_lshlrev_b32_e32 v18, 3, v0
	s_mov_b32 s10, exec_lo
	ds_load_b64 v[15:16], v18
	s_waitcnt lgkmcnt(0)
	v_dual_mov_b32 v20, v15 :: v_dual_and_b32 v19, 3, v42
	v_mov_b32_dpp v24, v15 row_shr:1 row_mask:0xf bank_mask:0xf
	v_mov_b32_dpp v23, v16 row_shr:1 row_mask:0xf bank_mask:0xf
	s_delay_alu instid0(VALU_DEP_3)
	v_cmpx_ne_u32_e32 0, v19
; %bb.35:
	s_delay_alu instid0(VALU_DEP_3) | instskip(SKIP_1) | instid1(VALU_DEP_2)
	v_add_co_u32 v20, vcc_lo, v15, v24
	v_add_co_ci_u32_e32 v16, vcc_lo, 0, v16, vcc_lo
	v_add_co_u32 v15, vcc_lo, 0, v20
	s_delay_alu instid0(VALU_DEP_2)
	v_add_co_ci_u32_e32 v16, vcc_lo, v23, v16, vcc_lo
; %bb.36:
	s_or_b32 exec_lo, exec_lo, s10
	v_mov_b32_dpp v23, v20 row_shr:2 row_mask:0xf bank_mask:0xf
	s_delay_alu instid0(VALU_DEP_2)
	v_mov_b32_dpp v20, v16 row_shr:2 row_mask:0xf bank_mask:0xf
	s_mov_b32 s10, exec_lo
	v_cmpx_lt_u32_e32 1, v19
; %bb.37:
	s_delay_alu instid0(VALU_DEP_3) | instskip(SKIP_1) | instid1(VALU_DEP_2)
	v_add_co_u32 v15, vcc_lo, v15, v23
	v_add_co_ci_u32_e32 v16, vcc_lo, 0, v16, vcc_lo
	v_add_co_u32 v15, vcc_lo, v15, 0
	s_delay_alu instid0(VALU_DEP_2)
	v_add_co_ci_u32_e32 v16, vcc_lo, v16, v20, vcc_lo
; %bb.38:
	s_or_b32 exec_lo, exec_lo, s10
	ds_store_b64 v18, v[15:16]
.LBB344_39:
	s_or_b32 exec_lo, exec_lo, s3
	v_cmp_gt_u32_e32 vcc_lo, 32, v0
	s_mov_b32 s10, exec_lo
	s_waitcnt lgkmcnt(0)
	s_barrier
	buffer_gl0_inv
                                        ; implicit-def: $vgpr23_vgpr24
	v_cmpx_lt_u32_e32 31, v0
	s_cbranch_execz .LBB344_41
; %bb.40:
	v_lshl_add_u32 v13, v13, 3, -8
	ds_load_b64 v[23:24], v13
	s_waitcnt lgkmcnt(0)
	v_add_co_u32 v17, s3, v17, v23
	s_delay_alu instid0(VALU_DEP_1)
	v_add_co_ci_u32_e64 v14, s3, v14, v24, s3
.LBB344_41:
	s_or_b32 exec_lo, exec_lo, s10
	v_add_nc_u32_e32 v13, -1, v42
	s_delay_alu instid0(VALU_DEP_1) | instskip(NEXT) | instid1(VALU_DEP_1)
	v_cmp_gt_i32_e64 s3, 0, v13
	v_cndmask_b32_e64 v13, v13, v42, s3
	v_cmp_eq_u32_e64 s3, 0, v42
	s_delay_alu instid0(VALU_DEP_2)
	v_lshlrev_b32_e32 v13, 2, v13
	ds_bpermute_b32 v29, v13, v17
	ds_bpermute_b32 v30, v13, v14
	s_and_saveexec_b32 s10, vcc_lo
	s_cbranch_execz .LBB344_84
; %bb.42:
	v_mov_b32_e32 v16, 0
	ds_load_b64 v[13:14], v16 offset:24
	s_and_saveexec_b32 s11, s3
	s_cbranch_execz .LBB344_44
; %bb.43:
	s_add_i32 s12, s15, 32
	s_mov_b32 s13, 0
	s_delay_alu instid0(SALU_CYCLE_1) | instskip(NEXT) | instid1(SALU_CYCLE_1)
	s_lshl_b64 s[12:13], s[12:13], 4
	s_add_u32 s12, s8, s12
	s_addc_u32 s13, s9, s13
	s_delay_alu instid0(SALU_CYCLE_1)
	v_dual_mov_b32 v15, 1 :: v_dual_mov_b32 v18, s13
	v_mov_b32_e32 v17, s12
	s_waitcnt lgkmcnt(0)
	;;#ASMSTART
	global_store_dwordx4 v[17:18], v[13:16] off	
s_waitcnt vmcnt(0)
	;;#ASMEND
.LBB344_44:
	s_or_b32 exec_lo, exec_lo, s11
	v_xad_u32 v25, v42, -1, s15
	s_mov_b32 s12, 0
	s_mov_b32 s11, exec_lo
	s_delay_alu instid0(VALU_DEP_1) | instskip(NEXT) | instid1(VALU_DEP_1)
	v_add_nc_u32_e32 v15, 32, v25
	v_lshlrev_b64 v[15:16], 4, v[15:16]
	s_delay_alu instid0(VALU_DEP_1) | instskip(NEXT) | instid1(VALU_DEP_2)
	v_add_co_u32 v15, vcc_lo, s8, v15
	v_add_co_ci_u32_e32 v16, vcc_lo, s9, v16, vcc_lo
	;;#ASMSTART
	global_load_dwordx4 v[17:20], v[15:16] off glc	
s_waitcnt vmcnt(0)
	;;#ASMEND
	v_and_b32_e32 v20, 0xff, v18
	v_and_b32_e32 v26, 0xff00, v18
	v_or3_b32 v17, v17, 0, 0
	v_and_b32_e32 v27, 0xff000000, v18
	v_and_b32_e32 v18, 0xff0000, v18
	s_delay_alu instid0(VALU_DEP_4) | instskip(SKIP_2) | instid1(VALU_DEP_3)
	v_or3_b32 v20, 0, v20, v26
	v_and_b32_e32 v26, 0xff, v19
	v_or3_b32 v17, v17, 0, 0
	v_or3_b32 v18, v20, v18, v27
	s_delay_alu instid0(VALU_DEP_3)
	v_cmpx_eq_u16_e32 0, v26
	s_cbranch_execz .LBB344_50
; %bb.45:
	s_mov_b32 s13, 1
	.p2align	6
.LBB344_46:                             ; =>This Loop Header: Depth=1
                                        ;     Child Loop BB344_47 Depth 2
	s_delay_alu instid0(SALU_CYCLE_1)
	s_max_u32 s17, s13, 1
.LBB344_47:                             ;   Parent Loop BB344_46 Depth=1
                                        ; =>  This Inner Loop Header: Depth=2
	s_delay_alu instid0(SALU_CYCLE_1)
	s_add_i32 s17, s17, -1
	s_sleep 1
	s_cmp_eq_u32 s17, 0
	s_cbranch_scc0 .LBB344_47
; %bb.48:                               ;   in Loop: Header=BB344_46 Depth=1
	;;#ASMSTART
	global_load_dwordx4 v[17:20], v[15:16] off glc	
s_waitcnt vmcnt(0)
	;;#ASMEND
	v_and_b32_e32 v20, 0xff, v19
	s_cmp_lt_u32 s13, 32
	s_cselect_b32 s17, -1, 0
	s_delay_alu instid0(SALU_CYCLE_1) | instskip(NEXT) | instid1(VALU_DEP_1)
	s_cmp_lg_u32 s17, 0
	v_cmp_ne_u16_e32 vcc_lo, 0, v20
	s_addc_u32 s13, s13, 0
	s_or_b32 s12, vcc_lo, s12
	s_delay_alu instid0(SALU_CYCLE_1)
	s_and_not1_b32 exec_lo, exec_lo, s12
	s_cbranch_execnz .LBB344_46
; %bb.49:
	s_or_b32 exec_lo, exec_lo, s12
.LBB344_50:
	s_delay_alu instid0(SALU_CYCLE_1)
	s_or_b32 exec_lo, exec_lo, s11
	v_cmp_ne_u32_e32 vcc_lo, 31, v42
	v_and_b32_e32 v16, 0xff, v19
	v_lshlrev_b32_e64 v46, v42, -1
	s_mov_b32 s11, exec_lo
	v_add_co_ci_u32_e32 v15, vcc_lo, 0, v42, vcc_lo
	s_delay_alu instid0(VALU_DEP_3) | instskip(NEXT) | instid1(VALU_DEP_2)
	v_cmp_eq_u16_e32 vcc_lo, 2, v16
	v_dual_mov_b32 v16, v17 :: v_dual_lshlrev_b32 v45, 2, v15
	v_and_or_b32 v15, vcc_lo, v46, 0x80000000
	ds_bpermute_b32 v26, v45, v17
	ds_bpermute_b32 v20, v45, v18
	v_ctz_i32_b32_e32 v15, v15
	s_delay_alu instid0(VALU_DEP_1)
	v_cmpx_lt_u32_e64 v42, v15
	s_cbranch_execz .LBB344_52
; %bb.51:
	s_waitcnt lgkmcnt(1)
	v_add_co_u32 v16, vcc_lo, v17, v26
	v_add_co_ci_u32_e32 v18, vcc_lo, 0, v18, vcc_lo
	s_delay_alu instid0(VALU_DEP_2) | instskip(SKIP_1) | instid1(VALU_DEP_2)
	v_add_co_u32 v17, vcc_lo, 0, v16
	s_waitcnt lgkmcnt(0)
	v_add_co_ci_u32_e32 v18, vcc_lo, v20, v18, vcc_lo
.LBB344_52:
	s_or_b32 exec_lo, exec_lo, s11
	v_cmp_gt_u32_e32 vcc_lo, 30, v42
	v_add_nc_u32_e32 v48, 2, v42
	s_mov_b32 s11, exec_lo
	s_waitcnt lgkmcnt(0)
	v_cndmask_b32_e64 v20, 0, 1, vcc_lo
	s_delay_alu instid0(VALU_DEP_1) | instskip(NEXT) | instid1(VALU_DEP_1)
	v_lshlrev_b32_e32 v20, 1, v20
	v_add_lshl_u32 v47, v20, v42, 2
	ds_bpermute_b32 v26, v47, v16
	ds_bpermute_b32 v20, v47, v18
	v_cmpx_le_u32_e64 v48, v15
	s_cbranch_execz .LBB344_54
; %bb.53:
	s_waitcnt lgkmcnt(1)
	v_add_co_u32 v16, vcc_lo, v17, v26
	v_add_co_ci_u32_e32 v18, vcc_lo, 0, v18, vcc_lo
	s_delay_alu instid0(VALU_DEP_2) | instskip(SKIP_1) | instid1(VALU_DEP_2)
	v_add_co_u32 v17, vcc_lo, 0, v16
	s_waitcnt lgkmcnt(0)
	v_add_co_ci_u32_e32 v18, vcc_lo, v20, v18, vcc_lo
.LBB344_54:
	s_or_b32 exec_lo, exec_lo, s11
	v_cmp_gt_u32_e32 vcc_lo, 28, v42
	v_add_nc_u32_e32 v50, 4, v42
	s_mov_b32 s11, exec_lo
	s_waitcnt lgkmcnt(0)
	v_cndmask_b32_e64 v20, 0, 1, vcc_lo
	s_delay_alu instid0(VALU_DEP_1) | instskip(NEXT) | instid1(VALU_DEP_1)
	v_lshlrev_b32_e32 v20, 2, v20
	v_add_lshl_u32 v49, v20, v42, 2
	ds_bpermute_b32 v26, v49, v16
	ds_bpermute_b32 v20, v49, v18
	v_cmpx_le_u32_e64 v50, v15
	;; [unrolled: 22-line block ×4, first 2 shown]
	s_cbranch_execz .LBB344_60
; %bb.59:
	s_waitcnt lgkmcnt(1)
	v_add_co_u32 v15, vcc_lo, v17, v20
	v_add_co_ci_u32_e32 v18, vcc_lo, 0, v18, vcc_lo
	s_delay_alu instid0(VALU_DEP_2) | instskip(SKIP_1) | instid1(VALU_DEP_2)
	v_add_co_u32 v17, vcc_lo, v15, 0
	s_waitcnt lgkmcnt(0)
	v_add_co_ci_u32_e32 v18, vcc_lo, v18, v16, vcc_lo
.LBB344_60:
	s_or_b32 exec_lo, exec_lo, s11
	v_mov_b32_e32 v26, 0
	s_branch .LBB344_62
.LBB344_61:                             ;   in Loop: Header=BB344_62 Depth=1
	s_or_b32 exec_lo, exec_lo, s11
	v_add_co_u32 v17, vcc_lo, v17, v15
	v_subrev_nc_u32_e32 v25, 32, v25
	v_add_co_ci_u32_e32 v18, vcc_lo, v18, v16, vcc_lo
.LBB344_62:                             ; =>This Loop Header: Depth=1
                                        ;     Child Loop BB344_65 Depth 2
                                        ;       Child Loop BB344_66 Depth 3
	v_and_b32_e32 v15, 0xff, v19
	s_delay_alu instid0(VALU_DEP_1) | instskip(SKIP_2) | instid1(VALU_DEP_1)
	v_cmp_ne_u16_e32 vcc_lo, 2, v15
	v_cndmask_b32_e64 v15, 0, 1, vcc_lo
	;;#ASMSTART
	;;#ASMEND
	v_cmp_ne_u32_e32 vcc_lo, 0, v15
	s_waitcnt lgkmcnt(0)
	v_dual_mov_b32 v15, v17 :: v_dual_mov_b32 v16, v18
	s_cmp_lg_u32 vcc_lo, exec_lo
	s_cbranch_scc1 .LBB344_79
; %bb.63:                               ;   in Loop: Header=BB344_62 Depth=1
	v_lshlrev_b64 v[17:18], 4, v[25:26]
	s_mov_b32 s11, exec_lo
	s_delay_alu instid0(VALU_DEP_1) | instskip(NEXT) | instid1(VALU_DEP_2)
	v_add_co_u32 v27, vcc_lo, s8, v17
	v_add_co_ci_u32_e32 v28, vcc_lo, s9, v18, vcc_lo
	;;#ASMSTART
	global_load_dwordx4 v[17:20], v[27:28] off glc	
s_waitcnt vmcnt(0)
	;;#ASMEND
	v_and_b32_e32 v20, 0xff, v18
	v_and_b32_e32 v55, 0xff00, v18
	v_or3_b32 v17, v17, 0, 0
	v_and_b32_e32 v56, 0xff000000, v18
	v_and_b32_e32 v18, 0xff0000, v18
	s_delay_alu instid0(VALU_DEP_4) | instskip(SKIP_2) | instid1(VALU_DEP_3)
	v_or3_b32 v20, 0, v20, v55
	v_and_b32_e32 v55, 0xff, v19
	v_or3_b32 v17, v17, 0, 0
	v_or3_b32 v18, v20, v18, v56
	s_delay_alu instid0(VALU_DEP_3)
	v_cmpx_eq_u16_e32 0, v55
	s_cbranch_execz .LBB344_69
; %bb.64:                               ;   in Loop: Header=BB344_62 Depth=1
	s_mov_b32 s13, 1
	s_mov_b32 s12, 0
	.p2align	6
.LBB344_65:                             ;   Parent Loop BB344_62 Depth=1
                                        ; =>  This Loop Header: Depth=2
                                        ;       Child Loop BB344_66 Depth 3
	s_max_u32 s17, s13, 1
.LBB344_66:                             ;   Parent Loop BB344_62 Depth=1
                                        ;     Parent Loop BB344_65 Depth=2
                                        ; =>    This Inner Loop Header: Depth=3
	s_delay_alu instid0(SALU_CYCLE_1)
	s_add_i32 s17, s17, -1
	s_sleep 1
	s_cmp_eq_u32 s17, 0
	s_cbranch_scc0 .LBB344_66
; %bb.67:                               ;   in Loop: Header=BB344_65 Depth=2
	;;#ASMSTART
	global_load_dwordx4 v[17:20], v[27:28] off glc	
s_waitcnt vmcnt(0)
	;;#ASMEND
	v_and_b32_e32 v20, 0xff, v19
	s_cmp_lt_u32 s13, 32
	s_cselect_b32 s17, -1, 0
	s_delay_alu instid0(SALU_CYCLE_1) | instskip(NEXT) | instid1(VALU_DEP_1)
	s_cmp_lg_u32 s17, 0
	v_cmp_ne_u16_e32 vcc_lo, 0, v20
	s_addc_u32 s13, s13, 0
	s_or_b32 s12, vcc_lo, s12
	s_delay_alu instid0(SALU_CYCLE_1)
	s_and_not1_b32 exec_lo, exec_lo, s12
	s_cbranch_execnz .LBB344_65
; %bb.68:                               ;   in Loop: Header=BB344_62 Depth=1
	s_or_b32 exec_lo, exec_lo, s12
.LBB344_69:                             ;   in Loop: Header=BB344_62 Depth=1
	s_delay_alu instid0(SALU_CYCLE_1)
	s_or_b32 exec_lo, exec_lo, s11
	v_dual_mov_b32 v27, v17 :: v_dual_and_b32 v20, 0xff, v19
	ds_bpermute_b32 v55, v45, v17
	ds_bpermute_b32 v28, v45, v18
	s_mov_b32 s11, exec_lo
	v_cmp_eq_u16_e32 vcc_lo, 2, v20
	v_and_or_b32 v20, vcc_lo, v46, 0x80000000
	s_delay_alu instid0(VALU_DEP_1) | instskip(NEXT) | instid1(VALU_DEP_1)
	v_ctz_i32_b32_e32 v20, v20
	v_cmpx_lt_u32_e64 v42, v20
	s_cbranch_execz .LBB344_71
; %bb.70:                               ;   in Loop: Header=BB344_62 Depth=1
	s_waitcnt lgkmcnt(1)
	v_add_co_u32 v27, vcc_lo, v17, v55
	v_add_co_ci_u32_e32 v18, vcc_lo, 0, v18, vcc_lo
	s_delay_alu instid0(VALU_DEP_2) | instskip(SKIP_1) | instid1(VALU_DEP_2)
	v_add_co_u32 v17, vcc_lo, 0, v27
	s_waitcnt lgkmcnt(0)
	v_add_co_ci_u32_e32 v18, vcc_lo, v28, v18, vcc_lo
.LBB344_71:                             ;   in Loop: Header=BB344_62 Depth=1
	s_or_b32 exec_lo, exec_lo, s11
	s_waitcnt lgkmcnt(1)
	ds_bpermute_b32 v55, v47, v27
	s_waitcnt lgkmcnt(1)
	ds_bpermute_b32 v28, v47, v18
	s_mov_b32 s11, exec_lo
	v_cmpx_le_u32_e64 v48, v20
	s_cbranch_execz .LBB344_73
; %bb.72:                               ;   in Loop: Header=BB344_62 Depth=1
	s_waitcnt lgkmcnt(1)
	v_add_co_u32 v27, vcc_lo, v17, v55
	v_add_co_ci_u32_e32 v18, vcc_lo, 0, v18, vcc_lo
	s_delay_alu instid0(VALU_DEP_2) | instskip(SKIP_1) | instid1(VALU_DEP_2)
	v_add_co_u32 v17, vcc_lo, 0, v27
	s_waitcnt lgkmcnt(0)
	v_add_co_ci_u32_e32 v18, vcc_lo, v28, v18, vcc_lo
.LBB344_73:                             ;   in Loop: Header=BB344_62 Depth=1
	s_or_b32 exec_lo, exec_lo, s11
	s_waitcnt lgkmcnt(1)
	ds_bpermute_b32 v55, v49, v27
	s_waitcnt lgkmcnt(1)
	ds_bpermute_b32 v28, v49, v18
	s_mov_b32 s11, exec_lo
	v_cmpx_le_u32_e64 v50, v20
	;; [unrolled: 17-line block ×3, first 2 shown]
	s_cbranch_execz .LBB344_77
; %bb.76:                               ;   in Loop: Header=BB344_62 Depth=1
	s_waitcnt lgkmcnt(1)
	v_add_co_u32 v27, vcc_lo, v17, v55
	v_add_co_ci_u32_e32 v18, vcc_lo, 0, v18, vcc_lo
	s_delay_alu instid0(VALU_DEP_2) | instskip(SKIP_1) | instid1(VALU_DEP_2)
	v_add_co_u32 v17, vcc_lo, 0, v27
	s_waitcnt lgkmcnt(0)
	v_add_co_ci_u32_e32 v18, vcc_lo, v28, v18, vcc_lo
.LBB344_77:                             ;   in Loop: Header=BB344_62 Depth=1
	s_or_b32 exec_lo, exec_lo, s11
	s_waitcnt lgkmcnt(0)
	ds_bpermute_b32 v28, v53, v27
	ds_bpermute_b32 v27, v53, v18
	s_mov_b32 s11, exec_lo
	v_cmpx_le_u32_e64 v54, v20
	s_cbranch_execz .LBB344_61
; %bb.78:                               ;   in Loop: Header=BB344_62 Depth=1
	s_waitcnt lgkmcnt(1)
	v_add_co_u32 v17, vcc_lo, v17, v28
	v_add_co_ci_u32_e32 v18, vcc_lo, 0, v18, vcc_lo
	s_delay_alu instid0(VALU_DEP_2) | instskip(SKIP_1) | instid1(VALU_DEP_2)
	v_add_co_u32 v17, vcc_lo, v17, 0
	s_waitcnt lgkmcnt(0)
	v_add_co_ci_u32_e32 v18, vcc_lo, v18, v27, vcc_lo
	s_branch .LBB344_61
.LBB344_79:                             ;   in Loop: Header=BB344_62 Depth=1
                                        ; implicit-def: $vgpr17_vgpr18
	s_cbranch_execz .LBB344_62
; %bb.80:
	s_and_saveexec_b32 s11, s3
	s_cbranch_execz .LBB344_82
; %bb.81:
	s_add_i32 s12, s15, 32
	s_mov_b32 s13, 0
	v_add_co_u32 v17, vcc_lo, v15, v13
	s_lshl_b64 s[12:13], s[12:13], 4
	v_dual_mov_b32 v19, 2 :: v_dual_mov_b32 v20, 0
	s_add_u32 s12, s8, s12
	s_addc_u32 s13, s9, s13
	v_add_co_ci_u32_e32 v18, vcc_lo, v16, v14, vcc_lo
	v_dual_mov_b32 v26, s13 :: v_dual_mov_b32 v25, s12
	;;#ASMSTART
	global_store_dwordx4 v[25:26], v[17:20] off	
s_waitcnt vmcnt(0)
	;;#ASMEND
	ds_store_b128 v20, v[13:16] offset:6144
.LBB344_82:
	s_or_b32 exec_lo, exec_lo, s11
	v_cmp_eq_u32_e32 vcc_lo, 0, v0
	s_and_b32 exec_lo, exec_lo, vcc_lo
	s_cbranch_execz .LBB344_84
; %bb.83:
	v_mov_b32_e32 v13, 0
	ds_store_b64 v13, v[15:16] offset:24
.LBB344_84:
	s_or_b32 exec_lo, exec_lo, s10
	s_waitcnt lgkmcnt(1)
	v_cndmask_b32_e64 v16, v29, v23, s3
	v_cmp_ne_u32_e32 vcc_lo, 0, v0
	v_mov_b32_e32 v15, 0
	s_waitcnt lgkmcnt(0)
	s_barrier
	buffer_gl0_inv
	v_cndmask_b32_e32 v16, 0, v16, vcc_lo
	ds_load_b64 v[13:14], v15 offset:24
	v_cndmask_b32_e64 v17, v30, v24, s3
	s_waitcnt lgkmcnt(0)
	s_barrier
	buffer_gl0_inv
	v_cndmask_b32_e32 v17, 0, v17, vcc_lo
	v_add_co_u32 v29, vcc_lo, v13, v16
	s_delay_alu instid0(VALU_DEP_2) | instskip(SKIP_3) | instid1(VALU_DEP_2)
	v_add_co_ci_u32_e32 v30, vcc_lo, v14, v17, vcc_lo
	ds_load_b128 v[13:16], v15 offset:6144
	v_add_co_u32 v27, vcc_lo, v29, v41
	v_add_co_ci_u32_e32 v28, vcc_lo, 0, v30, vcc_lo
	v_add_co_u32 v25, vcc_lo, v27, v40
	s_delay_alu instid0(VALU_DEP_2) | instskip(NEXT) | instid1(VALU_DEP_2)
	v_add_co_ci_u32_e32 v26, vcc_lo, 0, v28, vcc_lo
	v_add_co_u32 v23, vcc_lo, v25, v39
	s_delay_alu instid0(VALU_DEP_2) | instskip(NEXT) | instid1(VALU_DEP_2)
	;; [unrolled: 3-line block ×3, first 2 shown]
	v_add_co_ci_u32_e32 v20, vcc_lo, 0, v24, vcc_lo
	v_add_co_u32 v17, vcc_lo, v19, v37
	s_delay_alu instid0(VALU_DEP_2)
	v_add_co_ci_u32_e32 v18, vcc_lo, 0, v20, vcc_lo
	s_load_b64 s[10:11], s[0:1], 0x30
.LBB344_85:
	s_waitcnt lgkmcnt(0)
	v_cmp_gt_u64_e32 vcc_lo, 0x81, v[13:14]
	s_mov_b32 s0, -1
	s_cbranch_vccnz .LBB344_113
.LBB344_86:
	s_and_b32 vcc_lo, exec_lo, s0
	s_cbranch_vccnz .LBB344_132
.LBB344_87:
	v_cmp_eq_u32_e32 vcc_lo, 0, v0
	s_and_b32 s0, vcc_lo, s14
	s_delay_alu instid0(SALU_CYCLE_1)
	s_and_saveexec_b32 s1, s0
	s_cbranch_execnz .LBB344_148
.LBB344_88:
	s_nop 0
	s_sendmsg sendmsg(MSG_DEALLOC_VGPRS)
	s_endpgm
.LBB344_89:
                                        ; kill: def $vgpr13_vgpr14 killed $sgpr0_sgpr1 killed $exec
                                        ; implicit-def: $vgpr17_vgpr18
                                        ; implicit-def: $vgpr19_vgpr20
                                        ; implicit-def: $vgpr23_vgpr24
                                        ; implicit-def: $vgpr25_vgpr26
                                        ; implicit-def: $vgpr27_vgpr28
                                        ; implicit-def: $vgpr29_vgpr30
                                        ; implicit-def: $vgpr15_vgpr16
	s_load_b64 s[10:11], s[0:1], 0x30
	s_and_b32 vcc_lo, exec_lo, s3
	s_cbranch_vccz .LBB344_85
; %bb.90:
	s_waitcnt lgkmcnt(0)
	v_dual_mov_b32 v14, 0 :: v_dual_mov_b32 v15, v21
	v_mov_b32_dpp v16, v21 row_shr:1 row_mask:0xf bank_mask:0xf
	s_delay_alu instid0(VALU_DEP_2)
	v_mov_b32_dpp v13, v14 row_shr:1 row_mask:0xf bank_mask:0xf
	s_and_saveexec_b32 s0, s2
; %bb.91:
	s_delay_alu instid0(VALU_DEP_2) | instskip(SKIP_1) | instid1(VALU_DEP_2)
	v_add_co_u32 v15, vcc_lo, v21, v16
	v_add_co_ci_u32_e32 v14, vcc_lo, 0, v22, vcc_lo
	v_add_co_u32 v21, vcc_lo, 0, v15
	s_delay_alu instid0(VALU_DEP_2) | instskip(NEXT) | instid1(VALU_DEP_1)
	v_add_co_ci_u32_e32 v22, vcc_lo, v13, v14, vcc_lo
	v_mov_b32_e32 v14, v22
; %bb.92:
	s_or_b32 exec_lo, exec_lo, s0
	v_mov_b32_dpp v13, v15 row_shr:2 row_mask:0xf bank_mask:0xf
	s_delay_alu instid0(VALU_DEP_2)
	v_mov_b32_dpp v16, v14 row_shr:2 row_mask:0xf bank_mask:0xf
	s_mov_b32 s0, exec_lo
	v_cmpx_lt_u32_e32 1, v44
; %bb.93:
	s_delay_alu instid0(VALU_DEP_3) | instskip(SKIP_1) | instid1(VALU_DEP_2)
	v_add_co_u32 v15, vcc_lo, v21, v13
	v_add_co_ci_u32_e32 v14, vcc_lo, 0, v22, vcc_lo
	v_add_co_u32 v13, vcc_lo, 0, v15
	s_delay_alu instid0(VALU_DEP_2) | instskip(NEXT) | instid1(VALU_DEP_1)
	v_add_co_ci_u32_e32 v14, vcc_lo, v16, v14, vcc_lo
	v_dual_mov_b32 v22, v14 :: v_dual_mov_b32 v21, v13
; %bb.94:
	s_or_b32 exec_lo, exec_lo, s0
	v_mov_b32_dpp v13, v15 row_shr:4 row_mask:0xf bank_mask:0xf
	v_mov_b32_dpp v16, v14 row_shr:4 row_mask:0xf bank_mask:0xf
	s_mov_b32 s0, exec_lo
	v_cmpx_lt_u32_e32 3, v44
; %bb.95:
	s_delay_alu instid0(VALU_DEP_3) | instskip(SKIP_1) | instid1(VALU_DEP_2)
	v_add_co_u32 v15, vcc_lo, v21, v13
	v_add_co_ci_u32_e32 v14, vcc_lo, 0, v22, vcc_lo
	v_add_co_u32 v13, vcc_lo, 0, v15
	s_delay_alu instid0(VALU_DEP_2) | instskip(NEXT) | instid1(VALU_DEP_1)
	v_add_co_ci_u32_e32 v14, vcc_lo, v16, v14, vcc_lo
	v_dual_mov_b32 v22, v14 :: v_dual_mov_b32 v21, v13
; %bb.96:
	s_or_b32 exec_lo, exec_lo, s0
	v_mov_b32_dpp v16, v15 row_shr:8 row_mask:0xf bank_mask:0xf
	v_mov_b32_dpp v13, v14 row_shr:8 row_mask:0xf bank_mask:0xf
	s_mov_b32 s0, exec_lo
	v_cmpx_lt_u32_e32 7, v44
; %bb.97:
	s_delay_alu instid0(VALU_DEP_3) | instskip(SKIP_1) | instid1(VALU_DEP_2)
	v_add_co_u32 v15, vcc_lo, v21, v16
	v_add_co_ci_u32_e32 v14, vcc_lo, 0, v22, vcc_lo
	v_add_co_u32 v21, vcc_lo, 0, v15
	s_delay_alu instid0(VALU_DEP_2) | instskip(NEXT) | instid1(VALU_DEP_1)
	v_add_co_ci_u32_e32 v22, vcc_lo, v13, v14, vcc_lo
	v_mov_b32_e32 v14, v22
; %bb.98:
	s_or_b32 exec_lo, exec_lo, s0
	ds_swizzle_b32 v15, v15 offset:swizzle(BROADCAST,32,15)
	ds_swizzle_b32 v13, v14 offset:swizzle(BROADCAST,32,15)
	v_and_b32_e32 v14, 16, v42
	s_mov_b32 s0, exec_lo
	s_delay_alu instid0(VALU_DEP_1)
	v_cmpx_ne_u32_e32 0, v14
	s_cbranch_execz .LBB344_100
; %bb.99:
	s_waitcnt lgkmcnt(1)
	v_add_co_u32 v14, vcc_lo, v21, v15
	v_add_co_ci_u32_e32 v15, vcc_lo, 0, v22, vcc_lo
	s_delay_alu instid0(VALU_DEP_2) | instskip(SKIP_1) | instid1(VALU_DEP_2)
	v_add_co_u32 v21, vcc_lo, v14, 0
	s_waitcnt lgkmcnt(0)
	v_add_co_ci_u32_e32 v22, vcc_lo, v15, v13, vcc_lo
.LBB344_100:
	s_or_b32 exec_lo, exec_lo, s0
	s_waitcnt lgkmcnt(0)
	v_or_b32_e32 v13, 31, v0
	v_lshrrev_b32_e32 v15, 5, v0
	s_mov_b32 s0, exec_lo
	s_delay_alu instid0(VALU_DEP_2)
	v_cmpx_eq_u32_e64 v13, v0
	s_cbranch_execz .LBB344_102
; %bb.101:
	s_delay_alu instid0(VALU_DEP_2)
	v_lshlrev_b32_e32 v13, 3, v15
	ds_store_b64 v13, v[21:22]
.LBB344_102:
	s_or_b32 exec_lo, exec_lo, s0
	s_delay_alu instid0(SALU_CYCLE_1)
	s_mov_b32 s0, exec_lo
	s_waitcnt lgkmcnt(0)
	s_barrier
	buffer_gl0_inv
	v_cmpx_gt_u32_e32 4, v0
	s_cbranch_execz .LBB344_108
; %bb.103:
	v_lshlrev_b32_e32 v13, 1, v0
	s_mov_b32 s1, exec_lo
	s_delay_alu instid0(VALU_DEP_1)
	v_add_nc_u32_e32 v16, v43, v13
	ds_load_b64 v[13:14], v16
	s_waitcnt lgkmcnt(0)
	v_dual_mov_b32 v18, v13 :: v_dual_and_b32 v17, 3, v42
	v_mov_b32_dpp v20, v13 row_shr:1 row_mask:0xf bank_mask:0xf
	v_mov_b32_dpp v19, v14 row_shr:1 row_mask:0xf bank_mask:0xf
	s_delay_alu instid0(VALU_DEP_3)
	v_cmpx_ne_u32_e32 0, v17
; %bb.104:
	s_delay_alu instid0(VALU_DEP_3) | instskip(SKIP_1) | instid1(VALU_DEP_2)
	v_add_co_u32 v18, vcc_lo, v13, v20
	v_add_co_ci_u32_e32 v14, vcc_lo, 0, v14, vcc_lo
	v_add_co_u32 v13, vcc_lo, 0, v18
	s_delay_alu instid0(VALU_DEP_2)
	v_add_co_ci_u32_e32 v14, vcc_lo, v19, v14, vcc_lo
; %bb.105:
	s_or_b32 exec_lo, exec_lo, s1
	v_mov_b32_dpp v19, v18 row_shr:2 row_mask:0xf bank_mask:0xf
	s_delay_alu instid0(VALU_DEP_2)
	v_mov_b32_dpp v18, v14 row_shr:2 row_mask:0xf bank_mask:0xf
	s_mov_b32 s1, exec_lo
	v_cmpx_lt_u32_e32 1, v17
; %bb.106:
	s_delay_alu instid0(VALU_DEP_3) | instskip(SKIP_1) | instid1(VALU_DEP_2)
	v_add_co_u32 v13, vcc_lo, v13, v19
	v_add_co_ci_u32_e32 v14, vcc_lo, 0, v14, vcc_lo
	v_add_co_u32 v13, vcc_lo, v13, 0
	s_delay_alu instid0(VALU_DEP_2)
	v_add_co_ci_u32_e32 v14, vcc_lo, v14, v18, vcc_lo
; %bb.107:
	s_or_b32 exec_lo, exec_lo, s1
	ds_store_b64 v16, v[13:14]
.LBB344_108:
	s_or_b32 exec_lo, exec_lo, s0
	v_mov_b32_e32 v17, 0
	v_mov_b32_e32 v18, 0
	s_mov_b32 s0, exec_lo
	s_waitcnt lgkmcnt(0)
	s_barrier
	buffer_gl0_inv
	v_cmpx_lt_u32_e32 31, v0
	s_cbranch_execz .LBB344_110
; %bb.109:
	v_lshl_add_u32 v13, v15, 3, -8
	ds_load_b64 v[17:18], v13
.LBB344_110:
	s_or_b32 exec_lo, exec_lo, s0
	v_dual_mov_b32 v16, 0 :: v_dual_add_nc_u32 v13, -1, v42
	s_delay_alu instid0(VALU_DEP_1) | instskip(SKIP_4) | instid1(VALU_DEP_3)
	v_cmp_gt_i32_e32 vcc_lo, 0, v13
	v_cndmask_b32_e32 v13, v13, v42, vcc_lo
	s_waitcnt lgkmcnt(0)
	v_add_co_u32 v14, vcc_lo, v17, v21
	v_add_co_ci_u32_e32 v15, vcc_lo, v18, v22, vcc_lo
	v_lshlrev_b32_e32 v13, 2, v13
	v_cmp_eq_u32_e32 vcc_lo, 0, v0
	ds_bpermute_b32 v19, v13, v14
	ds_bpermute_b32 v20, v13, v15
	ds_load_b64 v[13:14], v16 offset:24
	s_and_saveexec_b32 s0, vcc_lo
	s_cbranch_execz .LBB344_112
; %bb.111:
	s_add_u32 s2, s8, 0x200
	s_addc_u32 s3, s9, 0
	s_delay_alu instid0(SALU_CYCLE_1)
	v_dual_mov_b32 v15, 2 :: v_dual_mov_b32 v22, s3
	v_mov_b32_e32 v21, s2
	s_waitcnt lgkmcnt(0)
	;;#ASMSTART
	global_store_dwordx4 v[21:22], v[13:16] off	
s_waitcnt vmcnt(0)
	;;#ASMEND
.LBB344_112:
	s_or_b32 exec_lo, exec_lo, s0
	v_cmp_eq_u32_e64 s0, 0, v42
	s_waitcnt lgkmcnt(0)
	s_barrier
	buffer_gl0_inv
	v_cndmask_b32_e64 v15, v19, v17, s0
	v_cndmask_b32_e64 v16, v20, v18, s0
	s_delay_alu instid0(VALU_DEP_2) | instskip(NEXT) | instid1(VALU_DEP_2)
	v_cndmask_b32_e64 v29, v15, 0, vcc_lo
	v_cndmask_b32_e64 v30, v16, 0, vcc_lo
	v_mov_b32_e32 v15, 0
	v_mov_b32_e32 v16, 0
	s_delay_alu instid0(VALU_DEP_4) | instskip(NEXT) | instid1(VALU_DEP_4)
	v_add_co_u32 v27, vcc_lo, v29, v41
	v_add_co_ci_u32_e32 v28, vcc_lo, 0, v30, vcc_lo
	s_delay_alu instid0(VALU_DEP_2) | instskip(NEXT) | instid1(VALU_DEP_2)
	v_add_co_u32 v25, vcc_lo, v27, v40
	v_add_co_ci_u32_e32 v26, vcc_lo, 0, v28, vcc_lo
	s_delay_alu instid0(VALU_DEP_2) | instskip(NEXT) | instid1(VALU_DEP_2)
	;; [unrolled: 3-line block ×4, first 2 shown]
	v_add_co_u32 v17, vcc_lo, v19, v37
	v_add_co_ci_u32_e32 v18, vcc_lo, 0, v20, vcc_lo
	v_cmp_gt_u64_e32 vcc_lo, 0x81, v[13:14]
	s_mov_b32 s0, -1
	s_cbranch_vccz .LBB344_86
.LBB344_113:
	v_add_co_u32 v21, vcc_lo, v15, v13
	v_add_co_ci_u32_e32 v22, vcc_lo, v16, v14, vcc_lo
	s_delay_alu instid0(VALU_DEP_1) | instskip(SKIP_1) | instid1(SALU_CYCLE_1)
	v_cmp_lt_u64_e32 vcc_lo, v[29:30], v[21:22]
	s_or_b32 s1, s16, vcc_lo
	s_and_saveexec_b32 s0, s1
	s_cbranch_execz .LBB344_116
; %bb.114:
	v_and_b32_e32 v37, 1, v36
	s_delay_alu instid0(VALU_DEP_1)
	v_cmp_eq_u32_e32 vcc_lo, 1, v37
	s_and_b32 exec_lo, exec_lo, vcc_lo
	s_cbranch_execz .LBB344_116
; %bb.115:
	v_lshlrev_b64 v[37:38], 3, v[29:30]
	s_lshl_b64 s[2:3], s[6:7], 3
	s_delay_alu instid0(SALU_CYCLE_1) | instskip(SKIP_1) | instid1(VALU_DEP_1)
	s_add_u32 s1, s10, s2
	s_addc_u32 s2, s11, s3
	v_add_co_u32 v37, vcc_lo, s1, v37
	s_delay_alu instid0(VALU_DEP_2)
	v_add_co_ci_u32_e32 v38, vcc_lo, s2, v38, vcc_lo
	global_store_b64 v[37:38], v[9:10], off
.LBB344_116:
	s_or_b32 exec_lo, exec_lo, s0
	v_cmp_lt_u64_e32 vcc_lo, v[27:28], v[21:22]
	s_or_b32 s1, s16, vcc_lo
	s_delay_alu instid0(SALU_CYCLE_1)
	s_and_saveexec_b32 s0, s1
	s_cbranch_execz .LBB344_119
; %bb.117:
	v_and_b32_e32 v30, 1, v34
	s_delay_alu instid0(VALU_DEP_1)
	v_cmp_eq_u32_e32 vcc_lo, 1, v30
	s_and_b32 exec_lo, exec_lo, vcc_lo
	s_cbranch_execz .LBB344_119
; %bb.118:
	v_lshlrev_b64 v[37:38], 3, v[27:28]
	s_lshl_b64 s[2:3], s[6:7], 3
	s_delay_alu instid0(SALU_CYCLE_1) | instskip(SKIP_1) | instid1(VALU_DEP_1)
	s_add_u32 s1, s10, s2
	s_addc_u32 s2, s11, s3
	v_add_co_u32 v37, vcc_lo, s1, v37
	s_delay_alu instid0(VALU_DEP_2)
	v_add_co_ci_u32_e32 v38, vcc_lo, s2, v38, vcc_lo
	global_store_b64 v[37:38], v[11:12], off
.LBB344_119:
	s_or_b32 exec_lo, exec_lo, s0
	v_cmp_lt_u64_e32 vcc_lo, v[25:26], v[21:22]
	s_or_b32 s1, s16, vcc_lo
	s_delay_alu instid0(SALU_CYCLE_1)
	;; [unrolled: 23-line block ×5, first 2 shown]
	s_and_saveexec_b32 s0, s1
	s_cbranch_execz .LBB344_131
; %bb.129:
	v_and_b32_e32 v20, 1, v32
	s_delay_alu instid0(VALU_DEP_1)
	v_cmp_eq_u32_e32 vcc_lo, 1, v20
	s_and_b32 exec_lo, exec_lo, vcc_lo
	s_cbranch_execz .LBB344_131
; %bb.130:
	v_lshlrev_b64 v[20:21], 3, v[17:18]
	s_lshl_b64 s[2:3], s[6:7], 3
	s_delay_alu instid0(SALU_CYCLE_1) | instskip(SKIP_1) | instid1(VALU_DEP_1)
	s_add_u32 s1, s10, s2
	s_addc_u32 s2, s11, s3
	v_add_co_u32 v20, vcc_lo, s1, v20
	s_delay_alu instid0(VALU_DEP_2)
	v_add_co_ci_u32_e32 v21, vcc_lo, s2, v21, vcc_lo
	global_store_b64 v[20:21], v[3:4], off
.LBB344_131:
	s_or_b32 exec_lo, exec_lo, s0
	s_branch .LBB344_87
.LBB344_132:
	v_and_b32_e32 v18, 1, v36
	s_mov_b32 s0, exec_lo
	s_delay_alu instid0(VALU_DEP_1)
	v_cmpx_eq_u32_e32 1, v18
	s_cbranch_execz .LBB344_134
; %bb.133:
	v_sub_nc_u32_e32 v18, v29, v15
	s_delay_alu instid0(VALU_DEP_1)
	v_lshlrev_b32_e32 v18, 3, v18
	ds_store_b64 v18, v[9:10]
.LBB344_134:
	s_or_b32 exec_lo, exec_lo, s0
	v_and_b32_e32 v9, 1, v34
	s_mov_b32 s0, exec_lo
	s_delay_alu instid0(VALU_DEP_1)
	v_cmpx_eq_u32_e32 1, v9
	s_cbranch_execz .LBB344_136
; %bb.135:
	v_sub_nc_u32_e32 v9, v27, v15
	s_delay_alu instid0(VALU_DEP_1)
	v_lshlrev_b32_e32 v9, 3, v9
	ds_store_b64 v9, v[11:12]
.LBB344_136:
	s_or_b32 exec_lo, exec_lo, s0
	;; [unrolled: 12-line block ×6, first 2 shown]
	v_mov_b32_e32 v3, 0
	s_mov_b32 s1, exec_lo
	s_waitcnt lgkmcnt(0)
	s_waitcnt_vscnt null, 0x0
	s_barrier
	buffer_gl0_inv
	v_mov_b32_e32 v1, v3
	s_delay_alu instid0(VALU_DEP_1)
	v_cmpx_gt_u64_e64 v[13:14], v[0:1]
	s_cbranch_execz .LBB344_147
; %bb.145:
	v_lshlrev_b64 v[4:5], 3, v[15:16]
	s_lshl_b64 s[2:3], s[6:7], 3
	v_or_b32_e32 v2, 0x80, v0
	s_delay_alu instid0(VALU_DEP_2) | instskip(NEXT) | instid1(VALU_DEP_3)
	v_add_co_u32 v4, vcc_lo, s10, v4
	v_add_co_ci_u32_e32 v5, vcc_lo, s11, v5, vcc_lo
	s_delay_alu instid0(VALU_DEP_2) | instskip(NEXT) | instid1(VALU_DEP_2)
	v_add_co_u32 v6, vcc_lo, v4, s2
	v_add_co_ci_u32_e32 v7, vcc_lo, s3, v5, vcc_lo
	v_dual_mov_b32 v5, v1 :: v_dual_mov_b32 v4, v0
	s_mov_b32 s2, 0
	.p2align	6
.LBB344_146:                            ; =>This Inner Loop Header: Depth=1
	s_delay_alu instid0(VALU_DEP_1) | instskip(NEXT) | instid1(VALU_DEP_2)
	v_lshlrev_b32_e32 v1, 3, v4
	v_lshlrev_b64 v[10:11], 3, v[4:5]
	v_dual_mov_b32 v5, v3 :: v_dual_mov_b32 v4, v2
	v_cmp_le_u64_e32 vcc_lo, v[13:14], v[2:3]
	v_add_nc_u32_e32 v2, 0x80, v2
	ds_load_b64 v[8:9], v1
	v_add_co_u32 v10, s0, v6, v10
	s_delay_alu instid0(VALU_DEP_1)
	v_add_co_ci_u32_e64 v11, s0, v7, v11, s0
	s_or_b32 s2, vcc_lo, s2
	s_waitcnt lgkmcnt(0)
	global_store_b64 v[10:11], v[8:9], off
	s_and_not1_b32 exec_lo, exec_lo, s2
	s_cbranch_execnz .LBB344_146
.LBB344_147:
	s_or_b32 exec_lo, exec_lo, s1
	v_cmp_eq_u32_e32 vcc_lo, 0, v0
	s_and_b32 s0, vcc_lo, s14
	s_delay_alu instid0(SALU_CYCLE_1)
	s_and_saveexec_b32 s1, s0
	s_cbranch_execz .LBB344_88
.LBB344_148:
	v_add_co_u32 v0, vcc_lo, v15, v13
	v_add_co_ci_u32_e32 v1, vcc_lo, v16, v14, vcc_lo
	v_mov_b32_e32 v2, 0
	s_delay_alu instid0(VALU_DEP_3) | instskip(NEXT) | instid1(VALU_DEP_3)
	v_add_co_u32 v0, vcc_lo, v0, s6
	v_add_co_ci_u32_e32 v1, vcc_lo, s7, v1, vcc_lo
	global_store_b64 v2, v[0:1], s[4:5]
	s_nop 0
	s_sendmsg sendmsg(MSG_DEALLOC_VGPRS)
	s_endpgm
	.section	.rodata,"a",@progbits
	.p2align	6, 0x0
	.amdhsa_kernel _ZN7rocprim17ROCPRIM_400000_NS6detail17trampoline_kernelINS0_14default_configENS1_25partition_config_selectorILNS1_17partition_subalgoE5ElNS0_10empty_typeEbEEZZNS1_14partition_implILS5_5ELb0ES3_mN6hipcub16HIPCUB_304000_NS21CountingInputIteratorIllEEPS6_NSA_22TransformInputIteratorIbN2at6native12_GLOBAL__N_19NonZeroOpIsEEPKslEENS0_5tupleIJPlS6_EEENSN_IJSD_SD_EEES6_PiJS6_EEE10hipError_tPvRmT3_T4_T5_T6_T7_T9_mT8_P12ihipStream_tbDpT10_ENKUlT_T0_E_clISt17integral_constantIbLb1EES1A_IbLb0EEEEDaS16_S17_EUlS16_E_NS1_11comp_targetILNS1_3genE9ELNS1_11target_archE1100ELNS1_3gpuE3ELNS1_3repE0EEENS1_30default_config_static_selectorELNS0_4arch9wavefront6targetE0EEEvT1_
		.amdhsa_group_segment_fixed_size 6160
		.amdhsa_private_segment_fixed_size 0
		.amdhsa_kernarg_size 120
		.amdhsa_user_sgpr_count 15
		.amdhsa_user_sgpr_dispatch_ptr 0
		.amdhsa_user_sgpr_queue_ptr 0
		.amdhsa_user_sgpr_kernarg_segment_ptr 1
		.amdhsa_user_sgpr_dispatch_id 0
		.amdhsa_user_sgpr_private_segment_size 0
		.amdhsa_wavefront_size32 1
		.amdhsa_uses_dynamic_stack 0
		.amdhsa_enable_private_segment 0
		.amdhsa_system_sgpr_workgroup_id_x 1
		.amdhsa_system_sgpr_workgroup_id_y 0
		.amdhsa_system_sgpr_workgroup_id_z 0
		.amdhsa_system_sgpr_workgroup_info 0
		.amdhsa_system_vgpr_workitem_id 0
		.amdhsa_next_free_vgpr 57
		.amdhsa_next_free_sgpr 21
		.amdhsa_reserve_vcc 1
		.amdhsa_float_round_mode_32 0
		.amdhsa_float_round_mode_16_64 0
		.amdhsa_float_denorm_mode_32 3
		.amdhsa_float_denorm_mode_16_64 3
		.amdhsa_dx10_clamp 1
		.amdhsa_ieee_mode 1
		.amdhsa_fp16_overflow 0
		.amdhsa_workgroup_processor_mode 1
		.amdhsa_memory_ordered 1
		.amdhsa_forward_progress 0
		.amdhsa_shared_vgpr_count 0
		.amdhsa_exception_fp_ieee_invalid_op 0
		.amdhsa_exception_fp_denorm_src 0
		.amdhsa_exception_fp_ieee_div_zero 0
		.amdhsa_exception_fp_ieee_overflow 0
		.amdhsa_exception_fp_ieee_underflow 0
		.amdhsa_exception_fp_ieee_inexact 0
		.amdhsa_exception_int_div_zero 0
	.end_amdhsa_kernel
	.section	.text._ZN7rocprim17ROCPRIM_400000_NS6detail17trampoline_kernelINS0_14default_configENS1_25partition_config_selectorILNS1_17partition_subalgoE5ElNS0_10empty_typeEbEEZZNS1_14partition_implILS5_5ELb0ES3_mN6hipcub16HIPCUB_304000_NS21CountingInputIteratorIllEEPS6_NSA_22TransformInputIteratorIbN2at6native12_GLOBAL__N_19NonZeroOpIsEEPKslEENS0_5tupleIJPlS6_EEENSN_IJSD_SD_EEES6_PiJS6_EEE10hipError_tPvRmT3_T4_T5_T6_T7_T9_mT8_P12ihipStream_tbDpT10_ENKUlT_T0_E_clISt17integral_constantIbLb1EES1A_IbLb0EEEEDaS16_S17_EUlS16_E_NS1_11comp_targetILNS1_3genE9ELNS1_11target_archE1100ELNS1_3gpuE3ELNS1_3repE0EEENS1_30default_config_static_selectorELNS0_4arch9wavefront6targetE0EEEvT1_,"axG",@progbits,_ZN7rocprim17ROCPRIM_400000_NS6detail17trampoline_kernelINS0_14default_configENS1_25partition_config_selectorILNS1_17partition_subalgoE5ElNS0_10empty_typeEbEEZZNS1_14partition_implILS5_5ELb0ES3_mN6hipcub16HIPCUB_304000_NS21CountingInputIteratorIllEEPS6_NSA_22TransformInputIteratorIbN2at6native12_GLOBAL__N_19NonZeroOpIsEEPKslEENS0_5tupleIJPlS6_EEENSN_IJSD_SD_EEES6_PiJS6_EEE10hipError_tPvRmT3_T4_T5_T6_T7_T9_mT8_P12ihipStream_tbDpT10_ENKUlT_T0_E_clISt17integral_constantIbLb1EES1A_IbLb0EEEEDaS16_S17_EUlS16_E_NS1_11comp_targetILNS1_3genE9ELNS1_11target_archE1100ELNS1_3gpuE3ELNS1_3repE0EEENS1_30default_config_static_selectorELNS0_4arch9wavefront6targetE0EEEvT1_,comdat
.Lfunc_end344:
	.size	_ZN7rocprim17ROCPRIM_400000_NS6detail17trampoline_kernelINS0_14default_configENS1_25partition_config_selectorILNS1_17partition_subalgoE5ElNS0_10empty_typeEbEEZZNS1_14partition_implILS5_5ELb0ES3_mN6hipcub16HIPCUB_304000_NS21CountingInputIteratorIllEEPS6_NSA_22TransformInputIteratorIbN2at6native12_GLOBAL__N_19NonZeroOpIsEEPKslEENS0_5tupleIJPlS6_EEENSN_IJSD_SD_EEES6_PiJS6_EEE10hipError_tPvRmT3_T4_T5_T6_T7_T9_mT8_P12ihipStream_tbDpT10_ENKUlT_T0_E_clISt17integral_constantIbLb1EES1A_IbLb0EEEEDaS16_S17_EUlS16_E_NS1_11comp_targetILNS1_3genE9ELNS1_11target_archE1100ELNS1_3gpuE3ELNS1_3repE0EEENS1_30default_config_static_selectorELNS0_4arch9wavefront6targetE0EEEvT1_, .Lfunc_end344-_ZN7rocprim17ROCPRIM_400000_NS6detail17trampoline_kernelINS0_14default_configENS1_25partition_config_selectorILNS1_17partition_subalgoE5ElNS0_10empty_typeEbEEZZNS1_14partition_implILS5_5ELb0ES3_mN6hipcub16HIPCUB_304000_NS21CountingInputIteratorIllEEPS6_NSA_22TransformInputIteratorIbN2at6native12_GLOBAL__N_19NonZeroOpIsEEPKslEENS0_5tupleIJPlS6_EEENSN_IJSD_SD_EEES6_PiJS6_EEE10hipError_tPvRmT3_T4_T5_T6_T7_T9_mT8_P12ihipStream_tbDpT10_ENKUlT_T0_E_clISt17integral_constantIbLb1EES1A_IbLb0EEEEDaS16_S17_EUlS16_E_NS1_11comp_targetILNS1_3genE9ELNS1_11target_archE1100ELNS1_3gpuE3ELNS1_3repE0EEENS1_30default_config_static_selectorELNS0_4arch9wavefront6targetE0EEEvT1_
                                        ; -- End function
	.section	.AMDGPU.csdata,"",@progbits
; Kernel info:
; codeLenInByte = 6476
; NumSgprs: 23
; NumVgprs: 57
; ScratchSize: 0
; MemoryBound: 0
; FloatMode: 240
; IeeeMode: 1
; LDSByteSize: 6160 bytes/workgroup (compile time only)
; SGPRBlocks: 2
; VGPRBlocks: 7
; NumSGPRsForWavesPerEU: 23
; NumVGPRsForWavesPerEU: 57
; Occupancy: 16
; WaveLimiterHint : 1
; COMPUTE_PGM_RSRC2:SCRATCH_EN: 0
; COMPUTE_PGM_RSRC2:USER_SGPR: 15
; COMPUTE_PGM_RSRC2:TRAP_HANDLER: 0
; COMPUTE_PGM_RSRC2:TGID_X_EN: 1
; COMPUTE_PGM_RSRC2:TGID_Y_EN: 0
; COMPUTE_PGM_RSRC2:TGID_Z_EN: 0
; COMPUTE_PGM_RSRC2:TIDIG_COMP_CNT: 0
	.section	.text._ZN7rocprim17ROCPRIM_400000_NS6detail17trampoline_kernelINS0_14default_configENS1_25partition_config_selectorILNS1_17partition_subalgoE5ElNS0_10empty_typeEbEEZZNS1_14partition_implILS5_5ELb0ES3_mN6hipcub16HIPCUB_304000_NS21CountingInputIteratorIllEEPS6_NSA_22TransformInputIteratorIbN2at6native12_GLOBAL__N_19NonZeroOpIsEEPKslEENS0_5tupleIJPlS6_EEENSN_IJSD_SD_EEES6_PiJS6_EEE10hipError_tPvRmT3_T4_T5_T6_T7_T9_mT8_P12ihipStream_tbDpT10_ENKUlT_T0_E_clISt17integral_constantIbLb1EES1A_IbLb0EEEEDaS16_S17_EUlS16_E_NS1_11comp_targetILNS1_3genE8ELNS1_11target_archE1030ELNS1_3gpuE2ELNS1_3repE0EEENS1_30default_config_static_selectorELNS0_4arch9wavefront6targetE0EEEvT1_,"axG",@progbits,_ZN7rocprim17ROCPRIM_400000_NS6detail17trampoline_kernelINS0_14default_configENS1_25partition_config_selectorILNS1_17partition_subalgoE5ElNS0_10empty_typeEbEEZZNS1_14partition_implILS5_5ELb0ES3_mN6hipcub16HIPCUB_304000_NS21CountingInputIteratorIllEEPS6_NSA_22TransformInputIteratorIbN2at6native12_GLOBAL__N_19NonZeroOpIsEEPKslEENS0_5tupleIJPlS6_EEENSN_IJSD_SD_EEES6_PiJS6_EEE10hipError_tPvRmT3_T4_T5_T6_T7_T9_mT8_P12ihipStream_tbDpT10_ENKUlT_T0_E_clISt17integral_constantIbLb1EES1A_IbLb0EEEEDaS16_S17_EUlS16_E_NS1_11comp_targetILNS1_3genE8ELNS1_11target_archE1030ELNS1_3gpuE2ELNS1_3repE0EEENS1_30default_config_static_selectorELNS0_4arch9wavefront6targetE0EEEvT1_,comdat
	.globl	_ZN7rocprim17ROCPRIM_400000_NS6detail17trampoline_kernelINS0_14default_configENS1_25partition_config_selectorILNS1_17partition_subalgoE5ElNS0_10empty_typeEbEEZZNS1_14partition_implILS5_5ELb0ES3_mN6hipcub16HIPCUB_304000_NS21CountingInputIteratorIllEEPS6_NSA_22TransformInputIteratorIbN2at6native12_GLOBAL__N_19NonZeroOpIsEEPKslEENS0_5tupleIJPlS6_EEENSN_IJSD_SD_EEES6_PiJS6_EEE10hipError_tPvRmT3_T4_T5_T6_T7_T9_mT8_P12ihipStream_tbDpT10_ENKUlT_T0_E_clISt17integral_constantIbLb1EES1A_IbLb0EEEEDaS16_S17_EUlS16_E_NS1_11comp_targetILNS1_3genE8ELNS1_11target_archE1030ELNS1_3gpuE2ELNS1_3repE0EEENS1_30default_config_static_selectorELNS0_4arch9wavefront6targetE0EEEvT1_ ; -- Begin function _ZN7rocprim17ROCPRIM_400000_NS6detail17trampoline_kernelINS0_14default_configENS1_25partition_config_selectorILNS1_17partition_subalgoE5ElNS0_10empty_typeEbEEZZNS1_14partition_implILS5_5ELb0ES3_mN6hipcub16HIPCUB_304000_NS21CountingInputIteratorIllEEPS6_NSA_22TransformInputIteratorIbN2at6native12_GLOBAL__N_19NonZeroOpIsEEPKslEENS0_5tupleIJPlS6_EEENSN_IJSD_SD_EEES6_PiJS6_EEE10hipError_tPvRmT3_T4_T5_T6_T7_T9_mT8_P12ihipStream_tbDpT10_ENKUlT_T0_E_clISt17integral_constantIbLb1EES1A_IbLb0EEEEDaS16_S17_EUlS16_E_NS1_11comp_targetILNS1_3genE8ELNS1_11target_archE1030ELNS1_3gpuE2ELNS1_3repE0EEENS1_30default_config_static_selectorELNS0_4arch9wavefront6targetE0EEEvT1_
	.p2align	8
	.type	_ZN7rocprim17ROCPRIM_400000_NS6detail17trampoline_kernelINS0_14default_configENS1_25partition_config_selectorILNS1_17partition_subalgoE5ElNS0_10empty_typeEbEEZZNS1_14partition_implILS5_5ELb0ES3_mN6hipcub16HIPCUB_304000_NS21CountingInputIteratorIllEEPS6_NSA_22TransformInputIteratorIbN2at6native12_GLOBAL__N_19NonZeroOpIsEEPKslEENS0_5tupleIJPlS6_EEENSN_IJSD_SD_EEES6_PiJS6_EEE10hipError_tPvRmT3_T4_T5_T6_T7_T9_mT8_P12ihipStream_tbDpT10_ENKUlT_T0_E_clISt17integral_constantIbLb1EES1A_IbLb0EEEEDaS16_S17_EUlS16_E_NS1_11comp_targetILNS1_3genE8ELNS1_11target_archE1030ELNS1_3gpuE2ELNS1_3repE0EEENS1_30default_config_static_selectorELNS0_4arch9wavefront6targetE0EEEvT1_,@function
_ZN7rocprim17ROCPRIM_400000_NS6detail17trampoline_kernelINS0_14default_configENS1_25partition_config_selectorILNS1_17partition_subalgoE5ElNS0_10empty_typeEbEEZZNS1_14partition_implILS5_5ELb0ES3_mN6hipcub16HIPCUB_304000_NS21CountingInputIteratorIllEEPS6_NSA_22TransformInputIteratorIbN2at6native12_GLOBAL__N_19NonZeroOpIsEEPKslEENS0_5tupleIJPlS6_EEENSN_IJSD_SD_EEES6_PiJS6_EEE10hipError_tPvRmT3_T4_T5_T6_T7_T9_mT8_P12ihipStream_tbDpT10_ENKUlT_T0_E_clISt17integral_constantIbLb1EES1A_IbLb0EEEEDaS16_S17_EUlS16_E_NS1_11comp_targetILNS1_3genE8ELNS1_11target_archE1030ELNS1_3gpuE2ELNS1_3repE0EEENS1_30default_config_static_selectorELNS0_4arch9wavefront6targetE0EEEvT1_: ; @_ZN7rocprim17ROCPRIM_400000_NS6detail17trampoline_kernelINS0_14default_configENS1_25partition_config_selectorILNS1_17partition_subalgoE5ElNS0_10empty_typeEbEEZZNS1_14partition_implILS5_5ELb0ES3_mN6hipcub16HIPCUB_304000_NS21CountingInputIteratorIllEEPS6_NSA_22TransformInputIteratorIbN2at6native12_GLOBAL__N_19NonZeroOpIsEEPKslEENS0_5tupleIJPlS6_EEENSN_IJSD_SD_EEES6_PiJS6_EEE10hipError_tPvRmT3_T4_T5_T6_T7_T9_mT8_P12ihipStream_tbDpT10_ENKUlT_T0_E_clISt17integral_constantIbLb1EES1A_IbLb0EEEEDaS16_S17_EUlS16_E_NS1_11comp_targetILNS1_3genE8ELNS1_11target_archE1030ELNS1_3gpuE2ELNS1_3repE0EEENS1_30default_config_static_selectorELNS0_4arch9wavefront6targetE0EEEvT1_
; %bb.0:
	.section	.rodata,"a",@progbits
	.p2align	6, 0x0
	.amdhsa_kernel _ZN7rocprim17ROCPRIM_400000_NS6detail17trampoline_kernelINS0_14default_configENS1_25partition_config_selectorILNS1_17partition_subalgoE5ElNS0_10empty_typeEbEEZZNS1_14partition_implILS5_5ELb0ES3_mN6hipcub16HIPCUB_304000_NS21CountingInputIteratorIllEEPS6_NSA_22TransformInputIteratorIbN2at6native12_GLOBAL__N_19NonZeroOpIsEEPKslEENS0_5tupleIJPlS6_EEENSN_IJSD_SD_EEES6_PiJS6_EEE10hipError_tPvRmT3_T4_T5_T6_T7_T9_mT8_P12ihipStream_tbDpT10_ENKUlT_T0_E_clISt17integral_constantIbLb1EES1A_IbLb0EEEEDaS16_S17_EUlS16_E_NS1_11comp_targetILNS1_3genE8ELNS1_11target_archE1030ELNS1_3gpuE2ELNS1_3repE0EEENS1_30default_config_static_selectorELNS0_4arch9wavefront6targetE0EEEvT1_
		.amdhsa_group_segment_fixed_size 0
		.amdhsa_private_segment_fixed_size 0
		.amdhsa_kernarg_size 120
		.amdhsa_user_sgpr_count 15
		.amdhsa_user_sgpr_dispatch_ptr 0
		.amdhsa_user_sgpr_queue_ptr 0
		.amdhsa_user_sgpr_kernarg_segment_ptr 1
		.amdhsa_user_sgpr_dispatch_id 0
		.amdhsa_user_sgpr_private_segment_size 0
		.amdhsa_wavefront_size32 1
		.amdhsa_uses_dynamic_stack 0
		.amdhsa_enable_private_segment 0
		.amdhsa_system_sgpr_workgroup_id_x 1
		.amdhsa_system_sgpr_workgroup_id_y 0
		.amdhsa_system_sgpr_workgroup_id_z 0
		.amdhsa_system_sgpr_workgroup_info 0
		.amdhsa_system_vgpr_workitem_id 0
		.amdhsa_next_free_vgpr 1
		.amdhsa_next_free_sgpr 1
		.amdhsa_reserve_vcc 0
		.amdhsa_float_round_mode_32 0
		.amdhsa_float_round_mode_16_64 0
		.amdhsa_float_denorm_mode_32 3
		.amdhsa_float_denorm_mode_16_64 3
		.amdhsa_dx10_clamp 1
		.amdhsa_ieee_mode 1
		.amdhsa_fp16_overflow 0
		.amdhsa_workgroup_processor_mode 1
		.amdhsa_memory_ordered 1
		.amdhsa_forward_progress 0
		.amdhsa_shared_vgpr_count 0
		.amdhsa_exception_fp_ieee_invalid_op 0
		.amdhsa_exception_fp_denorm_src 0
		.amdhsa_exception_fp_ieee_div_zero 0
		.amdhsa_exception_fp_ieee_overflow 0
		.amdhsa_exception_fp_ieee_underflow 0
		.amdhsa_exception_fp_ieee_inexact 0
		.amdhsa_exception_int_div_zero 0
	.end_amdhsa_kernel
	.section	.text._ZN7rocprim17ROCPRIM_400000_NS6detail17trampoline_kernelINS0_14default_configENS1_25partition_config_selectorILNS1_17partition_subalgoE5ElNS0_10empty_typeEbEEZZNS1_14partition_implILS5_5ELb0ES3_mN6hipcub16HIPCUB_304000_NS21CountingInputIteratorIllEEPS6_NSA_22TransformInputIteratorIbN2at6native12_GLOBAL__N_19NonZeroOpIsEEPKslEENS0_5tupleIJPlS6_EEENSN_IJSD_SD_EEES6_PiJS6_EEE10hipError_tPvRmT3_T4_T5_T6_T7_T9_mT8_P12ihipStream_tbDpT10_ENKUlT_T0_E_clISt17integral_constantIbLb1EES1A_IbLb0EEEEDaS16_S17_EUlS16_E_NS1_11comp_targetILNS1_3genE8ELNS1_11target_archE1030ELNS1_3gpuE2ELNS1_3repE0EEENS1_30default_config_static_selectorELNS0_4arch9wavefront6targetE0EEEvT1_,"axG",@progbits,_ZN7rocprim17ROCPRIM_400000_NS6detail17trampoline_kernelINS0_14default_configENS1_25partition_config_selectorILNS1_17partition_subalgoE5ElNS0_10empty_typeEbEEZZNS1_14partition_implILS5_5ELb0ES3_mN6hipcub16HIPCUB_304000_NS21CountingInputIteratorIllEEPS6_NSA_22TransformInputIteratorIbN2at6native12_GLOBAL__N_19NonZeroOpIsEEPKslEENS0_5tupleIJPlS6_EEENSN_IJSD_SD_EEES6_PiJS6_EEE10hipError_tPvRmT3_T4_T5_T6_T7_T9_mT8_P12ihipStream_tbDpT10_ENKUlT_T0_E_clISt17integral_constantIbLb1EES1A_IbLb0EEEEDaS16_S17_EUlS16_E_NS1_11comp_targetILNS1_3genE8ELNS1_11target_archE1030ELNS1_3gpuE2ELNS1_3repE0EEENS1_30default_config_static_selectorELNS0_4arch9wavefront6targetE0EEEvT1_,comdat
.Lfunc_end345:
	.size	_ZN7rocprim17ROCPRIM_400000_NS6detail17trampoline_kernelINS0_14default_configENS1_25partition_config_selectorILNS1_17partition_subalgoE5ElNS0_10empty_typeEbEEZZNS1_14partition_implILS5_5ELb0ES3_mN6hipcub16HIPCUB_304000_NS21CountingInputIteratorIllEEPS6_NSA_22TransformInputIteratorIbN2at6native12_GLOBAL__N_19NonZeroOpIsEEPKslEENS0_5tupleIJPlS6_EEENSN_IJSD_SD_EEES6_PiJS6_EEE10hipError_tPvRmT3_T4_T5_T6_T7_T9_mT8_P12ihipStream_tbDpT10_ENKUlT_T0_E_clISt17integral_constantIbLb1EES1A_IbLb0EEEEDaS16_S17_EUlS16_E_NS1_11comp_targetILNS1_3genE8ELNS1_11target_archE1030ELNS1_3gpuE2ELNS1_3repE0EEENS1_30default_config_static_selectorELNS0_4arch9wavefront6targetE0EEEvT1_, .Lfunc_end345-_ZN7rocprim17ROCPRIM_400000_NS6detail17trampoline_kernelINS0_14default_configENS1_25partition_config_selectorILNS1_17partition_subalgoE5ElNS0_10empty_typeEbEEZZNS1_14partition_implILS5_5ELb0ES3_mN6hipcub16HIPCUB_304000_NS21CountingInputIteratorIllEEPS6_NSA_22TransformInputIteratorIbN2at6native12_GLOBAL__N_19NonZeroOpIsEEPKslEENS0_5tupleIJPlS6_EEENSN_IJSD_SD_EEES6_PiJS6_EEE10hipError_tPvRmT3_T4_T5_T6_T7_T9_mT8_P12ihipStream_tbDpT10_ENKUlT_T0_E_clISt17integral_constantIbLb1EES1A_IbLb0EEEEDaS16_S17_EUlS16_E_NS1_11comp_targetILNS1_3genE8ELNS1_11target_archE1030ELNS1_3gpuE2ELNS1_3repE0EEENS1_30default_config_static_selectorELNS0_4arch9wavefront6targetE0EEEvT1_
                                        ; -- End function
	.section	.AMDGPU.csdata,"",@progbits
; Kernel info:
; codeLenInByte = 0
; NumSgprs: 0
; NumVgprs: 0
; ScratchSize: 0
; MemoryBound: 0
; FloatMode: 240
; IeeeMode: 1
; LDSByteSize: 0 bytes/workgroup (compile time only)
; SGPRBlocks: 0
; VGPRBlocks: 0
; NumSGPRsForWavesPerEU: 1
; NumVGPRsForWavesPerEU: 1
; Occupancy: 16
; WaveLimiterHint : 0
; COMPUTE_PGM_RSRC2:SCRATCH_EN: 0
; COMPUTE_PGM_RSRC2:USER_SGPR: 15
; COMPUTE_PGM_RSRC2:TRAP_HANDLER: 0
; COMPUTE_PGM_RSRC2:TGID_X_EN: 1
; COMPUTE_PGM_RSRC2:TGID_Y_EN: 0
; COMPUTE_PGM_RSRC2:TGID_Z_EN: 0
; COMPUTE_PGM_RSRC2:TIDIG_COMP_CNT: 0
	.section	.text._ZN7rocprim17ROCPRIM_400000_NS6detail17trampoline_kernelINS0_14default_configENS1_25partition_config_selectorILNS1_17partition_subalgoE5ElNS0_10empty_typeEbEEZZNS1_14partition_implILS5_5ELb0ES3_mN6hipcub16HIPCUB_304000_NS21CountingInputIteratorIllEEPS6_NSA_22TransformInputIteratorIbN2at6native12_GLOBAL__N_19NonZeroOpIsEEPKslEENS0_5tupleIJPlS6_EEENSN_IJSD_SD_EEES6_PiJS6_EEE10hipError_tPvRmT3_T4_T5_T6_T7_T9_mT8_P12ihipStream_tbDpT10_ENKUlT_T0_E_clISt17integral_constantIbLb0EES1A_IbLb1EEEEDaS16_S17_EUlS16_E_NS1_11comp_targetILNS1_3genE0ELNS1_11target_archE4294967295ELNS1_3gpuE0ELNS1_3repE0EEENS1_30default_config_static_selectorELNS0_4arch9wavefront6targetE0EEEvT1_,"axG",@progbits,_ZN7rocprim17ROCPRIM_400000_NS6detail17trampoline_kernelINS0_14default_configENS1_25partition_config_selectorILNS1_17partition_subalgoE5ElNS0_10empty_typeEbEEZZNS1_14partition_implILS5_5ELb0ES3_mN6hipcub16HIPCUB_304000_NS21CountingInputIteratorIllEEPS6_NSA_22TransformInputIteratorIbN2at6native12_GLOBAL__N_19NonZeroOpIsEEPKslEENS0_5tupleIJPlS6_EEENSN_IJSD_SD_EEES6_PiJS6_EEE10hipError_tPvRmT3_T4_T5_T6_T7_T9_mT8_P12ihipStream_tbDpT10_ENKUlT_T0_E_clISt17integral_constantIbLb0EES1A_IbLb1EEEEDaS16_S17_EUlS16_E_NS1_11comp_targetILNS1_3genE0ELNS1_11target_archE4294967295ELNS1_3gpuE0ELNS1_3repE0EEENS1_30default_config_static_selectorELNS0_4arch9wavefront6targetE0EEEvT1_,comdat
	.globl	_ZN7rocprim17ROCPRIM_400000_NS6detail17trampoline_kernelINS0_14default_configENS1_25partition_config_selectorILNS1_17partition_subalgoE5ElNS0_10empty_typeEbEEZZNS1_14partition_implILS5_5ELb0ES3_mN6hipcub16HIPCUB_304000_NS21CountingInputIteratorIllEEPS6_NSA_22TransformInputIteratorIbN2at6native12_GLOBAL__N_19NonZeroOpIsEEPKslEENS0_5tupleIJPlS6_EEENSN_IJSD_SD_EEES6_PiJS6_EEE10hipError_tPvRmT3_T4_T5_T6_T7_T9_mT8_P12ihipStream_tbDpT10_ENKUlT_T0_E_clISt17integral_constantIbLb0EES1A_IbLb1EEEEDaS16_S17_EUlS16_E_NS1_11comp_targetILNS1_3genE0ELNS1_11target_archE4294967295ELNS1_3gpuE0ELNS1_3repE0EEENS1_30default_config_static_selectorELNS0_4arch9wavefront6targetE0EEEvT1_ ; -- Begin function _ZN7rocprim17ROCPRIM_400000_NS6detail17trampoline_kernelINS0_14default_configENS1_25partition_config_selectorILNS1_17partition_subalgoE5ElNS0_10empty_typeEbEEZZNS1_14partition_implILS5_5ELb0ES3_mN6hipcub16HIPCUB_304000_NS21CountingInputIteratorIllEEPS6_NSA_22TransformInputIteratorIbN2at6native12_GLOBAL__N_19NonZeroOpIsEEPKslEENS0_5tupleIJPlS6_EEENSN_IJSD_SD_EEES6_PiJS6_EEE10hipError_tPvRmT3_T4_T5_T6_T7_T9_mT8_P12ihipStream_tbDpT10_ENKUlT_T0_E_clISt17integral_constantIbLb0EES1A_IbLb1EEEEDaS16_S17_EUlS16_E_NS1_11comp_targetILNS1_3genE0ELNS1_11target_archE4294967295ELNS1_3gpuE0ELNS1_3repE0EEENS1_30default_config_static_selectorELNS0_4arch9wavefront6targetE0EEEvT1_
	.p2align	8
	.type	_ZN7rocprim17ROCPRIM_400000_NS6detail17trampoline_kernelINS0_14default_configENS1_25partition_config_selectorILNS1_17partition_subalgoE5ElNS0_10empty_typeEbEEZZNS1_14partition_implILS5_5ELb0ES3_mN6hipcub16HIPCUB_304000_NS21CountingInputIteratorIllEEPS6_NSA_22TransformInputIteratorIbN2at6native12_GLOBAL__N_19NonZeroOpIsEEPKslEENS0_5tupleIJPlS6_EEENSN_IJSD_SD_EEES6_PiJS6_EEE10hipError_tPvRmT3_T4_T5_T6_T7_T9_mT8_P12ihipStream_tbDpT10_ENKUlT_T0_E_clISt17integral_constantIbLb0EES1A_IbLb1EEEEDaS16_S17_EUlS16_E_NS1_11comp_targetILNS1_3genE0ELNS1_11target_archE4294967295ELNS1_3gpuE0ELNS1_3repE0EEENS1_30default_config_static_selectorELNS0_4arch9wavefront6targetE0EEEvT1_,@function
_ZN7rocprim17ROCPRIM_400000_NS6detail17trampoline_kernelINS0_14default_configENS1_25partition_config_selectorILNS1_17partition_subalgoE5ElNS0_10empty_typeEbEEZZNS1_14partition_implILS5_5ELb0ES3_mN6hipcub16HIPCUB_304000_NS21CountingInputIteratorIllEEPS6_NSA_22TransformInputIteratorIbN2at6native12_GLOBAL__N_19NonZeroOpIsEEPKslEENS0_5tupleIJPlS6_EEENSN_IJSD_SD_EEES6_PiJS6_EEE10hipError_tPvRmT3_T4_T5_T6_T7_T9_mT8_P12ihipStream_tbDpT10_ENKUlT_T0_E_clISt17integral_constantIbLb0EES1A_IbLb1EEEEDaS16_S17_EUlS16_E_NS1_11comp_targetILNS1_3genE0ELNS1_11target_archE4294967295ELNS1_3gpuE0ELNS1_3repE0EEENS1_30default_config_static_selectorELNS0_4arch9wavefront6targetE0EEEvT1_: ; @_ZN7rocprim17ROCPRIM_400000_NS6detail17trampoline_kernelINS0_14default_configENS1_25partition_config_selectorILNS1_17partition_subalgoE5ElNS0_10empty_typeEbEEZZNS1_14partition_implILS5_5ELb0ES3_mN6hipcub16HIPCUB_304000_NS21CountingInputIteratorIllEEPS6_NSA_22TransformInputIteratorIbN2at6native12_GLOBAL__N_19NonZeroOpIsEEPKslEENS0_5tupleIJPlS6_EEENSN_IJSD_SD_EEES6_PiJS6_EEE10hipError_tPvRmT3_T4_T5_T6_T7_T9_mT8_P12ihipStream_tbDpT10_ENKUlT_T0_E_clISt17integral_constantIbLb0EES1A_IbLb1EEEEDaS16_S17_EUlS16_E_NS1_11comp_targetILNS1_3genE0ELNS1_11target_archE4294967295ELNS1_3gpuE0ELNS1_3repE0EEENS1_30default_config_static_selectorELNS0_4arch9wavefront6targetE0EEEvT1_
; %bb.0:
	.section	.rodata,"a",@progbits
	.p2align	6, 0x0
	.amdhsa_kernel _ZN7rocprim17ROCPRIM_400000_NS6detail17trampoline_kernelINS0_14default_configENS1_25partition_config_selectorILNS1_17partition_subalgoE5ElNS0_10empty_typeEbEEZZNS1_14partition_implILS5_5ELb0ES3_mN6hipcub16HIPCUB_304000_NS21CountingInputIteratorIllEEPS6_NSA_22TransformInputIteratorIbN2at6native12_GLOBAL__N_19NonZeroOpIsEEPKslEENS0_5tupleIJPlS6_EEENSN_IJSD_SD_EEES6_PiJS6_EEE10hipError_tPvRmT3_T4_T5_T6_T7_T9_mT8_P12ihipStream_tbDpT10_ENKUlT_T0_E_clISt17integral_constantIbLb0EES1A_IbLb1EEEEDaS16_S17_EUlS16_E_NS1_11comp_targetILNS1_3genE0ELNS1_11target_archE4294967295ELNS1_3gpuE0ELNS1_3repE0EEENS1_30default_config_static_selectorELNS0_4arch9wavefront6targetE0EEEvT1_
		.amdhsa_group_segment_fixed_size 0
		.amdhsa_private_segment_fixed_size 0
		.amdhsa_kernarg_size 136
		.amdhsa_user_sgpr_count 15
		.amdhsa_user_sgpr_dispatch_ptr 0
		.amdhsa_user_sgpr_queue_ptr 0
		.amdhsa_user_sgpr_kernarg_segment_ptr 1
		.amdhsa_user_sgpr_dispatch_id 0
		.amdhsa_user_sgpr_private_segment_size 0
		.amdhsa_wavefront_size32 1
		.amdhsa_uses_dynamic_stack 0
		.amdhsa_enable_private_segment 0
		.amdhsa_system_sgpr_workgroup_id_x 1
		.amdhsa_system_sgpr_workgroup_id_y 0
		.amdhsa_system_sgpr_workgroup_id_z 0
		.amdhsa_system_sgpr_workgroup_info 0
		.amdhsa_system_vgpr_workitem_id 0
		.amdhsa_next_free_vgpr 1
		.amdhsa_next_free_sgpr 1
		.amdhsa_reserve_vcc 0
		.amdhsa_float_round_mode_32 0
		.amdhsa_float_round_mode_16_64 0
		.amdhsa_float_denorm_mode_32 3
		.amdhsa_float_denorm_mode_16_64 3
		.amdhsa_dx10_clamp 1
		.amdhsa_ieee_mode 1
		.amdhsa_fp16_overflow 0
		.amdhsa_workgroup_processor_mode 1
		.amdhsa_memory_ordered 1
		.amdhsa_forward_progress 0
		.amdhsa_shared_vgpr_count 0
		.amdhsa_exception_fp_ieee_invalid_op 0
		.amdhsa_exception_fp_denorm_src 0
		.amdhsa_exception_fp_ieee_div_zero 0
		.amdhsa_exception_fp_ieee_overflow 0
		.amdhsa_exception_fp_ieee_underflow 0
		.amdhsa_exception_fp_ieee_inexact 0
		.amdhsa_exception_int_div_zero 0
	.end_amdhsa_kernel
	.section	.text._ZN7rocprim17ROCPRIM_400000_NS6detail17trampoline_kernelINS0_14default_configENS1_25partition_config_selectorILNS1_17partition_subalgoE5ElNS0_10empty_typeEbEEZZNS1_14partition_implILS5_5ELb0ES3_mN6hipcub16HIPCUB_304000_NS21CountingInputIteratorIllEEPS6_NSA_22TransformInputIteratorIbN2at6native12_GLOBAL__N_19NonZeroOpIsEEPKslEENS0_5tupleIJPlS6_EEENSN_IJSD_SD_EEES6_PiJS6_EEE10hipError_tPvRmT3_T4_T5_T6_T7_T9_mT8_P12ihipStream_tbDpT10_ENKUlT_T0_E_clISt17integral_constantIbLb0EES1A_IbLb1EEEEDaS16_S17_EUlS16_E_NS1_11comp_targetILNS1_3genE0ELNS1_11target_archE4294967295ELNS1_3gpuE0ELNS1_3repE0EEENS1_30default_config_static_selectorELNS0_4arch9wavefront6targetE0EEEvT1_,"axG",@progbits,_ZN7rocprim17ROCPRIM_400000_NS6detail17trampoline_kernelINS0_14default_configENS1_25partition_config_selectorILNS1_17partition_subalgoE5ElNS0_10empty_typeEbEEZZNS1_14partition_implILS5_5ELb0ES3_mN6hipcub16HIPCUB_304000_NS21CountingInputIteratorIllEEPS6_NSA_22TransformInputIteratorIbN2at6native12_GLOBAL__N_19NonZeroOpIsEEPKslEENS0_5tupleIJPlS6_EEENSN_IJSD_SD_EEES6_PiJS6_EEE10hipError_tPvRmT3_T4_T5_T6_T7_T9_mT8_P12ihipStream_tbDpT10_ENKUlT_T0_E_clISt17integral_constantIbLb0EES1A_IbLb1EEEEDaS16_S17_EUlS16_E_NS1_11comp_targetILNS1_3genE0ELNS1_11target_archE4294967295ELNS1_3gpuE0ELNS1_3repE0EEENS1_30default_config_static_selectorELNS0_4arch9wavefront6targetE0EEEvT1_,comdat
.Lfunc_end346:
	.size	_ZN7rocprim17ROCPRIM_400000_NS6detail17trampoline_kernelINS0_14default_configENS1_25partition_config_selectorILNS1_17partition_subalgoE5ElNS0_10empty_typeEbEEZZNS1_14partition_implILS5_5ELb0ES3_mN6hipcub16HIPCUB_304000_NS21CountingInputIteratorIllEEPS6_NSA_22TransformInputIteratorIbN2at6native12_GLOBAL__N_19NonZeroOpIsEEPKslEENS0_5tupleIJPlS6_EEENSN_IJSD_SD_EEES6_PiJS6_EEE10hipError_tPvRmT3_T4_T5_T6_T7_T9_mT8_P12ihipStream_tbDpT10_ENKUlT_T0_E_clISt17integral_constantIbLb0EES1A_IbLb1EEEEDaS16_S17_EUlS16_E_NS1_11comp_targetILNS1_3genE0ELNS1_11target_archE4294967295ELNS1_3gpuE0ELNS1_3repE0EEENS1_30default_config_static_selectorELNS0_4arch9wavefront6targetE0EEEvT1_, .Lfunc_end346-_ZN7rocprim17ROCPRIM_400000_NS6detail17trampoline_kernelINS0_14default_configENS1_25partition_config_selectorILNS1_17partition_subalgoE5ElNS0_10empty_typeEbEEZZNS1_14partition_implILS5_5ELb0ES3_mN6hipcub16HIPCUB_304000_NS21CountingInputIteratorIllEEPS6_NSA_22TransformInputIteratorIbN2at6native12_GLOBAL__N_19NonZeroOpIsEEPKslEENS0_5tupleIJPlS6_EEENSN_IJSD_SD_EEES6_PiJS6_EEE10hipError_tPvRmT3_T4_T5_T6_T7_T9_mT8_P12ihipStream_tbDpT10_ENKUlT_T0_E_clISt17integral_constantIbLb0EES1A_IbLb1EEEEDaS16_S17_EUlS16_E_NS1_11comp_targetILNS1_3genE0ELNS1_11target_archE4294967295ELNS1_3gpuE0ELNS1_3repE0EEENS1_30default_config_static_selectorELNS0_4arch9wavefront6targetE0EEEvT1_
                                        ; -- End function
	.section	.AMDGPU.csdata,"",@progbits
; Kernel info:
; codeLenInByte = 0
; NumSgprs: 0
; NumVgprs: 0
; ScratchSize: 0
; MemoryBound: 0
; FloatMode: 240
; IeeeMode: 1
; LDSByteSize: 0 bytes/workgroup (compile time only)
; SGPRBlocks: 0
; VGPRBlocks: 0
; NumSGPRsForWavesPerEU: 1
; NumVGPRsForWavesPerEU: 1
; Occupancy: 16
; WaveLimiterHint : 0
; COMPUTE_PGM_RSRC2:SCRATCH_EN: 0
; COMPUTE_PGM_RSRC2:USER_SGPR: 15
; COMPUTE_PGM_RSRC2:TRAP_HANDLER: 0
; COMPUTE_PGM_RSRC2:TGID_X_EN: 1
; COMPUTE_PGM_RSRC2:TGID_Y_EN: 0
; COMPUTE_PGM_RSRC2:TGID_Z_EN: 0
; COMPUTE_PGM_RSRC2:TIDIG_COMP_CNT: 0
	.section	.text._ZN7rocprim17ROCPRIM_400000_NS6detail17trampoline_kernelINS0_14default_configENS1_25partition_config_selectorILNS1_17partition_subalgoE5ElNS0_10empty_typeEbEEZZNS1_14partition_implILS5_5ELb0ES3_mN6hipcub16HIPCUB_304000_NS21CountingInputIteratorIllEEPS6_NSA_22TransformInputIteratorIbN2at6native12_GLOBAL__N_19NonZeroOpIsEEPKslEENS0_5tupleIJPlS6_EEENSN_IJSD_SD_EEES6_PiJS6_EEE10hipError_tPvRmT3_T4_T5_T6_T7_T9_mT8_P12ihipStream_tbDpT10_ENKUlT_T0_E_clISt17integral_constantIbLb0EES1A_IbLb1EEEEDaS16_S17_EUlS16_E_NS1_11comp_targetILNS1_3genE5ELNS1_11target_archE942ELNS1_3gpuE9ELNS1_3repE0EEENS1_30default_config_static_selectorELNS0_4arch9wavefront6targetE0EEEvT1_,"axG",@progbits,_ZN7rocprim17ROCPRIM_400000_NS6detail17trampoline_kernelINS0_14default_configENS1_25partition_config_selectorILNS1_17partition_subalgoE5ElNS0_10empty_typeEbEEZZNS1_14partition_implILS5_5ELb0ES3_mN6hipcub16HIPCUB_304000_NS21CountingInputIteratorIllEEPS6_NSA_22TransformInputIteratorIbN2at6native12_GLOBAL__N_19NonZeroOpIsEEPKslEENS0_5tupleIJPlS6_EEENSN_IJSD_SD_EEES6_PiJS6_EEE10hipError_tPvRmT3_T4_T5_T6_T7_T9_mT8_P12ihipStream_tbDpT10_ENKUlT_T0_E_clISt17integral_constantIbLb0EES1A_IbLb1EEEEDaS16_S17_EUlS16_E_NS1_11comp_targetILNS1_3genE5ELNS1_11target_archE942ELNS1_3gpuE9ELNS1_3repE0EEENS1_30default_config_static_selectorELNS0_4arch9wavefront6targetE0EEEvT1_,comdat
	.globl	_ZN7rocprim17ROCPRIM_400000_NS6detail17trampoline_kernelINS0_14default_configENS1_25partition_config_selectorILNS1_17partition_subalgoE5ElNS0_10empty_typeEbEEZZNS1_14partition_implILS5_5ELb0ES3_mN6hipcub16HIPCUB_304000_NS21CountingInputIteratorIllEEPS6_NSA_22TransformInputIteratorIbN2at6native12_GLOBAL__N_19NonZeroOpIsEEPKslEENS0_5tupleIJPlS6_EEENSN_IJSD_SD_EEES6_PiJS6_EEE10hipError_tPvRmT3_T4_T5_T6_T7_T9_mT8_P12ihipStream_tbDpT10_ENKUlT_T0_E_clISt17integral_constantIbLb0EES1A_IbLb1EEEEDaS16_S17_EUlS16_E_NS1_11comp_targetILNS1_3genE5ELNS1_11target_archE942ELNS1_3gpuE9ELNS1_3repE0EEENS1_30default_config_static_selectorELNS0_4arch9wavefront6targetE0EEEvT1_ ; -- Begin function _ZN7rocprim17ROCPRIM_400000_NS6detail17trampoline_kernelINS0_14default_configENS1_25partition_config_selectorILNS1_17partition_subalgoE5ElNS0_10empty_typeEbEEZZNS1_14partition_implILS5_5ELb0ES3_mN6hipcub16HIPCUB_304000_NS21CountingInputIteratorIllEEPS6_NSA_22TransformInputIteratorIbN2at6native12_GLOBAL__N_19NonZeroOpIsEEPKslEENS0_5tupleIJPlS6_EEENSN_IJSD_SD_EEES6_PiJS6_EEE10hipError_tPvRmT3_T4_T5_T6_T7_T9_mT8_P12ihipStream_tbDpT10_ENKUlT_T0_E_clISt17integral_constantIbLb0EES1A_IbLb1EEEEDaS16_S17_EUlS16_E_NS1_11comp_targetILNS1_3genE5ELNS1_11target_archE942ELNS1_3gpuE9ELNS1_3repE0EEENS1_30default_config_static_selectorELNS0_4arch9wavefront6targetE0EEEvT1_
	.p2align	8
	.type	_ZN7rocprim17ROCPRIM_400000_NS6detail17trampoline_kernelINS0_14default_configENS1_25partition_config_selectorILNS1_17partition_subalgoE5ElNS0_10empty_typeEbEEZZNS1_14partition_implILS5_5ELb0ES3_mN6hipcub16HIPCUB_304000_NS21CountingInputIteratorIllEEPS6_NSA_22TransformInputIteratorIbN2at6native12_GLOBAL__N_19NonZeroOpIsEEPKslEENS0_5tupleIJPlS6_EEENSN_IJSD_SD_EEES6_PiJS6_EEE10hipError_tPvRmT3_T4_T5_T6_T7_T9_mT8_P12ihipStream_tbDpT10_ENKUlT_T0_E_clISt17integral_constantIbLb0EES1A_IbLb1EEEEDaS16_S17_EUlS16_E_NS1_11comp_targetILNS1_3genE5ELNS1_11target_archE942ELNS1_3gpuE9ELNS1_3repE0EEENS1_30default_config_static_selectorELNS0_4arch9wavefront6targetE0EEEvT1_,@function
_ZN7rocprim17ROCPRIM_400000_NS6detail17trampoline_kernelINS0_14default_configENS1_25partition_config_selectorILNS1_17partition_subalgoE5ElNS0_10empty_typeEbEEZZNS1_14partition_implILS5_5ELb0ES3_mN6hipcub16HIPCUB_304000_NS21CountingInputIteratorIllEEPS6_NSA_22TransformInputIteratorIbN2at6native12_GLOBAL__N_19NonZeroOpIsEEPKslEENS0_5tupleIJPlS6_EEENSN_IJSD_SD_EEES6_PiJS6_EEE10hipError_tPvRmT3_T4_T5_T6_T7_T9_mT8_P12ihipStream_tbDpT10_ENKUlT_T0_E_clISt17integral_constantIbLb0EES1A_IbLb1EEEEDaS16_S17_EUlS16_E_NS1_11comp_targetILNS1_3genE5ELNS1_11target_archE942ELNS1_3gpuE9ELNS1_3repE0EEENS1_30default_config_static_selectorELNS0_4arch9wavefront6targetE0EEEvT1_: ; @_ZN7rocprim17ROCPRIM_400000_NS6detail17trampoline_kernelINS0_14default_configENS1_25partition_config_selectorILNS1_17partition_subalgoE5ElNS0_10empty_typeEbEEZZNS1_14partition_implILS5_5ELb0ES3_mN6hipcub16HIPCUB_304000_NS21CountingInputIteratorIllEEPS6_NSA_22TransformInputIteratorIbN2at6native12_GLOBAL__N_19NonZeroOpIsEEPKslEENS0_5tupleIJPlS6_EEENSN_IJSD_SD_EEES6_PiJS6_EEE10hipError_tPvRmT3_T4_T5_T6_T7_T9_mT8_P12ihipStream_tbDpT10_ENKUlT_T0_E_clISt17integral_constantIbLb0EES1A_IbLb1EEEEDaS16_S17_EUlS16_E_NS1_11comp_targetILNS1_3genE5ELNS1_11target_archE942ELNS1_3gpuE9ELNS1_3repE0EEENS1_30default_config_static_selectorELNS0_4arch9wavefront6targetE0EEEvT1_
; %bb.0:
	.section	.rodata,"a",@progbits
	.p2align	6, 0x0
	.amdhsa_kernel _ZN7rocprim17ROCPRIM_400000_NS6detail17trampoline_kernelINS0_14default_configENS1_25partition_config_selectorILNS1_17partition_subalgoE5ElNS0_10empty_typeEbEEZZNS1_14partition_implILS5_5ELb0ES3_mN6hipcub16HIPCUB_304000_NS21CountingInputIteratorIllEEPS6_NSA_22TransformInputIteratorIbN2at6native12_GLOBAL__N_19NonZeroOpIsEEPKslEENS0_5tupleIJPlS6_EEENSN_IJSD_SD_EEES6_PiJS6_EEE10hipError_tPvRmT3_T4_T5_T6_T7_T9_mT8_P12ihipStream_tbDpT10_ENKUlT_T0_E_clISt17integral_constantIbLb0EES1A_IbLb1EEEEDaS16_S17_EUlS16_E_NS1_11comp_targetILNS1_3genE5ELNS1_11target_archE942ELNS1_3gpuE9ELNS1_3repE0EEENS1_30default_config_static_selectorELNS0_4arch9wavefront6targetE0EEEvT1_
		.amdhsa_group_segment_fixed_size 0
		.amdhsa_private_segment_fixed_size 0
		.amdhsa_kernarg_size 136
		.amdhsa_user_sgpr_count 15
		.amdhsa_user_sgpr_dispatch_ptr 0
		.amdhsa_user_sgpr_queue_ptr 0
		.amdhsa_user_sgpr_kernarg_segment_ptr 1
		.amdhsa_user_sgpr_dispatch_id 0
		.amdhsa_user_sgpr_private_segment_size 0
		.amdhsa_wavefront_size32 1
		.amdhsa_uses_dynamic_stack 0
		.amdhsa_enable_private_segment 0
		.amdhsa_system_sgpr_workgroup_id_x 1
		.amdhsa_system_sgpr_workgroup_id_y 0
		.amdhsa_system_sgpr_workgroup_id_z 0
		.amdhsa_system_sgpr_workgroup_info 0
		.amdhsa_system_vgpr_workitem_id 0
		.amdhsa_next_free_vgpr 1
		.amdhsa_next_free_sgpr 1
		.amdhsa_reserve_vcc 0
		.amdhsa_float_round_mode_32 0
		.amdhsa_float_round_mode_16_64 0
		.amdhsa_float_denorm_mode_32 3
		.amdhsa_float_denorm_mode_16_64 3
		.amdhsa_dx10_clamp 1
		.amdhsa_ieee_mode 1
		.amdhsa_fp16_overflow 0
		.amdhsa_workgroup_processor_mode 1
		.amdhsa_memory_ordered 1
		.amdhsa_forward_progress 0
		.amdhsa_shared_vgpr_count 0
		.amdhsa_exception_fp_ieee_invalid_op 0
		.amdhsa_exception_fp_denorm_src 0
		.amdhsa_exception_fp_ieee_div_zero 0
		.amdhsa_exception_fp_ieee_overflow 0
		.amdhsa_exception_fp_ieee_underflow 0
		.amdhsa_exception_fp_ieee_inexact 0
		.amdhsa_exception_int_div_zero 0
	.end_amdhsa_kernel
	.section	.text._ZN7rocprim17ROCPRIM_400000_NS6detail17trampoline_kernelINS0_14default_configENS1_25partition_config_selectorILNS1_17partition_subalgoE5ElNS0_10empty_typeEbEEZZNS1_14partition_implILS5_5ELb0ES3_mN6hipcub16HIPCUB_304000_NS21CountingInputIteratorIllEEPS6_NSA_22TransformInputIteratorIbN2at6native12_GLOBAL__N_19NonZeroOpIsEEPKslEENS0_5tupleIJPlS6_EEENSN_IJSD_SD_EEES6_PiJS6_EEE10hipError_tPvRmT3_T4_T5_T6_T7_T9_mT8_P12ihipStream_tbDpT10_ENKUlT_T0_E_clISt17integral_constantIbLb0EES1A_IbLb1EEEEDaS16_S17_EUlS16_E_NS1_11comp_targetILNS1_3genE5ELNS1_11target_archE942ELNS1_3gpuE9ELNS1_3repE0EEENS1_30default_config_static_selectorELNS0_4arch9wavefront6targetE0EEEvT1_,"axG",@progbits,_ZN7rocprim17ROCPRIM_400000_NS6detail17trampoline_kernelINS0_14default_configENS1_25partition_config_selectorILNS1_17partition_subalgoE5ElNS0_10empty_typeEbEEZZNS1_14partition_implILS5_5ELb0ES3_mN6hipcub16HIPCUB_304000_NS21CountingInputIteratorIllEEPS6_NSA_22TransformInputIteratorIbN2at6native12_GLOBAL__N_19NonZeroOpIsEEPKslEENS0_5tupleIJPlS6_EEENSN_IJSD_SD_EEES6_PiJS6_EEE10hipError_tPvRmT3_T4_T5_T6_T7_T9_mT8_P12ihipStream_tbDpT10_ENKUlT_T0_E_clISt17integral_constantIbLb0EES1A_IbLb1EEEEDaS16_S17_EUlS16_E_NS1_11comp_targetILNS1_3genE5ELNS1_11target_archE942ELNS1_3gpuE9ELNS1_3repE0EEENS1_30default_config_static_selectorELNS0_4arch9wavefront6targetE0EEEvT1_,comdat
.Lfunc_end347:
	.size	_ZN7rocprim17ROCPRIM_400000_NS6detail17trampoline_kernelINS0_14default_configENS1_25partition_config_selectorILNS1_17partition_subalgoE5ElNS0_10empty_typeEbEEZZNS1_14partition_implILS5_5ELb0ES3_mN6hipcub16HIPCUB_304000_NS21CountingInputIteratorIllEEPS6_NSA_22TransformInputIteratorIbN2at6native12_GLOBAL__N_19NonZeroOpIsEEPKslEENS0_5tupleIJPlS6_EEENSN_IJSD_SD_EEES6_PiJS6_EEE10hipError_tPvRmT3_T4_T5_T6_T7_T9_mT8_P12ihipStream_tbDpT10_ENKUlT_T0_E_clISt17integral_constantIbLb0EES1A_IbLb1EEEEDaS16_S17_EUlS16_E_NS1_11comp_targetILNS1_3genE5ELNS1_11target_archE942ELNS1_3gpuE9ELNS1_3repE0EEENS1_30default_config_static_selectorELNS0_4arch9wavefront6targetE0EEEvT1_, .Lfunc_end347-_ZN7rocprim17ROCPRIM_400000_NS6detail17trampoline_kernelINS0_14default_configENS1_25partition_config_selectorILNS1_17partition_subalgoE5ElNS0_10empty_typeEbEEZZNS1_14partition_implILS5_5ELb0ES3_mN6hipcub16HIPCUB_304000_NS21CountingInputIteratorIllEEPS6_NSA_22TransformInputIteratorIbN2at6native12_GLOBAL__N_19NonZeroOpIsEEPKslEENS0_5tupleIJPlS6_EEENSN_IJSD_SD_EEES6_PiJS6_EEE10hipError_tPvRmT3_T4_T5_T6_T7_T9_mT8_P12ihipStream_tbDpT10_ENKUlT_T0_E_clISt17integral_constantIbLb0EES1A_IbLb1EEEEDaS16_S17_EUlS16_E_NS1_11comp_targetILNS1_3genE5ELNS1_11target_archE942ELNS1_3gpuE9ELNS1_3repE0EEENS1_30default_config_static_selectorELNS0_4arch9wavefront6targetE0EEEvT1_
                                        ; -- End function
	.section	.AMDGPU.csdata,"",@progbits
; Kernel info:
; codeLenInByte = 0
; NumSgprs: 0
; NumVgprs: 0
; ScratchSize: 0
; MemoryBound: 0
; FloatMode: 240
; IeeeMode: 1
; LDSByteSize: 0 bytes/workgroup (compile time only)
; SGPRBlocks: 0
; VGPRBlocks: 0
; NumSGPRsForWavesPerEU: 1
; NumVGPRsForWavesPerEU: 1
; Occupancy: 16
; WaveLimiterHint : 0
; COMPUTE_PGM_RSRC2:SCRATCH_EN: 0
; COMPUTE_PGM_RSRC2:USER_SGPR: 15
; COMPUTE_PGM_RSRC2:TRAP_HANDLER: 0
; COMPUTE_PGM_RSRC2:TGID_X_EN: 1
; COMPUTE_PGM_RSRC2:TGID_Y_EN: 0
; COMPUTE_PGM_RSRC2:TGID_Z_EN: 0
; COMPUTE_PGM_RSRC2:TIDIG_COMP_CNT: 0
	.section	.text._ZN7rocprim17ROCPRIM_400000_NS6detail17trampoline_kernelINS0_14default_configENS1_25partition_config_selectorILNS1_17partition_subalgoE5ElNS0_10empty_typeEbEEZZNS1_14partition_implILS5_5ELb0ES3_mN6hipcub16HIPCUB_304000_NS21CountingInputIteratorIllEEPS6_NSA_22TransformInputIteratorIbN2at6native12_GLOBAL__N_19NonZeroOpIsEEPKslEENS0_5tupleIJPlS6_EEENSN_IJSD_SD_EEES6_PiJS6_EEE10hipError_tPvRmT3_T4_T5_T6_T7_T9_mT8_P12ihipStream_tbDpT10_ENKUlT_T0_E_clISt17integral_constantIbLb0EES1A_IbLb1EEEEDaS16_S17_EUlS16_E_NS1_11comp_targetILNS1_3genE4ELNS1_11target_archE910ELNS1_3gpuE8ELNS1_3repE0EEENS1_30default_config_static_selectorELNS0_4arch9wavefront6targetE0EEEvT1_,"axG",@progbits,_ZN7rocprim17ROCPRIM_400000_NS6detail17trampoline_kernelINS0_14default_configENS1_25partition_config_selectorILNS1_17partition_subalgoE5ElNS0_10empty_typeEbEEZZNS1_14partition_implILS5_5ELb0ES3_mN6hipcub16HIPCUB_304000_NS21CountingInputIteratorIllEEPS6_NSA_22TransformInputIteratorIbN2at6native12_GLOBAL__N_19NonZeroOpIsEEPKslEENS0_5tupleIJPlS6_EEENSN_IJSD_SD_EEES6_PiJS6_EEE10hipError_tPvRmT3_T4_T5_T6_T7_T9_mT8_P12ihipStream_tbDpT10_ENKUlT_T0_E_clISt17integral_constantIbLb0EES1A_IbLb1EEEEDaS16_S17_EUlS16_E_NS1_11comp_targetILNS1_3genE4ELNS1_11target_archE910ELNS1_3gpuE8ELNS1_3repE0EEENS1_30default_config_static_selectorELNS0_4arch9wavefront6targetE0EEEvT1_,comdat
	.globl	_ZN7rocprim17ROCPRIM_400000_NS6detail17trampoline_kernelINS0_14default_configENS1_25partition_config_selectorILNS1_17partition_subalgoE5ElNS0_10empty_typeEbEEZZNS1_14partition_implILS5_5ELb0ES3_mN6hipcub16HIPCUB_304000_NS21CountingInputIteratorIllEEPS6_NSA_22TransformInputIteratorIbN2at6native12_GLOBAL__N_19NonZeroOpIsEEPKslEENS0_5tupleIJPlS6_EEENSN_IJSD_SD_EEES6_PiJS6_EEE10hipError_tPvRmT3_T4_T5_T6_T7_T9_mT8_P12ihipStream_tbDpT10_ENKUlT_T0_E_clISt17integral_constantIbLb0EES1A_IbLb1EEEEDaS16_S17_EUlS16_E_NS1_11comp_targetILNS1_3genE4ELNS1_11target_archE910ELNS1_3gpuE8ELNS1_3repE0EEENS1_30default_config_static_selectorELNS0_4arch9wavefront6targetE0EEEvT1_ ; -- Begin function _ZN7rocprim17ROCPRIM_400000_NS6detail17trampoline_kernelINS0_14default_configENS1_25partition_config_selectorILNS1_17partition_subalgoE5ElNS0_10empty_typeEbEEZZNS1_14partition_implILS5_5ELb0ES3_mN6hipcub16HIPCUB_304000_NS21CountingInputIteratorIllEEPS6_NSA_22TransformInputIteratorIbN2at6native12_GLOBAL__N_19NonZeroOpIsEEPKslEENS0_5tupleIJPlS6_EEENSN_IJSD_SD_EEES6_PiJS6_EEE10hipError_tPvRmT3_T4_T5_T6_T7_T9_mT8_P12ihipStream_tbDpT10_ENKUlT_T0_E_clISt17integral_constantIbLb0EES1A_IbLb1EEEEDaS16_S17_EUlS16_E_NS1_11comp_targetILNS1_3genE4ELNS1_11target_archE910ELNS1_3gpuE8ELNS1_3repE0EEENS1_30default_config_static_selectorELNS0_4arch9wavefront6targetE0EEEvT1_
	.p2align	8
	.type	_ZN7rocprim17ROCPRIM_400000_NS6detail17trampoline_kernelINS0_14default_configENS1_25partition_config_selectorILNS1_17partition_subalgoE5ElNS0_10empty_typeEbEEZZNS1_14partition_implILS5_5ELb0ES3_mN6hipcub16HIPCUB_304000_NS21CountingInputIteratorIllEEPS6_NSA_22TransformInputIteratorIbN2at6native12_GLOBAL__N_19NonZeroOpIsEEPKslEENS0_5tupleIJPlS6_EEENSN_IJSD_SD_EEES6_PiJS6_EEE10hipError_tPvRmT3_T4_T5_T6_T7_T9_mT8_P12ihipStream_tbDpT10_ENKUlT_T0_E_clISt17integral_constantIbLb0EES1A_IbLb1EEEEDaS16_S17_EUlS16_E_NS1_11comp_targetILNS1_3genE4ELNS1_11target_archE910ELNS1_3gpuE8ELNS1_3repE0EEENS1_30default_config_static_selectorELNS0_4arch9wavefront6targetE0EEEvT1_,@function
_ZN7rocprim17ROCPRIM_400000_NS6detail17trampoline_kernelINS0_14default_configENS1_25partition_config_selectorILNS1_17partition_subalgoE5ElNS0_10empty_typeEbEEZZNS1_14partition_implILS5_5ELb0ES3_mN6hipcub16HIPCUB_304000_NS21CountingInputIteratorIllEEPS6_NSA_22TransformInputIteratorIbN2at6native12_GLOBAL__N_19NonZeroOpIsEEPKslEENS0_5tupleIJPlS6_EEENSN_IJSD_SD_EEES6_PiJS6_EEE10hipError_tPvRmT3_T4_T5_T6_T7_T9_mT8_P12ihipStream_tbDpT10_ENKUlT_T0_E_clISt17integral_constantIbLb0EES1A_IbLb1EEEEDaS16_S17_EUlS16_E_NS1_11comp_targetILNS1_3genE4ELNS1_11target_archE910ELNS1_3gpuE8ELNS1_3repE0EEENS1_30default_config_static_selectorELNS0_4arch9wavefront6targetE0EEEvT1_: ; @_ZN7rocprim17ROCPRIM_400000_NS6detail17trampoline_kernelINS0_14default_configENS1_25partition_config_selectorILNS1_17partition_subalgoE5ElNS0_10empty_typeEbEEZZNS1_14partition_implILS5_5ELb0ES3_mN6hipcub16HIPCUB_304000_NS21CountingInputIteratorIllEEPS6_NSA_22TransformInputIteratorIbN2at6native12_GLOBAL__N_19NonZeroOpIsEEPKslEENS0_5tupleIJPlS6_EEENSN_IJSD_SD_EEES6_PiJS6_EEE10hipError_tPvRmT3_T4_T5_T6_T7_T9_mT8_P12ihipStream_tbDpT10_ENKUlT_T0_E_clISt17integral_constantIbLb0EES1A_IbLb1EEEEDaS16_S17_EUlS16_E_NS1_11comp_targetILNS1_3genE4ELNS1_11target_archE910ELNS1_3gpuE8ELNS1_3repE0EEENS1_30default_config_static_selectorELNS0_4arch9wavefront6targetE0EEEvT1_
; %bb.0:
	.section	.rodata,"a",@progbits
	.p2align	6, 0x0
	.amdhsa_kernel _ZN7rocprim17ROCPRIM_400000_NS6detail17trampoline_kernelINS0_14default_configENS1_25partition_config_selectorILNS1_17partition_subalgoE5ElNS0_10empty_typeEbEEZZNS1_14partition_implILS5_5ELb0ES3_mN6hipcub16HIPCUB_304000_NS21CountingInputIteratorIllEEPS6_NSA_22TransformInputIteratorIbN2at6native12_GLOBAL__N_19NonZeroOpIsEEPKslEENS0_5tupleIJPlS6_EEENSN_IJSD_SD_EEES6_PiJS6_EEE10hipError_tPvRmT3_T4_T5_T6_T7_T9_mT8_P12ihipStream_tbDpT10_ENKUlT_T0_E_clISt17integral_constantIbLb0EES1A_IbLb1EEEEDaS16_S17_EUlS16_E_NS1_11comp_targetILNS1_3genE4ELNS1_11target_archE910ELNS1_3gpuE8ELNS1_3repE0EEENS1_30default_config_static_selectorELNS0_4arch9wavefront6targetE0EEEvT1_
		.amdhsa_group_segment_fixed_size 0
		.amdhsa_private_segment_fixed_size 0
		.amdhsa_kernarg_size 136
		.amdhsa_user_sgpr_count 15
		.amdhsa_user_sgpr_dispatch_ptr 0
		.amdhsa_user_sgpr_queue_ptr 0
		.amdhsa_user_sgpr_kernarg_segment_ptr 1
		.amdhsa_user_sgpr_dispatch_id 0
		.amdhsa_user_sgpr_private_segment_size 0
		.amdhsa_wavefront_size32 1
		.amdhsa_uses_dynamic_stack 0
		.amdhsa_enable_private_segment 0
		.amdhsa_system_sgpr_workgroup_id_x 1
		.amdhsa_system_sgpr_workgroup_id_y 0
		.amdhsa_system_sgpr_workgroup_id_z 0
		.amdhsa_system_sgpr_workgroup_info 0
		.amdhsa_system_vgpr_workitem_id 0
		.amdhsa_next_free_vgpr 1
		.amdhsa_next_free_sgpr 1
		.amdhsa_reserve_vcc 0
		.amdhsa_float_round_mode_32 0
		.amdhsa_float_round_mode_16_64 0
		.amdhsa_float_denorm_mode_32 3
		.amdhsa_float_denorm_mode_16_64 3
		.amdhsa_dx10_clamp 1
		.amdhsa_ieee_mode 1
		.amdhsa_fp16_overflow 0
		.amdhsa_workgroup_processor_mode 1
		.amdhsa_memory_ordered 1
		.amdhsa_forward_progress 0
		.amdhsa_shared_vgpr_count 0
		.amdhsa_exception_fp_ieee_invalid_op 0
		.amdhsa_exception_fp_denorm_src 0
		.amdhsa_exception_fp_ieee_div_zero 0
		.amdhsa_exception_fp_ieee_overflow 0
		.amdhsa_exception_fp_ieee_underflow 0
		.amdhsa_exception_fp_ieee_inexact 0
		.amdhsa_exception_int_div_zero 0
	.end_amdhsa_kernel
	.section	.text._ZN7rocprim17ROCPRIM_400000_NS6detail17trampoline_kernelINS0_14default_configENS1_25partition_config_selectorILNS1_17partition_subalgoE5ElNS0_10empty_typeEbEEZZNS1_14partition_implILS5_5ELb0ES3_mN6hipcub16HIPCUB_304000_NS21CountingInputIteratorIllEEPS6_NSA_22TransformInputIteratorIbN2at6native12_GLOBAL__N_19NonZeroOpIsEEPKslEENS0_5tupleIJPlS6_EEENSN_IJSD_SD_EEES6_PiJS6_EEE10hipError_tPvRmT3_T4_T5_T6_T7_T9_mT8_P12ihipStream_tbDpT10_ENKUlT_T0_E_clISt17integral_constantIbLb0EES1A_IbLb1EEEEDaS16_S17_EUlS16_E_NS1_11comp_targetILNS1_3genE4ELNS1_11target_archE910ELNS1_3gpuE8ELNS1_3repE0EEENS1_30default_config_static_selectorELNS0_4arch9wavefront6targetE0EEEvT1_,"axG",@progbits,_ZN7rocprim17ROCPRIM_400000_NS6detail17trampoline_kernelINS0_14default_configENS1_25partition_config_selectorILNS1_17partition_subalgoE5ElNS0_10empty_typeEbEEZZNS1_14partition_implILS5_5ELb0ES3_mN6hipcub16HIPCUB_304000_NS21CountingInputIteratorIllEEPS6_NSA_22TransformInputIteratorIbN2at6native12_GLOBAL__N_19NonZeroOpIsEEPKslEENS0_5tupleIJPlS6_EEENSN_IJSD_SD_EEES6_PiJS6_EEE10hipError_tPvRmT3_T4_T5_T6_T7_T9_mT8_P12ihipStream_tbDpT10_ENKUlT_T0_E_clISt17integral_constantIbLb0EES1A_IbLb1EEEEDaS16_S17_EUlS16_E_NS1_11comp_targetILNS1_3genE4ELNS1_11target_archE910ELNS1_3gpuE8ELNS1_3repE0EEENS1_30default_config_static_selectorELNS0_4arch9wavefront6targetE0EEEvT1_,comdat
.Lfunc_end348:
	.size	_ZN7rocprim17ROCPRIM_400000_NS6detail17trampoline_kernelINS0_14default_configENS1_25partition_config_selectorILNS1_17partition_subalgoE5ElNS0_10empty_typeEbEEZZNS1_14partition_implILS5_5ELb0ES3_mN6hipcub16HIPCUB_304000_NS21CountingInputIteratorIllEEPS6_NSA_22TransformInputIteratorIbN2at6native12_GLOBAL__N_19NonZeroOpIsEEPKslEENS0_5tupleIJPlS6_EEENSN_IJSD_SD_EEES6_PiJS6_EEE10hipError_tPvRmT3_T4_T5_T6_T7_T9_mT8_P12ihipStream_tbDpT10_ENKUlT_T0_E_clISt17integral_constantIbLb0EES1A_IbLb1EEEEDaS16_S17_EUlS16_E_NS1_11comp_targetILNS1_3genE4ELNS1_11target_archE910ELNS1_3gpuE8ELNS1_3repE0EEENS1_30default_config_static_selectorELNS0_4arch9wavefront6targetE0EEEvT1_, .Lfunc_end348-_ZN7rocprim17ROCPRIM_400000_NS6detail17trampoline_kernelINS0_14default_configENS1_25partition_config_selectorILNS1_17partition_subalgoE5ElNS0_10empty_typeEbEEZZNS1_14partition_implILS5_5ELb0ES3_mN6hipcub16HIPCUB_304000_NS21CountingInputIteratorIllEEPS6_NSA_22TransformInputIteratorIbN2at6native12_GLOBAL__N_19NonZeroOpIsEEPKslEENS0_5tupleIJPlS6_EEENSN_IJSD_SD_EEES6_PiJS6_EEE10hipError_tPvRmT3_T4_T5_T6_T7_T9_mT8_P12ihipStream_tbDpT10_ENKUlT_T0_E_clISt17integral_constantIbLb0EES1A_IbLb1EEEEDaS16_S17_EUlS16_E_NS1_11comp_targetILNS1_3genE4ELNS1_11target_archE910ELNS1_3gpuE8ELNS1_3repE0EEENS1_30default_config_static_selectorELNS0_4arch9wavefront6targetE0EEEvT1_
                                        ; -- End function
	.section	.AMDGPU.csdata,"",@progbits
; Kernel info:
; codeLenInByte = 0
; NumSgprs: 0
; NumVgprs: 0
; ScratchSize: 0
; MemoryBound: 0
; FloatMode: 240
; IeeeMode: 1
; LDSByteSize: 0 bytes/workgroup (compile time only)
; SGPRBlocks: 0
; VGPRBlocks: 0
; NumSGPRsForWavesPerEU: 1
; NumVGPRsForWavesPerEU: 1
; Occupancy: 15
; WaveLimiterHint : 0
; COMPUTE_PGM_RSRC2:SCRATCH_EN: 0
; COMPUTE_PGM_RSRC2:USER_SGPR: 15
; COMPUTE_PGM_RSRC2:TRAP_HANDLER: 0
; COMPUTE_PGM_RSRC2:TGID_X_EN: 1
; COMPUTE_PGM_RSRC2:TGID_Y_EN: 0
; COMPUTE_PGM_RSRC2:TGID_Z_EN: 0
; COMPUTE_PGM_RSRC2:TIDIG_COMP_CNT: 0
	.section	.text._ZN7rocprim17ROCPRIM_400000_NS6detail17trampoline_kernelINS0_14default_configENS1_25partition_config_selectorILNS1_17partition_subalgoE5ElNS0_10empty_typeEbEEZZNS1_14partition_implILS5_5ELb0ES3_mN6hipcub16HIPCUB_304000_NS21CountingInputIteratorIllEEPS6_NSA_22TransformInputIteratorIbN2at6native12_GLOBAL__N_19NonZeroOpIsEEPKslEENS0_5tupleIJPlS6_EEENSN_IJSD_SD_EEES6_PiJS6_EEE10hipError_tPvRmT3_T4_T5_T6_T7_T9_mT8_P12ihipStream_tbDpT10_ENKUlT_T0_E_clISt17integral_constantIbLb0EES1A_IbLb1EEEEDaS16_S17_EUlS16_E_NS1_11comp_targetILNS1_3genE3ELNS1_11target_archE908ELNS1_3gpuE7ELNS1_3repE0EEENS1_30default_config_static_selectorELNS0_4arch9wavefront6targetE0EEEvT1_,"axG",@progbits,_ZN7rocprim17ROCPRIM_400000_NS6detail17trampoline_kernelINS0_14default_configENS1_25partition_config_selectorILNS1_17partition_subalgoE5ElNS0_10empty_typeEbEEZZNS1_14partition_implILS5_5ELb0ES3_mN6hipcub16HIPCUB_304000_NS21CountingInputIteratorIllEEPS6_NSA_22TransformInputIteratorIbN2at6native12_GLOBAL__N_19NonZeroOpIsEEPKslEENS0_5tupleIJPlS6_EEENSN_IJSD_SD_EEES6_PiJS6_EEE10hipError_tPvRmT3_T4_T5_T6_T7_T9_mT8_P12ihipStream_tbDpT10_ENKUlT_T0_E_clISt17integral_constantIbLb0EES1A_IbLb1EEEEDaS16_S17_EUlS16_E_NS1_11comp_targetILNS1_3genE3ELNS1_11target_archE908ELNS1_3gpuE7ELNS1_3repE0EEENS1_30default_config_static_selectorELNS0_4arch9wavefront6targetE0EEEvT1_,comdat
	.globl	_ZN7rocprim17ROCPRIM_400000_NS6detail17trampoline_kernelINS0_14default_configENS1_25partition_config_selectorILNS1_17partition_subalgoE5ElNS0_10empty_typeEbEEZZNS1_14partition_implILS5_5ELb0ES3_mN6hipcub16HIPCUB_304000_NS21CountingInputIteratorIllEEPS6_NSA_22TransformInputIteratorIbN2at6native12_GLOBAL__N_19NonZeroOpIsEEPKslEENS0_5tupleIJPlS6_EEENSN_IJSD_SD_EEES6_PiJS6_EEE10hipError_tPvRmT3_T4_T5_T6_T7_T9_mT8_P12ihipStream_tbDpT10_ENKUlT_T0_E_clISt17integral_constantIbLb0EES1A_IbLb1EEEEDaS16_S17_EUlS16_E_NS1_11comp_targetILNS1_3genE3ELNS1_11target_archE908ELNS1_3gpuE7ELNS1_3repE0EEENS1_30default_config_static_selectorELNS0_4arch9wavefront6targetE0EEEvT1_ ; -- Begin function _ZN7rocprim17ROCPRIM_400000_NS6detail17trampoline_kernelINS0_14default_configENS1_25partition_config_selectorILNS1_17partition_subalgoE5ElNS0_10empty_typeEbEEZZNS1_14partition_implILS5_5ELb0ES3_mN6hipcub16HIPCUB_304000_NS21CountingInputIteratorIllEEPS6_NSA_22TransformInputIteratorIbN2at6native12_GLOBAL__N_19NonZeroOpIsEEPKslEENS0_5tupleIJPlS6_EEENSN_IJSD_SD_EEES6_PiJS6_EEE10hipError_tPvRmT3_T4_T5_T6_T7_T9_mT8_P12ihipStream_tbDpT10_ENKUlT_T0_E_clISt17integral_constantIbLb0EES1A_IbLb1EEEEDaS16_S17_EUlS16_E_NS1_11comp_targetILNS1_3genE3ELNS1_11target_archE908ELNS1_3gpuE7ELNS1_3repE0EEENS1_30default_config_static_selectorELNS0_4arch9wavefront6targetE0EEEvT1_
	.p2align	8
	.type	_ZN7rocprim17ROCPRIM_400000_NS6detail17trampoline_kernelINS0_14default_configENS1_25partition_config_selectorILNS1_17partition_subalgoE5ElNS0_10empty_typeEbEEZZNS1_14partition_implILS5_5ELb0ES3_mN6hipcub16HIPCUB_304000_NS21CountingInputIteratorIllEEPS6_NSA_22TransformInputIteratorIbN2at6native12_GLOBAL__N_19NonZeroOpIsEEPKslEENS0_5tupleIJPlS6_EEENSN_IJSD_SD_EEES6_PiJS6_EEE10hipError_tPvRmT3_T4_T5_T6_T7_T9_mT8_P12ihipStream_tbDpT10_ENKUlT_T0_E_clISt17integral_constantIbLb0EES1A_IbLb1EEEEDaS16_S17_EUlS16_E_NS1_11comp_targetILNS1_3genE3ELNS1_11target_archE908ELNS1_3gpuE7ELNS1_3repE0EEENS1_30default_config_static_selectorELNS0_4arch9wavefront6targetE0EEEvT1_,@function
_ZN7rocprim17ROCPRIM_400000_NS6detail17trampoline_kernelINS0_14default_configENS1_25partition_config_selectorILNS1_17partition_subalgoE5ElNS0_10empty_typeEbEEZZNS1_14partition_implILS5_5ELb0ES3_mN6hipcub16HIPCUB_304000_NS21CountingInputIteratorIllEEPS6_NSA_22TransformInputIteratorIbN2at6native12_GLOBAL__N_19NonZeroOpIsEEPKslEENS0_5tupleIJPlS6_EEENSN_IJSD_SD_EEES6_PiJS6_EEE10hipError_tPvRmT3_T4_T5_T6_T7_T9_mT8_P12ihipStream_tbDpT10_ENKUlT_T0_E_clISt17integral_constantIbLb0EES1A_IbLb1EEEEDaS16_S17_EUlS16_E_NS1_11comp_targetILNS1_3genE3ELNS1_11target_archE908ELNS1_3gpuE7ELNS1_3repE0EEENS1_30default_config_static_selectorELNS0_4arch9wavefront6targetE0EEEvT1_: ; @_ZN7rocprim17ROCPRIM_400000_NS6detail17trampoline_kernelINS0_14default_configENS1_25partition_config_selectorILNS1_17partition_subalgoE5ElNS0_10empty_typeEbEEZZNS1_14partition_implILS5_5ELb0ES3_mN6hipcub16HIPCUB_304000_NS21CountingInputIteratorIllEEPS6_NSA_22TransformInputIteratorIbN2at6native12_GLOBAL__N_19NonZeroOpIsEEPKslEENS0_5tupleIJPlS6_EEENSN_IJSD_SD_EEES6_PiJS6_EEE10hipError_tPvRmT3_T4_T5_T6_T7_T9_mT8_P12ihipStream_tbDpT10_ENKUlT_T0_E_clISt17integral_constantIbLb0EES1A_IbLb1EEEEDaS16_S17_EUlS16_E_NS1_11comp_targetILNS1_3genE3ELNS1_11target_archE908ELNS1_3gpuE7ELNS1_3repE0EEENS1_30default_config_static_selectorELNS0_4arch9wavefront6targetE0EEEvT1_
; %bb.0:
	.section	.rodata,"a",@progbits
	.p2align	6, 0x0
	.amdhsa_kernel _ZN7rocprim17ROCPRIM_400000_NS6detail17trampoline_kernelINS0_14default_configENS1_25partition_config_selectorILNS1_17partition_subalgoE5ElNS0_10empty_typeEbEEZZNS1_14partition_implILS5_5ELb0ES3_mN6hipcub16HIPCUB_304000_NS21CountingInputIteratorIllEEPS6_NSA_22TransformInputIteratorIbN2at6native12_GLOBAL__N_19NonZeroOpIsEEPKslEENS0_5tupleIJPlS6_EEENSN_IJSD_SD_EEES6_PiJS6_EEE10hipError_tPvRmT3_T4_T5_T6_T7_T9_mT8_P12ihipStream_tbDpT10_ENKUlT_T0_E_clISt17integral_constantIbLb0EES1A_IbLb1EEEEDaS16_S17_EUlS16_E_NS1_11comp_targetILNS1_3genE3ELNS1_11target_archE908ELNS1_3gpuE7ELNS1_3repE0EEENS1_30default_config_static_selectorELNS0_4arch9wavefront6targetE0EEEvT1_
		.amdhsa_group_segment_fixed_size 0
		.amdhsa_private_segment_fixed_size 0
		.amdhsa_kernarg_size 136
		.amdhsa_user_sgpr_count 15
		.amdhsa_user_sgpr_dispatch_ptr 0
		.amdhsa_user_sgpr_queue_ptr 0
		.amdhsa_user_sgpr_kernarg_segment_ptr 1
		.amdhsa_user_sgpr_dispatch_id 0
		.amdhsa_user_sgpr_private_segment_size 0
		.amdhsa_wavefront_size32 1
		.amdhsa_uses_dynamic_stack 0
		.amdhsa_enable_private_segment 0
		.amdhsa_system_sgpr_workgroup_id_x 1
		.amdhsa_system_sgpr_workgroup_id_y 0
		.amdhsa_system_sgpr_workgroup_id_z 0
		.amdhsa_system_sgpr_workgroup_info 0
		.amdhsa_system_vgpr_workitem_id 0
		.amdhsa_next_free_vgpr 1
		.amdhsa_next_free_sgpr 1
		.amdhsa_reserve_vcc 0
		.amdhsa_float_round_mode_32 0
		.amdhsa_float_round_mode_16_64 0
		.amdhsa_float_denorm_mode_32 3
		.amdhsa_float_denorm_mode_16_64 3
		.amdhsa_dx10_clamp 1
		.amdhsa_ieee_mode 1
		.amdhsa_fp16_overflow 0
		.amdhsa_workgroup_processor_mode 1
		.amdhsa_memory_ordered 1
		.amdhsa_forward_progress 0
		.amdhsa_shared_vgpr_count 0
		.amdhsa_exception_fp_ieee_invalid_op 0
		.amdhsa_exception_fp_denorm_src 0
		.amdhsa_exception_fp_ieee_div_zero 0
		.amdhsa_exception_fp_ieee_overflow 0
		.amdhsa_exception_fp_ieee_underflow 0
		.amdhsa_exception_fp_ieee_inexact 0
		.amdhsa_exception_int_div_zero 0
	.end_amdhsa_kernel
	.section	.text._ZN7rocprim17ROCPRIM_400000_NS6detail17trampoline_kernelINS0_14default_configENS1_25partition_config_selectorILNS1_17partition_subalgoE5ElNS0_10empty_typeEbEEZZNS1_14partition_implILS5_5ELb0ES3_mN6hipcub16HIPCUB_304000_NS21CountingInputIteratorIllEEPS6_NSA_22TransformInputIteratorIbN2at6native12_GLOBAL__N_19NonZeroOpIsEEPKslEENS0_5tupleIJPlS6_EEENSN_IJSD_SD_EEES6_PiJS6_EEE10hipError_tPvRmT3_T4_T5_T6_T7_T9_mT8_P12ihipStream_tbDpT10_ENKUlT_T0_E_clISt17integral_constantIbLb0EES1A_IbLb1EEEEDaS16_S17_EUlS16_E_NS1_11comp_targetILNS1_3genE3ELNS1_11target_archE908ELNS1_3gpuE7ELNS1_3repE0EEENS1_30default_config_static_selectorELNS0_4arch9wavefront6targetE0EEEvT1_,"axG",@progbits,_ZN7rocprim17ROCPRIM_400000_NS6detail17trampoline_kernelINS0_14default_configENS1_25partition_config_selectorILNS1_17partition_subalgoE5ElNS0_10empty_typeEbEEZZNS1_14partition_implILS5_5ELb0ES3_mN6hipcub16HIPCUB_304000_NS21CountingInputIteratorIllEEPS6_NSA_22TransformInputIteratorIbN2at6native12_GLOBAL__N_19NonZeroOpIsEEPKslEENS0_5tupleIJPlS6_EEENSN_IJSD_SD_EEES6_PiJS6_EEE10hipError_tPvRmT3_T4_T5_T6_T7_T9_mT8_P12ihipStream_tbDpT10_ENKUlT_T0_E_clISt17integral_constantIbLb0EES1A_IbLb1EEEEDaS16_S17_EUlS16_E_NS1_11comp_targetILNS1_3genE3ELNS1_11target_archE908ELNS1_3gpuE7ELNS1_3repE0EEENS1_30default_config_static_selectorELNS0_4arch9wavefront6targetE0EEEvT1_,comdat
.Lfunc_end349:
	.size	_ZN7rocprim17ROCPRIM_400000_NS6detail17trampoline_kernelINS0_14default_configENS1_25partition_config_selectorILNS1_17partition_subalgoE5ElNS0_10empty_typeEbEEZZNS1_14partition_implILS5_5ELb0ES3_mN6hipcub16HIPCUB_304000_NS21CountingInputIteratorIllEEPS6_NSA_22TransformInputIteratorIbN2at6native12_GLOBAL__N_19NonZeroOpIsEEPKslEENS0_5tupleIJPlS6_EEENSN_IJSD_SD_EEES6_PiJS6_EEE10hipError_tPvRmT3_T4_T5_T6_T7_T9_mT8_P12ihipStream_tbDpT10_ENKUlT_T0_E_clISt17integral_constantIbLb0EES1A_IbLb1EEEEDaS16_S17_EUlS16_E_NS1_11comp_targetILNS1_3genE3ELNS1_11target_archE908ELNS1_3gpuE7ELNS1_3repE0EEENS1_30default_config_static_selectorELNS0_4arch9wavefront6targetE0EEEvT1_, .Lfunc_end349-_ZN7rocprim17ROCPRIM_400000_NS6detail17trampoline_kernelINS0_14default_configENS1_25partition_config_selectorILNS1_17partition_subalgoE5ElNS0_10empty_typeEbEEZZNS1_14partition_implILS5_5ELb0ES3_mN6hipcub16HIPCUB_304000_NS21CountingInputIteratorIllEEPS6_NSA_22TransformInputIteratorIbN2at6native12_GLOBAL__N_19NonZeroOpIsEEPKslEENS0_5tupleIJPlS6_EEENSN_IJSD_SD_EEES6_PiJS6_EEE10hipError_tPvRmT3_T4_T5_T6_T7_T9_mT8_P12ihipStream_tbDpT10_ENKUlT_T0_E_clISt17integral_constantIbLb0EES1A_IbLb1EEEEDaS16_S17_EUlS16_E_NS1_11comp_targetILNS1_3genE3ELNS1_11target_archE908ELNS1_3gpuE7ELNS1_3repE0EEENS1_30default_config_static_selectorELNS0_4arch9wavefront6targetE0EEEvT1_
                                        ; -- End function
	.section	.AMDGPU.csdata,"",@progbits
; Kernel info:
; codeLenInByte = 0
; NumSgprs: 0
; NumVgprs: 0
; ScratchSize: 0
; MemoryBound: 0
; FloatMode: 240
; IeeeMode: 1
; LDSByteSize: 0 bytes/workgroup (compile time only)
; SGPRBlocks: 0
; VGPRBlocks: 0
; NumSGPRsForWavesPerEU: 1
; NumVGPRsForWavesPerEU: 1
; Occupancy: 16
; WaveLimiterHint : 0
; COMPUTE_PGM_RSRC2:SCRATCH_EN: 0
; COMPUTE_PGM_RSRC2:USER_SGPR: 15
; COMPUTE_PGM_RSRC2:TRAP_HANDLER: 0
; COMPUTE_PGM_RSRC2:TGID_X_EN: 1
; COMPUTE_PGM_RSRC2:TGID_Y_EN: 0
; COMPUTE_PGM_RSRC2:TGID_Z_EN: 0
; COMPUTE_PGM_RSRC2:TIDIG_COMP_CNT: 0
	.section	.text._ZN7rocprim17ROCPRIM_400000_NS6detail17trampoline_kernelINS0_14default_configENS1_25partition_config_selectorILNS1_17partition_subalgoE5ElNS0_10empty_typeEbEEZZNS1_14partition_implILS5_5ELb0ES3_mN6hipcub16HIPCUB_304000_NS21CountingInputIteratorIllEEPS6_NSA_22TransformInputIteratorIbN2at6native12_GLOBAL__N_19NonZeroOpIsEEPKslEENS0_5tupleIJPlS6_EEENSN_IJSD_SD_EEES6_PiJS6_EEE10hipError_tPvRmT3_T4_T5_T6_T7_T9_mT8_P12ihipStream_tbDpT10_ENKUlT_T0_E_clISt17integral_constantIbLb0EES1A_IbLb1EEEEDaS16_S17_EUlS16_E_NS1_11comp_targetILNS1_3genE2ELNS1_11target_archE906ELNS1_3gpuE6ELNS1_3repE0EEENS1_30default_config_static_selectorELNS0_4arch9wavefront6targetE0EEEvT1_,"axG",@progbits,_ZN7rocprim17ROCPRIM_400000_NS6detail17trampoline_kernelINS0_14default_configENS1_25partition_config_selectorILNS1_17partition_subalgoE5ElNS0_10empty_typeEbEEZZNS1_14partition_implILS5_5ELb0ES3_mN6hipcub16HIPCUB_304000_NS21CountingInputIteratorIllEEPS6_NSA_22TransformInputIteratorIbN2at6native12_GLOBAL__N_19NonZeroOpIsEEPKslEENS0_5tupleIJPlS6_EEENSN_IJSD_SD_EEES6_PiJS6_EEE10hipError_tPvRmT3_T4_T5_T6_T7_T9_mT8_P12ihipStream_tbDpT10_ENKUlT_T0_E_clISt17integral_constantIbLb0EES1A_IbLb1EEEEDaS16_S17_EUlS16_E_NS1_11comp_targetILNS1_3genE2ELNS1_11target_archE906ELNS1_3gpuE6ELNS1_3repE0EEENS1_30default_config_static_selectorELNS0_4arch9wavefront6targetE0EEEvT1_,comdat
	.globl	_ZN7rocprim17ROCPRIM_400000_NS6detail17trampoline_kernelINS0_14default_configENS1_25partition_config_selectorILNS1_17partition_subalgoE5ElNS0_10empty_typeEbEEZZNS1_14partition_implILS5_5ELb0ES3_mN6hipcub16HIPCUB_304000_NS21CountingInputIteratorIllEEPS6_NSA_22TransformInputIteratorIbN2at6native12_GLOBAL__N_19NonZeroOpIsEEPKslEENS0_5tupleIJPlS6_EEENSN_IJSD_SD_EEES6_PiJS6_EEE10hipError_tPvRmT3_T4_T5_T6_T7_T9_mT8_P12ihipStream_tbDpT10_ENKUlT_T0_E_clISt17integral_constantIbLb0EES1A_IbLb1EEEEDaS16_S17_EUlS16_E_NS1_11comp_targetILNS1_3genE2ELNS1_11target_archE906ELNS1_3gpuE6ELNS1_3repE0EEENS1_30default_config_static_selectorELNS0_4arch9wavefront6targetE0EEEvT1_ ; -- Begin function _ZN7rocprim17ROCPRIM_400000_NS6detail17trampoline_kernelINS0_14default_configENS1_25partition_config_selectorILNS1_17partition_subalgoE5ElNS0_10empty_typeEbEEZZNS1_14partition_implILS5_5ELb0ES3_mN6hipcub16HIPCUB_304000_NS21CountingInputIteratorIllEEPS6_NSA_22TransformInputIteratorIbN2at6native12_GLOBAL__N_19NonZeroOpIsEEPKslEENS0_5tupleIJPlS6_EEENSN_IJSD_SD_EEES6_PiJS6_EEE10hipError_tPvRmT3_T4_T5_T6_T7_T9_mT8_P12ihipStream_tbDpT10_ENKUlT_T0_E_clISt17integral_constantIbLb0EES1A_IbLb1EEEEDaS16_S17_EUlS16_E_NS1_11comp_targetILNS1_3genE2ELNS1_11target_archE906ELNS1_3gpuE6ELNS1_3repE0EEENS1_30default_config_static_selectorELNS0_4arch9wavefront6targetE0EEEvT1_
	.p2align	8
	.type	_ZN7rocprim17ROCPRIM_400000_NS6detail17trampoline_kernelINS0_14default_configENS1_25partition_config_selectorILNS1_17partition_subalgoE5ElNS0_10empty_typeEbEEZZNS1_14partition_implILS5_5ELb0ES3_mN6hipcub16HIPCUB_304000_NS21CountingInputIteratorIllEEPS6_NSA_22TransformInputIteratorIbN2at6native12_GLOBAL__N_19NonZeroOpIsEEPKslEENS0_5tupleIJPlS6_EEENSN_IJSD_SD_EEES6_PiJS6_EEE10hipError_tPvRmT3_T4_T5_T6_T7_T9_mT8_P12ihipStream_tbDpT10_ENKUlT_T0_E_clISt17integral_constantIbLb0EES1A_IbLb1EEEEDaS16_S17_EUlS16_E_NS1_11comp_targetILNS1_3genE2ELNS1_11target_archE906ELNS1_3gpuE6ELNS1_3repE0EEENS1_30default_config_static_selectorELNS0_4arch9wavefront6targetE0EEEvT1_,@function
_ZN7rocprim17ROCPRIM_400000_NS6detail17trampoline_kernelINS0_14default_configENS1_25partition_config_selectorILNS1_17partition_subalgoE5ElNS0_10empty_typeEbEEZZNS1_14partition_implILS5_5ELb0ES3_mN6hipcub16HIPCUB_304000_NS21CountingInputIteratorIllEEPS6_NSA_22TransformInputIteratorIbN2at6native12_GLOBAL__N_19NonZeroOpIsEEPKslEENS0_5tupleIJPlS6_EEENSN_IJSD_SD_EEES6_PiJS6_EEE10hipError_tPvRmT3_T4_T5_T6_T7_T9_mT8_P12ihipStream_tbDpT10_ENKUlT_T0_E_clISt17integral_constantIbLb0EES1A_IbLb1EEEEDaS16_S17_EUlS16_E_NS1_11comp_targetILNS1_3genE2ELNS1_11target_archE906ELNS1_3gpuE6ELNS1_3repE0EEENS1_30default_config_static_selectorELNS0_4arch9wavefront6targetE0EEEvT1_: ; @_ZN7rocprim17ROCPRIM_400000_NS6detail17trampoline_kernelINS0_14default_configENS1_25partition_config_selectorILNS1_17partition_subalgoE5ElNS0_10empty_typeEbEEZZNS1_14partition_implILS5_5ELb0ES3_mN6hipcub16HIPCUB_304000_NS21CountingInputIteratorIllEEPS6_NSA_22TransformInputIteratorIbN2at6native12_GLOBAL__N_19NonZeroOpIsEEPKslEENS0_5tupleIJPlS6_EEENSN_IJSD_SD_EEES6_PiJS6_EEE10hipError_tPvRmT3_T4_T5_T6_T7_T9_mT8_P12ihipStream_tbDpT10_ENKUlT_T0_E_clISt17integral_constantIbLb0EES1A_IbLb1EEEEDaS16_S17_EUlS16_E_NS1_11comp_targetILNS1_3genE2ELNS1_11target_archE906ELNS1_3gpuE6ELNS1_3repE0EEENS1_30default_config_static_selectorELNS0_4arch9wavefront6targetE0EEEvT1_
; %bb.0:
	.section	.rodata,"a",@progbits
	.p2align	6, 0x0
	.amdhsa_kernel _ZN7rocprim17ROCPRIM_400000_NS6detail17trampoline_kernelINS0_14default_configENS1_25partition_config_selectorILNS1_17partition_subalgoE5ElNS0_10empty_typeEbEEZZNS1_14partition_implILS5_5ELb0ES3_mN6hipcub16HIPCUB_304000_NS21CountingInputIteratorIllEEPS6_NSA_22TransformInputIteratorIbN2at6native12_GLOBAL__N_19NonZeroOpIsEEPKslEENS0_5tupleIJPlS6_EEENSN_IJSD_SD_EEES6_PiJS6_EEE10hipError_tPvRmT3_T4_T5_T6_T7_T9_mT8_P12ihipStream_tbDpT10_ENKUlT_T0_E_clISt17integral_constantIbLb0EES1A_IbLb1EEEEDaS16_S17_EUlS16_E_NS1_11comp_targetILNS1_3genE2ELNS1_11target_archE906ELNS1_3gpuE6ELNS1_3repE0EEENS1_30default_config_static_selectorELNS0_4arch9wavefront6targetE0EEEvT1_
		.amdhsa_group_segment_fixed_size 0
		.amdhsa_private_segment_fixed_size 0
		.amdhsa_kernarg_size 136
		.amdhsa_user_sgpr_count 15
		.amdhsa_user_sgpr_dispatch_ptr 0
		.amdhsa_user_sgpr_queue_ptr 0
		.amdhsa_user_sgpr_kernarg_segment_ptr 1
		.amdhsa_user_sgpr_dispatch_id 0
		.amdhsa_user_sgpr_private_segment_size 0
		.amdhsa_wavefront_size32 1
		.amdhsa_uses_dynamic_stack 0
		.amdhsa_enable_private_segment 0
		.amdhsa_system_sgpr_workgroup_id_x 1
		.amdhsa_system_sgpr_workgroup_id_y 0
		.amdhsa_system_sgpr_workgroup_id_z 0
		.amdhsa_system_sgpr_workgroup_info 0
		.amdhsa_system_vgpr_workitem_id 0
		.amdhsa_next_free_vgpr 1
		.amdhsa_next_free_sgpr 1
		.amdhsa_reserve_vcc 0
		.amdhsa_float_round_mode_32 0
		.amdhsa_float_round_mode_16_64 0
		.amdhsa_float_denorm_mode_32 3
		.amdhsa_float_denorm_mode_16_64 3
		.amdhsa_dx10_clamp 1
		.amdhsa_ieee_mode 1
		.amdhsa_fp16_overflow 0
		.amdhsa_workgroup_processor_mode 1
		.amdhsa_memory_ordered 1
		.amdhsa_forward_progress 0
		.amdhsa_shared_vgpr_count 0
		.amdhsa_exception_fp_ieee_invalid_op 0
		.amdhsa_exception_fp_denorm_src 0
		.amdhsa_exception_fp_ieee_div_zero 0
		.amdhsa_exception_fp_ieee_overflow 0
		.amdhsa_exception_fp_ieee_underflow 0
		.amdhsa_exception_fp_ieee_inexact 0
		.amdhsa_exception_int_div_zero 0
	.end_amdhsa_kernel
	.section	.text._ZN7rocprim17ROCPRIM_400000_NS6detail17trampoline_kernelINS0_14default_configENS1_25partition_config_selectorILNS1_17partition_subalgoE5ElNS0_10empty_typeEbEEZZNS1_14partition_implILS5_5ELb0ES3_mN6hipcub16HIPCUB_304000_NS21CountingInputIteratorIllEEPS6_NSA_22TransformInputIteratorIbN2at6native12_GLOBAL__N_19NonZeroOpIsEEPKslEENS0_5tupleIJPlS6_EEENSN_IJSD_SD_EEES6_PiJS6_EEE10hipError_tPvRmT3_T4_T5_T6_T7_T9_mT8_P12ihipStream_tbDpT10_ENKUlT_T0_E_clISt17integral_constantIbLb0EES1A_IbLb1EEEEDaS16_S17_EUlS16_E_NS1_11comp_targetILNS1_3genE2ELNS1_11target_archE906ELNS1_3gpuE6ELNS1_3repE0EEENS1_30default_config_static_selectorELNS0_4arch9wavefront6targetE0EEEvT1_,"axG",@progbits,_ZN7rocprim17ROCPRIM_400000_NS6detail17trampoline_kernelINS0_14default_configENS1_25partition_config_selectorILNS1_17partition_subalgoE5ElNS0_10empty_typeEbEEZZNS1_14partition_implILS5_5ELb0ES3_mN6hipcub16HIPCUB_304000_NS21CountingInputIteratorIllEEPS6_NSA_22TransformInputIteratorIbN2at6native12_GLOBAL__N_19NonZeroOpIsEEPKslEENS0_5tupleIJPlS6_EEENSN_IJSD_SD_EEES6_PiJS6_EEE10hipError_tPvRmT3_T4_T5_T6_T7_T9_mT8_P12ihipStream_tbDpT10_ENKUlT_T0_E_clISt17integral_constantIbLb0EES1A_IbLb1EEEEDaS16_S17_EUlS16_E_NS1_11comp_targetILNS1_3genE2ELNS1_11target_archE906ELNS1_3gpuE6ELNS1_3repE0EEENS1_30default_config_static_selectorELNS0_4arch9wavefront6targetE0EEEvT1_,comdat
.Lfunc_end350:
	.size	_ZN7rocprim17ROCPRIM_400000_NS6detail17trampoline_kernelINS0_14default_configENS1_25partition_config_selectorILNS1_17partition_subalgoE5ElNS0_10empty_typeEbEEZZNS1_14partition_implILS5_5ELb0ES3_mN6hipcub16HIPCUB_304000_NS21CountingInputIteratorIllEEPS6_NSA_22TransformInputIteratorIbN2at6native12_GLOBAL__N_19NonZeroOpIsEEPKslEENS0_5tupleIJPlS6_EEENSN_IJSD_SD_EEES6_PiJS6_EEE10hipError_tPvRmT3_T4_T5_T6_T7_T9_mT8_P12ihipStream_tbDpT10_ENKUlT_T0_E_clISt17integral_constantIbLb0EES1A_IbLb1EEEEDaS16_S17_EUlS16_E_NS1_11comp_targetILNS1_3genE2ELNS1_11target_archE906ELNS1_3gpuE6ELNS1_3repE0EEENS1_30default_config_static_selectorELNS0_4arch9wavefront6targetE0EEEvT1_, .Lfunc_end350-_ZN7rocprim17ROCPRIM_400000_NS6detail17trampoline_kernelINS0_14default_configENS1_25partition_config_selectorILNS1_17partition_subalgoE5ElNS0_10empty_typeEbEEZZNS1_14partition_implILS5_5ELb0ES3_mN6hipcub16HIPCUB_304000_NS21CountingInputIteratorIllEEPS6_NSA_22TransformInputIteratorIbN2at6native12_GLOBAL__N_19NonZeroOpIsEEPKslEENS0_5tupleIJPlS6_EEENSN_IJSD_SD_EEES6_PiJS6_EEE10hipError_tPvRmT3_T4_T5_T6_T7_T9_mT8_P12ihipStream_tbDpT10_ENKUlT_T0_E_clISt17integral_constantIbLb0EES1A_IbLb1EEEEDaS16_S17_EUlS16_E_NS1_11comp_targetILNS1_3genE2ELNS1_11target_archE906ELNS1_3gpuE6ELNS1_3repE0EEENS1_30default_config_static_selectorELNS0_4arch9wavefront6targetE0EEEvT1_
                                        ; -- End function
	.section	.AMDGPU.csdata,"",@progbits
; Kernel info:
; codeLenInByte = 0
; NumSgprs: 0
; NumVgprs: 0
; ScratchSize: 0
; MemoryBound: 0
; FloatMode: 240
; IeeeMode: 1
; LDSByteSize: 0 bytes/workgroup (compile time only)
; SGPRBlocks: 0
; VGPRBlocks: 0
; NumSGPRsForWavesPerEU: 1
; NumVGPRsForWavesPerEU: 1
; Occupancy: 16
; WaveLimiterHint : 0
; COMPUTE_PGM_RSRC2:SCRATCH_EN: 0
; COMPUTE_PGM_RSRC2:USER_SGPR: 15
; COMPUTE_PGM_RSRC2:TRAP_HANDLER: 0
; COMPUTE_PGM_RSRC2:TGID_X_EN: 1
; COMPUTE_PGM_RSRC2:TGID_Y_EN: 0
; COMPUTE_PGM_RSRC2:TGID_Z_EN: 0
; COMPUTE_PGM_RSRC2:TIDIG_COMP_CNT: 0
	.section	.text._ZN7rocprim17ROCPRIM_400000_NS6detail17trampoline_kernelINS0_14default_configENS1_25partition_config_selectorILNS1_17partition_subalgoE5ElNS0_10empty_typeEbEEZZNS1_14partition_implILS5_5ELb0ES3_mN6hipcub16HIPCUB_304000_NS21CountingInputIteratorIllEEPS6_NSA_22TransformInputIteratorIbN2at6native12_GLOBAL__N_19NonZeroOpIsEEPKslEENS0_5tupleIJPlS6_EEENSN_IJSD_SD_EEES6_PiJS6_EEE10hipError_tPvRmT3_T4_T5_T6_T7_T9_mT8_P12ihipStream_tbDpT10_ENKUlT_T0_E_clISt17integral_constantIbLb0EES1A_IbLb1EEEEDaS16_S17_EUlS16_E_NS1_11comp_targetILNS1_3genE10ELNS1_11target_archE1200ELNS1_3gpuE4ELNS1_3repE0EEENS1_30default_config_static_selectorELNS0_4arch9wavefront6targetE0EEEvT1_,"axG",@progbits,_ZN7rocprim17ROCPRIM_400000_NS6detail17trampoline_kernelINS0_14default_configENS1_25partition_config_selectorILNS1_17partition_subalgoE5ElNS0_10empty_typeEbEEZZNS1_14partition_implILS5_5ELb0ES3_mN6hipcub16HIPCUB_304000_NS21CountingInputIteratorIllEEPS6_NSA_22TransformInputIteratorIbN2at6native12_GLOBAL__N_19NonZeroOpIsEEPKslEENS0_5tupleIJPlS6_EEENSN_IJSD_SD_EEES6_PiJS6_EEE10hipError_tPvRmT3_T4_T5_T6_T7_T9_mT8_P12ihipStream_tbDpT10_ENKUlT_T0_E_clISt17integral_constantIbLb0EES1A_IbLb1EEEEDaS16_S17_EUlS16_E_NS1_11comp_targetILNS1_3genE10ELNS1_11target_archE1200ELNS1_3gpuE4ELNS1_3repE0EEENS1_30default_config_static_selectorELNS0_4arch9wavefront6targetE0EEEvT1_,comdat
	.globl	_ZN7rocprim17ROCPRIM_400000_NS6detail17trampoline_kernelINS0_14default_configENS1_25partition_config_selectorILNS1_17partition_subalgoE5ElNS0_10empty_typeEbEEZZNS1_14partition_implILS5_5ELb0ES3_mN6hipcub16HIPCUB_304000_NS21CountingInputIteratorIllEEPS6_NSA_22TransformInputIteratorIbN2at6native12_GLOBAL__N_19NonZeroOpIsEEPKslEENS0_5tupleIJPlS6_EEENSN_IJSD_SD_EEES6_PiJS6_EEE10hipError_tPvRmT3_T4_T5_T6_T7_T9_mT8_P12ihipStream_tbDpT10_ENKUlT_T0_E_clISt17integral_constantIbLb0EES1A_IbLb1EEEEDaS16_S17_EUlS16_E_NS1_11comp_targetILNS1_3genE10ELNS1_11target_archE1200ELNS1_3gpuE4ELNS1_3repE0EEENS1_30default_config_static_selectorELNS0_4arch9wavefront6targetE0EEEvT1_ ; -- Begin function _ZN7rocprim17ROCPRIM_400000_NS6detail17trampoline_kernelINS0_14default_configENS1_25partition_config_selectorILNS1_17partition_subalgoE5ElNS0_10empty_typeEbEEZZNS1_14partition_implILS5_5ELb0ES3_mN6hipcub16HIPCUB_304000_NS21CountingInputIteratorIllEEPS6_NSA_22TransformInputIteratorIbN2at6native12_GLOBAL__N_19NonZeroOpIsEEPKslEENS0_5tupleIJPlS6_EEENSN_IJSD_SD_EEES6_PiJS6_EEE10hipError_tPvRmT3_T4_T5_T6_T7_T9_mT8_P12ihipStream_tbDpT10_ENKUlT_T0_E_clISt17integral_constantIbLb0EES1A_IbLb1EEEEDaS16_S17_EUlS16_E_NS1_11comp_targetILNS1_3genE10ELNS1_11target_archE1200ELNS1_3gpuE4ELNS1_3repE0EEENS1_30default_config_static_selectorELNS0_4arch9wavefront6targetE0EEEvT1_
	.p2align	8
	.type	_ZN7rocprim17ROCPRIM_400000_NS6detail17trampoline_kernelINS0_14default_configENS1_25partition_config_selectorILNS1_17partition_subalgoE5ElNS0_10empty_typeEbEEZZNS1_14partition_implILS5_5ELb0ES3_mN6hipcub16HIPCUB_304000_NS21CountingInputIteratorIllEEPS6_NSA_22TransformInputIteratorIbN2at6native12_GLOBAL__N_19NonZeroOpIsEEPKslEENS0_5tupleIJPlS6_EEENSN_IJSD_SD_EEES6_PiJS6_EEE10hipError_tPvRmT3_T4_T5_T6_T7_T9_mT8_P12ihipStream_tbDpT10_ENKUlT_T0_E_clISt17integral_constantIbLb0EES1A_IbLb1EEEEDaS16_S17_EUlS16_E_NS1_11comp_targetILNS1_3genE10ELNS1_11target_archE1200ELNS1_3gpuE4ELNS1_3repE0EEENS1_30default_config_static_selectorELNS0_4arch9wavefront6targetE0EEEvT1_,@function
_ZN7rocprim17ROCPRIM_400000_NS6detail17trampoline_kernelINS0_14default_configENS1_25partition_config_selectorILNS1_17partition_subalgoE5ElNS0_10empty_typeEbEEZZNS1_14partition_implILS5_5ELb0ES3_mN6hipcub16HIPCUB_304000_NS21CountingInputIteratorIllEEPS6_NSA_22TransformInputIteratorIbN2at6native12_GLOBAL__N_19NonZeroOpIsEEPKslEENS0_5tupleIJPlS6_EEENSN_IJSD_SD_EEES6_PiJS6_EEE10hipError_tPvRmT3_T4_T5_T6_T7_T9_mT8_P12ihipStream_tbDpT10_ENKUlT_T0_E_clISt17integral_constantIbLb0EES1A_IbLb1EEEEDaS16_S17_EUlS16_E_NS1_11comp_targetILNS1_3genE10ELNS1_11target_archE1200ELNS1_3gpuE4ELNS1_3repE0EEENS1_30default_config_static_selectorELNS0_4arch9wavefront6targetE0EEEvT1_: ; @_ZN7rocprim17ROCPRIM_400000_NS6detail17trampoline_kernelINS0_14default_configENS1_25partition_config_selectorILNS1_17partition_subalgoE5ElNS0_10empty_typeEbEEZZNS1_14partition_implILS5_5ELb0ES3_mN6hipcub16HIPCUB_304000_NS21CountingInputIteratorIllEEPS6_NSA_22TransformInputIteratorIbN2at6native12_GLOBAL__N_19NonZeroOpIsEEPKslEENS0_5tupleIJPlS6_EEENSN_IJSD_SD_EEES6_PiJS6_EEE10hipError_tPvRmT3_T4_T5_T6_T7_T9_mT8_P12ihipStream_tbDpT10_ENKUlT_T0_E_clISt17integral_constantIbLb0EES1A_IbLb1EEEEDaS16_S17_EUlS16_E_NS1_11comp_targetILNS1_3genE10ELNS1_11target_archE1200ELNS1_3gpuE4ELNS1_3repE0EEENS1_30default_config_static_selectorELNS0_4arch9wavefront6targetE0EEEvT1_
; %bb.0:
	.section	.rodata,"a",@progbits
	.p2align	6, 0x0
	.amdhsa_kernel _ZN7rocprim17ROCPRIM_400000_NS6detail17trampoline_kernelINS0_14default_configENS1_25partition_config_selectorILNS1_17partition_subalgoE5ElNS0_10empty_typeEbEEZZNS1_14partition_implILS5_5ELb0ES3_mN6hipcub16HIPCUB_304000_NS21CountingInputIteratorIllEEPS6_NSA_22TransformInputIteratorIbN2at6native12_GLOBAL__N_19NonZeroOpIsEEPKslEENS0_5tupleIJPlS6_EEENSN_IJSD_SD_EEES6_PiJS6_EEE10hipError_tPvRmT3_T4_T5_T6_T7_T9_mT8_P12ihipStream_tbDpT10_ENKUlT_T0_E_clISt17integral_constantIbLb0EES1A_IbLb1EEEEDaS16_S17_EUlS16_E_NS1_11comp_targetILNS1_3genE10ELNS1_11target_archE1200ELNS1_3gpuE4ELNS1_3repE0EEENS1_30default_config_static_selectorELNS0_4arch9wavefront6targetE0EEEvT1_
		.amdhsa_group_segment_fixed_size 0
		.amdhsa_private_segment_fixed_size 0
		.amdhsa_kernarg_size 136
		.amdhsa_user_sgpr_count 15
		.amdhsa_user_sgpr_dispatch_ptr 0
		.amdhsa_user_sgpr_queue_ptr 0
		.amdhsa_user_sgpr_kernarg_segment_ptr 1
		.amdhsa_user_sgpr_dispatch_id 0
		.amdhsa_user_sgpr_private_segment_size 0
		.amdhsa_wavefront_size32 1
		.amdhsa_uses_dynamic_stack 0
		.amdhsa_enable_private_segment 0
		.amdhsa_system_sgpr_workgroup_id_x 1
		.amdhsa_system_sgpr_workgroup_id_y 0
		.amdhsa_system_sgpr_workgroup_id_z 0
		.amdhsa_system_sgpr_workgroup_info 0
		.amdhsa_system_vgpr_workitem_id 0
		.amdhsa_next_free_vgpr 1
		.amdhsa_next_free_sgpr 1
		.amdhsa_reserve_vcc 0
		.amdhsa_float_round_mode_32 0
		.amdhsa_float_round_mode_16_64 0
		.amdhsa_float_denorm_mode_32 3
		.amdhsa_float_denorm_mode_16_64 3
		.amdhsa_dx10_clamp 1
		.amdhsa_ieee_mode 1
		.amdhsa_fp16_overflow 0
		.amdhsa_workgroup_processor_mode 1
		.amdhsa_memory_ordered 1
		.amdhsa_forward_progress 0
		.amdhsa_shared_vgpr_count 0
		.amdhsa_exception_fp_ieee_invalid_op 0
		.amdhsa_exception_fp_denorm_src 0
		.amdhsa_exception_fp_ieee_div_zero 0
		.amdhsa_exception_fp_ieee_overflow 0
		.amdhsa_exception_fp_ieee_underflow 0
		.amdhsa_exception_fp_ieee_inexact 0
		.amdhsa_exception_int_div_zero 0
	.end_amdhsa_kernel
	.section	.text._ZN7rocprim17ROCPRIM_400000_NS6detail17trampoline_kernelINS0_14default_configENS1_25partition_config_selectorILNS1_17partition_subalgoE5ElNS0_10empty_typeEbEEZZNS1_14partition_implILS5_5ELb0ES3_mN6hipcub16HIPCUB_304000_NS21CountingInputIteratorIllEEPS6_NSA_22TransformInputIteratorIbN2at6native12_GLOBAL__N_19NonZeroOpIsEEPKslEENS0_5tupleIJPlS6_EEENSN_IJSD_SD_EEES6_PiJS6_EEE10hipError_tPvRmT3_T4_T5_T6_T7_T9_mT8_P12ihipStream_tbDpT10_ENKUlT_T0_E_clISt17integral_constantIbLb0EES1A_IbLb1EEEEDaS16_S17_EUlS16_E_NS1_11comp_targetILNS1_3genE10ELNS1_11target_archE1200ELNS1_3gpuE4ELNS1_3repE0EEENS1_30default_config_static_selectorELNS0_4arch9wavefront6targetE0EEEvT1_,"axG",@progbits,_ZN7rocprim17ROCPRIM_400000_NS6detail17trampoline_kernelINS0_14default_configENS1_25partition_config_selectorILNS1_17partition_subalgoE5ElNS0_10empty_typeEbEEZZNS1_14partition_implILS5_5ELb0ES3_mN6hipcub16HIPCUB_304000_NS21CountingInputIteratorIllEEPS6_NSA_22TransformInputIteratorIbN2at6native12_GLOBAL__N_19NonZeroOpIsEEPKslEENS0_5tupleIJPlS6_EEENSN_IJSD_SD_EEES6_PiJS6_EEE10hipError_tPvRmT3_T4_T5_T6_T7_T9_mT8_P12ihipStream_tbDpT10_ENKUlT_T0_E_clISt17integral_constantIbLb0EES1A_IbLb1EEEEDaS16_S17_EUlS16_E_NS1_11comp_targetILNS1_3genE10ELNS1_11target_archE1200ELNS1_3gpuE4ELNS1_3repE0EEENS1_30default_config_static_selectorELNS0_4arch9wavefront6targetE0EEEvT1_,comdat
.Lfunc_end351:
	.size	_ZN7rocprim17ROCPRIM_400000_NS6detail17trampoline_kernelINS0_14default_configENS1_25partition_config_selectorILNS1_17partition_subalgoE5ElNS0_10empty_typeEbEEZZNS1_14partition_implILS5_5ELb0ES3_mN6hipcub16HIPCUB_304000_NS21CountingInputIteratorIllEEPS6_NSA_22TransformInputIteratorIbN2at6native12_GLOBAL__N_19NonZeroOpIsEEPKslEENS0_5tupleIJPlS6_EEENSN_IJSD_SD_EEES6_PiJS6_EEE10hipError_tPvRmT3_T4_T5_T6_T7_T9_mT8_P12ihipStream_tbDpT10_ENKUlT_T0_E_clISt17integral_constantIbLb0EES1A_IbLb1EEEEDaS16_S17_EUlS16_E_NS1_11comp_targetILNS1_3genE10ELNS1_11target_archE1200ELNS1_3gpuE4ELNS1_3repE0EEENS1_30default_config_static_selectorELNS0_4arch9wavefront6targetE0EEEvT1_, .Lfunc_end351-_ZN7rocprim17ROCPRIM_400000_NS6detail17trampoline_kernelINS0_14default_configENS1_25partition_config_selectorILNS1_17partition_subalgoE5ElNS0_10empty_typeEbEEZZNS1_14partition_implILS5_5ELb0ES3_mN6hipcub16HIPCUB_304000_NS21CountingInputIteratorIllEEPS6_NSA_22TransformInputIteratorIbN2at6native12_GLOBAL__N_19NonZeroOpIsEEPKslEENS0_5tupleIJPlS6_EEENSN_IJSD_SD_EEES6_PiJS6_EEE10hipError_tPvRmT3_T4_T5_T6_T7_T9_mT8_P12ihipStream_tbDpT10_ENKUlT_T0_E_clISt17integral_constantIbLb0EES1A_IbLb1EEEEDaS16_S17_EUlS16_E_NS1_11comp_targetILNS1_3genE10ELNS1_11target_archE1200ELNS1_3gpuE4ELNS1_3repE0EEENS1_30default_config_static_selectorELNS0_4arch9wavefront6targetE0EEEvT1_
                                        ; -- End function
	.section	.AMDGPU.csdata,"",@progbits
; Kernel info:
; codeLenInByte = 0
; NumSgprs: 0
; NumVgprs: 0
; ScratchSize: 0
; MemoryBound: 0
; FloatMode: 240
; IeeeMode: 1
; LDSByteSize: 0 bytes/workgroup (compile time only)
; SGPRBlocks: 0
; VGPRBlocks: 0
; NumSGPRsForWavesPerEU: 1
; NumVGPRsForWavesPerEU: 1
; Occupancy: 16
; WaveLimiterHint : 0
; COMPUTE_PGM_RSRC2:SCRATCH_EN: 0
; COMPUTE_PGM_RSRC2:USER_SGPR: 15
; COMPUTE_PGM_RSRC2:TRAP_HANDLER: 0
; COMPUTE_PGM_RSRC2:TGID_X_EN: 1
; COMPUTE_PGM_RSRC2:TGID_Y_EN: 0
; COMPUTE_PGM_RSRC2:TGID_Z_EN: 0
; COMPUTE_PGM_RSRC2:TIDIG_COMP_CNT: 0
	.section	.text._ZN7rocprim17ROCPRIM_400000_NS6detail17trampoline_kernelINS0_14default_configENS1_25partition_config_selectorILNS1_17partition_subalgoE5ElNS0_10empty_typeEbEEZZNS1_14partition_implILS5_5ELb0ES3_mN6hipcub16HIPCUB_304000_NS21CountingInputIteratorIllEEPS6_NSA_22TransformInputIteratorIbN2at6native12_GLOBAL__N_19NonZeroOpIsEEPKslEENS0_5tupleIJPlS6_EEENSN_IJSD_SD_EEES6_PiJS6_EEE10hipError_tPvRmT3_T4_T5_T6_T7_T9_mT8_P12ihipStream_tbDpT10_ENKUlT_T0_E_clISt17integral_constantIbLb0EES1A_IbLb1EEEEDaS16_S17_EUlS16_E_NS1_11comp_targetILNS1_3genE9ELNS1_11target_archE1100ELNS1_3gpuE3ELNS1_3repE0EEENS1_30default_config_static_selectorELNS0_4arch9wavefront6targetE0EEEvT1_,"axG",@progbits,_ZN7rocprim17ROCPRIM_400000_NS6detail17trampoline_kernelINS0_14default_configENS1_25partition_config_selectorILNS1_17partition_subalgoE5ElNS0_10empty_typeEbEEZZNS1_14partition_implILS5_5ELb0ES3_mN6hipcub16HIPCUB_304000_NS21CountingInputIteratorIllEEPS6_NSA_22TransformInputIteratorIbN2at6native12_GLOBAL__N_19NonZeroOpIsEEPKslEENS0_5tupleIJPlS6_EEENSN_IJSD_SD_EEES6_PiJS6_EEE10hipError_tPvRmT3_T4_T5_T6_T7_T9_mT8_P12ihipStream_tbDpT10_ENKUlT_T0_E_clISt17integral_constantIbLb0EES1A_IbLb1EEEEDaS16_S17_EUlS16_E_NS1_11comp_targetILNS1_3genE9ELNS1_11target_archE1100ELNS1_3gpuE3ELNS1_3repE0EEENS1_30default_config_static_selectorELNS0_4arch9wavefront6targetE0EEEvT1_,comdat
	.globl	_ZN7rocprim17ROCPRIM_400000_NS6detail17trampoline_kernelINS0_14default_configENS1_25partition_config_selectorILNS1_17partition_subalgoE5ElNS0_10empty_typeEbEEZZNS1_14partition_implILS5_5ELb0ES3_mN6hipcub16HIPCUB_304000_NS21CountingInputIteratorIllEEPS6_NSA_22TransformInputIteratorIbN2at6native12_GLOBAL__N_19NonZeroOpIsEEPKslEENS0_5tupleIJPlS6_EEENSN_IJSD_SD_EEES6_PiJS6_EEE10hipError_tPvRmT3_T4_T5_T6_T7_T9_mT8_P12ihipStream_tbDpT10_ENKUlT_T0_E_clISt17integral_constantIbLb0EES1A_IbLb1EEEEDaS16_S17_EUlS16_E_NS1_11comp_targetILNS1_3genE9ELNS1_11target_archE1100ELNS1_3gpuE3ELNS1_3repE0EEENS1_30default_config_static_selectorELNS0_4arch9wavefront6targetE0EEEvT1_ ; -- Begin function _ZN7rocprim17ROCPRIM_400000_NS6detail17trampoline_kernelINS0_14default_configENS1_25partition_config_selectorILNS1_17partition_subalgoE5ElNS0_10empty_typeEbEEZZNS1_14partition_implILS5_5ELb0ES3_mN6hipcub16HIPCUB_304000_NS21CountingInputIteratorIllEEPS6_NSA_22TransformInputIteratorIbN2at6native12_GLOBAL__N_19NonZeroOpIsEEPKslEENS0_5tupleIJPlS6_EEENSN_IJSD_SD_EEES6_PiJS6_EEE10hipError_tPvRmT3_T4_T5_T6_T7_T9_mT8_P12ihipStream_tbDpT10_ENKUlT_T0_E_clISt17integral_constantIbLb0EES1A_IbLb1EEEEDaS16_S17_EUlS16_E_NS1_11comp_targetILNS1_3genE9ELNS1_11target_archE1100ELNS1_3gpuE3ELNS1_3repE0EEENS1_30default_config_static_selectorELNS0_4arch9wavefront6targetE0EEEvT1_
	.p2align	8
	.type	_ZN7rocprim17ROCPRIM_400000_NS6detail17trampoline_kernelINS0_14default_configENS1_25partition_config_selectorILNS1_17partition_subalgoE5ElNS0_10empty_typeEbEEZZNS1_14partition_implILS5_5ELb0ES3_mN6hipcub16HIPCUB_304000_NS21CountingInputIteratorIllEEPS6_NSA_22TransformInputIteratorIbN2at6native12_GLOBAL__N_19NonZeroOpIsEEPKslEENS0_5tupleIJPlS6_EEENSN_IJSD_SD_EEES6_PiJS6_EEE10hipError_tPvRmT3_T4_T5_T6_T7_T9_mT8_P12ihipStream_tbDpT10_ENKUlT_T0_E_clISt17integral_constantIbLb0EES1A_IbLb1EEEEDaS16_S17_EUlS16_E_NS1_11comp_targetILNS1_3genE9ELNS1_11target_archE1100ELNS1_3gpuE3ELNS1_3repE0EEENS1_30default_config_static_selectorELNS0_4arch9wavefront6targetE0EEEvT1_,@function
_ZN7rocprim17ROCPRIM_400000_NS6detail17trampoline_kernelINS0_14default_configENS1_25partition_config_selectorILNS1_17partition_subalgoE5ElNS0_10empty_typeEbEEZZNS1_14partition_implILS5_5ELb0ES3_mN6hipcub16HIPCUB_304000_NS21CountingInputIteratorIllEEPS6_NSA_22TransformInputIteratorIbN2at6native12_GLOBAL__N_19NonZeroOpIsEEPKslEENS0_5tupleIJPlS6_EEENSN_IJSD_SD_EEES6_PiJS6_EEE10hipError_tPvRmT3_T4_T5_T6_T7_T9_mT8_P12ihipStream_tbDpT10_ENKUlT_T0_E_clISt17integral_constantIbLb0EES1A_IbLb1EEEEDaS16_S17_EUlS16_E_NS1_11comp_targetILNS1_3genE9ELNS1_11target_archE1100ELNS1_3gpuE3ELNS1_3repE0EEENS1_30default_config_static_selectorELNS0_4arch9wavefront6targetE0EEEvT1_: ; @_ZN7rocprim17ROCPRIM_400000_NS6detail17trampoline_kernelINS0_14default_configENS1_25partition_config_selectorILNS1_17partition_subalgoE5ElNS0_10empty_typeEbEEZZNS1_14partition_implILS5_5ELb0ES3_mN6hipcub16HIPCUB_304000_NS21CountingInputIteratorIllEEPS6_NSA_22TransformInputIteratorIbN2at6native12_GLOBAL__N_19NonZeroOpIsEEPKslEENS0_5tupleIJPlS6_EEENSN_IJSD_SD_EEES6_PiJS6_EEE10hipError_tPvRmT3_T4_T5_T6_T7_T9_mT8_P12ihipStream_tbDpT10_ENKUlT_T0_E_clISt17integral_constantIbLb0EES1A_IbLb1EEEEDaS16_S17_EUlS16_E_NS1_11comp_targetILNS1_3genE9ELNS1_11target_archE1100ELNS1_3gpuE3ELNS1_3repE0EEENS1_30default_config_static_selectorELNS0_4arch9wavefront6targetE0EEEvT1_
; %bb.0:
	s_clause 0x4
	s_load_b64 s[18:19], s[0:1], 0x20
	s_load_b64 s[12:13], s[0:1], 0x30
	;; [unrolled: 1-line block ×3, first 2 shown]
	s_load_b128 s[4:7], s[0:1], 0x48
	s_load_b64 s[14:15], s[0:1], 0x68
	v_cmp_eq_u32_e64 s2, 0, v0
	s_delay_alu instid0(VALU_DEP_1)
	s_and_saveexec_b32 s3, s2
	s_cbranch_execz .LBB352_4
; %bb.1:
	s_mov_b32 s9, exec_lo
	s_mov_b32 s8, exec_lo
	v_mbcnt_lo_u32_b32 v1, s9, 0
                                        ; implicit-def: $vgpr2
	s_delay_alu instid0(VALU_DEP_1)
	v_cmpx_eq_u32_e32 0, v1
	s_cbranch_execz .LBB352_3
; %bb.2:
	s_load_b64 s[10:11], s[0:1], 0x78
	s_bcnt1_i32_b32 s9, s9
	s_delay_alu instid0(SALU_CYCLE_1)
	v_dual_mov_b32 v2, 0 :: v_dual_mov_b32 v3, s9
	s_waitcnt lgkmcnt(0)
	global_atomic_add_u32 v2, v2, v3, s[10:11] glc
.LBB352_3:
	s_or_b32 exec_lo, exec_lo, s8
	s_waitcnt vmcnt(0)
	v_readfirstlane_b32 s8, v2
	s_delay_alu instid0(VALU_DEP_1)
	v_dual_mov_b32 v2, 0 :: v_dual_add_nc_u32 v1, s8, v1
	ds_store_b32 v2, v1
.LBB352_4:
	s_or_b32 exec_lo, exec_lo, s3
	v_mov_b32_e32 v1, 0
	s_clause 0x1
	s_load_b128 s[8:11], s[0:1], 0x8
	s_load_b32 s0, s[0:1], 0x70
	s_waitcnt lgkmcnt(0)
	s_barrier
	buffer_gl0_inv
	ds_load_b32 v3, v1
	s_waitcnt lgkmcnt(0)
	s_barrier
	buffer_gl0_inv
	global_load_b64 v[1:2], v1, s[6:7]
	s_add_u32 s21, s10, s8
	s_mul_i32 s20, s0, 0x300
	s_addc_u32 s22, s11, s9
	s_add_i32 s3, s0, -1
	s_add_u32 s0, s10, s20
	v_readfirstlane_b32 s9, v3
	s_addc_u32 s1, s11, 0
	s_delay_alu instid0(SALU_CYCLE_1) | instskip(SKIP_1) | instid1(VALU_DEP_2)
	v_cmp_ge_u64_e64 s0, s[0:1], s[16:17]
	s_mov_b32 s17, -1
	s_cmp_eq_u32 s9, s3
	s_cselect_b32 s3, -1, 0
	s_delay_alu instid0(VALU_DEP_1) | instid1(SALU_CYCLE_1)
	s_and_b32 s1, s0, s3
	s_mul_i32 s0, s9, 0x300
	s_xor_b32 s8, s1, -1
	s_mov_b32 s1, 0
	s_and_b32 vcc_lo, exec_lo, s8
	s_waitcnt vmcnt(0)
	v_readfirstlane_b32 s6, v1
	v_readfirstlane_b32 s7, v2
	s_cbranch_vccz .LBB352_6
; %bb.5:
	s_add_u32 s17, s0, s21
	s_addc_u32 s23, 0, s22
	v_add_co_u32 v1, s17, s17, v0
	s_delay_alu instid0(VALU_DEP_1) | instskip(SKIP_1) | instid1(VALU_DEP_3)
	v_add_co_ci_u32_e64 v2, null, s23, 0, s17
	v_lshlrev_b32_e32 v13, 3, v0
	v_add_co_u32 v3, vcc_lo, 0x80, v1
	s_delay_alu instid0(VALU_DEP_3)
	v_add_co_ci_u32_e32 v4, vcc_lo, 0, v2, vcc_lo
	v_add_co_u32 v5, vcc_lo, 0x100, v1
	v_add_co_ci_u32_e32 v6, vcc_lo, 0, v2, vcc_lo
	v_add_co_u32 v7, vcc_lo, 0x180, v1
	;; [unrolled: 2-line block ×4, first 2 shown]
	v_add_co_ci_u32_e32 v12, vcc_lo, 0, v2, vcc_lo
	ds_store_2addr_stride64_b64 v13, v[1:2], v[3:4] offset1:2
	ds_store_2addr_stride64_b64 v13, v[5:6], v[7:8] offset0:4 offset1:6
	ds_store_2addr_stride64_b64 v13, v[9:10], v[11:12] offset0:8 offset1:10
	s_waitcnt lgkmcnt(0)
	s_mov_b32 s17, s1
	s_barrier
.LBB352_6:
	v_or_b32_e32 v17, 0x100, v0
	v_or_b32_e32 v16, 0x180, v0
	;; [unrolled: 1-line block ×4, first 2 shown]
	s_and_not1_b32 vcc_lo, exec_lo, s17
	s_cbranch_vccnz .LBB352_8
; %bb.7:
	v_or_b32_e32 v3, 0x80, v0
	s_add_u32 s17, s21, s0
	s_addc_u32 s21, s22, 0
	v_add_co_u32 v1, s22, s17, v0
	s_delay_alu instid0(VALU_DEP_1) | instskip(SKIP_1) | instid1(VALU_DEP_1)
	v_add_co_ci_u32_e64 v2, null, s21, 0, s22
	v_add_co_u32 v3, s22, s17, v3
	v_add_co_ci_u32_e64 v4, null, s21, 0, s22
	v_add_co_u32 v5, s22, s17, v17
	s_delay_alu instid0(VALU_DEP_1) | instskip(SKIP_1) | instid1(VALU_DEP_1)
	v_add_co_ci_u32_e64 v6, null, s21, 0, s22
	v_add_co_u32 v7, s22, s17, v16
	v_add_co_ci_u32_e64 v8, null, s21, 0, s22
	v_add_co_u32 v9, s22, s17, v14
	v_lshlrev_b32_e32 v15, 3, v0
	v_add_co_u32 v11, s17, s17, v13
	v_add_co_ci_u32_e64 v10, null, s21, 0, s22
	v_add_co_ci_u32_e64 v12, null, s21, 0, s17
	ds_store_2addr_stride64_b64 v15, v[1:2], v[3:4] offset1:2
	ds_store_2addr_stride64_b64 v15, v[5:6], v[7:8] offset0:4 offset1:6
	ds_store_2addr_stride64_b64 v15, v[9:10], v[11:12] offset0:8 offset1:10
	s_waitcnt lgkmcnt(0)
	s_barrier
.LBB352_8:
	v_mul_u32_u24_e32 v1, 6, v0
	buffer_gl0_inv
	s_lshl_b64 s[22:23], s[10:11], 1
	s_delay_alu instid0(SALU_CYCLE_1)
	s_add_u32 s11, s18, s22
	v_lshlrev_b32_e32 v15, 3, v1
	s_addc_u32 s17, s19, s23
	s_lshl_b64 s[0:1], s[0:1], 1
	ds_load_b128 v[9:12], v15
	ds_load_b128 v[5:8], v15 offset:16
	ds_load_b128 v[1:4], v15 offset:32
	s_add_u32 s0, s11, s0
	s_addc_u32 s1, s17, s1
	s_and_b32 vcc_lo, exec_lo, s8
	s_mov_b32 s11, -1
	s_waitcnt lgkmcnt(0)
	s_barrier
	buffer_gl0_inv
	s_cbranch_vccz .LBB352_10
; %bb.9:
	v_lshlrev_b32_e32 v18, 1, v0
	s_mov_b32 s11, 0
	s_clause 0x5
	global_load_u16 v19, v18, s[0:1]
	global_load_u16 v20, v18, s[0:1] offset:256
	global_load_u16 v21, v18, s[0:1] offset:512
	;; [unrolled: 1-line block ×5, first 2 shown]
	s_waitcnt vmcnt(5)
	v_cmp_ne_u16_e32 vcc_lo, 0, v19
	v_cndmask_b32_e64 v19, 0, 1, vcc_lo
	s_waitcnt vmcnt(4)
	v_cmp_ne_u16_e32 vcc_lo, 0, v20
	v_cndmask_b32_e64 v20, 0, 1, vcc_lo
	;; [unrolled: 3-line block ×6, first 2 shown]
	ds_store_b8 v0, v19
	ds_store_b8 v0, v20 offset:128
	ds_store_b8 v0, v21 offset:256
	;; [unrolled: 1-line block ×5, first 2 shown]
	s_waitcnt lgkmcnt(0)
	s_barrier
.LBB352_10:
	s_and_not1_b32 vcc_lo, exec_lo, s11
	s_cbranch_vccnz .LBB352_24
; %bb.11:
	s_add_i32 s20, s20, s10
	v_dual_mov_b32 v18, 0 :: v_dual_mov_b32 v19, 0
	s_sub_i32 s10, s16, s20
	s_mov_b32 s11, exec_lo
	s_addk_i32 s10, 0x300
	s_delay_alu instid0(SALU_CYCLE_1)
	v_cmpx_gt_u32_e64 s10, v0
	s_cbranch_execz .LBB352_13
; %bb.12:
	v_lshlrev_b32_e32 v19, 1, v0
	global_load_u16 v19, v19, s[0:1]
	s_waitcnt vmcnt(0)
	v_cmp_ne_u16_e32 vcc_lo, 0, v19
	v_cndmask_b32_e64 v19, 0, 1, vcc_lo
.LBB352_13:
	s_or_b32 exec_lo, exec_lo, s11
	v_or_b32_e32 v20, 0x80, v0
	s_mov_b32 s11, exec_lo
	s_delay_alu instid0(VALU_DEP_1)
	v_cmpx_gt_u32_e64 s10, v20
	s_cbranch_execz .LBB352_15
; %bb.14:
	v_lshlrev_b32_e32 v18, 1, v0
	global_load_u16 v18, v18, s[0:1] offset:256
	s_waitcnt vmcnt(0)
	v_cmp_ne_u16_e32 vcc_lo, 0, v18
	v_cndmask_b32_e64 v18, 0, 1, vcc_lo
.LBB352_15:
	s_or_b32 exec_lo, exec_lo, s11
	v_cmp_gt_u32_e32 vcc_lo, s10, v17
	v_dual_mov_b32 v17, 0 :: v_dual_mov_b32 v20, 0
	s_and_saveexec_b32 s11, vcc_lo
	s_cbranch_execz .LBB352_17
; %bb.16:
	v_lshlrev_b32_e32 v20, 1, v0
	global_load_u16 v20, v20, s[0:1] offset:512
	s_waitcnt vmcnt(0)
	v_cmp_ne_u16_e32 vcc_lo, 0, v20
	v_cndmask_b32_e64 v20, 0, 1, vcc_lo
.LBB352_17:
	s_or_b32 exec_lo, exec_lo, s11
	s_delay_alu instid0(SALU_CYCLE_1)
	s_mov_b32 s11, exec_lo
	v_cmpx_gt_u32_e64 s10, v16
	s_cbranch_execz .LBB352_19
; %bb.18:
	v_lshlrev_b32_e32 v16, 1, v0
	global_load_u16 v16, v16, s[0:1] offset:768
	s_waitcnt vmcnt(0)
	v_cmp_ne_u16_e32 vcc_lo, 0, v16
	v_cndmask_b32_e64 v17, 0, 1, vcc_lo
.LBB352_19:
	s_or_b32 exec_lo, exec_lo, s11
	v_cmp_gt_u32_e32 vcc_lo, s10, v14
	v_mov_b32_e32 v14, 0
	v_mov_b32_e32 v16, 0
	s_and_saveexec_b32 s11, vcc_lo
	s_cbranch_execz .LBB352_21
; %bb.20:
	v_lshlrev_b32_e32 v16, 1, v0
	global_load_u16 v16, v16, s[0:1] offset:1024
	s_waitcnt vmcnt(0)
	v_cmp_ne_u16_e32 vcc_lo, 0, v16
	v_cndmask_b32_e64 v16, 0, 1, vcc_lo
.LBB352_21:
	s_or_b32 exec_lo, exec_lo, s11
	v_cmp_gt_u32_e32 vcc_lo, s10, v13
	s_and_saveexec_b32 s10, vcc_lo
	s_cbranch_execz .LBB352_23
; %bb.22:
	v_lshlrev_b32_e32 v13, 1, v0
	global_load_u16 v13, v13, s[0:1] offset:1280
	s_waitcnt vmcnt(0)
	v_cmp_ne_u16_e32 vcc_lo, 0, v13
	v_cndmask_b32_e64 v14, 0, 1, vcc_lo
.LBB352_23:
	s_or_b32 exec_lo, exec_lo, s10
	ds_store_b8 v0, v19
	ds_store_b8 v0, v18 offset:128
	ds_store_b8 v0, v20 offset:256
	;; [unrolled: 1-line block ×5, first 2 shown]
	s_waitcnt lgkmcnt(0)
	s_barrier
.LBB352_24:
	v_mad_i32_i24 v43, 0xffffffd6, v0, v15
	buffer_gl0_inv
	v_mbcnt_lo_u32_b32 v42, -1, 0
	s_cmp_lg_u32 s9, 0
	s_mov_b32 s1, -1
	ds_load_u16 v36, v43
	ds_load_u16 v33, v43 offset:2
	ds_load_u16 v31, v43 offset:4
	v_mov_b32_e32 v14, 0
	v_and_b32_e32 v44, 15, v42
	s_waitcnt lgkmcnt(0)
	s_barrier
	buffer_gl0_inv
	v_and_b32_e32 v41, 0xff, v36
	v_lshrrev_b16 v34, 8, v36
	v_lshrrev_b16 v35, 8, v33
	v_and_b32_e32 v39, 0xff, v33
	v_lshrrev_b16 v32, 8, v31
	v_and_b32_e32 v37, 0xff, v31
	v_and_b32_e32 v40, 0xffff, v34
	v_and_b32_e32 v38, 0xffff, v35
	s_delay_alu instid0(VALU_DEP_4) | instskip(NEXT) | instid1(VALU_DEP_3)
	v_and_b32_e32 v16, 0xffff, v32
	v_add_co_u32 v13, s0, v40, v41
	s_delay_alu instid0(VALU_DEP_1) | instskip(SKIP_1) | instid1(VALU_DEP_3)
	v_add_co_ci_u32_e64 v15, null, 0, 0, s0
	v_cmp_ne_u32_e64 s0, 0, v44
	v_add_co_u32 v13, vcc_lo, v13, v39
	s_delay_alu instid0(VALU_DEP_3) | instskip(NEXT) | instid1(VALU_DEP_2)
	v_add_co_ci_u32_e32 v15, vcc_lo, 0, v15, vcc_lo
	v_add_co_u32 v13, vcc_lo, v13, v38
	s_delay_alu instid0(VALU_DEP_2) | instskip(NEXT) | instid1(VALU_DEP_2)
	v_add_co_ci_u32_e32 v15, vcc_lo, 0, v15, vcc_lo
	v_add_co_u32 v13, vcc_lo, v13, v37
	s_delay_alu instid0(VALU_DEP_2) | instskip(NEXT) | instid1(VALU_DEP_2)
	v_add_co_ci_u32_e32 v15, vcc_lo, 0, v15, vcc_lo
	v_add_co_u32 v21, vcc_lo, v13, v16
	s_delay_alu instid0(VALU_DEP_2)
	v_add_co_ci_u32_e32 v22, vcc_lo, 0, v15, vcc_lo
	s_cbranch_scc0 .LBB352_88
; %bb.25:
	s_delay_alu instid0(VALU_DEP_2)
	v_mov_b32_e32 v15, v21
	v_mov_b32_dpp v13, v21 row_shr:1 row_mask:0xf bank_mask:0xf
	v_mov_b32_dpp v18, v14 row_shr:1 row_mask:0xf bank_mask:0xf
	v_dual_mov_b32 v17, v21 :: v_dual_mov_b32 v16, v22
	s_and_saveexec_b32 s1, s0
; %bb.26:
	s_delay_alu instid0(VALU_DEP_3) | instskip(SKIP_1) | instid1(VALU_DEP_2)
	v_add_co_u32 v17, vcc_lo, v21, v13
	v_add_co_ci_u32_e32 v14, vcc_lo, 0, v22, vcc_lo
	v_add_co_u32 v13, vcc_lo, 0, v17
	s_delay_alu instid0(VALU_DEP_2) | instskip(NEXT) | instid1(VALU_DEP_1)
	v_add_co_ci_u32_e32 v14, vcc_lo, v18, v14, vcc_lo
	v_dual_mov_b32 v16, v14 :: v_dual_mov_b32 v15, v13
; %bb.27:
	s_or_b32 exec_lo, exec_lo, s1
	v_mov_b32_dpp v13, v17 row_shr:2 row_mask:0xf bank_mask:0xf
	v_mov_b32_dpp v18, v14 row_shr:2 row_mask:0xf bank_mask:0xf
	s_mov_b32 s1, exec_lo
	v_cmpx_lt_u32_e32 1, v44
; %bb.28:
	s_delay_alu instid0(VALU_DEP_3) | instskip(SKIP_1) | instid1(VALU_DEP_2)
	v_add_co_u32 v17, vcc_lo, v15, v13
	v_add_co_ci_u32_e32 v14, vcc_lo, 0, v16, vcc_lo
	v_add_co_u32 v13, vcc_lo, 0, v17
	s_delay_alu instid0(VALU_DEP_2) | instskip(NEXT) | instid1(VALU_DEP_1)
	v_add_co_ci_u32_e32 v14, vcc_lo, v18, v14, vcc_lo
	v_dual_mov_b32 v16, v14 :: v_dual_mov_b32 v15, v13
; %bb.29:
	s_or_b32 exec_lo, exec_lo, s1
	v_mov_b32_dpp v13, v17 row_shr:4 row_mask:0xf bank_mask:0xf
	v_mov_b32_dpp v18, v14 row_shr:4 row_mask:0xf bank_mask:0xf
	s_mov_b32 s1, exec_lo
	v_cmpx_lt_u32_e32 3, v44
	;; [unrolled: 14-line block ×3, first 2 shown]
; %bb.32:
	s_delay_alu instid0(VALU_DEP_3) | instskip(SKIP_1) | instid1(VALU_DEP_2)
	v_add_co_u32 v17, vcc_lo, v15, v18
	v_add_co_ci_u32_e32 v14, vcc_lo, 0, v16, vcc_lo
	v_add_co_u32 v15, vcc_lo, 0, v17
	s_delay_alu instid0(VALU_DEP_2) | instskip(NEXT) | instid1(VALU_DEP_1)
	v_add_co_ci_u32_e32 v16, vcc_lo, v13, v14, vcc_lo
	v_mov_b32_e32 v14, v16
; %bb.33:
	s_or_b32 exec_lo, exec_lo, s1
	ds_swizzle_b32 v13, v17 offset:swizzle(BROADCAST,32,15)
	ds_swizzle_b32 v18, v14 offset:swizzle(BROADCAST,32,15)
	v_and_b32_e32 v19, 16, v42
	s_mov_b32 s1, exec_lo
	s_delay_alu instid0(VALU_DEP_1)
	v_cmpx_ne_u32_e32 0, v19
	s_cbranch_execz .LBB352_35
; %bb.34:
	s_waitcnt lgkmcnt(1)
	v_add_co_u32 v17, vcc_lo, v15, v13
	v_add_co_ci_u32_e32 v14, vcc_lo, 0, v16, vcc_lo
	s_delay_alu instid0(VALU_DEP_2) | instskip(SKIP_1) | instid1(VALU_DEP_2)
	v_add_co_u32 v13, vcc_lo, 0, v17
	s_waitcnt lgkmcnt(0)
	v_add_co_ci_u32_e32 v14, vcc_lo, v18, v14, vcc_lo
	s_delay_alu instid0(VALU_DEP_1)
	v_dual_mov_b32 v16, v14 :: v_dual_mov_b32 v15, v13
.LBB352_35:
	s_or_b32 exec_lo, exec_lo, s1
	s_waitcnt lgkmcnt(0)
	v_or_b32_e32 v18, 31, v0
	v_lshrrev_b32_e32 v13, 5, v0
	s_mov_b32 s1, exec_lo
	s_delay_alu instid0(VALU_DEP_2)
	v_cmpx_eq_u32_e64 v18, v0
	s_cbranch_execz .LBB352_37
; %bb.36:
	s_delay_alu instid0(VALU_DEP_2)
	v_lshlrev_b32_e32 v18, 3, v13
	ds_store_b64 v18, v[15:16]
.LBB352_37:
	s_or_b32 exec_lo, exec_lo, s1
	s_delay_alu instid0(SALU_CYCLE_1)
	s_mov_b32 s1, exec_lo
	s_waitcnt lgkmcnt(0)
	s_barrier
	buffer_gl0_inv
	v_cmpx_gt_u32_e32 4, v0
	s_cbranch_execz .LBB352_43
; %bb.38:
	v_lshlrev_b32_e32 v18, 3, v0
	s_mov_b32 s10, exec_lo
	ds_load_b64 v[15:16], v18
	s_waitcnt lgkmcnt(0)
	v_dual_mov_b32 v20, v15 :: v_dual_and_b32 v19, 3, v42
	v_mov_b32_dpp v24, v15 row_shr:1 row_mask:0xf bank_mask:0xf
	v_mov_b32_dpp v23, v16 row_shr:1 row_mask:0xf bank_mask:0xf
	s_delay_alu instid0(VALU_DEP_3)
	v_cmpx_ne_u32_e32 0, v19
; %bb.39:
	s_delay_alu instid0(VALU_DEP_3) | instskip(SKIP_1) | instid1(VALU_DEP_2)
	v_add_co_u32 v20, vcc_lo, v15, v24
	v_add_co_ci_u32_e32 v16, vcc_lo, 0, v16, vcc_lo
	v_add_co_u32 v15, vcc_lo, 0, v20
	s_delay_alu instid0(VALU_DEP_2)
	v_add_co_ci_u32_e32 v16, vcc_lo, v23, v16, vcc_lo
; %bb.40:
	s_or_b32 exec_lo, exec_lo, s10
	v_mov_b32_dpp v23, v20 row_shr:2 row_mask:0xf bank_mask:0xf
	s_delay_alu instid0(VALU_DEP_2)
	v_mov_b32_dpp v20, v16 row_shr:2 row_mask:0xf bank_mask:0xf
	s_mov_b32 s10, exec_lo
	v_cmpx_lt_u32_e32 1, v19
; %bb.41:
	s_delay_alu instid0(VALU_DEP_3) | instskip(SKIP_1) | instid1(VALU_DEP_2)
	v_add_co_u32 v15, vcc_lo, v15, v23
	v_add_co_ci_u32_e32 v16, vcc_lo, 0, v16, vcc_lo
	v_add_co_u32 v15, vcc_lo, v15, 0
	s_delay_alu instid0(VALU_DEP_2)
	v_add_co_ci_u32_e32 v16, vcc_lo, v16, v20, vcc_lo
; %bb.42:
	s_or_b32 exec_lo, exec_lo, s10
	ds_store_b64 v18, v[15:16]
.LBB352_43:
	s_or_b32 exec_lo, exec_lo, s1
	v_cmp_gt_u32_e32 vcc_lo, 32, v0
	s_mov_b32 s10, exec_lo
	s_waitcnt lgkmcnt(0)
	s_barrier
	buffer_gl0_inv
                                        ; implicit-def: $vgpr23_vgpr24
	v_cmpx_lt_u32_e32 31, v0
	s_cbranch_execz .LBB352_45
; %bb.44:
	v_lshl_add_u32 v13, v13, 3, -8
	ds_load_b64 v[23:24], v13
	s_waitcnt lgkmcnt(0)
	v_add_co_u32 v17, s1, v17, v23
	s_delay_alu instid0(VALU_DEP_1)
	v_add_co_ci_u32_e64 v14, s1, v14, v24, s1
.LBB352_45:
	s_or_b32 exec_lo, exec_lo, s10
	v_add_nc_u32_e32 v13, -1, v42
	s_delay_alu instid0(VALU_DEP_1) | instskip(NEXT) | instid1(VALU_DEP_1)
	v_cmp_gt_i32_e64 s1, 0, v13
	v_cndmask_b32_e64 v13, v13, v42, s1
	v_cmp_eq_u32_e64 s1, 0, v42
	s_delay_alu instid0(VALU_DEP_2)
	v_lshlrev_b32_e32 v13, 2, v13
	ds_bpermute_b32 v29, v13, v17
	ds_bpermute_b32 v30, v13, v14
	s_and_saveexec_b32 s10, vcc_lo
	s_cbranch_execz .LBB352_83
; %bb.46:
	v_mov_b32_e32 v16, 0
	ds_load_b64 v[13:14], v16 offset:24
	s_and_saveexec_b32 s11, s1
	s_cbranch_execz .LBB352_48
; %bb.47:
	s_add_i32 s16, s9, 32
	s_mov_b32 s17, 0
	s_delay_alu instid0(SALU_CYCLE_1) | instskip(NEXT) | instid1(SALU_CYCLE_1)
	s_lshl_b64 s[16:17], s[16:17], 4
	s_add_u32 s16, s14, s16
	s_addc_u32 s17, s15, s17
	s_delay_alu instid0(SALU_CYCLE_1)
	v_dual_mov_b32 v15, 1 :: v_dual_mov_b32 v18, s17
	v_mov_b32_e32 v17, s16
	s_waitcnt lgkmcnt(0)
	;;#ASMSTART
	global_store_dwordx4 v[17:18], v[13:16] off	
s_waitcnt vmcnt(0)
	;;#ASMEND
.LBB352_48:
	s_or_b32 exec_lo, exec_lo, s11
	v_xad_u32 v25, v42, -1, s9
	s_mov_b32 s16, 0
	s_mov_b32 s11, exec_lo
	s_delay_alu instid0(VALU_DEP_1) | instskip(NEXT) | instid1(VALU_DEP_1)
	v_add_nc_u32_e32 v15, 32, v25
	v_lshlrev_b64 v[15:16], 4, v[15:16]
	s_delay_alu instid0(VALU_DEP_1) | instskip(NEXT) | instid1(VALU_DEP_2)
	v_add_co_u32 v15, vcc_lo, s14, v15
	v_add_co_ci_u32_e32 v16, vcc_lo, s15, v16, vcc_lo
	;;#ASMSTART
	global_load_dwordx4 v[17:20], v[15:16] off glc	
s_waitcnt vmcnt(0)
	;;#ASMEND
	v_and_b32_e32 v20, 0xff, v18
	v_and_b32_e32 v26, 0xff00, v18
	v_or3_b32 v17, v17, 0, 0
	v_and_b32_e32 v27, 0xff000000, v18
	v_and_b32_e32 v18, 0xff0000, v18
	s_delay_alu instid0(VALU_DEP_4) | instskip(SKIP_2) | instid1(VALU_DEP_3)
	v_or3_b32 v20, 0, v20, v26
	v_and_b32_e32 v26, 0xff, v19
	v_or3_b32 v17, v17, 0, 0
	v_or3_b32 v18, v20, v18, v27
	s_delay_alu instid0(VALU_DEP_3)
	v_cmpx_eq_u16_e32 0, v26
	s_cbranch_execz .LBB352_51
.LBB352_49:                             ; =>This Inner Loop Header: Depth=1
	;;#ASMSTART
	global_load_dwordx4 v[17:20], v[15:16] off glc	
s_waitcnt vmcnt(0)
	;;#ASMEND
	v_and_b32_e32 v20, 0xff, v19
	s_delay_alu instid0(VALU_DEP_1) | instskip(SKIP_1) | instid1(SALU_CYCLE_1)
	v_cmp_ne_u16_e32 vcc_lo, 0, v20
	s_or_b32 s16, vcc_lo, s16
	s_and_not1_b32 exec_lo, exec_lo, s16
	s_cbranch_execnz .LBB352_49
; %bb.50:
	s_or_b32 exec_lo, exec_lo, s16
.LBB352_51:
	s_delay_alu instid0(SALU_CYCLE_1)
	s_or_b32 exec_lo, exec_lo, s11
	v_cmp_ne_u32_e32 vcc_lo, 31, v42
	v_and_b32_e32 v16, 0xff, v19
	v_lshlrev_b32_e64 v46, v42, -1
	s_mov_b32 s11, exec_lo
	v_add_co_ci_u32_e32 v15, vcc_lo, 0, v42, vcc_lo
	s_delay_alu instid0(VALU_DEP_3) | instskip(NEXT) | instid1(VALU_DEP_2)
	v_cmp_eq_u16_e32 vcc_lo, 2, v16
	v_dual_mov_b32 v16, v17 :: v_dual_lshlrev_b32 v45, 2, v15
	v_and_or_b32 v15, vcc_lo, v46, 0x80000000
	ds_bpermute_b32 v26, v45, v17
	ds_bpermute_b32 v20, v45, v18
	v_ctz_i32_b32_e32 v15, v15
	s_delay_alu instid0(VALU_DEP_1)
	v_cmpx_lt_u32_e64 v42, v15
	s_cbranch_execz .LBB352_53
; %bb.52:
	s_waitcnt lgkmcnt(1)
	v_add_co_u32 v16, vcc_lo, v17, v26
	v_add_co_ci_u32_e32 v18, vcc_lo, 0, v18, vcc_lo
	s_delay_alu instid0(VALU_DEP_2) | instskip(SKIP_1) | instid1(VALU_DEP_2)
	v_add_co_u32 v17, vcc_lo, 0, v16
	s_waitcnt lgkmcnt(0)
	v_add_co_ci_u32_e32 v18, vcc_lo, v20, v18, vcc_lo
.LBB352_53:
	s_or_b32 exec_lo, exec_lo, s11
	v_cmp_gt_u32_e32 vcc_lo, 30, v42
	v_add_nc_u32_e32 v48, 2, v42
	s_mov_b32 s11, exec_lo
	s_waitcnt lgkmcnt(0)
	v_cndmask_b32_e64 v20, 0, 1, vcc_lo
	s_delay_alu instid0(VALU_DEP_1) | instskip(NEXT) | instid1(VALU_DEP_1)
	v_lshlrev_b32_e32 v20, 1, v20
	v_add_lshl_u32 v47, v20, v42, 2
	ds_bpermute_b32 v26, v47, v16
	ds_bpermute_b32 v20, v47, v18
	v_cmpx_le_u32_e64 v48, v15
	s_cbranch_execz .LBB352_55
; %bb.54:
	s_waitcnt lgkmcnt(1)
	v_add_co_u32 v16, vcc_lo, v17, v26
	v_add_co_ci_u32_e32 v18, vcc_lo, 0, v18, vcc_lo
	s_delay_alu instid0(VALU_DEP_2) | instskip(SKIP_1) | instid1(VALU_DEP_2)
	v_add_co_u32 v17, vcc_lo, 0, v16
	s_waitcnt lgkmcnt(0)
	v_add_co_ci_u32_e32 v18, vcc_lo, v20, v18, vcc_lo
.LBB352_55:
	s_or_b32 exec_lo, exec_lo, s11
	v_cmp_gt_u32_e32 vcc_lo, 28, v42
	v_add_nc_u32_e32 v50, 4, v42
	s_mov_b32 s11, exec_lo
	s_waitcnt lgkmcnt(0)
	v_cndmask_b32_e64 v20, 0, 1, vcc_lo
	s_delay_alu instid0(VALU_DEP_1) | instskip(NEXT) | instid1(VALU_DEP_1)
	v_lshlrev_b32_e32 v20, 2, v20
	v_add_lshl_u32 v49, v20, v42, 2
	ds_bpermute_b32 v26, v49, v16
	ds_bpermute_b32 v20, v49, v18
	v_cmpx_le_u32_e64 v50, v15
	;; [unrolled: 22-line block ×4, first 2 shown]
	s_cbranch_execz .LBB352_61
; %bb.60:
	s_waitcnt lgkmcnt(1)
	v_add_co_u32 v15, vcc_lo, v17, v20
	v_add_co_ci_u32_e32 v18, vcc_lo, 0, v18, vcc_lo
	s_delay_alu instid0(VALU_DEP_2) | instskip(SKIP_1) | instid1(VALU_DEP_2)
	v_add_co_u32 v17, vcc_lo, v15, 0
	s_waitcnt lgkmcnt(0)
	v_add_co_ci_u32_e32 v18, vcc_lo, v18, v16, vcc_lo
.LBB352_61:
	s_or_b32 exec_lo, exec_lo, s11
	v_mov_b32_e32 v26, 0
	s_branch .LBB352_63
.LBB352_62:                             ;   in Loop: Header=BB352_63 Depth=1
	s_or_b32 exec_lo, exec_lo, s11
	v_add_co_u32 v17, vcc_lo, v17, v15
	v_subrev_nc_u32_e32 v25, 32, v25
	v_add_co_ci_u32_e32 v18, vcc_lo, v18, v16, vcc_lo
.LBB352_63:                             ; =>This Loop Header: Depth=1
                                        ;     Child Loop BB352_66 Depth 2
	v_and_b32_e32 v15, 0xff, v19
	s_delay_alu instid0(VALU_DEP_1) | instskip(SKIP_2) | instid1(VALU_DEP_1)
	v_cmp_ne_u16_e32 vcc_lo, 2, v15
	v_cndmask_b32_e64 v15, 0, 1, vcc_lo
	;;#ASMSTART
	;;#ASMEND
	v_cmp_ne_u32_e32 vcc_lo, 0, v15
	s_waitcnt lgkmcnt(0)
	v_dual_mov_b32 v15, v17 :: v_dual_mov_b32 v16, v18
	s_cmp_lg_u32 vcc_lo, exec_lo
	s_cbranch_scc1 .LBB352_78
; %bb.64:                               ;   in Loop: Header=BB352_63 Depth=1
	v_lshlrev_b64 v[17:18], 4, v[25:26]
	s_mov_b32 s11, exec_lo
	s_delay_alu instid0(VALU_DEP_1) | instskip(NEXT) | instid1(VALU_DEP_2)
	v_add_co_u32 v27, vcc_lo, s14, v17
	v_add_co_ci_u32_e32 v28, vcc_lo, s15, v18, vcc_lo
	;;#ASMSTART
	global_load_dwordx4 v[17:20], v[27:28] off glc	
s_waitcnt vmcnt(0)
	;;#ASMEND
	v_and_b32_e32 v20, 0xff, v18
	v_and_b32_e32 v55, 0xff00, v18
	v_or3_b32 v17, v17, 0, 0
	v_and_b32_e32 v56, 0xff000000, v18
	v_and_b32_e32 v18, 0xff0000, v18
	s_delay_alu instid0(VALU_DEP_4) | instskip(SKIP_2) | instid1(VALU_DEP_3)
	v_or3_b32 v20, 0, v20, v55
	v_and_b32_e32 v55, 0xff, v19
	v_or3_b32 v17, v17, 0, 0
	v_or3_b32 v18, v20, v18, v56
	s_delay_alu instid0(VALU_DEP_3)
	v_cmpx_eq_u16_e32 0, v55
	s_cbranch_execz .LBB352_68
; %bb.65:                               ;   in Loop: Header=BB352_63 Depth=1
	s_mov_b32 s16, 0
.LBB352_66:                             ;   Parent Loop BB352_63 Depth=1
                                        ; =>  This Inner Loop Header: Depth=2
	;;#ASMSTART
	global_load_dwordx4 v[17:20], v[27:28] off glc	
s_waitcnt vmcnt(0)
	;;#ASMEND
	v_and_b32_e32 v20, 0xff, v19
	s_delay_alu instid0(VALU_DEP_1) | instskip(SKIP_1) | instid1(SALU_CYCLE_1)
	v_cmp_ne_u16_e32 vcc_lo, 0, v20
	s_or_b32 s16, vcc_lo, s16
	s_and_not1_b32 exec_lo, exec_lo, s16
	s_cbranch_execnz .LBB352_66
; %bb.67:                               ;   in Loop: Header=BB352_63 Depth=1
	s_or_b32 exec_lo, exec_lo, s16
.LBB352_68:                             ;   in Loop: Header=BB352_63 Depth=1
	s_delay_alu instid0(SALU_CYCLE_1)
	s_or_b32 exec_lo, exec_lo, s11
	v_dual_mov_b32 v27, v17 :: v_dual_and_b32 v20, 0xff, v19
	ds_bpermute_b32 v55, v45, v17
	ds_bpermute_b32 v28, v45, v18
	s_mov_b32 s11, exec_lo
	v_cmp_eq_u16_e32 vcc_lo, 2, v20
	v_and_or_b32 v20, vcc_lo, v46, 0x80000000
	s_delay_alu instid0(VALU_DEP_1) | instskip(NEXT) | instid1(VALU_DEP_1)
	v_ctz_i32_b32_e32 v20, v20
	v_cmpx_lt_u32_e64 v42, v20
	s_cbranch_execz .LBB352_70
; %bb.69:                               ;   in Loop: Header=BB352_63 Depth=1
	s_waitcnt lgkmcnt(1)
	v_add_co_u32 v27, vcc_lo, v17, v55
	v_add_co_ci_u32_e32 v18, vcc_lo, 0, v18, vcc_lo
	s_delay_alu instid0(VALU_DEP_2) | instskip(SKIP_1) | instid1(VALU_DEP_2)
	v_add_co_u32 v17, vcc_lo, 0, v27
	s_waitcnt lgkmcnt(0)
	v_add_co_ci_u32_e32 v18, vcc_lo, v28, v18, vcc_lo
.LBB352_70:                             ;   in Loop: Header=BB352_63 Depth=1
	s_or_b32 exec_lo, exec_lo, s11
	s_waitcnt lgkmcnt(1)
	ds_bpermute_b32 v55, v47, v27
	s_waitcnt lgkmcnt(1)
	ds_bpermute_b32 v28, v47, v18
	s_mov_b32 s11, exec_lo
	v_cmpx_le_u32_e64 v48, v20
	s_cbranch_execz .LBB352_72
; %bb.71:                               ;   in Loop: Header=BB352_63 Depth=1
	s_waitcnt lgkmcnt(1)
	v_add_co_u32 v27, vcc_lo, v17, v55
	v_add_co_ci_u32_e32 v18, vcc_lo, 0, v18, vcc_lo
	s_delay_alu instid0(VALU_DEP_2) | instskip(SKIP_1) | instid1(VALU_DEP_2)
	v_add_co_u32 v17, vcc_lo, 0, v27
	s_waitcnt lgkmcnt(0)
	v_add_co_ci_u32_e32 v18, vcc_lo, v28, v18, vcc_lo
.LBB352_72:                             ;   in Loop: Header=BB352_63 Depth=1
	s_or_b32 exec_lo, exec_lo, s11
	s_waitcnt lgkmcnt(1)
	ds_bpermute_b32 v55, v49, v27
	s_waitcnt lgkmcnt(1)
	ds_bpermute_b32 v28, v49, v18
	s_mov_b32 s11, exec_lo
	v_cmpx_le_u32_e64 v50, v20
	;; [unrolled: 17-line block ×3, first 2 shown]
	s_cbranch_execz .LBB352_76
; %bb.75:                               ;   in Loop: Header=BB352_63 Depth=1
	s_waitcnt lgkmcnt(1)
	v_add_co_u32 v27, vcc_lo, v17, v55
	v_add_co_ci_u32_e32 v18, vcc_lo, 0, v18, vcc_lo
	s_delay_alu instid0(VALU_DEP_2) | instskip(SKIP_1) | instid1(VALU_DEP_2)
	v_add_co_u32 v17, vcc_lo, 0, v27
	s_waitcnt lgkmcnt(0)
	v_add_co_ci_u32_e32 v18, vcc_lo, v28, v18, vcc_lo
.LBB352_76:                             ;   in Loop: Header=BB352_63 Depth=1
	s_or_b32 exec_lo, exec_lo, s11
	s_waitcnt lgkmcnt(0)
	ds_bpermute_b32 v28, v53, v27
	ds_bpermute_b32 v27, v53, v18
	s_mov_b32 s11, exec_lo
	v_cmpx_le_u32_e64 v54, v20
	s_cbranch_execz .LBB352_62
; %bb.77:                               ;   in Loop: Header=BB352_63 Depth=1
	s_waitcnt lgkmcnt(1)
	v_add_co_u32 v17, vcc_lo, v17, v28
	v_add_co_ci_u32_e32 v18, vcc_lo, 0, v18, vcc_lo
	s_delay_alu instid0(VALU_DEP_2) | instskip(SKIP_1) | instid1(VALU_DEP_2)
	v_add_co_u32 v17, vcc_lo, v17, 0
	s_waitcnt lgkmcnt(0)
	v_add_co_ci_u32_e32 v18, vcc_lo, v18, v27, vcc_lo
	s_branch .LBB352_62
.LBB352_78:                             ;   in Loop: Header=BB352_63 Depth=1
                                        ; implicit-def: $vgpr17_vgpr18
	s_cbranch_execz .LBB352_63
; %bb.79:
	s_and_saveexec_b32 s11, s1
	s_cbranch_execz .LBB352_81
; %bb.80:
	s_add_i32 s16, s9, 32
	s_mov_b32 s17, 0
	v_add_co_u32 v17, vcc_lo, v15, v13
	s_lshl_b64 s[16:17], s[16:17], 4
	v_dual_mov_b32 v19, 2 :: v_dual_mov_b32 v20, 0
	s_add_u32 s16, s14, s16
	s_addc_u32 s17, s15, s17
	v_add_co_ci_u32_e32 v18, vcc_lo, v16, v14, vcc_lo
	v_dual_mov_b32 v26, s17 :: v_dual_mov_b32 v25, s16
	;;#ASMSTART
	global_store_dwordx4 v[25:26], v[17:20] off	
s_waitcnt vmcnt(0)
	;;#ASMEND
	ds_store_b128 v20, v[13:16] offset:6144
.LBB352_81:
	s_or_b32 exec_lo, exec_lo, s11
	s_delay_alu instid0(SALU_CYCLE_1)
	s_and_b32 exec_lo, exec_lo, s2
	s_cbranch_execz .LBB352_83
; %bb.82:
	v_mov_b32_e32 v13, 0
	ds_store_b64 v13, v[15:16] offset:24
.LBB352_83:
	s_or_b32 exec_lo, exec_lo, s10
	v_mov_b32_e32 v15, 0
	s_waitcnt lgkmcnt(0)
	s_barrier
	buffer_gl0_inv
	v_cndmask_b32_e64 v16, v29, v23, s1
	ds_load_b64 v[13:14], v15 offset:24
	v_cndmask_b32_e64 v17, v30, v24, s1
	s_waitcnt lgkmcnt(0)
	s_barrier
	v_cndmask_b32_e64 v16, v16, 0, s2
	buffer_gl0_inv
	v_cndmask_b32_e64 v17, v17, 0, s2
	v_add_co_u32 v29, vcc_lo, v13, v16
	s_delay_alu instid0(VALU_DEP_2) | instskip(SKIP_3) | instid1(VALU_DEP_2)
	v_add_co_ci_u32_e32 v30, vcc_lo, v14, v17, vcc_lo
	ds_load_b128 v[13:16], v15 offset:6144
	v_add_co_u32 v27, vcc_lo, v29, v41
	v_add_co_ci_u32_e32 v28, vcc_lo, 0, v30, vcc_lo
	v_add_co_u32 v25, vcc_lo, v27, v40
	s_delay_alu instid0(VALU_DEP_2) | instskip(NEXT) | instid1(VALU_DEP_2)
	v_add_co_ci_u32_e32 v26, vcc_lo, 0, v28, vcc_lo
	v_add_co_u32 v23, vcc_lo, v25, v39
	s_delay_alu instid0(VALU_DEP_2) | instskip(NEXT) | instid1(VALU_DEP_2)
	;; [unrolled: 3-line block ×3, first 2 shown]
	v_add_co_ci_u32_e32 v20, vcc_lo, 0, v24, vcc_lo
	v_add_co_u32 v17, vcc_lo, v19, v37
	s_delay_alu instid0(VALU_DEP_2)
	v_add_co_ci_u32_e32 v18, vcc_lo, 0, v20, vcc_lo
.LBB352_84:
	s_waitcnt lgkmcnt(0)
	v_cmp_gt_u64_e32 vcc_lo, 0x81, v[13:14]
	s_mov_b32 s0, -1
	s_cbranch_vccnz .LBB352_112
.LBB352_85:
	s_and_b32 vcc_lo, exec_lo, s0
	s_cbranch_vccnz .LBB352_131
.LBB352_86:
	s_and_b32 s0, s2, s3
	s_delay_alu instid0(SALU_CYCLE_1)
	s_and_saveexec_b32 s1, s0
	s_cbranch_execnz .LBB352_147
.LBB352_87:
	s_nop 0
	s_sendmsg sendmsg(MSG_DEALLOC_VGPRS)
	s_endpgm
.LBB352_88:
                                        ; kill: def $vgpr13_vgpr14 killed $sgpr0_sgpr1 killed $exec
                                        ; implicit-def: $vgpr17_vgpr18
                                        ; implicit-def: $vgpr19_vgpr20
                                        ; implicit-def: $vgpr23_vgpr24
                                        ; implicit-def: $vgpr25_vgpr26
                                        ; implicit-def: $vgpr27_vgpr28
                                        ; implicit-def: $vgpr29_vgpr30
                                        ; implicit-def: $vgpr15_vgpr16
	s_and_b32 vcc_lo, exec_lo, s1
	s_cbranch_vccz .LBB352_84
; %bb.89:
	s_waitcnt lgkmcnt(0)
	v_dual_mov_b32 v14, 0 :: v_dual_mov_b32 v15, v21
	v_mov_b32_dpp v16, v21 row_shr:1 row_mask:0xf bank_mask:0xf
	s_delay_alu instid0(VALU_DEP_2)
	v_mov_b32_dpp v13, v14 row_shr:1 row_mask:0xf bank_mask:0xf
	s_and_saveexec_b32 s1, s0
; %bb.90:
	s_delay_alu instid0(VALU_DEP_2) | instskip(SKIP_1) | instid1(VALU_DEP_2)
	v_add_co_u32 v15, vcc_lo, v21, v16
	v_add_co_ci_u32_e32 v14, vcc_lo, 0, v22, vcc_lo
	v_add_co_u32 v21, vcc_lo, 0, v15
	s_delay_alu instid0(VALU_DEP_2) | instskip(NEXT) | instid1(VALU_DEP_1)
	v_add_co_ci_u32_e32 v22, vcc_lo, v13, v14, vcc_lo
	v_mov_b32_e32 v14, v22
; %bb.91:
	s_or_b32 exec_lo, exec_lo, s1
	v_mov_b32_dpp v13, v15 row_shr:2 row_mask:0xf bank_mask:0xf
	s_delay_alu instid0(VALU_DEP_2)
	v_mov_b32_dpp v16, v14 row_shr:2 row_mask:0xf bank_mask:0xf
	s_mov_b32 s0, exec_lo
	v_cmpx_lt_u32_e32 1, v44
; %bb.92:
	s_delay_alu instid0(VALU_DEP_3) | instskip(SKIP_1) | instid1(VALU_DEP_2)
	v_add_co_u32 v15, vcc_lo, v21, v13
	v_add_co_ci_u32_e32 v14, vcc_lo, 0, v22, vcc_lo
	v_add_co_u32 v13, vcc_lo, 0, v15
	s_delay_alu instid0(VALU_DEP_2) | instskip(NEXT) | instid1(VALU_DEP_1)
	v_add_co_ci_u32_e32 v14, vcc_lo, v16, v14, vcc_lo
	v_dual_mov_b32 v22, v14 :: v_dual_mov_b32 v21, v13
; %bb.93:
	s_or_b32 exec_lo, exec_lo, s0
	v_mov_b32_dpp v13, v15 row_shr:4 row_mask:0xf bank_mask:0xf
	v_mov_b32_dpp v16, v14 row_shr:4 row_mask:0xf bank_mask:0xf
	s_mov_b32 s0, exec_lo
	v_cmpx_lt_u32_e32 3, v44
; %bb.94:
	s_delay_alu instid0(VALU_DEP_3) | instskip(SKIP_1) | instid1(VALU_DEP_2)
	v_add_co_u32 v15, vcc_lo, v21, v13
	v_add_co_ci_u32_e32 v14, vcc_lo, 0, v22, vcc_lo
	v_add_co_u32 v13, vcc_lo, 0, v15
	s_delay_alu instid0(VALU_DEP_2) | instskip(NEXT) | instid1(VALU_DEP_1)
	v_add_co_ci_u32_e32 v14, vcc_lo, v16, v14, vcc_lo
	v_dual_mov_b32 v22, v14 :: v_dual_mov_b32 v21, v13
; %bb.95:
	s_or_b32 exec_lo, exec_lo, s0
	v_mov_b32_dpp v16, v15 row_shr:8 row_mask:0xf bank_mask:0xf
	v_mov_b32_dpp v13, v14 row_shr:8 row_mask:0xf bank_mask:0xf
	s_mov_b32 s0, exec_lo
	v_cmpx_lt_u32_e32 7, v44
; %bb.96:
	s_delay_alu instid0(VALU_DEP_3) | instskip(SKIP_1) | instid1(VALU_DEP_2)
	v_add_co_u32 v15, vcc_lo, v21, v16
	v_add_co_ci_u32_e32 v14, vcc_lo, 0, v22, vcc_lo
	v_add_co_u32 v21, vcc_lo, 0, v15
	s_delay_alu instid0(VALU_DEP_2) | instskip(NEXT) | instid1(VALU_DEP_1)
	v_add_co_ci_u32_e32 v22, vcc_lo, v13, v14, vcc_lo
	v_mov_b32_e32 v14, v22
; %bb.97:
	s_or_b32 exec_lo, exec_lo, s0
	ds_swizzle_b32 v15, v15 offset:swizzle(BROADCAST,32,15)
	ds_swizzle_b32 v13, v14 offset:swizzle(BROADCAST,32,15)
	v_and_b32_e32 v14, 16, v42
	s_mov_b32 s0, exec_lo
	s_delay_alu instid0(VALU_DEP_1)
	v_cmpx_ne_u32_e32 0, v14
	s_cbranch_execz .LBB352_99
; %bb.98:
	s_waitcnt lgkmcnt(1)
	v_add_co_u32 v14, vcc_lo, v21, v15
	v_add_co_ci_u32_e32 v15, vcc_lo, 0, v22, vcc_lo
	s_delay_alu instid0(VALU_DEP_2) | instskip(SKIP_1) | instid1(VALU_DEP_2)
	v_add_co_u32 v21, vcc_lo, v14, 0
	s_waitcnt lgkmcnt(0)
	v_add_co_ci_u32_e32 v22, vcc_lo, v15, v13, vcc_lo
.LBB352_99:
	s_or_b32 exec_lo, exec_lo, s0
	s_waitcnt lgkmcnt(0)
	v_or_b32_e32 v13, 31, v0
	v_lshrrev_b32_e32 v15, 5, v0
	s_mov_b32 s0, exec_lo
	s_delay_alu instid0(VALU_DEP_2)
	v_cmpx_eq_u32_e64 v13, v0
	s_cbranch_execz .LBB352_101
; %bb.100:
	s_delay_alu instid0(VALU_DEP_2)
	v_lshlrev_b32_e32 v13, 3, v15
	ds_store_b64 v13, v[21:22]
.LBB352_101:
	s_or_b32 exec_lo, exec_lo, s0
	s_delay_alu instid0(SALU_CYCLE_1)
	s_mov_b32 s0, exec_lo
	s_waitcnt lgkmcnt(0)
	s_barrier
	buffer_gl0_inv
	v_cmpx_gt_u32_e32 4, v0
	s_cbranch_execz .LBB352_107
; %bb.102:
	v_lshlrev_b32_e32 v13, 1, v0
	s_mov_b32 s1, exec_lo
	s_delay_alu instid0(VALU_DEP_1)
	v_add_nc_u32_e32 v16, v43, v13
	ds_load_b64 v[13:14], v16
	s_waitcnt lgkmcnt(0)
	v_dual_mov_b32 v18, v13 :: v_dual_and_b32 v17, 3, v42
	v_mov_b32_dpp v20, v13 row_shr:1 row_mask:0xf bank_mask:0xf
	v_mov_b32_dpp v19, v14 row_shr:1 row_mask:0xf bank_mask:0xf
	s_delay_alu instid0(VALU_DEP_3)
	v_cmpx_ne_u32_e32 0, v17
; %bb.103:
	s_delay_alu instid0(VALU_DEP_3) | instskip(SKIP_1) | instid1(VALU_DEP_2)
	v_add_co_u32 v18, vcc_lo, v13, v20
	v_add_co_ci_u32_e32 v14, vcc_lo, 0, v14, vcc_lo
	v_add_co_u32 v13, vcc_lo, 0, v18
	s_delay_alu instid0(VALU_DEP_2)
	v_add_co_ci_u32_e32 v14, vcc_lo, v19, v14, vcc_lo
; %bb.104:
	s_or_b32 exec_lo, exec_lo, s1
	v_mov_b32_dpp v19, v18 row_shr:2 row_mask:0xf bank_mask:0xf
	s_delay_alu instid0(VALU_DEP_2)
	v_mov_b32_dpp v18, v14 row_shr:2 row_mask:0xf bank_mask:0xf
	s_mov_b32 s1, exec_lo
	v_cmpx_lt_u32_e32 1, v17
; %bb.105:
	s_delay_alu instid0(VALU_DEP_3) | instskip(SKIP_1) | instid1(VALU_DEP_2)
	v_add_co_u32 v13, vcc_lo, v13, v19
	v_add_co_ci_u32_e32 v14, vcc_lo, 0, v14, vcc_lo
	v_add_co_u32 v13, vcc_lo, v13, 0
	s_delay_alu instid0(VALU_DEP_2)
	v_add_co_ci_u32_e32 v14, vcc_lo, v14, v18, vcc_lo
; %bb.106:
	s_or_b32 exec_lo, exec_lo, s1
	ds_store_b64 v16, v[13:14]
.LBB352_107:
	s_or_b32 exec_lo, exec_lo, s0
	v_mov_b32_e32 v17, 0
	v_mov_b32_e32 v18, 0
	s_mov_b32 s0, exec_lo
	s_waitcnt lgkmcnt(0)
	s_barrier
	buffer_gl0_inv
	v_cmpx_lt_u32_e32 31, v0
	s_cbranch_execz .LBB352_109
; %bb.108:
	v_lshl_add_u32 v13, v15, 3, -8
	ds_load_b64 v[17:18], v13
.LBB352_109:
	s_or_b32 exec_lo, exec_lo, s0
	v_dual_mov_b32 v16, 0 :: v_dual_add_nc_u32 v13, -1, v42
	s_delay_alu instid0(VALU_DEP_1) | instskip(SKIP_4) | instid1(VALU_DEP_3)
	v_cmp_gt_i32_e32 vcc_lo, 0, v13
	v_cndmask_b32_e32 v13, v13, v42, vcc_lo
	s_waitcnt lgkmcnt(0)
	v_add_co_u32 v14, vcc_lo, v17, v21
	v_add_co_ci_u32_e32 v15, vcc_lo, v18, v22, vcc_lo
	v_lshlrev_b32_e32 v13, 2, v13
	ds_bpermute_b32 v19, v13, v14
	ds_bpermute_b32 v20, v13, v15
	ds_load_b64 v[13:14], v16 offset:24
	s_and_saveexec_b32 s0, s2
	s_cbranch_execz .LBB352_111
; %bb.110:
	s_add_u32 s10, s14, 0x200
	s_addc_u32 s11, s15, 0
	s_delay_alu instid0(SALU_CYCLE_1)
	v_dual_mov_b32 v15, 2 :: v_dual_mov_b32 v22, s11
	v_mov_b32_e32 v21, s10
	s_waitcnt lgkmcnt(0)
	;;#ASMSTART
	global_store_dwordx4 v[21:22], v[13:16] off	
s_waitcnt vmcnt(0)
	;;#ASMEND
.LBB352_111:
	s_or_b32 exec_lo, exec_lo, s0
	v_cmp_eq_u32_e32 vcc_lo, 0, v42
	s_waitcnt lgkmcnt(0)
	s_barrier
	buffer_gl0_inv
	v_dual_cndmask_b32 v15, v19, v17 :: v_dual_cndmask_b32 v16, v20, v18
	s_delay_alu instid0(VALU_DEP_1) | instskip(NEXT) | instid1(VALU_DEP_2)
	v_cndmask_b32_e64 v29, v15, 0, s2
	v_cndmask_b32_e64 v30, v16, 0, s2
	v_mov_b32_e32 v15, 0
	v_mov_b32_e32 v16, 0
	s_delay_alu instid0(VALU_DEP_4) | instskip(NEXT) | instid1(VALU_DEP_4)
	v_add_co_u32 v27, vcc_lo, v29, v41
	v_add_co_ci_u32_e32 v28, vcc_lo, 0, v30, vcc_lo
	s_delay_alu instid0(VALU_DEP_2) | instskip(NEXT) | instid1(VALU_DEP_2)
	v_add_co_u32 v25, vcc_lo, v27, v40
	v_add_co_ci_u32_e32 v26, vcc_lo, 0, v28, vcc_lo
	s_delay_alu instid0(VALU_DEP_2) | instskip(NEXT) | instid1(VALU_DEP_2)
	;; [unrolled: 3-line block ×4, first 2 shown]
	v_add_co_u32 v17, vcc_lo, v19, v37
	v_add_co_ci_u32_e32 v18, vcc_lo, 0, v20, vcc_lo
	v_cmp_gt_u64_e32 vcc_lo, 0x81, v[13:14]
	s_mov_b32 s0, -1
	s_cbranch_vccz .LBB352_85
.LBB352_112:
	v_add_co_u32 v21, vcc_lo, v15, v13
	v_add_co_ci_u32_e32 v22, vcc_lo, v16, v14, vcc_lo
	s_delay_alu instid0(VALU_DEP_1) | instskip(SKIP_1) | instid1(SALU_CYCLE_1)
	v_cmp_lt_u64_e32 vcc_lo, v[29:30], v[21:22]
	s_or_b32 s1, s8, vcc_lo
	s_and_saveexec_b32 s0, s1
	s_cbranch_execz .LBB352_115
; %bb.113:
	v_and_b32_e32 v37, 1, v36
	s_delay_alu instid0(VALU_DEP_1)
	v_cmp_eq_u32_e32 vcc_lo, 1, v37
	s_and_b32 exec_lo, exec_lo, vcc_lo
	s_cbranch_execz .LBB352_115
; %bb.114:
	v_lshlrev_b64 v[37:38], 3, v[29:30]
	s_lshl_b64 s[10:11], s[6:7], 3
	s_delay_alu instid0(SALU_CYCLE_1) | instskip(SKIP_1) | instid1(VALU_DEP_1)
	s_add_u32 s1, s12, s10
	s_addc_u32 s9, s13, s11
	v_add_co_u32 v37, vcc_lo, s1, v37
	s_delay_alu instid0(VALU_DEP_2)
	v_add_co_ci_u32_e32 v38, vcc_lo, s9, v38, vcc_lo
	global_store_b64 v[37:38], v[9:10], off
.LBB352_115:
	s_or_b32 exec_lo, exec_lo, s0
	v_cmp_lt_u64_e32 vcc_lo, v[27:28], v[21:22]
	s_or_b32 s1, s8, vcc_lo
	s_delay_alu instid0(SALU_CYCLE_1)
	s_and_saveexec_b32 s0, s1
	s_cbranch_execz .LBB352_118
; %bb.116:
	v_and_b32_e32 v30, 1, v34
	s_delay_alu instid0(VALU_DEP_1)
	v_cmp_eq_u32_e32 vcc_lo, 1, v30
	s_and_b32 exec_lo, exec_lo, vcc_lo
	s_cbranch_execz .LBB352_118
; %bb.117:
	v_lshlrev_b64 v[37:38], 3, v[27:28]
	s_lshl_b64 s[10:11], s[6:7], 3
	s_delay_alu instid0(SALU_CYCLE_1) | instskip(SKIP_1) | instid1(VALU_DEP_1)
	s_add_u32 s1, s12, s10
	s_addc_u32 s9, s13, s11
	v_add_co_u32 v37, vcc_lo, s1, v37
	s_delay_alu instid0(VALU_DEP_2)
	v_add_co_ci_u32_e32 v38, vcc_lo, s9, v38, vcc_lo
	global_store_b64 v[37:38], v[11:12], off
.LBB352_118:
	s_or_b32 exec_lo, exec_lo, s0
	v_cmp_lt_u64_e32 vcc_lo, v[25:26], v[21:22]
	s_or_b32 s1, s8, vcc_lo
	s_delay_alu instid0(SALU_CYCLE_1)
	;; [unrolled: 23-line block ×5, first 2 shown]
	s_and_saveexec_b32 s0, s1
	s_cbranch_execz .LBB352_130
; %bb.128:
	v_and_b32_e32 v20, 1, v32
	s_delay_alu instid0(VALU_DEP_1)
	v_cmp_eq_u32_e32 vcc_lo, 1, v20
	s_and_b32 exec_lo, exec_lo, vcc_lo
	s_cbranch_execz .LBB352_130
; %bb.129:
	v_lshlrev_b64 v[20:21], 3, v[17:18]
	s_lshl_b64 s[8:9], s[6:7], 3
	s_delay_alu instid0(SALU_CYCLE_1) | instskip(SKIP_1) | instid1(VALU_DEP_1)
	s_add_u32 s1, s12, s8
	s_addc_u32 s8, s13, s9
	v_add_co_u32 v20, vcc_lo, s1, v20
	s_delay_alu instid0(VALU_DEP_2)
	v_add_co_ci_u32_e32 v21, vcc_lo, s8, v21, vcc_lo
	global_store_b64 v[20:21], v[3:4], off
.LBB352_130:
	s_or_b32 exec_lo, exec_lo, s0
	s_branch .LBB352_86
.LBB352_131:
	v_and_b32_e32 v18, 1, v36
	s_mov_b32 s0, exec_lo
	s_delay_alu instid0(VALU_DEP_1)
	v_cmpx_eq_u32_e32 1, v18
	s_cbranch_execz .LBB352_133
; %bb.132:
	v_sub_nc_u32_e32 v18, v29, v15
	s_delay_alu instid0(VALU_DEP_1)
	v_lshlrev_b32_e32 v18, 3, v18
	ds_store_b64 v18, v[9:10]
.LBB352_133:
	s_or_b32 exec_lo, exec_lo, s0
	v_and_b32_e32 v9, 1, v34
	s_mov_b32 s0, exec_lo
	s_delay_alu instid0(VALU_DEP_1)
	v_cmpx_eq_u32_e32 1, v9
	s_cbranch_execz .LBB352_135
; %bb.134:
	v_sub_nc_u32_e32 v9, v27, v15
	s_delay_alu instid0(VALU_DEP_1)
	v_lshlrev_b32_e32 v9, 3, v9
	ds_store_b64 v9, v[11:12]
.LBB352_135:
	s_or_b32 exec_lo, exec_lo, s0
	;; [unrolled: 12-line block ×6, first 2 shown]
	v_mov_b32_e32 v1, 0
	s_mov_b32 s1, exec_lo
	s_waitcnt lgkmcnt(0)
	s_waitcnt_vscnt null, 0x0
	s_barrier
	buffer_gl0_inv
	v_cmpx_gt_u64_e64 v[13:14], v[0:1]
	s_cbranch_execz .LBB352_146
; %bb.144:
	v_lshlrev_b64 v[4:5], 3, v[15:16]
	s_lshl_b64 s[8:9], s[6:7], 3
	v_dual_mov_b32 v3, v1 :: v_dual_mov_b32 v2, v0
	v_or_b32_e32 v0, 0x80, v0
	s_delay_alu instid0(VALU_DEP_3) | instskip(NEXT) | instid1(VALU_DEP_4)
	v_add_co_u32 v4, vcc_lo, s12, v4
	v_add_co_ci_u32_e32 v5, vcc_lo, s13, v5, vcc_lo
	s_delay_alu instid0(VALU_DEP_2) | instskip(NEXT) | instid1(VALU_DEP_2)
	v_add_co_u32 v4, vcc_lo, v4, s8
	v_add_co_ci_u32_e32 v5, vcc_lo, s9, v5, vcc_lo
	s_mov_b32 s8, 0
	.p2align	6
.LBB352_145:                            ; =>This Inner Loop Header: Depth=1
	v_lshlrev_b32_e32 v6, 3, v2
	v_lshlrev_b64 v[8:9], 3, v[2:3]
	v_mov_b32_e32 v3, v1
	v_cmp_le_u64_e32 vcc_lo, v[13:14], v[0:1]
	v_mov_b32_e32 v2, v0
	ds_load_b64 v[6:7], v6
	v_add_nc_u32_e32 v0, 0x80, v0
	v_add_co_u32 v8, s0, v4, v8
	s_delay_alu instid0(VALU_DEP_1)
	v_add_co_ci_u32_e64 v9, s0, v5, v9, s0
	s_or_b32 s8, vcc_lo, s8
	s_waitcnt lgkmcnt(0)
	global_store_b64 v[8:9], v[6:7], off
	s_and_not1_b32 exec_lo, exec_lo, s8
	s_cbranch_execnz .LBB352_145
.LBB352_146:
	s_or_b32 exec_lo, exec_lo, s1
	s_and_b32 s0, s2, s3
	s_delay_alu instid0(SALU_CYCLE_1)
	s_and_saveexec_b32 s1, s0
	s_cbranch_execz .LBB352_87
.LBB352_147:
	v_add_co_u32 v0, vcc_lo, v15, v13
	v_add_co_ci_u32_e32 v1, vcc_lo, v16, v14, vcc_lo
	v_mov_b32_e32 v2, 0
	s_delay_alu instid0(VALU_DEP_3) | instskip(NEXT) | instid1(VALU_DEP_3)
	v_add_co_u32 v0, vcc_lo, v0, s6
	v_add_co_ci_u32_e32 v1, vcc_lo, s7, v1, vcc_lo
	global_store_b64 v2, v[0:1], s[4:5]
	s_nop 0
	s_sendmsg sendmsg(MSG_DEALLOC_VGPRS)
	s_endpgm
	.section	.rodata,"a",@progbits
	.p2align	6, 0x0
	.amdhsa_kernel _ZN7rocprim17ROCPRIM_400000_NS6detail17trampoline_kernelINS0_14default_configENS1_25partition_config_selectorILNS1_17partition_subalgoE5ElNS0_10empty_typeEbEEZZNS1_14partition_implILS5_5ELb0ES3_mN6hipcub16HIPCUB_304000_NS21CountingInputIteratorIllEEPS6_NSA_22TransformInputIteratorIbN2at6native12_GLOBAL__N_19NonZeroOpIsEEPKslEENS0_5tupleIJPlS6_EEENSN_IJSD_SD_EEES6_PiJS6_EEE10hipError_tPvRmT3_T4_T5_T6_T7_T9_mT8_P12ihipStream_tbDpT10_ENKUlT_T0_E_clISt17integral_constantIbLb0EES1A_IbLb1EEEEDaS16_S17_EUlS16_E_NS1_11comp_targetILNS1_3genE9ELNS1_11target_archE1100ELNS1_3gpuE3ELNS1_3repE0EEENS1_30default_config_static_selectorELNS0_4arch9wavefront6targetE0EEEvT1_
		.amdhsa_group_segment_fixed_size 6160
		.amdhsa_private_segment_fixed_size 0
		.amdhsa_kernarg_size 136
		.amdhsa_user_sgpr_count 15
		.amdhsa_user_sgpr_dispatch_ptr 0
		.amdhsa_user_sgpr_queue_ptr 0
		.amdhsa_user_sgpr_kernarg_segment_ptr 1
		.amdhsa_user_sgpr_dispatch_id 0
		.amdhsa_user_sgpr_private_segment_size 0
		.amdhsa_wavefront_size32 1
		.amdhsa_uses_dynamic_stack 0
		.amdhsa_enable_private_segment 0
		.amdhsa_system_sgpr_workgroup_id_x 1
		.amdhsa_system_sgpr_workgroup_id_y 0
		.amdhsa_system_sgpr_workgroup_id_z 0
		.amdhsa_system_sgpr_workgroup_info 0
		.amdhsa_system_vgpr_workitem_id 0
		.amdhsa_next_free_vgpr 57
		.amdhsa_next_free_sgpr 24
		.amdhsa_reserve_vcc 1
		.amdhsa_float_round_mode_32 0
		.amdhsa_float_round_mode_16_64 0
		.amdhsa_float_denorm_mode_32 3
		.amdhsa_float_denorm_mode_16_64 3
		.amdhsa_dx10_clamp 1
		.amdhsa_ieee_mode 1
		.amdhsa_fp16_overflow 0
		.amdhsa_workgroup_processor_mode 1
		.amdhsa_memory_ordered 1
		.amdhsa_forward_progress 0
		.amdhsa_shared_vgpr_count 0
		.amdhsa_exception_fp_ieee_invalid_op 0
		.amdhsa_exception_fp_denorm_src 0
		.amdhsa_exception_fp_ieee_div_zero 0
		.amdhsa_exception_fp_ieee_overflow 0
		.amdhsa_exception_fp_ieee_underflow 0
		.amdhsa_exception_fp_ieee_inexact 0
		.amdhsa_exception_int_div_zero 0
	.end_amdhsa_kernel
	.section	.text._ZN7rocprim17ROCPRIM_400000_NS6detail17trampoline_kernelINS0_14default_configENS1_25partition_config_selectorILNS1_17partition_subalgoE5ElNS0_10empty_typeEbEEZZNS1_14partition_implILS5_5ELb0ES3_mN6hipcub16HIPCUB_304000_NS21CountingInputIteratorIllEEPS6_NSA_22TransformInputIteratorIbN2at6native12_GLOBAL__N_19NonZeroOpIsEEPKslEENS0_5tupleIJPlS6_EEENSN_IJSD_SD_EEES6_PiJS6_EEE10hipError_tPvRmT3_T4_T5_T6_T7_T9_mT8_P12ihipStream_tbDpT10_ENKUlT_T0_E_clISt17integral_constantIbLb0EES1A_IbLb1EEEEDaS16_S17_EUlS16_E_NS1_11comp_targetILNS1_3genE9ELNS1_11target_archE1100ELNS1_3gpuE3ELNS1_3repE0EEENS1_30default_config_static_selectorELNS0_4arch9wavefront6targetE0EEEvT1_,"axG",@progbits,_ZN7rocprim17ROCPRIM_400000_NS6detail17trampoline_kernelINS0_14default_configENS1_25partition_config_selectorILNS1_17partition_subalgoE5ElNS0_10empty_typeEbEEZZNS1_14partition_implILS5_5ELb0ES3_mN6hipcub16HIPCUB_304000_NS21CountingInputIteratorIllEEPS6_NSA_22TransformInputIteratorIbN2at6native12_GLOBAL__N_19NonZeroOpIsEEPKslEENS0_5tupleIJPlS6_EEENSN_IJSD_SD_EEES6_PiJS6_EEE10hipError_tPvRmT3_T4_T5_T6_T7_T9_mT8_P12ihipStream_tbDpT10_ENKUlT_T0_E_clISt17integral_constantIbLb0EES1A_IbLb1EEEEDaS16_S17_EUlS16_E_NS1_11comp_targetILNS1_3genE9ELNS1_11target_archE1100ELNS1_3gpuE3ELNS1_3repE0EEENS1_30default_config_static_selectorELNS0_4arch9wavefront6targetE0EEEvT1_,comdat
.Lfunc_end352:
	.size	_ZN7rocprim17ROCPRIM_400000_NS6detail17trampoline_kernelINS0_14default_configENS1_25partition_config_selectorILNS1_17partition_subalgoE5ElNS0_10empty_typeEbEEZZNS1_14partition_implILS5_5ELb0ES3_mN6hipcub16HIPCUB_304000_NS21CountingInputIteratorIllEEPS6_NSA_22TransformInputIteratorIbN2at6native12_GLOBAL__N_19NonZeroOpIsEEPKslEENS0_5tupleIJPlS6_EEENSN_IJSD_SD_EEES6_PiJS6_EEE10hipError_tPvRmT3_T4_T5_T6_T7_T9_mT8_P12ihipStream_tbDpT10_ENKUlT_T0_E_clISt17integral_constantIbLb0EES1A_IbLb1EEEEDaS16_S17_EUlS16_E_NS1_11comp_targetILNS1_3genE9ELNS1_11target_archE1100ELNS1_3gpuE3ELNS1_3repE0EEENS1_30default_config_static_selectorELNS0_4arch9wavefront6targetE0EEEvT1_, .Lfunc_end352-_ZN7rocprim17ROCPRIM_400000_NS6detail17trampoline_kernelINS0_14default_configENS1_25partition_config_selectorILNS1_17partition_subalgoE5ElNS0_10empty_typeEbEEZZNS1_14partition_implILS5_5ELb0ES3_mN6hipcub16HIPCUB_304000_NS21CountingInputIteratorIllEEPS6_NSA_22TransformInputIteratorIbN2at6native12_GLOBAL__N_19NonZeroOpIsEEPKslEENS0_5tupleIJPlS6_EEENSN_IJSD_SD_EEES6_PiJS6_EEE10hipError_tPvRmT3_T4_T5_T6_T7_T9_mT8_P12ihipStream_tbDpT10_ENKUlT_T0_E_clISt17integral_constantIbLb0EES1A_IbLb1EEEEDaS16_S17_EUlS16_E_NS1_11comp_targetILNS1_3genE9ELNS1_11target_archE1100ELNS1_3gpuE3ELNS1_3repE0EEENS1_30default_config_static_selectorELNS0_4arch9wavefront6targetE0EEEvT1_
                                        ; -- End function
	.section	.AMDGPU.csdata,"",@progbits
; Kernel info:
; codeLenInByte = 6508
; NumSgprs: 26
; NumVgprs: 57
; ScratchSize: 0
; MemoryBound: 0
; FloatMode: 240
; IeeeMode: 1
; LDSByteSize: 6160 bytes/workgroup (compile time only)
; SGPRBlocks: 3
; VGPRBlocks: 7
; NumSGPRsForWavesPerEU: 26
; NumVGPRsForWavesPerEU: 57
; Occupancy: 16
; WaveLimiterHint : 1
; COMPUTE_PGM_RSRC2:SCRATCH_EN: 0
; COMPUTE_PGM_RSRC2:USER_SGPR: 15
; COMPUTE_PGM_RSRC2:TRAP_HANDLER: 0
; COMPUTE_PGM_RSRC2:TGID_X_EN: 1
; COMPUTE_PGM_RSRC2:TGID_Y_EN: 0
; COMPUTE_PGM_RSRC2:TGID_Z_EN: 0
; COMPUTE_PGM_RSRC2:TIDIG_COMP_CNT: 0
	.section	.text._ZN7rocprim17ROCPRIM_400000_NS6detail17trampoline_kernelINS0_14default_configENS1_25partition_config_selectorILNS1_17partition_subalgoE5ElNS0_10empty_typeEbEEZZNS1_14partition_implILS5_5ELb0ES3_mN6hipcub16HIPCUB_304000_NS21CountingInputIteratorIllEEPS6_NSA_22TransformInputIteratorIbN2at6native12_GLOBAL__N_19NonZeroOpIsEEPKslEENS0_5tupleIJPlS6_EEENSN_IJSD_SD_EEES6_PiJS6_EEE10hipError_tPvRmT3_T4_T5_T6_T7_T9_mT8_P12ihipStream_tbDpT10_ENKUlT_T0_E_clISt17integral_constantIbLb0EES1A_IbLb1EEEEDaS16_S17_EUlS16_E_NS1_11comp_targetILNS1_3genE8ELNS1_11target_archE1030ELNS1_3gpuE2ELNS1_3repE0EEENS1_30default_config_static_selectorELNS0_4arch9wavefront6targetE0EEEvT1_,"axG",@progbits,_ZN7rocprim17ROCPRIM_400000_NS6detail17trampoline_kernelINS0_14default_configENS1_25partition_config_selectorILNS1_17partition_subalgoE5ElNS0_10empty_typeEbEEZZNS1_14partition_implILS5_5ELb0ES3_mN6hipcub16HIPCUB_304000_NS21CountingInputIteratorIllEEPS6_NSA_22TransformInputIteratorIbN2at6native12_GLOBAL__N_19NonZeroOpIsEEPKslEENS0_5tupleIJPlS6_EEENSN_IJSD_SD_EEES6_PiJS6_EEE10hipError_tPvRmT3_T4_T5_T6_T7_T9_mT8_P12ihipStream_tbDpT10_ENKUlT_T0_E_clISt17integral_constantIbLb0EES1A_IbLb1EEEEDaS16_S17_EUlS16_E_NS1_11comp_targetILNS1_3genE8ELNS1_11target_archE1030ELNS1_3gpuE2ELNS1_3repE0EEENS1_30default_config_static_selectorELNS0_4arch9wavefront6targetE0EEEvT1_,comdat
	.globl	_ZN7rocprim17ROCPRIM_400000_NS6detail17trampoline_kernelINS0_14default_configENS1_25partition_config_selectorILNS1_17partition_subalgoE5ElNS0_10empty_typeEbEEZZNS1_14partition_implILS5_5ELb0ES3_mN6hipcub16HIPCUB_304000_NS21CountingInputIteratorIllEEPS6_NSA_22TransformInputIteratorIbN2at6native12_GLOBAL__N_19NonZeroOpIsEEPKslEENS0_5tupleIJPlS6_EEENSN_IJSD_SD_EEES6_PiJS6_EEE10hipError_tPvRmT3_T4_T5_T6_T7_T9_mT8_P12ihipStream_tbDpT10_ENKUlT_T0_E_clISt17integral_constantIbLb0EES1A_IbLb1EEEEDaS16_S17_EUlS16_E_NS1_11comp_targetILNS1_3genE8ELNS1_11target_archE1030ELNS1_3gpuE2ELNS1_3repE0EEENS1_30default_config_static_selectorELNS0_4arch9wavefront6targetE0EEEvT1_ ; -- Begin function _ZN7rocprim17ROCPRIM_400000_NS6detail17trampoline_kernelINS0_14default_configENS1_25partition_config_selectorILNS1_17partition_subalgoE5ElNS0_10empty_typeEbEEZZNS1_14partition_implILS5_5ELb0ES3_mN6hipcub16HIPCUB_304000_NS21CountingInputIteratorIllEEPS6_NSA_22TransformInputIteratorIbN2at6native12_GLOBAL__N_19NonZeroOpIsEEPKslEENS0_5tupleIJPlS6_EEENSN_IJSD_SD_EEES6_PiJS6_EEE10hipError_tPvRmT3_T4_T5_T6_T7_T9_mT8_P12ihipStream_tbDpT10_ENKUlT_T0_E_clISt17integral_constantIbLb0EES1A_IbLb1EEEEDaS16_S17_EUlS16_E_NS1_11comp_targetILNS1_3genE8ELNS1_11target_archE1030ELNS1_3gpuE2ELNS1_3repE0EEENS1_30default_config_static_selectorELNS0_4arch9wavefront6targetE0EEEvT1_
	.p2align	8
	.type	_ZN7rocprim17ROCPRIM_400000_NS6detail17trampoline_kernelINS0_14default_configENS1_25partition_config_selectorILNS1_17partition_subalgoE5ElNS0_10empty_typeEbEEZZNS1_14partition_implILS5_5ELb0ES3_mN6hipcub16HIPCUB_304000_NS21CountingInputIteratorIllEEPS6_NSA_22TransformInputIteratorIbN2at6native12_GLOBAL__N_19NonZeroOpIsEEPKslEENS0_5tupleIJPlS6_EEENSN_IJSD_SD_EEES6_PiJS6_EEE10hipError_tPvRmT3_T4_T5_T6_T7_T9_mT8_P12ihipStream_tbDpT10_ENKUlT_T0_E_clISt17integral_constantIbLb0EES1A_IbLb1EEEEDaS16_S17_EUlS16_E_NS1_11comp_targetILNS1_3genE8ELNS1_11target_archE1030ELNS1_3gpuE2ELNS1_3repE0EEENS1_30default_config_static_selectorELNS0_4arch9wavefront6targetE0EEEvT1_,@function
_ZN7rocprim17ROCPRIM_400000_NS6detail17trampoline_kernelINS0_14default_configENS1_25partition_config_selectorILNS1_17partition_subalgoE5ElNS0_10empty_typeEbEEZZNS1_14partition_implILS5_5ELb0ES3_mN6hipcub16HIPCUB_304000_NS21CountingInputIteratorIllEEPS6_NSA_22TransformInputIteratorIbN2at6native12_GLOBAL__N_19NonZeroOpIsEEPKslEENS0_5tupleIJPlS6_EEENSN_IJSD_SD_EEES6_PiJS6_EEE10hipError_tPvRmT3_T4_T5_T6_T7_T9_mT8_P12ihipStream_tbDpT10_ENKUlT_T0_E_clISt17integral_constantIbLb0EES1A_IbLb1EEEEDaS16_S17_EUlS16_E_NS1_11comp_targetILNS1_3genE8ELNS1_11target_archE1030ELNS1_3gpuE2ELNS1_3repE0EEENS1_30default_config_static_selectorELNS0_4arch9wavefront6targetE0EEEvT1_: ; @_ZN7rocprim17ROCPRIM_400000_NS6detail17trampoline_kernelINS0_14default_configENS1_25partition_config_selectorILNS1_17partition_subalgoE5ElNS0_10empty_typeEbEEZZNS1_14partition_implILS5_5ELb0ES3_mN6hipcub16HIPCUB_304000_NS21CountingInputIteratorIllEEPS6_NSA_22TransformInputIteratorIbN2at6native12_GLOBAL__N_19NonZeroOpIsEEPKslEENS0_5tupleIJPlS6_EEENSN_IJSD_SD_EEES6_PiJS6_EEE10hipError_tPvRmT3_T4_T5_T6_T7_T9_mT8_P12ihipStream_tbDpT10_ENKUlT_T0_E_clISt17integral_constantIbLb0EES1A_IbLb1EEEEDaS16_S17_EUlS16_E_NS1_11comp_targetILNS1_3genE8ELNS1_11target_archE1030ELNS1_3gpuE2ELNS1_3repE0EEENS1_30default_config_static_selectorELNS0_4arch9wavefront6targetE0EEEvT1_
; %bb.0:
	.section	.rodata,"a",@progbits
	.p2align	6, 0x0
	.amdhsa_kernel _ZN7rocprim17ROCPRIM_400000_NS6detail17trampoline_kernelINS0_14default_configENS1_25partition_config_selectorILNS1_17partition_subalgoE5ElNS0_10empty_typeEbEEZZNS1_14partition_implILS5_5ELb0ES3_mN6hipcub16HIPCUB_304000_NS21CountingInputIteratorIllEEPS6_NSA_22TransformInputIteratorIbN2at6native12_GLOBAL__N_19NonZeroOpIsEEPKslEENS0_5tupleIJPlS6_EEENSN_IJSD_SD_EEES6_PiJS6_EEE10hipError_tPvRmT3_T4_T5_T6_T7_T9_mT8_P12ihipStream_tbDpT10_ENKUlT_T0_E_clISt17integral_constantIbLb0EES1A_IbLb1EEEEDaS16_S17_EUlS16_E_NS1_11comp_targetILNS1_3genE8ELNS1_11target_archE1030ELNS1_3gpuE2ELNS1_3repE0EEENS1_30default_config_static_selectorELNS0_4arch9wavefront6targetE0EEEvT1_
		.amdhsa_group_segment_fixed_size 0
		.amdhsa_private_segment_fixed_size 0
		.amdhsa_kernarg_size 136
		.amdhsa_user_sgpr_count 15
		.amdhsa_user_sgpr_dispatch_ptr 0
		.amdhsa_user_sgpr_queue_ptr 0
		.amdhsa_user_sgpr_kernarg_segment_ptr 1
		.amdhsa_user_sgpr_dispatch_id 0
		.amdhsa_user_sgpr_private_segment_size 0
		.amdhsa_wavefront_size32 1
		.amdhsa_uses_dynamic_stack 0
		.amdhsa_enable_private_segment 0
		.amdhsa_system_sgpr_workgroup_id_x 1
		.amdhsa_system_sgpr_workgroup_id_y 0
		.amdhsa_system_sgpr_workgroup_id_z 0
		.amdhsa_system_sgpr_workgroup_info 0
		.amdhsa_system_vgpr_workitem_id 0
		.amdhsa_next_free_vgpr 1
		.amdhsa_next_free_sgpr 1
		.amdhsa_reserve_vcc 0
		.amdhsa_float_round_mode_32 0
		.amdhsa_float_round_mode_16_64 0
		.amdhsa_float_denorm_mode_32 3
		.amdhsa_float_denorm_mode_16_64 3
		.amdhsa_dx10_clamp 1
		.amdhsa_ieee_mode 1
		.amdhsa_fp16_overflow 0
		.amdhsa_workgroup_processor_mode 1
		.amdhsa_memory_ordered 1
		.amdhsa_forward_progress 0
		.amdhsa_shared_vgpr_count 0
		.amdhsa_exception_fp_ieee_invalid_op 0
		.amdhsa_exception_fp_denorm_src 0
		.amdhsa_exception_fp_ieee_div_zero 0
		.amdhsa_exception_fp_ieee_overflow 0
		.amdhsa_exception_fp_ieee_underflow 0
		.amdhsa_exception_fp_ieee_inexact 0
		.amdhsa_exception_int_div_zero 0
	.end_amdhsa_kernel
	.section	.text._ZN7rocprim17ROCPRIM_400000_NS6detail17trampoline_kernelINS0_14default_configENS1_25partition_config_selectorILNS1_17partition_subalgoE5ElNS0_10empty_typeEbEEZZNS1_14partition_implILS5_5ELb0ES3_mN6hipcub16HIPCUB_304000_NS21CountingInputIteratorIllEEPS6_NSA_22TransformInputIteratorIbN2at6native12_GLOBAL__N_19NonZeroOpIsEEPKslEENS0_5tupleIJPlS6_EEENSN_IJSD_SD_EEES6_PiJS6_EEE10hipError_tPvRmT3_T4_T5_T6_T7_T9_mT8_P12ihipStream_tbDpT10_ENKUlT_T0_E_clISt17integral_constantIbLb0EES1A_IbLb1EEEEDaS16_S17_EUlS16_E_NS1_11comp_targetILNS1_3genE8ELNS1_11target_archE1030ELNS1_3gpuE2ELNS1_3repE0EEENS1_30default_config_static_selectorELNS0_4arch9wavefront6targetE0EEEvT1_,"axG",@progbits,_ZN7rocprim17ROCPRIM_400000_NS6detail17trampoline_kernelINS0_14default_configENS1_25partition_config_selectorILNS1_17partition_subalgoE5ElNS0_10empty_typeEbEEZZNS1_14partition_implILS5_5ELb0ES3_mN6hipcub16HIPCUB_304000_NS21CountingInputIteratorIllEEPS6_NSA_22TransformInputIteratorIbN2at6native12_GLOBAL__N_19NonZeroOpIsEEPKslEENS0_5tupleIJPlS6_EEENSN_IJSD_SD_EEES6_PiJS6_EEE10hipError_tPvRmT3_T4_T5_T6_T7_T9_mT8_P12ihipStream_tbDpT10_ENKUlT_T0_E_clISt17integral_constantIbLb0EES1A_IbLb1EEEEDaS16_S17_EUlS16_E_NS1_11comp_targetILNS1_3genE8ELNS1_11target_archE1030ELNS1_3gpuE2ELNS1_3repE0EEENS1_30default_config_static_selectorELNS0_4arch9wavefront6targetE0EEEvT1_,comdat
.Lfunc_end353:
	.size	_ZN7rocprim17ROCPRIM_400000_NS6detail17trampoline_kernelINS0_14default_configENS1_25partition_config_selectorILNS1_17partition_subalgoE5ElNS0_10empty_typeEbEEZZNS1_14partition_implILS5_5ELb0ES3_mN6hipcub16HIPCUB_304000_NS21CountingInputIteratorIllEEPS6_NSA_22TransformInputIteratorIbN2at6native12_GLOBAL__N_19NonZeroOpIsEEPKslEENS0_5tupleIJPlS6_EEENSN_IJSD_SD_EEES6_PiJS6_EEE10hipError_tPvRmT3_T4_T5_T6_T7_T9_mT8_P12ihipStream_tbDpT10_ENKUlT_T0_E_clISt17integral_constantIbLb0EES1A_IbLb1EEEEDaS16_S17_EUlS16_E_NS1_11comp_targetILNS1_3genE8ELNS1_11target_archE1030ELNS1_3gpuE2ELNS1_3repE0EEENS1_30default_config_static_selectorELNS0_4arch9wavefront6targetE0EEEvT1_, .Lfunc_end353-_ZN7rocprim17ROCPRIM_400000_NS6detail17trampoline_kernelINS0_14default_configENS1_25partition_config_selectorILNS1_17partition_subalgoE5ElNS0_10empty_typeEbEEZZNS1_14partition_implILS5_5ELb0ES3_mN6hipcub16HIPCUB_304000_NS21CountingInputIteratorIllEEPS6_NSA_22TransformInputIteratorIbN2at6native12_GLOBAL__N_19NonZeroOpIsEEPKslEENS0_5tupleIJPlS6_EEENSN_IJSD_SD_EEES6_PiJS6_EEE10hipError_tPvRmT3_T4_T5_T6_T7_T9_mT8_P12ihipStream_tbDpT10_ENKUlT_T0_E_clISt17integral_constantIbLb0EES1A_IbLb1EEEEDaS16_S17_EUlS16_E_NS1_11comp_targetILNS1_3genE8ELNS1_11target_archE1030ELNS1_3gpuE2ELNS1_3repE0EEENS1_30default_config_static_selectorELNS0_4arch9wavefront6targetE0EEEvT1_
                                        ; -- End function
	.section	.AMDGPU.csdata,"",@progbits
; Kernel info:
; codeLenInByte = 0
; NumSgprs: 0
; NumVgprs: 0
; ScratchSize: 0
; MemoryBound: 0
; FloatMode: 240
; IeeeMode: 1
; LDSByteSize: 0 bytes/workgroup (compile time only)
; SGPRBlocks: 0
; VGPRBlocks: 0
; NumSGPRsForWavesPerEU: 1
; NumVGPRsForWavesPerEU: 1
; Occupancy: 16
; WaveLimiterHint : 0
; COMPUTE_PGM_RSRC2:SCRATCH_EN: 0
; COMPUTE_PGM_RSRC2:USER_SGPR: 15
; COMPUTE_PGM_RSRC2:TRAP_HANDLER: 0
; COMPUTE_PGM_RSRC2:TGID_X_EN: 1
; COMPUTE_PGM_RSRC2:TGID_Y_EN: 0
; COMPUTE_PGM_RSRC2:TGID_Z_EN: 0
; COMPUTE_PGM_RSRC2:TIDIG_COMP_CNT: 0
	.section	.text._ZN7rocprim17ROCPRIM_400000_NS6detail17trampoline_kernelINS0_14default_configENS1_22reduce_config_selectorIiEEZNS1_11reduce_implILb1ES3_PiS7_iN6hipcub16HIPCUB_304000_NS6detail34convert_binary_result_type_wrapperINS9_3SumENS9_22TransformInputIteratorIbN2at6native12_GLOBAL__N_19NonZeroOpIdEEPKdlEEiEEEE10hipError_tPvRmT1_T2_T3_mT4_P12ihipStream_tbEUlT_E0_NS1_11comp_targetILNS1_3genE0ELNS1_11target_archE4294967295ELNS1_3gpuE0ELNS1_3repE0EEENS1_30default_config_static_selectorELNS0_4arch9wavefront6targetE0EEEvSQ_,"axG",@progbits,_ZN7rocprim17ROCPRIM_400000_NS6detail17trampoline_kernelINS0_14default_configENS1_22reduce_config_selectorIiEEZNS1_11reduce_implILb1ES3_PiS7_iN6hipcub16HIPCUB_304000_NS6detail34convert_binary_result_type_wrapperINS9_3SumENS9_22TransformInputIteratorIbN2at6native12_GLOBAL__N_19NonZeroOpIdEEPKdlEEiEEEE10hipError_tPvRmT1_T2_T3_mT4_P12ihipStream_tbEUlT_E0_NS1_11comp_targetILNS1_3genE0ELNS1_11target_archE4294967295ELNS1_3gpuE0ELNS1_3repE0EEENS1_30default_config_static_selectorELNS0_4arch9wavefront6targetE0EEEvSQ_,comdat
	.globl	_ZN7rocprim17ROCPRIM_400000_NS6detail17trampoline_kernelINS0_14default_configENS1_22reduce_config_selectorIiEEZNS1_11reduce_implILb1ES3_PiS7_iN6hipcub16HIPCUB_304000_NS6detail34convert_binary_result_type_wrapperINS9_3SumENS9_22TransformInputIteratorIbN2at6native12_GLOBAL__N_19NonZeroOpIdEEPKdlEEiEEEE10hipError_tPvRmT1_T2_T3_mT4_P12ihipStream_tbEUlT_E0_NS1_11comp_targetILNS1_3genE0ELNS1_11target_archE4294967295ELNS1_3gpuE0ELNS1_3repE0EEENS1_30default_config_static_selectorELNS0_4arch9wavefront6targetE0EEEvSQ_ ; -- Begin function _ZN7rocprim17ROCPRIM_400000_NS6detail17trampoline_kernelINS0_14default_configENS1_22reduce_config_selectorIiEEZNS1_11reduce_implILb1ES3_PiS7_iN6hipcub16HIPCUB_304000_NS6detail34convert_binary_result_type_wrapperINS9_3SumENS9_22TransformInputIteratorIbN2at6native12_GLOBAL__N_19NonZeroOpIdEEPKdlEEiEEEE10hipError_tPvRmT1_T2_T3_mT4_P12ihipStream_tbEUlT_E0_NS1_11comp_targetILNS1_3genE0ELNS1_11target_archE4294967295ELNS1_3gpuE0ELNS1_3repE0EEENS1_30default_config_static_selectorELNS0_4arch9wavefront6targetE0EEEvSQ_
	.p2align	8
	.type	_ZN7rocprim17ROCPRIM_400000_NS6detail17trampoline_kernelINS0_14default_configENS1_22reduce_config_selectorIiEEZNS1_11reduce_implILb1ES3_PiS7_iN6hipcub16HIPCUB_304000_NS6detail34convert_binary_result_type_wrapperINS9_3SumENS9_22TransformInputIteratorIbN2at6native12_GLOBAL__N_19NonZeroOpIdEEPKdlEEiEEEE10hipError_tPvRmT1_T2_T3_mT4_P12ihipStream_tbEUlT_E0_NS1_11comp_targetILNS1_3genE0ELNS1_11target_archE4294967295ELNS1_3gpuE0ELNS1_3repE0EEENS1_30default_config_static_selectorELNS0_4arch9wavefront6targetE0EEEvSQ_,@function
_ZN7rocprim17ROCPRIM_400000_NS6detail17trampoline_kernelINS0_14default_configENS1_22reduce_config_selectorIiEEZNS1_11reduce_implILb1ES3_PiS7_iN6hipcub16HIPCUB_304000_NS6detail34convert_binary_result_type_wrapperINS9_3SumENS9_22TransformInputIteratorIbN2at6native12_GLOBAL__N_19NonZeroOpIdEEPKdlEEiEEEE10hipError_tPvRmT1_T2_T3_mT4_P12ihipStream_tbEUlT_E0_NS1_11comp_targetILNS1_3genE0ELNS1_11target_archE4294967295ELNS1_3gpuE0ELNS1_3repE0EEENS1_30default_config_static_selectorELNS0_4arch9wavefront6targetE0EEEvSQ_: ; @_ZN7rocprim17ROCPRIM_400000_NS6detail17trampoline_kernelINS0_14default_configENS1_22reduce_config_selectorIiEEZNS1_11reduce_implILb1ES3_PiS7_iN6hipcub16HIPCUB_304000_NS6detail34convert_binary_result_type_wrapperINS9_3SumENS9_22TransformInputIteratorIbN2at6native12_GLOBAL__N_19NonZeroOpIdEEPKdlEEiEEEE10hipError_tPvRmT1_T2_T3_mT4_P12ihipStream_tbEUlT_E0_NS1_11comp_targetILNS1_3genE0ELNS1_11target_archE4294967295ELNS1_3gpuE0ELNS1_3repE0EEENS1_30default_config_static_selectorELNS0_4arch9wavefront6targetE0EEEvSQ_
; %bb.0:
	.section	.rodata,"a",@progbits
	.p2align	6, 0x0
	.amdhsa_kernel _ZN7rocprim17ROCPRIM_400000_NS6detail17trampoline_kernelINS0_14default_configENS1_22reduce_config_selectorIiEEZNS1_11reduce_implILb1ES3_PiS7_iN6hipcub16HIPCUB_304000_NS6detail34convert_binary_result_type_wrapperINS9_3SumENS9_22TransformInputIteratorIbN2at6native12_GLOBAL__N_19NonZeroOpIdEEPKdlEEiEEEE10hipError_tPvRmT1_T2_T3_mT4_P12ihipStream_tbEUlT_E0_NS1_11comp_targetILNS1_3genE0ELNS1_11target_archE4294967295ELNS1_3gpuE0ELNS1_3repE0EEENS1_30default_config_static_selectorELNS0_4arch9wavefront6targetE0EEEvSQ_
		.amdhsa_group_segment_fixed_size 0
		.amdhsa_private_segment_fixed_size 0
		.amdhsa_kernarg_size 56
		.amdhsa_user_sgpr_count 15
		.amdhsa_user_sgpr_dispatch_ptr 0
		.amdhsa_user_sgpr_queue_ptr 0
		.amdhsa_user_sgpr_kernarg_segment_ptr 1
		.amdhsa_user_sgpr_dispatch_id 0
		.amdhsa_user_sgpr_private_segment_size 0
		.amdhsa_wavefront_size32 1
		.amdhsa_uses_dynamic_stack 0
		.amdhsa_enable_private_segment 0
		.amdhsa_system_sgpr_workgroup_id_x 1
		.amdhsa_system_sgpr_workgroup_id_y 0
		.amdhsa_system_sgpr_workgroup_id_z 0
		.amdhsa_system_sgpr_workgroup_info 0
		.amdhsa_system_vgpr_workitem_id 0
		.amdhsa_next_free_vgpr 1
		.amdhsa_next_free_sgpr 1
		.amdhsa_reserve_vcc 0
		.amdhsa_float_round_mode_32 0
		.amdhsa_float_round_mode_16_64 0
		.amdhsa_float_denorm_mode_32 3
		.amdhsa_float_denorm_mode_16_64 3
		.amdhsa_dx10_clamp 1
		.amdhsa_ieee_mode 1
		.amdhsa_fp16_overflow 0
		.amdhsa_workgroup_processor_mode 1
		.amdhsa_memory_ordered 1
		.amdhsa_forward_progress 0
		.amdhsa_shared_vgpr_count 0
		.amdhsa_exception_fp_ieee_invalid_op 0
		.amdhsa_exception_fp_denorm_src 0
		.amdhsa_exception_fp_ieee_div_zero 0
		.amdhsa_exception_fp_ieee_overflow 0
		.amdhsa_exception_fp_ieee_underflow 0
		.amdhsa_exception_fp_ieee_inexact 0
		.amdhsa_exception_int_div_zero 0
	.end_amdhsa_kernel
	.section	.text._ZN7rocprim17ROCPRIM_400000_NS6detail17trampoline_kernelINS0_14default_configENS1_22reduce_config_selectorIiEEZNS1_11reduce_implILb1ES3_PiS7_iN6hipcub16HIPCUB_304000_NS6detail34convert_binary_result_type_wrapperINS9_3SumENS9_22TransformInputIteratorIbN2at6native12_GLOBAL__N_19NonZeroOpIdEEPKdlEEiEEEE10hipError_tPvRmT1_T2_T3_mT4_P12ihipStream_tbEUlT_E0_NS1_11comp_targetILNS1_3genE0ELNS1_11target_archE4294967295ELNS1_3gpuE0ELNS1_3repE0EEENS1_30default_config_static_selectorELNS0_4arch9wavefront6targetE0EEEvSQ_,"axG",@progbits,_ZN7rocprim17ROCPRIM_400000_NS6detail17trampoline_kernelINS0_14default_configENS1_22reduce_config_selectorIiEEZNS1_11reduce_implILb1ES3_PiS7_iN6hipcub16HIPCUB_304000_NS6detail34convert_binary_result_type_wrapperINS9_3SumENS9_22TransformInputIteratorIbN2at6native12_GLOBAL__N_19NonZeroOpIdEEPKdlEEiEEEE10hipError_tPvRmT1_T2_T3_mT4_P12ihipStream_tbEUlT_E0_NS1_11comp_targetILNS1_3genE0ELNS1_11target_archE4294967295ELNS1_3gpuE0ELNS1_3repE0EEENS1_30default_config_static_selectorELNS0_4arch9wavefront6targetE0EEEvSQ_,comdat
.Lfunc_end354:
	.size	_ZN7rocprim17ROCPRIM_400000_NS6detail17trampoline_kernelINS0_14default_configENS1_22reduce_config_selectorIiEEZNS1_11reduce_implILb1ES3_PiS7_iN6hipcub16HIPCUB_304000_NS6detail34convert_binary_result_type_wrapperINS9_3SumENS9_22TransformInputIteratorIbN2at6native12_GLOBAL__N_19NonZeroOpIdEEPKdlEEiEEEE10hipError_tPvRmT1_T2_T3_mT4_P12ihipStream_tbEUlT_E0_NS1_11comp_targetILNS1_3genE0ELNS1_11target_archE4294967295ELNS1_3gpuE0ELNS1_3repE0EEENS1_30default_config_static_selectorELNS0_4arch9wavefront6targetE0EEEvSQ_, .Lfunc_end354-_ZN7rocprim17ROCPRIM_400000_NS6detail17trampoline_kernelINS0_14default_configENS1_22reduce_config_selectorIiEEZNS1_11reduce_implILb1ES3_PiS7_iN6hipcub16HIPCUB_304000_NS6detail34convert_binary_result_type_wrapperINS9_3SumENS9_22TransformInputIteratorIbN2at6native12_GLOBAL__N_19NonZeroOpIdEEPKdlEEiEEEE10hipError_tPvRmT1_T2_T3_mT4_P12ihipStream_tbEUlT_E0_NS1_11comp_targetILNS1_3genE0ELNS1_11target_archE4294967295ELNS1_3gpuE0ELNS1_3repE0EEENS1_30default_config_static_selectorELNS0_4arch9wavefront6targetE0EEEvSQ_
                                        ; -- End function
	.section	.AMDGPU.csdata,"",@progbits
; Kernel info:
; codeLenInByte = 0
; NumSgprs: 0
; NumVgprs: 0
; ScratchSize: 0
; MemoryBound: 0
; FloatMode: 240
; IeeeMode: 1
; LDSByteSize: 0 bytes/workgroup (compile time only)
; SGPRBlocks: 0
; VGPRBlocks: 0
; NumSGPRsForWavesPerEU: 1
; NumVGPRsForWavesPerEU: 1
; Occupancy: 16
; WaveLimiterHint : 0
; COMPUTE_PGM_RSRC2:SCRATCH_EN: 0
; COMPUTE_PGM_RSRC2:USER_SGPR: 15
; COMPUTE_PGM_RSRC2:TRAP_HANDLER: 0
; COMPUTE_PGM_RSRC2:TGID_X_EN: 1
; COMPUTE_PGM_RSRC2:TGID_Y_EN: 0
; COMPUTE_PGM_RSRC2:TGID_Z_EN: 0
; COMPUTE_PGM_RSRC2:TIDIG_COMP_CNT: 0
	.section	.text._ZN7rocprim17ROCPRIM_400000_NS6detail17trampoline_kernelINS0_14default_configENS1_22reduce_config_selectorIiEEZNS1_11reduce_implILb1ES3_PiS7_iN6hipcub16HIPCUB_304000_NS6detail34convert_binary_result_type_wrapperINS9_3SumENS9_22TransformInputIteratorIbN2at6native12_GLOBAL__N_19NonZeroOpIdEEPKdlEEiEEEE10hipError_tPvRmT1_T2_T3_mT4_P12ihipStream_tbEUlT_E0_NS1_11comp_targetILNS1_3genE5ELNS1_11target_archE942ELNS1_3gpuE9ELNS1_3repE0EEENS1_30default_config_static_selectorELNS0_4arch9wavefront6targetE0EEEvSQ_,"axG",@progbits,_ZN7rocprim17ROCPRIM_400000_NS6detail17trampoline_kernelINS0_14default_configENS1_22reduce_config_selectorIiEEZNS1_11reduce_implILb1ES3_PiS7_iN6hipcub16HIPCUB_304000_NS6detail34convert_binary_result_type_wrapperINS9_3SumENS9_22TransformInputIteratorIbN2at6native12_GLOBAL__N_19NonZeroOpIdEEPKdlEEiEEEE10hipError_tPvRmT1_T2_T3_mT4_P12ihipStream_tbEUlT_E0_NS1_11comp_targetILNS1_3genE5ELNS1_11target_archE942ELNS1_3gpuE9ELNS1_3repE0EEENS1_30default_config_static_selectorELNS0_4arch9wavefront6targetE0EEEvSQ_,comdat
	.globl	_ZN7rocprim17ROCPRIM_400000_NS6detail17trampoline_kernelINS0_14default_configENS1_22reduce_config_selectorIiEEZNS1_11reduce_implILb1ES3_PiS7_iN6hipcub16HIPCUB_304000_NS6detail34convert_binary_result_type_wrapperINS9_3SumENS9_22TransformInputIteratorIbN2at6native12_GLOBAL__N_19NonZeroOpIdEEPKdlEEiEEEE10hipError_tPvRmT1_T2_T3_mT4_P12ihipStream_tbEUlT_E0_NS1_11comp_targetILNS1_3genE5ELNS1_11target_archE942ELNS1_3gpuE9ELNS1_3repE0EEENS1_30default_config_static_selectorELNS0_4arch9wavefront6targetE0EEEvSQ_ ; -- Begin function _ZN7rocprim17ROCPRIM_400000_NS6detail17trampoline_kernelINS0_14default_configENS1_22reduce_config_selectorIiEEZNS1_11reduce_implILb1ES3_PiS7_iN6hipcub16HIPCUB_304000_NS6detail34convert_binary_result_type_wrapperINS9_3SumENS9_22TransformInputIteratorIbN2at6native12_GLOBAL__N_19NonZeroOpIdEEPKdlEEiEEEE10hipError_tPvRmT1_T2_T3_mT4_P12ihipStream_tbEUlT_E0_NS1_11comp_targetILNS1_3genE5ELNS1_11target_archE942ELNS1_3gpuE9ELNS1_3repE0EEENS1_30default_config_static_selectorELNS0_4arch9wavefront6targetE0EEEvSQ_
	.p2align	8
	.type	_ZN7rocprim17ROCPRIM_400000_NS6detail17trampoline_kernelINS0_14default_configENS1_22reduce_config_selectorIiEEZNS1_11reduce_implILb1ES3_PiS7_iN6hipcub16HIPCUB_304000_NS6detail34convert_binary_result_type_wrapperINS9_3SumENS9_22TransformInputIteratorIbN2at6native12_GLOBAL__N_19NonZeroOpIdEEPKdlEEiEEEE10hipError_tPvRmT1_T2_T3_mT4_P12ihipStream_tbEUlT_E0_NS1_11comp_targetILNS1_3genE5ELNS1_11target_archE942ELNS1_3gpuE9ELNS1_3repE0EEENS1_30default_config_static_selectorELNS0_4arch9wavefront6targetE0EEEvSQ_,@function
_ZN7rocprim17ROCPRIM_400000_NS6detail17trampoline_kernelINS0_14default_configENS1_22reduce_config_selectorIiEEZNS1_11reduce_implILb1ES3_PiS7_iN6hipcub16HIPCUB_304000_NS6detail34convert_binary_result_type_wrapperINS9_3SumENS9_22TransformInputIteratorIbN2at6native12_GLOBAL__N_19NonZeroOpIdEEPKdlEEiEEEE10hipError_tPvRmT1_T2_T3_mT4_P12ihipStream_tbEUlT_E0_NS1_11comp_targetILNS1_3genE5ELNS1_11target_archE942ELNS1_3gpuE9ELNS1_3repE0EEENS1_30default_config_static_selectorELNS0_4arch9wavefront6targetE0EEEvSQ_: ; @_ZN7rocprim17ROCPRIM_400000_NS6detail17trampoline_kernelINS0_14default_configENS1_22reduce_config_selectorIiEEZNS1_11reduce_implILb1ES3_PiS7_iN6hipcub16HIPCUB_304000_NS6detail34convert_binary_result_type_wrapperINS9_3SumENS9_22TransformInputIteratorIbN2at6native12_GLOBAL__N_19NonZeroOpIdEEPKdlEEiEEEE10hipError_tPvRmT1_T2_T3_mT4_P12ihipStream_tbEUlT_E0_NS1_11comp_targetILNS1_3genE5ELNS1_11target_archE942ELNS1_3gpuE9ELNS1_3repE0EEENS1_30default_config_static_selectorELNS0_4arch9wavefront6targetE0EEEvSQ_
; %bb.0:
	.section	.rodata,"a",@progbits
	.p2align	6, 0x0
	.amdhsa_kernel _ZN7rocprim17ROCPRIM_400000_NS6detail17trampoline_kernelINS0_14default_configENS1_22reduce_config_selectorIiEEZNS1_11reduce_implILb1ES3_PiS7_iN6hipcub16HIPCUB_304000_NS6detail34convert_binary_result_type_wrapperINS9_3SumENS9_22TransformInputIteratorIbN2at6native12_GLOBAL__N_19NonZeroOpIdEEPKdlEEiEEEE10hipError_tPvRmT1_T2_T3_mT4_P12ihipStream_tbEUlT_E0_NS1_11comp_targetILNS1_3genE5ELNS1_11target_archE942ELNS1_3gpuE9ELNS1_3repE0EEENS1_30default_config_static_selectorELNS0_4arch9wavefront6targetE0EEEvSQ_
		.amdhsa_group_segment_fixed_size 0
		.amdhsa_private_segment_fixed_size 0
		.amdhsa_kernarg_size 56
		.amdhsa_user_sgpr_count 15
		.amdhsa_user_sgpr_dispatch_ptr 0
		.amdhsa_user_sgpr_queue_ptr 0
		.amdhsa_user_sgpr_kernarg_segment_ptr 1
		.amdhsa_user_sgpr_dispatch_id 0
		.amdhsa_user_sgpr_private_segment_size 0
		.amdhsa_wavefront_size32 1
		.amdhsa_uses_dynamic_stack 0
		.amdhsa_enable_private_segment 0
		.amdhsa_system_sgpr_workgroup_id_x 1
		.amdhsa_system_sgpr_workgroup_id_y 0
		.amdhsa_system_sgpr_workgroup_id_z 0
		.amdhsa_system_sgpr_workgroup_info 0
		.amdhsa_system_vgpr_workitem_id 0
		.amdhsa_next_free_vgpr 1
		.amdhsa_next_free_sgpr 1
		.amdhsa_reserve_vcc 0
		.amdhsa_float_round_mode_32 0
		.amdhsa_float_round_mode_16_64 0
		.amdhsa_float_denorm_mode_32 3
		.amdhsa_float_denorm_mode_16_64 3
		.amdhsa_dx10_clamp 1
		.amdhsa_ieee_mode 1
		.amdhsa_fp16_overflow 0
		.amdhsa_workgroup_processor_mode 1
		.amdhsa_memory_ordered 1
		.amdhsa_forward_progress 0
		.amdhsa_shared_vgpr_count 0
		.amdhsa_exception_fp_ieee_invalid_op 0
		.amdhsa_exception_fp_denorm_src 0
		.amdhsa_exception_fp_ieee_div_zero 0
		.amdhsa_exception_fp_ieee_overflow 0
		.amdhsa_exception_fp_ieee_underflow 0
		.amdhsa_exception_fp_ieee_inexact 0
		.amdhsa_exception_int_div_zero 0
	.end_amdhsa_kernel
	.section	.text._ZN7rocprim17ROCPRIM_400000_NS6detail17trampoline_kernelINS0_14default_configENS1_22reduce_config_selectorIiEEZNS1_11reduce_implILb1ES3_PiS7_iN6hipcub16HIPCUB_304000_NS6detail34convert_binary_result_type_wrapperINS9_3SumENS9_22TransformInputIteratorIbN2at6native12_GLOBAL__N_19NonZeroOpIdEEPKdlEEiEEEE10hipError_tPvRmT1_T2_T3_mT4_P12ihipStream_tbEUlT_E0_NS1_11comp_targetILNS1_3genE5ELNS1_11target_archE942ELNS1_3gpuE9ELNS1_3repE0EEENS1_30default_config_static_selectorELNS0_4arch9wavefront6targetE0EEEvSQ_,"axG",@progbits,_ZN7rocprim17ROCPRIM_400000_NS6detail17trampoline_kernelINS0_14default_configENS1_22reduce_config_selectorIiEEZNS1_11reduce_implILb1ES3_PiS7_iN6hipcub16HIPCUB_304000_NS6detail34convert_binary_result_type_wrapperINS9_3SumENS9_22TransformInputIteratorIbN2at6native12_GLOBAL__N_19NonZeroOpIdEEPKdlEEiEEEE10hipError_tPvRmT1_T2_T3_mT4_P12ihipStream_tbEUlT_E0_NS1_11comp_targetILNS1_3genE5ELNS1_11target_archE942ELNS1_3gpuE9ELNS1_3repE0EEENS1_30default_config_static_selectorELNS0_4arch9wavefront6targetE0EEEvSQ_,comdat
.Lfunc_end355:
	.size	_ZN7rocprim17ROCPRIM_400000_NS6detail17trampoline_kernelINS0_14default_configENS1_22reduce_config_selectorIiEEZNS1_11reduce_implILb1ES3_PiS7_iN6hipcub16HIPCUB_304000_NS6detail34convert_binary_result_type_wrapperINS9_3SumENS9_22TransformInputIteratorIbN2at6native12_GLOBAL__N_19NonZeroOpIdEEPKdlEEiEEEE10hipError_tPvRmT1_T2_T3_mT4_P12ihipStream_tbEUlT_E0_NS1_11comp_targetILNS1_3genE5ELNS1_11target_archE942ELNS1_3gpuE9ELNS1_3repE0EEENS1_30default_config_static_selectorELNS0_4arch9wavefront6targetE0EEEvSQ_, .Lfunc_end355-_ZN7rocprim17ROCPRIM_400000_NS6detail17trampoline_kernelINS0_14default_configENS1_22reduce_config_selectorIiEEZNS1_11reduce_implILb1ES3_PiS7_iN6hipcub16HIPCUB_304000_NS6detail34convert_binary_result_type_wrapperINS9_3SumENS9_22TransformInputIteratorIbN2at6native12_GLOBAL__N_19NonZeroOpIdEEPKdlEEiEEEE10hipError_tPvRmT1_T2_T3_mT4_P12ihipStream_tbEUlT_E0_NS1_11comp_targetILNS1_3genE5ELNS1_11target_archE942ELNS1_3gpuE9ELNS1_3repE0EEENS1_30default_config_static_selectorELNS0_4arch9wavefront6targetE0EEEvSQ_
                                        ; -- End function
	.section	.AMDGPU.csdata,"",@progbits
; Kernel info:
; codeLenInByte = 0
; NumSgprs: 0
; NumVgprs: 0
; ScratchSize: 0
; MemoryBound: 0
; FloatMode: 240
; IeeeMode: 1
; LDSByteSize: 0 bytes/workgroup (compile time only)
; SGPRBlocks: 0
; VGPRBlocks: 0
; NumSGPRsForWavesPerEU: 1
; NumVGPRsForWavesPerEU: 1
; Occupancy: 16
; WaveLimiterHint : 0
; COMPUTE_PGM_RSRC2:SCRATCH_EN: 0
; COMPUTE_PGM_RSRC2:USER_SGPR: 15
; COMPUTE_PGM_RSRC2:TRAP_HANDLER: 0
; COMPUTE_PGM_RSRC2:TGID_X_EN: 1
; COMPUTE_PGM_RSRC2:TGID_Y_EN: 0
; COMPUTE_PGM_RSRC2:TGID_Z_EN: 0
; COMPUTE_PGM_RSRC2:TIDIG_COMP_CNT: 0
	.section	.text._ZN7rocprim17ROCPRIM_400000_NS6detail17trampoline_kernelINS0_14default_configENS1_22reduce_config_selectorIiEEZNS1_11reduce_implILb1ES3_PiS7_iN6hipcub16HIPCUB_304000_NS6detail34convert_binary_result_type_wrapperINS9_3SumENS9_22TransformInputIteratorIbN2at6native12_GLOBAL__N_19NonZeroOpIdEEPKdlEEiEEEE10hipError_tPvRmT1_T2_T3_mT4_P12ihipStream_tbEUlT_E0_NS1_11comp_targetILNS1_3genE4ELNS1_11target_archE910ELNS1_3gpuE8ELNS1_3repE0EEENS1_30default_config_static_selectorELNS0_4arch9wavefront6targetE0EEEvSQ_,"axG",@progbits,_ZN7rocprim17ROCPRIM_400000_NS6detail17trampoline_kernelINS0_14default_configENS1_22reduce_config_selectorIiEEZNS1_11reduce_implILb1ES3_PiS7_iN6hipcub16HIPCUB_304000_NS6detail34convert_binary_result_type_wrapperINS9_3SumENS9_22TransformInputIteratorIbN2at6native12_GLOBAL__N_19NonZeroOpIdEEPKdlEEiEEEE10hipError_tPvRmT1_T2_T3_mT4_P12ihipStream_tbEUlT_E0_NS1_11comp_targetILNS1_3genE4ELNS1_11target_archE910ELNS1_3gpuE8ELNS1_3repE0EEENS1_30default_config_static_selectorELNS0_4arch9wavefront6targetE0EEEvSQ_,comdat
	.globl	_ZN7rocprim17ROCPRIM_400000_NS6detail17trampoline_kernelINS0_14default_configENS1_22reduce_config_selectorIiEEZNS1_11reduce_implILb1ES3_PiS7_iN6hipcub16HIPCUB_304000_NS6detail34convert_binary_result_type_wrapperINS9_3SumENS9_22TransformInputIteratorIbN2at6native12_GLOBAL__N_19NonZeroOpIdEEPKdlEEiEEEE10hipError_tPvRmT1_T2_T3_mT4_P12ihipStream_tbEUlT_E0_NS1_11comp_targetILNS1_3genE4ELNS1_11target_archE910ELNS1_3gpuE8ELNS1_3repE0EEENS1_30default_config_static_selectorELNS0_4arch9wavefront6targetE0EEEvSQ_ ; -- Begin function _ZN7rocprim17ROCPRIM_400000_NS6detail17trampoline_kernelINS0_14default_configENS1_22reduce_config_selectorIiEEZNS1_11reduce_implILb1ES3_PiS7_iN6hipcub16HIPCUB_304000_NS6detail34convert_binary_result_type_wrapperINS9_3SumENS9_22TransformInputIteratorIbN2at6native12_GLOBAL__N_19NonZeroOpIdEEPKdlEEiEEEE10hipError_tPvRmT1_T2_T3_mT4_P12ihipStream_tbEUlT_E0_NS1_11comp_targetILNS1_3genE4ELNS1_11target_archE910ELNS1_3gpuE8ELNS1_3repE0EEENS1_30default_config_static_selectorELNS0_4arch9wavefront6targetE0EEEvSQ_
	.p2align	8
	.type	_ZN7rocprim17ROCPRIM_400000_NS6detail17trampoline_kernelINS0_14default_configENS1_22reduce_config_selectorIiEEZNS1_11reduce_implILb1ES3_PiS7_iN6hipcub16HIPCUB_304000_NS6detail34convert_binary_result_type_wrapperINS9_3SumENS9_22TransformInputIteratorIbN2at6native12_GLOBAL__N_19NonZeroOpIdEEPKdlEEiEEEE10hipError_tPvRmT1_T2_T3_mT4_P12ihipStream_tbEUlT_E0_NS1_11comp_targetILNS1_3genE4ELNS1_11target_archE910ELNS1_3gpuE8ELNS1_3repE0EEENS1_30default_config_static_selectorELNS0_4arch9wavefront6targetE0EEEvSQ_,@function
_ZN7rocprim17ROCPRIM_400000_NS6detail17trampoline_kernelINS0_14default_configENS1_22reduce_config_selectorIiEEZNS1_11reduce_implILb1ES3_PiS7_iN6hipcub16HIPCUB_304000_NS6detail34convert_binary_result_type_wrapperINS9_3SumENS9_22TransformInputIteratorIbN2at6native12_GLOBAL__N_19NonZeroOpIdEEPKdlEEiEEEE10hipError_tPvRmT1_T2_T3_mT4_P12ihipStream_tbEUlT_E0_NS1_11comp_targetILNS1_3genE4ELNS1_11target_archE910ELNS1_3gpuE8ELNS1_3repE0EEENS1_30default_config_static_selectorELNS0_4arch9wavefront6targetE0EEEvSQ_: ; @_ZN7rocprim17ROCPRIM_400000_NS6detail17trampoline_kernelINS0_14default_configENS1_22reduce_config_selectorIiEEZNS1_11reduce_implILb1ES3_PiS7_iN6hipcub16HIPCUB_304000_NS6detail34convert_binary_result_type_wrapperINS9_3SumENS9_22TransformInputIteratorIbN2at6native12_GLOBAL__N_19NonZeroOpIdEEPKdlEEiEEEE10hipError_tPvRmT1_T2_T3_mT4_P12ihipStream_tbEUlT_E0_NS1_11comp_targetILNS1_3genE4ELNS1_11target_archE910ELNS1_3gpuE8ELNS1_3repE0EEENS1_30default_config_static_selectorELNS0_4arch9wavefront6targetE0EEEvSQ_
; %bb.0:
	.section	.rodata,"a",@progbits
	.p2align	6, 0x0
	.amdhsa_kernel _ZN7rocprim17ROCPRIM_400000_NS6detail17trampoline_kernelINS0_14default_configENS1_22reduce_config_selectorIiEEZNS1_11reduce_implILb1ES3_PiS7_iN6hipcub16HIPCUB_304000_NS6detail34convert_binary_result_type_wrapperINS9_3SumENS9_22TransformInputIteratorIbN2at6native12_GLOBAL__N_19NonZeroOpIdEEPKdlEEiEEEE10hipError_tPvRmT1_T2_T3_mT4_P12ihipStream_tbEUlT_E0_NS1_11comp_targetILNS1_3genE4ELNS1_11target_archE910ELNS1_3gpuE8ELNS1_3repE0EEENS1_30default_config_static_selectorELNS0_4arch9wavefront6targetE0EEEvSQ_
		.amdhsa_group_segment_fixed_size 0
		.amdhsa_private_segment_fixed_size 0
		.amdhsa_kernarg_size 56
		.amdhsa_user_sgpr_count 15
		.amdhsa_user_sgpr_dispatch_ptr 0
		.amdhsa_user_sgpr_queue_ptr 0
		.amdhsa_user_sgpr_kernarg_segment_ptr 1
		.amdhsa_user_sgpr_dispatch_id 0
		.amdhsa_user_sgpr_private_segment_size 0
		.amdhsa_wavefront_size32 1
		.amdhsa_uses_dynamic_stack 0
		.amdhsa_enable_private_segment 0
		.amdhsa_system_sgpr_workgroup_id_x 1
		.amdhsa_system_sgpr_workgroup_id_y 0
		.amdhsa_system_sgpr_workgroup_id_z 0
		.amdhsa_system_sgpr_workgroup_info 0
		.amdhsa_system_vgpr_workitem_id 0
		.amdhsa_next_free_vgpr 1
		.amdhsa_next_free_sgpr 1
		.amdhsa_reserve_vcc 0
		.amdhsa_float_round_mode_32 0
		.amdhsa_float_round_mode_16_64 0
		.amdhsa_float_denorm_mode_32 3
		.amdhsa_float_denorm_mode_16_64 3
		.amdhsa_dx10_clamp 1
		.amdhsa_ieee_mode 1
		.amdhsa_fp16_overflow 0
		.amdhsa_workgroup_processor_mode 1
		.amdhsa_memory_ordered 1
		.amdhsa_forward_progress 0
		.amdhsa_shared_vgpr_count 0
		.amdhsa_exception_fp_ieee_invalid_op 0
		.amdhsa_exception_fp_denorm_src 0
		.amdhsa_exception_fp_ieee_div_zero 0
		.amdhsa_exception_fp_ieee_overflow 0
		.amdhsa_exception_fp_ieee_underflow 0
		.amdhsa_exception_fp_ieee_inexact 0
		.amdhsa_exception_int_div_zero 0
	.end_amdhsa_kernel
	.section	.text._ZN7rocprim17ROCPRIM_400000_NS6detail17trampoline_kernelINS0_14default_configENS1_22reduce_config_selectorIiEEZNS1_11reduce_implILb1ES3_PiS7_iN6hipcub16HIPCUB_304000_NS6detail34convert_binary_result_type_wrapperINS9_3SumENS9_22TransformInputIteratorIbN2at6native12_GLOBAL__N_19NonZeroOpIdEEPKdlEEiEEEE10hipError_tPvRmT1_T2_T3_mT4_P12ihipStream_tbEUlT_E0_NS1_11comp_targetILNS1_3genE4ELNS1_11target_archE910ELNS1_3gpuE8ELNS1_3repE0EEENS1_30default_config_static_selectorELNS0_4arch9wavefront6targetE0EEEvSQ_,"axG",@progbits,_ZN7rocprim17ROCPRIM_400000_NS6detail17trampoline_kernelINS0_14default_configENS1_22reduce_config_selectorIiEEZNS1_11reduce_implILb1ES3_PiS7_iN6hipcub16HIPCUB_304000_NS6detail34convert_binary_result_type_wrapperINS9_3SumENS9_22TransformInputIteratorIbN2at6native12_GLOBAL__N_19NonZeroOpIdEEPKdlEEiEEEE10hipError_tPvRmT1_T2_T3_mT4_P12ihipStream_tbEUlT_E0_NS1_11comp_targetILNS1_3genE4ELNS1_11target_archE910ELNS1_3gpuE8ELNS1_3repE0EEENS1_30default_config_static_selectorELNS0_4arch9wavefront6targetE0EEEvSQ_,comdat
.Lfunc_end356:
	.size	_ZN7rocprim17ROCPRIM_400000_NS6detail17trampoline_kernelINS0_14default_configENS1_22reduce_config_selectorIiEEZNS1_11reduce_implILb1ES3_PiS7_iN6hipcub16HIPCUB_304000_NS6detail34convert_binary_result_type_wrapperINS9_3SumENS9_22TransformInputIteratorIbN2at6native12_GLOBAL__N_19NonZeroOpIdEEPKdlEEiEEEE10hipError_tPvRmT1_T2_T3_mT4_P12ihipStream_tbEUlT_E0_NS1_11comp_targetILNS1_3genE4ELNS1_11target_archE910ELNS1_3gpuE8ELNS1_3repE0EEENS1_30default_config_static_selectorELNS0_4arch9wavefront6targetE0EEEvSQ_, .Lfunc_end356-_ZN7rocprim17ROCPRIM_400000_NS6detail17trampoline_kernelINS0_14default_configENS1_22reduce_config_selectorIiEEZNS1_11reduce_implILb1ES3_PiS7_iN6hipcub16HIPCUB_304000_NS6detail34convert_binary_result_type_wrapperINS9_3SumENS9_22TransformInputIteratorIbN2at6native12_GLOBAL__N_19NonZeroOpIdEEPKdlEEiEEEE10hipError_tPvRmT1_T2_T3_mT4_P12ihipStream_tbEUlT_E0_NS1_11comp_targetILNS1_3genE4ELNS1_11target_archE910ELNS1_3gpuE8ELNS1_3repE0EEENS1_30default_config_static_selectorELNS0_4arch9wavefront6targetE0EEEvSQ_
                                        ; -- End function
	.section	.AMDGPU.csdata,"",@progbits
; Kernel info:
; codeLenInByte = 0
; NumSgprs: 0
; NumVgprs: 0
; ScratchSize: 0
; MemoryBound: 0
; FloatMode: 240
; IeeeMode: 1
; LDSByteSize: 0 bytes/workgroup (compile time only)
; SGPRBlocks: 0
; VGPRBlocks: 0
; NumSGPRsForWavesPerEU: 1
; NumVGPRsForWavesPerEU: 1
; Occupancy: 16
; WaveLimiterHint : 0
; COMPUTE_PGM_RSRC2:SCRATCH_EN: 0
; COMPUTE_PGM_RSRC2:USER_SGPR: 15
; COMPUTE_PGM_RSRC2:TRAP_HANDLER: 0
; COMPUTE_PGM_RSRC2:TGID_X_EN: 1
; COMPUTE_PGM_RSRC2:TGID_Y_EN: 0
; COMPUTE_PGM_RSRC2:TGID_Z_EN: 0
; COMPUTE_PGM_RSRC2:TIDIG_COMP_CNT: 0
	.section	.text._ZN7rocprim17ROCPRIM_400000_NS6detail17trampoline_kernelINS0_14default_configENS1_22reduce_config_selectorIiEEZNS1_11reduce_implILb1ES3_PiS7_iN6hipcub16HIPCUB_304000_NS6detail34convert_binary_result_type_wrapperINS9_3SumENS9_22TransformInputIteratorIbN2at6native12_GLOBAL__N_19NonZeroOpIdEEPKdlEEiEEEE10hipError_tPvRmT1_T2_T3_mT4_P12ihipStream_tbEUlT_E0_NS1_11comp_targetILNS1_3genE3ELNS1_11target_archE908ELNS1_3gpuE7ELNS1_3repE0EEENS1_30default_config_static_selectorELNS0_4arch9wavefront6targetE0EEEvSQ_,"axG",@progbits,_ZN7rocprim17ROCPRIM_400000_NS6detail17trampoline_kernelINS0_14default_configENS1_22reduce_config_selectorIiEEZNS1_11reduce_implILb1ES3_PiS7_iN6hipcub16HIPCUB_304000_NS6detail34convert_binary_result_type_wrapperINS9_3SumENS9_22TransformInputIteratorIbN2at6native12_GLOBAL__N_19NonZeroOpIdEEPKdlEEiEEEE10hipError_tPvRmT1_T2_T3_mT4_P12ihipStream_tbEUlT_E0_NS1_11comp_targetILNS1_3genE3ELNS1_11target_archE908ELNS1_3gpuE7ELNS1_3repE0EEENS1_30default_config_static_selectorELNS0_4arch9wavefront6targetE0EEEvSQ_,comdat
	.globl	_ZN7rocprim17ROCPRIM_400000_NS6detail17trampoline_kernelINS0_14default_configENS1_22reduce_config_selectorIiEEZNS1_11reduce_implILb1ES3_PiS7_iN6hipcub16HIPCUB_304000_NS6detail34convert_binary_result_type_wrapperINS9_3SumENS9_22TransformInputIteratorIbN2at6native12_GLOBAL__N_19NonZeroOpIdEEPKdlEEiEEEE10hipError_tPvRmT1_T2_T3_mT4_P12ihipStream_tbEUlT_E0_NS1_11comp_targetILNS1_3genE3ELNS1_11target_archE908ELNS1_3gpuE7ELNS1_3repE0EEENS1_30default_config_static_selectorELNS0_4arch9wavefront6targetE0EEEvSQ_ ; -- Begin function _ZN7rocprim17ROCPRIM_400000_NS6detail17trampoline_kernelINS0_14default_configENS1_22reduce_config_selectorIiEEZNS1_11reduce_implILb1ES3_PiS7_iN6hipcub16HIPCUB_304000_NS6detail34convert_binary_result_type_wrapperINS9_3SumENS9_22TransformInputIteratorIbN2at6native12_GLOBAL__N_19NonZeroOpIdEEPKdlEEiEEEE10hipError_tPvRmT1_T2_T3_mT4_P12ihipStream_tbEUlT_E0_NS1_11comp_targetILNS1_3genE3ELNS1_11target_archE908ELNS1_3gpuE7ELNS1_3repE0EEENS1_30default_config_static_selectorELNS0_4arch9wavefront6targetE0EEEvSQ_
	.p2align	8
	.type	_ZN7rocprim17ROCPRIM_400000_NS6detail17trampoline_kernelINS0_14default_configENS1_22reduce_config_selectorIiEEZNS1_11reduce_implILb1ES3_PiS7_iN6hipcub16HIPCUB_304000_NS6detail34convert_binary_result_type_wrapperINS9_3SumENS9_22TransformInputIteratorIbN2at6native12_GLOBAL__N_19NonZeroOpIdEEPKdlEEiEEEE10hipError_tPvRmT1_T2_T3_mT4_P12ihipStream_tbEUlT_E0_NS1_11comp_targetILNS1_3genE3ELNS1_11target_archE908ELNS1_3gpuE7ELNS1_3repE0EEENS1_30default_config_static_selectorELNS0_4arch9wavefront6targetE0EEEvSQ_,@function
_ZN7rocprim17ROCPRIM_400000_NS6detail17trampoline_kernelINS0_14default_configENS1_22reduce_config_selectorIiEEZNS1_11reduce_implILb1ES3_PiS7_iN6hipcub16HIPCUB_304000_NS6detail34convert_binary_result_type_wrapperINS9_3SumENS9_22TransformInputIteratorIbN2at6native12_GLOBAL__N_19NonZeroOpIdEEPKdlEEiEEEE10hipError_tPvRmT1_T2_T3_mT4_P12ihipStream_tbEUlT_E0_NS1_11comp_targetILNS1_3genE3ELNS1_11target_archE908ELNS1_3gpuE7ELNS1_3repE0EEENS1_30default_config_static_selectorELNS0_4arch9wavefront6targetE0EEEvSQ_: ; @_ZN7rocprim17ROCPRIM_400000_NS6detail17trampoline_kernelINS0_14default_configENS1_22reduce_config_selectorIiEEZNS1_11reduce_implILb1ES3_PiS7_iN6hipcub16HIPCUB_304000_NS6detail34convert_binary_result_type_wrapperINS9_3SumENS9_22TransformInputIteratorIbN2at6native12_GLOBAL__N_19NonZeroOpIdEEPKdlEEiEEEE10hipError_tPvRmT1_T2_T3_mT4_P12ihipStream_tbEUlT_E0_NS1_11comp_targetILNS1_3genE3ELNS1_11target_archE908ELNS1_3gpuE7ELNS1_3repE0EEENS1_30default_config_static_selectorELNS0_4arch9wavefront6targetE0EEEvSQ_
; %bb.0:
	.section	.rodata,"a",@progbits
	.p2align	6, 0x0
	.amdhsa_kernel _ZN7rocprim17ROCPRIM_400000_NS6detail17trampoline_kernelINS0_14default_configENS1_22reduce_config_selectorIiEEZNS1_11reduce_implILb1ES3_PiS7_iN6hipcub16HIPCUB_304000_NS6detail34convert_binary_result_type_wrapperINS9_3SumENS9_22TransformInputIteratorIbN2at6native12_GLOBAL__N_19NonZeroOpIdEEPKdlEEiEEEE10hipError_tPvRmT1_T2_T3_mT4_P12ihipStream_tbEUlT_E0_NS1_11comp_targetILNS1_3genE3ELNS1_11target_archE908ELNS1_3gpuE7ELNS1_3repE0EEENS1_30default_config_static_selectorELNS0_4arch9wavefront6targetE0EEEvSQ_
		.amdhsa_group_segment_fixed_size 0
		.amdhsa_private_segment_fixed_size 0
		.amdhsa_kernarg_size 56
		.amdhsa_user_sgpr_count 15
		.amdhsa_user_sgpr_dispatch_ptr 0
		.amdhsa_user_sgpr_queue_ptr 0
		.amdhsa_user_sgpr_kernarg_segment_ptr 1
		.amdhsa_user_sgpr_dispatch_id 0
		.amdhsa_user_sgpr_private_segment_size 0
		.amdhsa_wavefront_size32 1
		.amdhsa_uses_dynamic_stack 0
		.amdhsa_enable_private_segment 0
		.amdhsa_system_sgpr_workgroup_id_x 1
		.amdhsa_system_sgpr_workgroup_id_y 0
		.amdhsa_system_sgpr_workgroup_id_z 0
		.amdhsa_system_sgpr_workgroup_info 0
		.amdhsa_system_vgpr_workitem_id 0
		.amdhsa_next_free_vgpr 1
		.amdhsa_next_free_sgpr 1
		.amdhsa_reserve_vcc 0
		.amdhsa_float_round_mode_32 0
		.amdhsa_float_round_mode_16_64 0
		.amdhsa_float_denorm_mode_32 3
		.amdhsa_float_denorm_mode_16_64 3
		.amdhsa_dx10_clamp 1
		.amdhsa_ieee_mode 1
		.amdhsa_fp16_overflow 0
		.amdhsa_workgroup_processor_mode 1
		.amdhsa_memory_ordered 1
		.amdhsa_forward_progress 0
		.amdhsa_shared_vgpr_count 0
		.amdhsa_exception_fp_ieee_invalid_op 0
		.amdhsa_exception_fp_denorm_src 0
		.amdhsa_exception_fp_ieee_div_zero 0
		.amdhsa_exception_fp_ieee_overflow 0
		.amdhsa_exception_fp_ieee_underflow 0
		.amdhsa_exception_fp_ieee_inexact 0
		.amdhsa_exception_int_div_zero 0
	.end_amdhsa_kernel
	.section	.text._ZN7rocprim17ROCPRIM_400000_NS6detail17trampoline_kernelINS0_14default_configENS1_22reduce_config_selectorIiEEZNS1_11reduce_implILb1ES3_PiS7_iN6hipcub16HIPCUB_304000_NS6detail34convert_binary_result_type_wrapperINS9_3SumENS9_22TransformInputIteratorIbN2at6native12_GLOBAL__N_19NonZeroOpIdEEPKdlEEiEEEE10hipError_tPvRmT1_T2_T3_mT4_P12ihipStream_tbEUlT_E0_NS1_11comp_targetILNS1_3genE3ELNS1_11target_archE908ELNS1_3gpuE7ELNS1_3repE0EEENS1_30default_config_static_selectorELNS0_4arch9wavefront6targetE0EEEvSQ_,"axG",@progbits,_ZN7rocprim17ROCPRIM_400000_NS6detail17trampoline_kernelINS0_14default_configENS1_22reduce_config_selectorIiEEZNS1_11reduce_implILb1ES3_PiS7_iN6hipcub16HIPCUB_304000_NS6detail34convert_binary_result_type_wrapperINS9_3SumENS9_22TransformInputIteratorIbN2at6native12_GLOBAL__N_19NonZeroOpIdEEPKdlEEiEEEE10hipError_tPvRmT1_T2_T3_mT4_P12ihipStream_tbEUlT_E0_NS1_11comp_targetILNS1_3genE3ELNS1_11target_archE908ELNS1_3gpuE7ELNS1_3repE0EEENS1_30default_config_static_selectorELNS0_4arch9wavefront6targetE0EEEvSQ_,comdat
.Lfunc_end357:
	.size	_ZN7rocprim17ROCPRIM_400000_NS6detail17trampoline_kernelINS0_14default_configENS1_22reduce_config_selectorIiEEZNS1_11reduce_implILb1ES3_PiS7_iN6hipcub16HIPCUB_304000_NS6detail34convert_binary_result_type_wrapperINS9_3SumENS9_22TransformInputIteratorIbN2at6native12_GLOBAL__N_19NonZeroOpIdEEPKdlEEiEEEE10hipError_tPvRmT1_T2_T3_mT4_P12ihipStream_tbEUlT_E0_NS1_11comp_targetILNS1_3genE3ELNS1_11target_archE908ELNS1_3gpuE7ELNS1_3repE0EEENS1_30default_config_static_selectorELNS0_4arch9wavefront6targetE0EEEvSQ_, .Lfunc_end357-_ZN7rocprim17ROCPRIM_400000_NS6detail17trampoline_kernelINS0_14default_configENS1_22reduce_config_selectorIiEEZNS1_11reduce_implILb1ES3_PiS7_iN6hipcub16HIPCUB_304000_NS6detail34convert_binary_result_type_wrapperINS9_3SumENS9_22TransformInputIteratorIbN2at6native12_GLOBAL__N_19NonZeroOpIdEEPKdlEEiEEEE10hipError_tPvRmT1_T2_T3_mT4_P12ihipStream_tbEUlT_E0_NS1_11comp_targetILNS1_3genE3ELNS1_11target_archE908ELNS1_3gpuE7ELNS1_3repE0EEENS1_30default_config_static_selectorELNS0_4arch9wavefront6targetE0EEEvSQ_
                                        ; -- End function
	.section	.AMDGPU.csdata,"",@progbits
; Kernel info:
; codeLenInByte = 0
; NumSgprs: 0
; NumVgprs: 0
; ScratchSize: 0
; MemoryBound: 0
; FloatMode: 240
; IeeeMode: 1
; LDSByteSize: 0 bytes/workgroup (compile time only)
; SGPRBlocks: 0
; VGPRBlocks: 0
; NumSGPRsForWavesPerEU: 1
; NumVGPRsForWavesPerEU: 1
; Occupancy: 16
; WaveLimiterHint : 0
; COMPUTE_PGM_RSRC2:SCRATCH_EN: 0
; COMPUTE_PGM_RSRC2:USER_SGPR: 15
; COMPUTE_PGM_RSRC2:TRAP_HANDLER: 0
; COMPUTE_PGM_RSRC2:TGID_X_EN: 1
; COMPUTE_PGM_RSRC2:TGID_Y_EN: 0
; COMPUTE_PGM_RSRC2:TGID_Z_EN: 0
; COMPUTE_PGM_RSRC2:TIDIG_COMP_CNT: 0
	.section	.text._ZN7rocprim17ROCPRIM_400000_NS6detail17trampoline_kernelINS0_14default_configENS1_22reduce_config_selectorIiEEZNS1_11reduce_implILb1ES3_PiS7_iN6hipcub16HIPCUB_304000_NS6detail34convert_binary_result_type_wrapperINS9_3SumENS9_22TransformInputIteratorIbN2at6native12_GLOBAL__N_19NonZeroOpIdEEPKdlEEiEEEE10hipError_tPvRmT1_T2_T3_mT4_P12ihipStream_tbEUlT_E0_NS1_11comp_targetILNS1_3genE2ELNS1_11target_archE906ELNS1_3gpuE6ELNS1_3repE0EEENS1_30default_config_static_selectorELNS0_4arch9wavefront6targetE0EEEvSQ_,"axG",@progbits,_ZN7rocprim17ROCPRIM_400000_NS6detail17trampoline_kernelINS0_14default_configENS1_22reduce_config_selectorIiEEZNS1_11reduce_implILb1ES3_PiS7_iN6hipcub16HIPCUB_304000_NS6detail34convert_binary_result_type_wrapperINS9_3SumENS9_22TransformInputIteratorIbN2at6native12_GLOBAL__N_19NonZeroOpIdEEPKdlEEiEEEE10hipError_tPvRmT1_T2_T3_mT4_P12ihipStream_tbEUlT_E0_NS1_11comp_targetILNS1_3genE2ELNS1_11target_archE906ELNS1_3gpuE6ELNS1_3repE0EEENS1_30default_config_static_selectorELNS0_4arch9wavefront6targetE0EEEvSQ_,comdat
	.globl	_ZN7rocprim17ROCPRIM_400000_NS6detail17trampoline_kernelINS0_14default_configENS1_22reduce_config_selectorIiEEZNS1_11reduce_implILb1ES3_PiS7_iN6hipcub16HIPCUB_304000_NS6detail34convert_binary_result_type_wrapperINS9_3SumENS9_22TransformInputIteratorIbN2at6native12_GLOBAL__N_19NonZeroOpIdEEPKdlEEiEEEE10hipError_tPvRmT1_T2_T3_mT4_P12ihipStream_tbEUlT_E0_NS1_11comp_targetILNS1_3genE2ELNS1_11target_archE906ELNS1_3gpuE6ELNS1_3repE0EEENS1_30default_config_static_selectorELNS0_4arch9wavefront6targetE0EEEvSQ_ ; -- Begin function _ZN7rocprim17ROCPRIM_400000_NS6detail17trampoline_kernelINS0_14default_configENS1_22reduce_config_selectorIiEEZNS1_11reduce_implILb1ES3_PiS7_iN6hipcub16HIPCUB_304000_NS6detail34convert_binary_result_type_wrapperINS9_3SumENS9_22TransformInputIteratorIbN2at6native12_GLOBAL__N_19NonZeroOpIdEEPKdlEEiEEEE10hipError_tPvRmT1_T2_T3_mT4_P12ihipStream_tbEUlT_E0_NS1_11comp_targetILNS1_3genE2ELNS1_11target_archE906ELNS1_3gpuE6ELNS1_3repE0EEENS1_30default_config_static_selectorELNS0_4arch9wavefront6targetE0EEEvSQ_
	.p2align	8
	.type	_ZN7rocprim17ROCPRIM_400000_NS6detail17trampoline_kernelINS0_14default_configENS1_22reduce_config_selectorIiEEZNS1_11reduce_implILb1ES3_PiS7_iN6hipcub16HIPCUB_304000_NS6detail34convert_binary_result_type_wrapperINS9_3SumENS9_22TransformInputIteratorIbN2at6native12_GLOBAL__N_19NonZeroOpIdEEPKdlEEiEEEE10hipError_tPvRmT1_T2_T3_mT4_P12ihipStream_tbEUlT_E0_NS1_11comp_targetILNS1_3genE2ELNS1_11target_archE906ELNS1_3gpuE6ELNS1_3repE0EEENS1_30default_config_static_selectorELNS0_4arch9wavefront6targetE0EEEvSQ_,@function
_ZN7rocprim17ROCPRIM_400000_NS6detail17trampoline_kernelINS0_14default_configENS1_22reduce_config_selectorIiEEZNS1_11reduce_implILb1ES3_PiS7_iN6hipcub16HIPCUB_304000_NS6detail34convert_binary_result_type_wrapperINS9_3SumENS9_22TransformInputIteratorIbN2at6native12_GLOBAL__N_19NonZeroOpIdEEPKdlEEiEEEE10hipError_tPvRmT1_T2_T3_mT4_P12ihipStream_tbEUlT_E0_NS1_11comp_targetILNS1_3genE2ELNS1_11target_archE906ELNS1_3gpuE6ELNS1_3repE0EEENS1_30default_config_static_selectorELNS0_4arch9wavefront6targetE0EEEvSQ_: ; @_ZN7rocprim17ROCPRIM_400000_NS6detail17trampoline_kernelINS0_14default_configENS1_22reduce_config_selectorIiEEZNS1_11reduce_implILb1ES3_PiS7_iN6hipcub16HIPCUB_304000_NS6detail34convert_binary_result_type_wrapperINS9_3SumENS9_22TransformInputIteratorIbN2at6native12_GLOBAL__N_19NonZeroOpIdEEPKdlEEiEEEE10hipError_tPvRmT1_T2_T3_mT4_P12ihipStream_tbEUlT_E0_NS1_11comp_targetILNS1_3genE2ELNS1_11target_archE906ELNS1_3gpuE6ELNS1_3repE0EEENS1_30default_config_static_selectorELNS0_4arch9wavefront6targetE0EEEvSQ_
; %bb.0:
	.section	.rodata,"a",@progbits
	.p2align	6, 0x0
	.amdhsa_kernel _ZN7rocprim17ROCPRIM_400000_NS6detail17trampoline_kernelINS0_14default_configENS1_22reduce_config_selectorIiEEZNS1_11reduce_implILb1ES3_PiS7_iN6hipcub16HIPCUB_304000_NS6detail34convert_binary_result_type_wrapperINS9_3SumENS9_22TransformInputIteratorIbN2at6native12_GLOBAL__N_19NonZeroOpIdEEPKdlEEiEEEE10hipError_tPvRmT1_T2_T3_mT4_P12ihipStream_tbEUlT_E0_NS1_11comp_targetILNS1_3genE2ELNS1_11target_archE906ELNS1_3gpuE6ELNS1_3repE0EEENS1_30default_config_static_selectorELNS0_4arch9wavefront6targetE0EEEvSQ_
		.amdhsa_group_segment_fixed_size 0
		.amdhsa_private_segment_fixed_size 0
		.amdhsa_kernarg_size 56
		.amdhsa_user_sgpr_count 15
		.amdhsa_user_sgpr_dispatch_ptr 0
		.amdhsa_user_sgpr_queue_ptr 0
		.amdhsa_user_sgpr_kernarg_segment_ptr 1
		.amdhsa_user_sgpr_dispatch_id 0
		.amdhsa_user_sgpr_private_segment_size 0
		.amdhsa_wavefront_size32 1
		.amdhsa_uses_dynamic_stack 0
		.amdhsa_enable_private_segment 0
		.amdhsa_system_sgpr_workgroup_id_x 1
		.amdhsa_system_sgpr_workgroup_id_y 0
		.amdhsa_system_sgpr_workgroup_id_z 0
		.amdhsa_system_sgpr_workgroup_info 0
		.amdhsa_system_vgpr_workitem_id 0
		.amdhsa_next_free_vgpr 1
		.amdhsa_next_free_sgpr 1
		.amdhsa_reserve_vcc 0
		.amdhsa_float_round_mode_32 0
		.amdhsa_float_round_mode_16_64 0
		.amdhsa_float_denorm_mode_32 3
		.amdhsa_float_denorm_mode_16_64 3
		.amdhsa_dx10_clamp 1
		.amdhsa_ieee_mode 1
		.amdhsa_fp16_overflow 0
		.amdhsa_workgroup_processor_mode 1
		.amdhsa_memory_ordered 1
		.amdhsa_forward_progress 0
		.amdhsa_shared_vgpr_count 0
		.amdhsa_exception_fp_ieee_invalid_op 0
		.amdhsa_exception_fp_denorm_src 0
		.amdhsa_exception_fp_ieee_div_zero 0
		.amdhsa_exception_fp_ieee_overflow 0
		.amdhsa_exception_fp_ieee_underflow 0
		.amdhsa_exception_fp_ieee_inexact 0
		.amdhsa_exception_int_div_zero 0
	.end_amdhsa_kernel
	.section	.text._ZN7rocprim17ROCPRIM_400000_NS6detail17trampoline_kernelINS0_14default_configENS1_22reduce_config_selectorIiEEZNS1_11reduce_implILb1ES3_PiS7_iN6hipcub16HIPCUB_304000_NS6detail34convert_binary_result_type_wrapperINS9_3SumENS9_22TransformInputIteratorIbN2at6native12_GLOBAL__N_19NonZeroOpIdEEPKdlEEiEEEE10hipError_tPvRmT1_T2_T3_mT4_P12ihipStream_tbEUlT_E0_NS1_11comp_targetILNS1_3genE2ELNS1_11target_archE906ELNS1_3gpuE6ELNS1_3repE0EEENS1_30default_config_static_selectorELNS0_4arch9wavefront6targetE0EEEvSQ_,"axG",@progbits,_ZN7rocprim17ROCPRIM_400000_NS6detail17trampoline_kernelINS0_14default_configENS1_22reduce_config_selectorIiEEZNS1_11reduce_implILb1ES3_PiS7_iN6hipcub16HIPCUB_304000_NS6detail34convert_binary_result_type_wrapperINS9_3SumENS9_22TransformInputIteratorIbN2at6native12_GLOBAL__N_19NonZeroOpIdEEPKdlEEiEEEE10hipError_tPvRmT1_T2_T3_mT4_P12ihipStream_tbEUlT_E0_NS1_11comp_targetILNS1_3genE2ELNS1_11target_archE906ELNS1_3gpuE6ELNS1_3repE0EEENS1_30default_config_static_selectorELNS0_4arch9wavefront6targetE0EEEvSQ_,comdat
.Lfunc_end358:
	.size	_ZN7rocprim17ROCPRIM_400000_NS6detail17trampoline_kernelINS0_14default_configENS1_22reduce_config_selectorIiEEZNS1_11reduce_implILb1ES3_PiS7_iN6hipcub16HIPCUB_304000_NS6detail34convert_binary_result_type_wrapperINS9_3SumENS9_22TransformInputIteratorIbN2at6native12_GLOBAL__N_19NonZeroOpIdEEPKdlEEiEEEE10hipError_tPvRmT1_T2_T3_mT4_P12ihipStream_tbEUlT_E0_NS1_11comp_targetILNS1_3genE2ELNS1_11target_archE906ELNS1_3gpuE6ELNS1_3repE0EEENS1_30default_config_static_selectorELNS0_4arch9wavefront6targetE0EEEvSQ_, .Lfunc_end358-_ZN7rocprim17ROCPRIM_400000_NS6detail17trampoline_kernelINS0_14default_configENS1_22reduce_config_selectorIiEEZNS1_11reduce_implILb1ES3_PiS7_iN6hipcub16HIPCUB_304000_NS6detail34convert_binary_result_type_wrapperINS9_3SumENS9_22TransformInputIteratorIbN2at6native12_GLOBAL__N_19NonZeroOpIdEEPKdlEEiEEEE10hipError_tPvRmT1_T2_T3_mT4_P12ihipStream_tbEUlT_E0_NS1_11comp_targetILNS1_3genE2ELNS1_11target_archE906ELNS1_3gpuE6ELNS1_3repE0EEENS1_30default_config_static_selectorELNS0_4arch9wavefront6targetE0EEEvSQ_
                                        ; -- End function
	.section	.AMDGPU.csdata,"",@progbits
; Kernel info:
; codeLenInByte = 0
; NumSgprs: 0
; NumVgprs: 0
; ScratchSize: 0
; MemoryBound: 0
; FloatMode: 240
; IeeeMode: 1
; LDSByteSize: 0 bytes/workgroup (compile time only)
; SGPRBlocks: 0
; VGPRBlocks: 0
; NumSGPRsForWavesPerEU: 1
; NumVGPRsForWavesPerEU: 1
; Occupancy: 16
; WaveLimiterHint : 0
; COMPUTE_PGM_RSRC2:SCRATCH_EN: 0
; COMPUTE_PGM_RSRC2:USER_SGPR: 15
; COMPUTE_PGM_RSRC2:TRAP_HANDLER: 0
; COMPUTE_PGM_RSRC2:TGID_X_EN: 1
; COMPUTE_PGM_RSRC2:TGID_Y_EN: 0
; COMPUTE_PGM_RSRC2:TGID_Z_EN: 0
; COMPUTE_PGM_RSRC2:TIDIG_COMP_CNT: 0
	.section	.text._ZN7rocprim17ROCPRIM_400000_NS6detail17trampoline_kernelINS0_14default_configENS1_22reduce_config_selectorIiEEZNS1_11reduce_implILb1ES3_PiS7_iN6hipcub16HIPCUB_304000_NS6detail34convert_binary_result_type_wrapperINS9_3SumENS9_22TransformInputIteratorIbN2at6native12_GLOBAL__N_19NonZeroOpIdEEPKdlEEiEEEE10hipError_tPvRmT1_T2_T3_mT4_P12ihipStream_tbEUlT_E0_NS1_11comp_targetILNS1_3genE10ELNS1_11target_archE1201ELNS1_3gpuE5ELNS1_3repE0EEENS1_30default_config_static_selectorELNS0_4arch9wavefront6targetE0EEEvSQ_,"axG",@progbits,_ZN7rocprim17ROCPRIM_400000_NS6detail17trampoline_kernelINS0_14default_configENS1_22reduce_config_selectorIiEEZNS1_11reduce_implILb1ES3_PiS7_iN6hipcub16HIPCUB_304000_NS6detail34convert_binary_result_type_wrapperINS9_3SumENS9_22TransformInputIteratorIbN2at6native12_GLOBAL__N_19NonZeroOpIdEEPKdlEEiEEEE10hipError_tPvRmT1_T2_T3_mT4_P12ihipStream_tbEUlT_E0_NS1_11comp_targetILNS1_3genE10ELNS1_11target_archE1201ELNS1_3gpuE5ELNS1_3repE0EEENS1_30default_config_static_selectorELNS0_4arch9wavefront6targetE0EEEvSQ_,comdat
	.globl	_ZN7rocprim17ROCPRIM_400000_NS6detail17trampoline_kernelINS0_14default_configENS1_22reduce_config_selectorIiEEZNS1_11reduce_implILb1ES3_PiS7_iN6hipcub16HIPCUB_304000_NS6detail34convert_binary_result_type_wrapperINS9_3SumENS9_22TransformInputIteratorIbN2at6native12_GLOBAL__N_19NonZeroOpIdEEPKdlEEiEEEE10hipError_tPvRmT1_T2_T3_mT4_P12ihipStream_tbEUlT_E0_NS1_11comp_targetILNS1_3genE10ELNS1_11target_archE1201ELNS1_3gpuE5ELNS1_3repE0EEENS1_30default_config_static_selectorELNS0_4arch9wavefront6targetE0EEEvSQ_ ; -- Begin function _ZN7rocprim17ROCPRIM_400000_NS6detail17trampoline_kernelINS0_14default_configENS1_22reduce_config_selectorIiEEZNS1_11reduce_implILb1ES3_PiS7_iN6hipcub16HIPCUB_304000_NS6detail34convert_binary_result_type_wrapperINS9_3SumENS9_22TransformInputIteratorIbN2at6native12_GLOBAL__N_19NonZeroOpIdEEPKdlEEiEEEE10hipError_tPvRmT1_T2_T3_mT4_P12ihipStream_tbEUlT_E0_NS1_11comp_targetILNS1_3genE10ELNS1_11target_archE1201ELNS1_3gpuE5ELNS1_3repE0EEENS1_30default_config_static_selectorELNS0_4arch9wavefront6targetE0EEEvSQ_
	.p2align	8
	.type	_ZN7rocprim17ROCPRIM_400000_NS6detail17trampoline_kernelINS0_14default_configENS1_22reduce_config_selectorIiEEZNS1_11reduce_implILb1ES3_PiS7_iN6hipcub16HIPCUB_304000_NS6detail34convert_binary_result_type_wrapperINS9_3SumENS9_22TransformInputIteratorIbN2at6native12_GLOBAL__N_19NonZeroOpIdEEPKdlEEiEEEE10hipError_tPvRmT1_T2_T3_mT4_P12ihipStream_tbEUlT_E0_NS1_11comp_targetILNS1_3genE10ELNS1_11target_archE1201ELNS1_3gpuE5ELNS1_3repE0EEENS1_30default_config_static_selectorELNS0_4arch9wavefront6targetE0EEEvSQ_,@function
_ZN7rocprim17ROCPRIM_400000_NS6detail17trampoline_kernelINS0_14default_configENS1_22reduce_config_selectorIiEEZNS1_11reduce_implILb1ES3_PiS7_iN6hipcub16HIPCUB_304000_NS6detail34convert_binary_result_type_wrapperINS9_3SumENS9_22TransformInputIteratorIbN2at6native12_GLOBAL__N_19NonZeroOpIdEEPKdlEEiEEEE10hipError_tPvRmT1_T2_T3_mT4_P12ihipStream_tbEUlT_E0_NS1_11comp_targetILNS1_3genE10ELNS1_11target_archE1201ELNS1_3gpuE5ELNS1_3repE0EEENS1_30default_config_static_selectorELNS0_4arch9wavefront6targetE0EEEvSQ_: ; @_ZN7rocprim17ROCPRIM_400000_NS6detail17trampoline_kernelINS0_14default_configENS1_22reduce_config_selectorIiEEZNS1_11reduce_implILb1ES3_PiS7_iN6hipcub16HIPCUB_304000_NS6detail34convert_binary_result_type_wrapperINS9_3SumENS9_22TransformInputIteratorIbN2at6native12_GLOBAL__N_19NonZeroOpIdEEPKdlEEiEEEE10hipError_tPvRmT1_T2_T3_mT4_P12ihipStream_tbEUlT_E0_NS1_11comp_targetILNS1_3genE10ELNS1_11target_archE1201ELNS1_3gpuE5ELNS1_3repE0EEENS1_30default_config_static_selectorELNS0_4arch9wavefront6targetE0EEEvSQ_
; %bb.0:
	.section	.rodata,"a",@progbits
	.p2align	6, 0x0
	.amdhsa_kernel _ZN7rocprim17ROCPRIM_400000_NS6detail17trampoline_kernelINS0_14default_configENS1_22reduce_config_selectorIiEEZNS1_11reduce_implILb1ES3_PiS7_iN6hipcub16HIPCUB_304000_NS6detail34convert_binary_result_type_wrapperINS9_3SumENS9_22TransformInputIteratorIbN2at6native12_GLOBAL__N_19NonZeroOpIdEEPKdlEEiEEEE10hipError_tPvRmT1_T2_T3_mT4_P12ihipStream_tbEUlT_E0_NS1_11comp_targetILNS1_3genE10ELNS1_11target_archE1201ELNS1_3gpuE5ELNS1_3repE0EEENS1_30default_config_static_selectorELNS0_4arch9wavefront6targetE0EEEvSQ_
		.amdhsa_group_segment_fixed_size 0
		.amdhsa_private_segment_fixed_size 0
		.amdhsa_kernarg_size 56
		.amdhsa_user_sgpr_count 15
		.amdhsa_user_sgpr_dispatch_ptr 0
		.amdhsa_user_sgpr_queue_ptr 0
		.amdhsa_user_sgpr_kernarg_segment_ptr 1
		.amdhsa_user_sgpr_dispatch_id 0
		.amdhsa_user_sgpr_private_segment_size 0
		.amdhsa_wavefront_size32 1
		.amdhsa_uses_dynamic_stack 0
		.amdhsa_enable_private_segment 0
		.amdhsa_system_sgpr_workgroup_id_x 1
		.amdhsa_system_sgpr_workgroup_id_y 0
		.amdhsa_system_sgpr_workgroup_id_z 0
		.amdhsa_system_sgpr_workgroup_info 0
		.amdhsa_system_vgpr_workitem_id 0
		.amdhsa_next_free_vgpr 1
		.amdhsa_next_free_sgpr 1
		.amdhsa_reserve_vcc 0
		.amdhsa_float_round_mode_32 0
		.amdhsa_float_round_mode_16_64 0
		.amdhsa_float_denorm_mode_32 3
		.amdhsa_float_denorm_mode_16_64 3
		.amdhsa_dx10_clamp 1
		.amdhsa_ieee_mode 1
		.amdhsa_fp16_overflow 0
		.amdhsa_workgroup_processor_mode 1
		.amdhsa_memory_ordered 1
		.amdhsa_forward_progress 0
		.amdhsa_shared_vgpr_count 0
		.amdhsa_exception_fp_ieee_invalid_op 0
		.amdhsa_exception_fp_denorm_src 0
		.amdhsa_exception_fp_ieee_div_zero 0
		.amdhsa_exception_fp_ieee_overflow 0
		.amdhsa_exception_fp_ieee_underflow 0
		.amdhsa_exception_fp_ieee_inexact 0
		.amdhsa_exception_int_div_zero 0
	.end_amdhsa_kernel
	.section	.text._ZN7rocprim17ROCPRIM_400000_NS6detail17trampoline_kernelINS0_14default_configENS1_22reduce_config_selectorIiEEZNS1_11reduce_implILb1ES3_PiS7_iN6hipcub16HIPCUB_304000_NS6detail34convert_binary_result_type_wrapperINS9_3SumENS9_22TransformInputIteratorIbN2at6native12_GLOBAL__N_19NonZeroOpIdEEPKdlEEiEEEE10hipError_tPvRmT1_T2_T3_mT4_P12ihipStream_tbEUlT_E0_NS1_11comp_targetILNS1_3genE10ELNS1_11target_archE1201ELNS1_3gpuE5ELNS1_3repE0EEENS1_30default_config_static_selectorELNS0_4arch9wavefront6targetE0EEEvSQ_,"axG",@progbits,_ZN7rocprim17ROCPRIM_400000_NS6detail17trampoline_kernelINS0_14default_configENS1_22reduce_config_selectorIiEEZNS1_11reduce_implILb1ES3_PiS7_iN6hipcub16HIPCUB_304000_NS6detail34convert_binary_result_type_wrapperINS9_3SumENS9_22TransformInputIteratorIbN2at6native12_GLOBAL__N_19NonZeroOpIdEEPKdlEEiEEEE10hipError_tPvRmT1_T2_T3_mT4_P12ihipStream_tbEUlT_E0_NS1_11comp_targetILNS1_3genE10ELNS1_11target_archE1201ELNS1_3gpuE5ELNS1_3repE0EEENS1_30default_config_static_selectorELNS0_4arch9wavefront6targetE0EEEvSQ_,comdat
.Lfunc_end359:
	.size	_ZN7rocprim17ROCPRIM_400000_NS6detail17trampoline_kernelINS0_14default_configENS1_22reduce_config_selectorIiEEZNS1_11reduce_implILb1ES3_PiS7_iN6hipcub16HIPCUB_304000_NS6detail34convert_binary_result_type_wrapperINS9_3SumENS9_22TransformInputIteratorIbN2at6native12_GLOBAL__N_19NonZeroOpIdEEPKdlEEiEEEE10hipError_tPvRmT1_T2_T3_mT4_P12ihipStream_tbEUlT_E0_NS1_11comp_targetILNS1_3genE10ELNS1_11target_archE1201ELNS1_3gpuE5ELNS1_3repE0EEENS1_30default_config_static_selectorELNS0_4arch9wavefront6targetE0EEEvSQ_, .Lfunc_end359-_ZN7rocprim17ROCPRIM_400000_NS6detail17trampoline_kernelINS0_14default_configENS1_22reduce_config_selectorIiEEZNS1_11reduce_implILb1ES3_PiS7_iN6hipcub16HIPCUB_304000_NS6detail34convert_binary_result_type_wrapperINS9_3SumENS9_22TransformInputIteratorIbN2at6native12_GLOBAL__N_19NonZeroOpIdEEPKdlEEiEEEE10hipError_tPvRmT1_T2_T3_mT4_P12ihipStream_tbEUlT_E0_NS1_11comp_targetILNS1_3genE10ELNS1_11target_archE1201ELNS1_3gpuE5ELNS1_3repE0EEENS1_30default_config_static_selectorELNS0_4arch9wavefront6targetE0EEEvSQ_
                                        ; -- End function
	.section	.AMDGPU.csdata,"",@progbits
; Kernel info:
; codeLenInByte = 0
; NumSgprs: 0
; NumVgprs: 0
; ScratchSize: 0
; MemoryBound: 0
; FloatMode: 240
; IeeeMode: 1
; LDSByteSize: 0 bytes/workgroup (compile time only)
; SGPRBlocks: 0
; VGPRBlocks: 0
; NumSGPRsForWavesPerEU: 1
; NumVGPRsForWavesPerEU: 1
; Occupancy: 16
; WaveLimiterHint : 0
; COMPUTE_PGM_RSRC2:SCRATCH_EN: 0
; COMPUTE_PGM_RSRC2:USER_SGPR: 15
; COMPUTE_PGM_RSRC2:TRAP_HANDLER: 0
; COMPUTE_PGM_RSRC2:TGID_X_EN: 1
; COMPUTE_PGM_RSRC2:TGID_Y_EN: 0
; COMPUTE_PGM_RSRC2:TGID_Z_EN: 0
; COMPUTE_PGM_RSRC2:TIDIG_COMP_CNT: 0
	.section	.text._ZN7rocprim17ROCPRIM_400000_NS6detail17trampoline_kernelINS0_14default_configENS1_22reduce_config_selectorIiEEZNS1_11reduce_implILb1ES3_PiS7_iN6hipcub16HIPCUB_304000_NS6detail34convert_binary_result_type_wrapperINS9_3SumENS9_22TransformInputIteratorIbN2at6native12_GLOBAL__N_19NonZeroOpIdEEPKdlEEiEEEE10hipError_tPvRmT1_T2_T3_mT4_P12ihipStream_tbEUlT_E0_NS1_11comp_targetILNS1_3genE10ELNS1_11target_archE1200ELNS1_3gpuE4ELNS1_3repE0EEENS1_30default_config_static_selectorELNS0_4arch9wavefront6targetE0EEEvSQ_,"axG",@progbits,_ZN7rocprim17ROCPRIM_400000_NS6detail17trampoline_kernelINS0_14default_configENS1_22reduce_config_selectorIiEEZNS1_11reduce_implILb1ES3_PiS7_iN6hipcub16HIPCUB_304000_NS6detail34convert_binary_result_type_wrapperINS9_3SumENS9_22TransformInputIteratorIbN2at6native12_GLOBAL__N_19NonZeroOpIdEEPKdlEEiEEEE10hipError_tPvRmT1_T2_T3_mT4_P12ihipStream_tbEUlT_E0_NS1_11comp_targetILNS1_3genE10ELNS1_11target_archE1200ELNS1_3gpuE4ELNS1_3repE0EEENS1_30default_config_static_selectorELNS0_4arch9wavefront6targetE0EEEvSQ_,comdat
	.globl	_ZN7rocprim17ROCPRIM_400000_NS6detail17trampoline_kernelINS0_14default_configENS1_22reduce_config_selectorIiEEZNS1_11reduce_implILb1ES3_PiS7_iN6hipcub16HIPCUB_304000_NS6detail34convert_binary_result_type_wrapperINS9_3SumENS9_22TransformInputIteratorIbN2at6native12_GLOBAL__N_19NonZeroOpIdEEPKdlEEiEEEE10hipError_tPvRmT1_T2_T3_mT4_P12ihipStream_tbEUlT_E0_NS1_11comp_targetILNS1_3genE10ELNS1_11target_archE1200ELNS1_3gpuE4ELNS1_3repE0EEENS1_30default_config_static_selectorELNS0_4arch9wavefront6targetE0EEEvSQ_ ; -- Begin function _ZN7rocprim17ROCPRIM_400000_NS6detail17trampoline_kernelINS0_14default_configENS1_22reduce_config_selectorIiEEZNS1_11reduce_implILb1ES3_PiS7_iN6hipcub16HIPCUB_304000_NS6detail34convert_binary_result_type_wrapperINS9_3SumENS9_22TransformInputIteratorIbN2at6native12_GLOBAL__N_19NonZeroOpIdEEPKdlEEiEEEE10hipError_tPvRmT1_T2_T3_mT4_P12ihipStream_tbEUlT_E0_NS1_11comp_targetILNS1_3genE10ELNS1_11target_archE1200ELNS1_3gpuE4ELNS1_3repE0EEENS1_30default_config_static_selectorELNS0_4arch9wavefront6targetE0EEEvSQ_
	.p2align	8
	.type	_ZN7rocprim17ROCPRIM_400000_NS6detail17trampoline_kernelINS0_14default_configENS1_22reduce_config_selectorIiEEZNS1_11reduce_implILb1ES3_PiS7_iN6hipcub16HIPCUB_304000_NS6detail34convert_binary_result_type_wrapperINS9_3SumENS9_22TransformInputIteratorIbN2at6native12_GLOBAL__N_19NonZeroOpIdEEPKdlEEiEEEE10hipError_tPvRmT1_T2_T3_mT4_P12ihipStream_tbEUlT_E0_NS1_11comp_targetILNS1_3genE10ELNS1_11target_archE1200ELNS1_3gpuE4ELNS1_3repE0EEENS1_30default_config_static_selectorELNS0_4arch9wavefront6targetE0EEEvSQ_,@function
_ZN7rocprim17ROCPRIM_400000_NS6detail17trampoline_kernelINS0_14default_configENS1_22reduce_config_selectorIiEEZNS1_11reduce_implILb1ES3_PiS7_iN6hipcub16HIPCUB_304000_NS6detail34convert_binary_result_type_wrapperINS9_3SumENS9_22TransformInputIteratorIbN2at6native12_GLOBAL__N_19NonZeroOpIdEEPKdlEEiEEEE10hipError_tPvRmT1_T2_T3_mT4_P12ihipStream_tbEUlT_E0_NS1_11comp_targetILNS1_3genE10ELNS1_11target_archE1200ELNS1_3gpuE4ELNS1_3repE0EEENS1_30default_config_static_selectorELNS0_4arch9wavefront6targetE0EEEvSQ_: ; @_ZN7rocprim17ROCPRIM_400000_NS6detail17trampoline_kernelINS0_14default_configENS1_22reduce_config_selectorIiEEZNS1_11reduce_implILb1ES3_PiS7_iN6hipcub16HIPCUB_304000_NS6detail34convert_binary_result_type_wrapperINS9_3SumENS9_22TransformInputIteratorIbN2at6native12_GLOBAL__N_19NonZeroOpIdEEPKdlEEiEEEE10hipError_tPvRmT1_T2_T3_mT4_P12ihipStream_tbEUlT_E0_NS1_11comp_targetILNS1_3genE10ELNS1_11target_archE1200ELNS1_3gpuE4ELNS1_3repE0EEENS1_30default_config_static_selectorELNS0_4arch9wavefront6targetE0EEEvSQ_
; %bb.0:
	.section	.rodata,"a",@progbits
	.p2align	6, 0x0
	.amdhsa_kernel _ZN7rocprim17ROCPRIM_400000_NS6detail17trampoline_kernelINS0_14default_configENS1_22reduce_config_selectorIiEEZNS1_11reduce_implILb1ES3_PiS7_iN6hipcub16HIPCUB_304000_NS6detail34convert_binary_result_type_wrapperINS9_3SumENS9_22TransformInputIteratorIbN2at6native12_GLOBAL__N_19NonZeroOpIdEEPKdlEEiEEEE10hipError_tPvRmT1_T2_T3_mT4_P12ihipStream_tbEUlT_E0_NS1_11comp_targetILNS1_3genE10ELNS1_11target_archE1200ELNS1_3gpuE4ELNS1_3repE0EEENS1_30default_config_static_selectorELNS0_4arch9wavefront6targetE0EEEvSQ_
		.amdhsa_group_segment_fixed_size 0
		.amdhsa_private_segment_fixed_size 0
		.amdhsa_kernarg_size 56
		.amdhsa_user_sgpr_count 15
		.amdhsa_user_sgpr_dispatch_ptr 0
		.amdhsa_user_sgpr_queue_ptr 0
		.amdhsa_user_sgpr_kernarg_segment_ptr 1
		.amdhsa_user_sgpr_dispatch_id 0
		.amdhsa_user_sgpr_private_segment_size 0
		.amdhsa_wavefront_size32 1
		.amdhsa_uses_dynamic_stack 0
		.amdhsa_enable_private_segment 0
		.amdhsa_system_sgpr_workgroup_id_x 1
		.amdhsa_system_sgpr_workgroup_id_y 0
		.amdhsa_system_sgpr_workgroup_id_z 0
		.amdhsa_system_sgpr_workgroup_info 0
		.amdhsa_system_vgpr_workitem_id 0
		.amdhsa_next_free_vgpr 1
		.amdhsa_next_free_sgpr 1
		.amdhsa_reserve_vcc 0
		.amdhsa_float_round_mode_32 0
		.amdhsa_float_round_mode_16_64 0
		.amdhsa_float_denorm_mode_32 3
		.amdhsa_float_denorm_mode_16_64 3
		.amdhsa_dx10_clamp 1
		.amdhsa_ieee_mode 1
		.amdhsa_fp16_overflow 0
		.amdhsa_workgroup_processor_mode 1
		.amdhsa_memory_ordered 1
		.amdhsa_forward_progress 0
		.amdhsa_shared_vgpr_count 0
		.amdhsa_exception_fp_ieee_invalid_op 0
		.amdhsa_exception_fp_denorm_src 0
		.amdhsa_exception_fp_ieee_div_zero 0
		.amdhsa_exception_fp_ieee_overflow 0
		.amdhsa_exception_fp_ieee_underflow 0
		.amdhsa_exception_fp_ieee_inexact 0
		.amdhsa_exception_int_div_zero 0
	.end_amdhsa_kernel
	.section	.text._ZN7rocprim17ROCPRIM_400000_NS6detail17trampoline_kernelINS0_14default_configENS1_22reduce_config_selectorIiEEZNS1_11reduce_implILb1ES3_PiS7_iN6hipcub16HIPCUB_304000_NS6detail34convert_binary_result_type_wrapperINS9_3SumENS9_22TransformInputIteratorIbN2at6native12_GLOBAL__N_19NonZeroOpIdEEPKdlEEiEEEE10hipError_tPvRmT1_T2_T3_mT4_P12ihipStream_tbEUlT_E0_NS1_11comp_targetILNS1_3genE10ELNS1_11target_archE1200ELNS1_3gpuE4ELNS1_3repE0EEENS1_30default_config_static_selectorELNS0_4arch9wavefront6targetE0EEEvSQ_,"axG",@progbits,_ZN7rocprim17ROCPRIM_400000_NS6detail17trampoline_kernelINS0_14default_configENS1_22reduce_config_selectorIiEEZNS1_11reduce_implILb1ES3_PiS7_iN6hipcub16HIPCUB_304000_NS6detail34convert_binary_result_type_wrapperINS9_3SumENS9_22TransformInputIteratorIbN2at6native12_GLOBAL__N_19NonZeroOpIdEEPKdlEEiEEEE10hipError_tPvRmT1_T2_T3_mT4_P12ihipStream_tbEUlT_E0_NS1_11comp_targetILNS1_3genE10ELNS1_11target_archE1200ELNS1_3gpuE4ELNS1_3repE0EEENS1_30default_config_static_selectorELNS0_4arch9wavefront6targetE0EEEvSQ_,comdat
.Lfunc_end360:
	.size	_ZN7rocprim17ROCPRIM_400000_NS6detail17trampoline_kernelINS0_14default_configENS1_22reduce_config_selectorIiEEZNS1_11reduce_implILb1ES3_PiS7_iN6hipcub16HIPCUB_304000_NS6detail34convert_binary_result_type_wrapperINS9_3SumENS9_22TransformInputIteratorIbN2at6native12_GLOBAL__N_19NonZeroOpIdEEPKdlEEiEEEE10hipError_tPvRmT1_T2_T3_mT4_P12ihipStream_tbEUlT_E0_NS1_11comp_targetILNS1_3genE10ELNS1_11target_archE1200ELNS1_3gpuE4ELNS1_3repE0EEENS1_30default_config_static_selectorELNS0_4arch9wavefront6targetE0EEEvSQ_, .Lfunc_end360-_ZN7rocprim17ROCPRIM_400000_NS6detail17trampoline_kernelINS0_14default_configENS1_22reduce_config_selectorIiEEZNS1_11reduce_implILb1ES3_PiS7_iN6hipcub16HIPCUB_304000_NS6detail34convert_binary_result_type_wrapperINS9_3SumENS9_22TransformInputIteratorIbN2at6native12_GLOBAL__N_19NonZeroOpIdEEPKdlEEiEEEE10hipError_tPvRmT1_T2_T3_mT4_P12ihipStream_tbEUlT_E0_NS1_11comp_targetILNS1_3genE10ELNS1_11target_archE1200ELNS1_3gpuE4ELNS1_3repE0EEENS1_30default_config_static_selectorELNS0_4arch9wavefront6targetE0EEEvSQ_
                                        ; -- End function
	.section	.AMDGPU.csdata,"",@progbits
; Kernel info:
; codeLenInByte = 0
; NumSgprs: 0
; NumVgprs: 0
; ScratchSize: 0
; MemoryBound: 0
; FloatMode: 240
; IeeeMode: 1
; LDSByteSize: 0 bytes/workgroup (compile time only)
; SGPRBlocks: 0
; VGPRBlocks: 0
; NumSGPRsForWavesPerEU: 1
; NumVGPRsForWavesPerEU: 1
; Occupancy: 16
; WaveLimiterHint : 0
; COMPUTE_PGM_RSRC2:SCRATCH_EN: 0
; COMPUTE_PGM_RSRC2:USER_SGPR: 15
; COMPUTE_PGM_RSRC2:TRAP_HANDLER: 0
; COMPUTE_PGM_RSRC2:TGID_X_EN: 1
; COMPUTE_PGM_RSRC2:TGID_Y_EN: 0
; COMPUTE_PGM_RSRC2:TGID_Z_EN: 0
; COMPUTE_PGM_RSRC2:TIDIG_COMP_CNT: 0
	.section	.text._ZN7rocprim17ROCPRIM_400000_NS6detail17trampoline_kernelINS0_14default_configENS1_22reduce_config_selectorIiEEZNS1_11reduce_implILb1ES3_PiS7_iN6hipcub16HIPCUB_304000_NS6detail34convert_binary_result_type_wrapperINS9_3SumENS9_22TransformInputIteratorIbN2at6native12_GLOBAL__N_19NonZeroOpIdEEPKdlEEiEEEE10hipError_tPvRmT1_T2_T3_mT4_P12ihipStream_tbEUlT_E0_NS1_11comp_targetILNS1_3genE9ELNS1_11target_archE1100ELNS1_3gpuE3ELNS1_3repE0EEENS1_30default_config_static_selectorELNS0_4arch9wavefront6targetE0EEEvSQ_,"axG",@progbits,_ZN7rocprim17ROCPRIM_400000_NS6detail17trampoline_kernelINS0_14default_configENS1_22reduce_config_selectorIiEEZNS1_11reduce_implILb1ES3_PiS7_iN6hipcub16HIPCUB_304000_NS6detail34convert_binary_result_type_wrapperINS9_3SumENS9_22TransformInputIteratorIbN2at6native12_GLOBAL__N_19NonZeroOpIdEEPKdlEEiEEEE10hipError_tPvRmT1_T2_T3_mT4_P12ihipStream_tbEUlT_E0_NS1_11comp_targetILNS1_3genE9ELNS1_11target_archE1100ELNS1_3gpuE3ELNS1_3repE0EEENS1_30default_config_static_selectorELNS0_4arch9wavefront6targetE0EEEvSQ_,comdat
	.globl	_ZN7rocprim17ROCPRIM_400000_NS6detail17trampoline_kernelINS0_14default_configENS1_22reduce_config_selectorIiEEZNS1_11reduce_implILb1ES3_PiS7_iN6hipcub16HIPCUB_304000_NS6detail34convert_binary_result_type_wrapperINS9_3SumENS9_22TransformInputIteratorIbN2at6native12_GLOBAL__N_19NonZeroOpIdEEPKdlEEiEEEE10hipError_tPvRmT1_T2_T3_mT4_P12ihipStream_tbEUlT_E0_NS1_11comp_targetILNS1_3genE9ELNS1_11target_archE1100ELNS1_3gpuE3ELNS1_3repE0EEENS1_30default_config_static_selectorELNS0_4arch9wavefront6targetE0EEEvSQ_ ; -- Begin function _ZN7rocprim17ROCPRIM_400000_NS6detail17trampoline_kernelINS0_14default_configENS1_22reduce_config_selectorIiEEZNS1_11reduce_implILb1ES3_PiS7_iN6hipcub16HIPCUB_304000_NS6detail34convert_binary_result_type_wrapperINS9_3SumENS9_22TransformInputIteratorIbN2at6native12_GLOBAL__N_19NonZeroOpIdEEPKdlEEiEEEE10hipError_tPvRmT1_T2_T3_mT4_P12ihipStream_tbEUlT_E0_NS1_11comp_targetILNS1_3genE9ELNS1_11target_archE1100ELNS1_3gpuE3ELNS1_3repE0EEENS1_30default_config_static_selectorELNS0_4arch9wavefront6targetE0EEEvSQ_
	.p2align	8
	.type	_ZN7rocprim17ROCPRIM_400000_NS6detail17trampoline_kernelINS0_14default_configENS1_22reduce_config_selectorIiEEZNS1_11reduce_implILb1ES3_PiS7_iN6hipcub16HIPCUB_304000_NS6detail34convert_binary_result_type_wrapperINS9_3SumENS9_22TransformInputIteratorIbN2at6native12_GLOBAL__N_19NonZeroOpIdEEPKdlEEiEEEE10hipError_tPvRmT1_T2_T3_mT4_P12ihipStream_tbEUlT_E0_NS1_11comp_targetILNS1_3genE9ELNS1_11target_archE1100ELNS1_3gpuE3ELNS1_3repE0EEENS1_30default_config_static_selectorELNS0_4arch9wavefront6targetE0EEEvSQ_,@function
_ZN7rocprim17ROCPRIM_400000_NS6detail17trampoline_kernelINS0_14default_configENS1_22reduce_config_selectorIiEEZNS1_11reduce_implILb1ES3_PiS7_iN6hipcub16HIPCUB_304000_NS6detail34convert_binary_result_type_wrapperINS9_3SumENS9_22TransformInputIteratorIbN2at6native12_GLOBAL__N_19NonZeroOpIdEEPKdlEEiEEEE10hipError_tPvRmT1_T2_T3_mT4_P12ihipStream_tbEUlT_E0_NS1_11comp_targetILNS1_3genE9ELNS1_11target_archE1100ELNS1_3gpuE3ELNS1_3repE0EEENS1_30default_config_static_selectorELNS0_4arch9wavefront6targetE0EEEvSQ_: ; @_ZN7rocprim17ROCPRIM_400000_NS6detail17trampoline_kernelINS0_14default_configENS1_22reduce_config_selectorIiEEZNS1_11reduce_implILb1ES3_PiS7_iN6hipcub16HIPCUB_304000_NS6detail34convert_binary_result_type_wrapperINS9_3SumENS9_22TransformInputIteratorIbN2at6native12_GLOBAL__N_19NonZeroOpIdEEPKdlEEiEEEE10hipError_tPvRmT1_T2_T3_mT4_P12ihipStream_tbEUlT_E0_NS1_11comp_targetILNS1_3genE9ELNS1_11target_archE1100ELNS1_3gpuE3ELNS1_3repE0EEENS1_30default_config_static_selectorELNS0_4arch9wavefront6targetE0EEEvSQ_
; %bb.0:
	s_mov_b32 s16, s15
	s_clause 0x1
	s_load_b256 s[4:11], s[0:1], 0x0
	s_load_b128 s[12:15], s[0:1], 0x20
	s_mov_b32 s3, 0
	v_lshlrev_b32_e32 v10, 2, v0
	v_mbcnt_lo_u32_b32 v9, -1, 0
	s_mov_b32 s17, s3
	s_waitcnt lgkmcnt(0)
	s_lshl_b64 s[6:7], s[6:7], 2
	s_delay_alu instid0(SALU_CYCLE_1) | instskip(SKIP_4) | instid1(SALU_CYCLE_1)
	s_add_u32 s18, s4, s6
	s_addc_u32 s19, s5, s7
	s_lshl_b32 s2, s16, 11
	s_lshr_b64 s[6:7], s[8:9], 11
	s_lshl_b64 s[4:5], s[2:3], 2
	s_add_u32 s18, s18, s4
	s_addc_u32 s19, s19, s5
	s_cmp_lg_u64 s[6:7], s[16:17]
	s_cbranch_scc0 .LBB361_6
; %bb.1:
	v_add_co_u32 v1, s3, s18, v10
	s_clause 0x1
	global_load_b32 v3, v10, s[18:19]
	global_load_b32 v4, v10, s[18:19] offset:1024
	v_add_co_ci_u32_e64 v2, null, s19, 0, s3
	v_add_co_u32 v1, vcc_lo, 0x1000, v1
	s_mov_b32 s3, exec_lo
	s_delay_alu instid0(VALU_DEP_2)
	v_add_co_ci_u32_e32 v2, vcc_lo, 0, v2, vcc_lo
	s_clause 0x5
	global_load_b32 v5, v10, s[18:19] offset:2048
	global_load_b32 v6, v10, s[18:19] offset:3072
	global_load_b32 v7, v[1:2], off
	global_load_b32 v8, v[1:2], off offset:1024
	global_load_b32 v11, v[1:2], off offset:2048
	global_load_b32 v1, v[1:2], off offset:3072
	s_waitcnt vmcnt(6)
	v_dual_mov_b32 v3, 0 :: v_dual_add_nc_u32 v2, v4, v3
	s_waitcnt vmcnt(4)
	s_delay_alu instid0(VALU_DEP_1) | instskip(SKIP_1) | instid1(VALU_DEP_1)
	v_add3_u32 v2, v2, v5, v6
	s_waitcnt vmcnt(2)
	v_add3_u32 v2, v2, v7, v8
	s_waitcnt vmcnt(0)
	s_delay_alu instid0(VALU_DEP_1) | instskip(NEXT) | instid1(VALU_DEP_1)
	v_add3_u32 v1, v2, v11, v1
	v_mov_b32_dpp v2, v1 quad_perm:[1,0,3,2] row_mask:0xf bank_mask:0xf
	s_delay_alu instid0(VALU_DEP_1) | instskip(NEXT) | instid1(VALU_DEP_1)
	v_add_nc_u32_e32 v1, v2, v1
	v_mov_b32_dpp v2, v1 quad_perm:[2,3,0,1] row_mask:0xf bank_mask:0xf
	s_delay_alu instid0(VALU_DEP_1) | instskip(NEXT) | instid1(VALU_DEP_1)
	v_add_nc_u32_e32 v1, v1, v2
	v_mov_b32_dpp v2, v1 row_ror:4 row_mask:0xf bank_mask:0xf
	s_delay_alu instid0(VALU_DEP_1) | instskip(NEXT) | instid1(VALU_DEP_1)
	v_add_nc_u32_e32 v1, v1, v2
	v_mov_b32_dpp v2, v1 row_ror:8 row_mask:0xf bank_mask:0xf
	s_delay_alu instid0(VALU_DEP_1)
	v_add_nc_u32_e32 v1, v1, v2
	ds_swizzle_b32 v2, v1 offset:swizzle(BROADCAST,32,15)
	s_waitcnt lgkmcnt(0)
	v_add_nc_u32_e32 v1, v1, v2
	ds_bpermute_b32 v1, v3, v1 offset:124
	v_cmpx_eq_u32_e32 0, v9
	s_cbranch_execz .LBB361_3
; %bb.2:
	v_lshrrev_b32_e32 v2, 3, v0
	s_delay_alu instid0(VALU_DEP_1)
	v_and_b32_e32 v2, 28, v2
	s_waitcnt lgkmcnt(0)
	ds_store_b32 v2, v1
.LBB361_3:
	s_or_b32 exec_lo, exec_lo, s3
	s_delay_alu instid0(SALU_CYCLE_1)
	s_mov_b32 s3, exec_lo
	s_waitcnt lgkmcnt(0)
	s_barrier
	buffer_gl0_inv
	v_cmpx_gt_u32_e32 32, v0
	s_cbranch_execz .LBB361_5
; %bb.4:
	v_and_b32_e32 v1, 7, v9
	s_delay_alu instid0(VALU_DEP_1) | instskip(SKIP_4) | instid1(VALU_DEP_2)
	v_lshlrev_b32_e32 v2, 2, v1
	v_cmp_ne_u32_e32 vcc_lo, 7, v1
	ds_load_b32 v2, v2
	v_add_co_ci_u32_e32 v3, vcc_lo, 0, v9, vcc_lo
	v_cmp_gt_u32_e32 vcc_lo, 6, v1
	v_lshlrev_b32_e32 v3, 2, v3
	v_cndmask_b32_e64 v4, 0, 1, vcc_lo
	v_cmp_gt_u32_e32 vcc_lo, 4, v1
	s_delay_alu instid0(VALU_DEP_2) | instskip(SKIP_1) | instid1(VALU_DEP_2)
	v_lshlrev_b32_e32 v4, 1, v4
	v_cndmask_b32_e64 v1, 0, 1, vcc_lo
	v_add_lshl_u32 v4, v4, v9, 2
	s_delay_alu instid0(VALU_DEP_2)
	v_lshlrev_b32_e32 v1, 2, v1
	s_waitcnt lgkmcnt(0)
	ds_bpermute_b32 v3, v3, v2
	v_add_lshl_u32 v1, v1, v9, 2
	s_waitcnt lgkmcnt(0)
	v_add_nc_u32_e32 v2, v3, v2
	ds_bpermute_b32 v3, v4, v2
	s_waitcnt lgkmcnt(0)
	v_add_nc_u32_e32 v2, v3, v2
	ds_bpermute_b32 v1, v1, v2
	s_waitcnt lgkmcnt(0)
	v_add_nc_u32_e32 v1, v1, v2
.LBB361_5:
	s_or_b32 exec_lo, exec_lo, s3
	s_branch .LBB361_28
.LBB361_6:
                                        ; implicit-def: $vgpr1
	s_cbranch_execz .LBB361_28
; %bb.7:
	s_sub_i32 s20, s8, s2
	s_mov_b32 s2, exec_lo
                                        ; implicit-def: $vgpr1_vgpr2_vgpr3_vgpr4_vgpr5_vgpr6_vgpr7_vgpr8
	v_cmpx_gt_u32_e64 s20, v0
	s_cbranch_execz .LBB361_9
; %bb.8:
	global_load_b32 v1, v10, s[18:19]
.LBB361_9:
	s_or_b32 exec_lo, exec_lo, s2
	v_or_b32_e32 v11, 0x100, v0
	s_delay_alu instid0(VALU_DEP_1)
	v_cmp_gt_u32_e32 vcc_lo, s20, v11
	s_and_saveexec_b32 s2, vcc_lo
	s_cbranch_execz .LBB361_11
; %bb.10:
	global_load_b32 v2, v10, s[18:19] offset:1024
.LBB361_11:
	s_or_b32 exec_lo, exec_lo, s2
	v_or_b32_e32 v11, 0x200, v0
	s_delay_alu instid0(VALU_DEP_1) | instskip(NEXT) | instid1(VALU_DEP_1)
	v_cmp_gt_u32_e64 s2, s20, v11
	s_and_saveexec_b32 s3, s2
	s_cbranch_execz .LBB361_13
; %bb.12:
	global_load_b32 v3, v10, s[18:19] offset:2048
.LBB361_13:
	s_or_b32 exec_lo, exec_lo, s3
	v_or_b32_e32 v11, 0x300, v0
	s_delay_alu instid0(VALU_DEP_1) | instskip(NEXT) | instid1(VALU_DEP_1)
	v_cmp_gt_u32_e64 s3, s20, v11
	s_and_saveexec_b32 s4, s3
	;; [unrolled: 9-line block ×3, first 2 shown]
	s_cbranch_execz .LBB361_17
; %bb.16:
	v_lshlrev_b32_e32 v5, 2, v10
	global_load_b32 v5, v5, s[18:19]
.LBB361_17:
	s_or_b32 exec_lo, exec_lo, s5
	v_or_b32_e32 v10, 0x500, v0
	s_delay_alu instid0(VALU_DEP_1) | instskip(NEXT) | instid1(VALU_DEP_1)
	v_cmp_gt_u32_e64 s5, s20, v10
	s_and_saveexec_b32 s6, s5
	s_cbranch_execz .LBB361_19
; %bb.18:
	v_lshlrev_b32_e32 v6, 2, v10
	global_load_b32 v6, v6, s[18:19]
.LBB361_19:
	s_or_b32 exec_lo, exec_lo, s6
	v_or_b32_e32 v10, 0x600, v0
	s_delay_alu instid0(VALU_DEP_1) | instskip(NEXT) | instid1(VALU_DEP_1)
	v_cmp_gt_u32_e64 s6, s20, v10
	s_and_saveexec_b32 s7, s6
	;; [unrolled: 10-line block ×3, first 2 shown]
	s_cbranch_execz .LBB361_23
; %bb.22:
	v_lshlrev_b32_e32 v8, 2, v10
	global_load_b32 v8, v8, s[18:19]
.LBB361_23:
	s_or_b32 exec_lo, exec_lo, s21
	s_waitcnt vmcnt(0)
	v_cndmask_b32_e32 v2, 0, v2, vcc_lo
	v_cndmask_b32_e64 v3, 0, v3, s2
	v_cndmask_b32_e64 v4, 0, v4, s3
	v_cmp_ne_u32_e32 vcc_lo, 31, v9
	s_min_u32 s2, s20, 0x100
	v_add_nc_u32_e32 v1, v2, v1
	v_cndmask_b32_e64 v2, 0, v5, s4
	v_cndmask_b32_e64 v5, 0, v6, s5
	;; [unrolled: 1-line block ×3, first 2 shown]
	s_mov_b32 s3, exec_lo
	v_add3_u32 v1, v1, v3, v4
	v_cndmask_b32_e64 v3, 0, v8, s7
	v_add_co_ci_u32_e32 v4, vcc_lo, 0, v9, vcc_lo
	v_cmp_gt_u32_e32 vcc_lo, 30, v9
	s_delay_alu instid0(VALU_DEP_4) | instskip(NEXT) | instid1(VALU_DEP_3)
	v_add3_u32 v1, v1, v2, v5
	v_lshlrev_b32_e32 v2, 2, v4
	v_add_nc_u32_e32 v4, 1, v9
	v_cndmask_b32_e64 v5, 0, 1, vcc_lo
	s_delay_alu instid0(VALU_DEP_4) | instskip(SKIP_1) | instid1(VALU_DEP_3)
	v_add3_u32 v1, v1, v6, v3
	v_and_b32_e32 v3, 0xe0, v0
	v_lshlrev_b32_e32 v5, 1, v5
	ds_bpermute_b32 v2, v2, v1
	v_sub_nc_u32_e64 v3, s2, v3 clamp
	s_delay_alu instid0(VALU_DEP_1) | instskip(SKIP_4) | instid1(VALU_DEP_2)
	v_cmp_lt_u32_e32 vcc_lo, v4, v3
	v_add_lshl_u32 v4, v5, v9, 2
	s_waitcnt lgkmcnt(0)
	v_dual_cndmask_b32 v2, 0, v2 :: v_dual_add_nc_u32 v5, 2, v9
	v_cmp_gt_u32_e32 vcc_lo, 28, v9
	v_add_nc_u32_e32 v1, v1, v2
	ds_bpermute_b32 v2, v4, v1
	v_cndmask_b32_e64 v4, 0, 1, vcc_lo
	v_cmp_lt_u32_e32 vcc_lo, v5, v3
	v_add_nc_u32_e32 v5, 4, v9
	s_delay_alu instid0(VALU_DEP_3) | instskip(NEXT) | instid1(VALU_DEP_1)
	v_lshlrev_b32_e32 v4, 2, v4
	v_add_lshl_u32 v4, v4, v9, 2
	s_waitcnt lgkmcnt(0)
	v_cndmask_b32_e32 v2, 0, v2, vcc_lo
	v_cmp_gt_u32_e32 vcc_lo, 24, v9
	s_delay_alu instid0(VALU_DEP_2) | instskip(SKIP_4) | instid1(VALU_DEP_3)
	v_add_nc_u32_e32 v1, v1, v2
	ds_bpermute_b32 v2, v4, v1
	v_cndmask_b32_e64 v4, 0, 1, vcc_lo
	v_cmp_lt_u32_e32 vcc_lo, v5, v3
	v_add_nc_u32_e32 v5, 8, v9
	v_lshlrev_b32_e32 v4, 3, v4
	s_delay_alu instid0(VALU_DEP_1) | instskip(SKIP_3) | instid1(VALU_DEP_2)
	v_add_lshl_u32 v4, v4, v9, 2
	s_waitcnt lgkmcnt(0)
	v_cndmask_b32_e32 v2, 0, v2, vcc_lo
	v_cmp_gt_u32_e32 vcc_lo, 16, v9
	v_add_nc_u32_e32 v1, v1, v2
	ds_bpermute_b32 v2, v4, v1
	v_cndmask_b32_e64 v4, 0, 1, vcc_lo
	v_cmp_lt_u32_e32 vcc_lo, v5, v3
	s_delay_alu instid0(VALU_DEP_2) | instskip(NEXT) | instid1(VALU_DEP_1)
	v_lshlrev_b32_e32 v4, 4, v4
	v_add_lshl_u32 v4, v4, v9, 2
	s_waitcnt lgkmcnt(0)
	v_cndmask_b32_e32 v2, 0, v2, vcc_lo
	s_delay_alu instid0(VALU_DEP_1) | instskip(SKIP_2) | instid1(VALU_DEP_1)
	v_add_nc_u32_e32 v1, v1, v2
	ds_bpermute_b32 v2, v4, v1
	v_add_nc_u32_e32 v4, 16, v9
	v_cmp_lt_u32_e32 vcc_lo, v4, v3
	s_waitcnt lgkmcnt(0)
	v_cndmask_b32_e32 v2, 0, v2, vcc_lo
	s_delay_alu instid0(VALU_DEP_1)
	v_add_nc_u32_e32 v1, v1, v2
	v_cmpx_eq_u32_e32 0, v9
	s_cbranch_execz .LBB361_25
; %bb.24:
	v_lshrrev_b32_e32 v2, 3, v0
	s_delay_alu instid0(VALU_DEP_1)
	v_and_b32_e32 v2, 28, v2
	ds_store_b32 v2, v1 offset:32
.LBB361_25:
	s_or_b32 exec_lo, exec_lo, s3
	s_delay_alu instid0(SALU_CYCLE_1)
	s_mov_b32 s3, exec_lo
	s_waitcnt lgkmcnt(0)
	s_barrier
	buffer_gl0_inv
	v_cmpx_gt_u32_e32 8, v0
	s_cbranch_execz .LBB361_27
; %bb.26:
	v_lshlrev_b32_e32 v1, 2, v9
	v_and_b32_e32 v2, 7, v9
	s_add_i32 s2, s2, 31
	s_delay_alu instid0(SALU_CYCLE_1)
	s_lshr_b32 s2, s2, 5
	ds_load_b32 v1, v1 offset:32
	v_cmp_ne_u32_e32 vcc_lo, 7, v2
	v_add_nc_u32_e32 v5, 1, v2
	v_add_co_ci_u32_e32 v3, vcc_lo, 0, v9, vcc_lo
	v_cmp_gt_u32_e32 vcc_lo, 6, v2
	s_delay_alu instid0(VALU_DEP_2) | instskip(SKIP_2) | instid1(VALU_DEP_2)
	v_lshlrev_b32_e32 v3, 2, v3
	v_cndmask_b32_e64 v4, 0, 1, vcc_lo
	v_cmp_gt_u32_e32 vcc_lo, s2, v5
	v_lshlrev_b32_e32 v4, 1, v4
	s_waitcnt lgkmcnt(0)
	ds_bpermute_b32 v3, v3, v1
	v_add_lshl_u32 v4, v4, v9, 2
	s_waitcnt lgkmcnt(0)
	v_cndmask_b32_e32 v3, 0, v3, vcc_lo
	v_cmp_gt_u32_e32 vcc_lo, 4, v2
	s_delay_alu instid0(VALU_DEP_2) | instskip(SKIP_4) | instid1(VALU_DEP_2)
	v_add_nc_u32_e32 v1, v3, v1
	v_cndmask_b32_e64 v5, 0, 1, vcc_lo
	ds_bpermute_b32 v3, v4, v1
	v_add_nc_u32_e32 v4, 2, v2
	v_add_nc_u32_e32 v2, 4, v2
	v_cmp_gt_u32_e32 vcc_lo, s2, v4
	s_waitcnt lgkmcnt(0)
	v_dual_cndmask_b32 v3, 0, v3 :: v_dual_lshlrev_b32 v4, 2, v5
	s_delay_alu instid0(VALU_DEP_3) | instskip(NEXT) | instid1(VALU_DEP_2)
	v_cmp_gt_u32_e32 vcc_lo, s2, v2
	v_add_nc_u32_e32 v1, v1, v3
	s_delay_alu instid0(VALU_DEP_3) | instskip(SKIP_3) | instid1(VALU_DEP_1)
	v_add_lshl_u32 v3, v4, v9, 2
	ds_bpermute_b32 v3, v3, v1
	s_waitcnt lgkmcnt(0)
	v_cndmask_b32_e32 v2, 0, v3, vcc_lo
	v_add_nc_u32_e32 v1, v1, v2
.LBB361_27:
	s_or_b32 exec_lo, exec_lo, s3
.LBB361_28:
	s_load_b32 s0, s[0:1], 0x30
	s_mov_b32 s1, exec_lo
	v_cmpx_eq_u32_e32 0, v0
	s_cbranch_execz .LBB361_30
; %bb.29:
	s_mul_i32 s1, s14, s13
	s_mul_hi_u32 s2, s14, s12
	s_mul_i32 s3, s15, s12
	s_add_i32 s1, s2, s1
	s_mul_i32 s2, s14, s12
	s_add_i32 s3, s1, s3
	s_delay_alu instid0(SALU_CYCLE_1) | instskip(NEXT) | instid1(SALU_CYCLE_1)
	s_lshl_b64 s[2:3], s[2:3], 2
	s_add_u32 s2, s10, s2
	s_addc_u32 s3, s11, s3
	s_cmp_eq_u64 s[8:9], 0
	s_cselect_b32 s1, -1, 0
	s_waitcnt lgkmcnt(0)
	v_cndmask_b32_e64 v0, v1, s0, s1
	s_lshl_b64 s[0:1], s[16:17], 2
	v_mov_b32_e32 v1, 0
	s_add_u32 s0, s2, s0
	s_addc_u32 s1, s3, s1
	global_store_b32 v1, v0, s[0:1]
.LBB361_30:
	s_nop 0
	s_sendmsg sendmsg(MSG_DEALLOC_VGPRS)
	s_endpgm
	.section	.rodata,"a",@progbits
	.p2align	6, 0x0
	.amdhsa_kernel _ZN7rocprim17ROCPRIM_400000_NS6detail17trampoline_kernelINS0_14default_configENS1_22reduce_config_selectorIiEEZNS1_11reduce_implILb1ES3_PiS7_iN6hipcub16HIPCUB_304000_NS6detail34convert_binary_result_type_wrapperINS9_3SumENS9_22TransformInputIteratorIbN2at6native12_GLOBAL__N_19NonZeroOpIdEEPKdlEEiEEEE10hipError_tPvRmT1_T2_T3_mT4_P12ihipStream_tbEUlT_E0_NS1_11comp_targetILNS1_3genE9ELNS1_11target_archE1100ELNS1_3gpuE3ELNS1_3repE0EEENS1_30default_config_static_selectorELNS0_4arch9wavefront6targetE0EEEvSQ_
		.amdhsa_group_segment_fixed_size 64
		.amdhsa_private_segment_fixed_size 0
		.amdhsa_kernarg_size 56
		.amdhsa_user_sgpr_count 15
		.amdhsa_user_sgpr_dispatch_ptr 0
		.amdhsa_user_sgpr_queue_ptr 0
		.amdhsa_user_sgpr_kernarg_segment_ptr 1
		.amdhsa_user_sgpr_dispatch_id 0
		.amdhsa_user_sgpr_private_segment_size 0
		.amdhsa_wavefront_size32 1
		.amdhsa_uses_dynamic_stack 0
		.amdhsa_enable_private_segment 0
		.amdhsa_system_sgpr_workgroup_id_x 1
		.amdhsa_system_sgpr_workgroup_id_y 0
		.amdhsa_system_sgpr_workgroup_id_z 0
		.amdhsa_system_sgpr_workgroup_info 0
		.amdhsa_system_vgpr_workitem_id 0
		.amdhsa_next_free_vgpr 12
		.amdhsa_next_free_sgpr 22
		.amdhsa_reserve_vcc 1
		.amdhsa_float_round_mode_32 0
		.amdhsa_float_round_mode_16_64 0
		.amdhsa_float_denorm_mode_32 3
		.amdhsa_float_denorm_mode_16_64 3
		.amdhsa_dx10_clamp 1
		.amdhsa_ieee_mode 1
		.amdhsa_fp16_overflow 0
		.amdhsa_workgroup_processor_mode 1
		.amdhsa_memory_ordered 1
		.amdhsa_forward_progress 0
		.amdhsa_shared_vgpr_count 0
		.amdhsa_exception_fp_ieee_invalid_op 0
		.amdhsa_exception_fp_denorm_src 0
		.amdhsa_exception_fp_ieee_div_zero 0
		.amdhsa_exception_fp_ieee_overflow 0
		.amdhsa_exception_fp_ieee_underflow 0
		.amdhsa_exception_fp_ieee_inexact 0
		.amdhsa_exception_int_div_zero 0
	.end_amdhsa_kernel
	.section	.text._ZN7rocprim17ROCPRIM_400000_NS6detail17trampoline_kernelINS0_14default_configENS1_22reduce_config_selectorIiEEZNS1_11reduce_implILb1ES3_PiS7_iN6hipcub16HIPCUB_304000_NS6detail34convert_binary_result_type_wrapperINS9_3SumENS9_22TransformInputIteratorIbN2at6native12_GLOBAL__N_19NonZeroOpIdEEPKdlEEiEEEE10hipError_tPvRmT1_T2_T3_mT4_P12ihipStream_tbEUlT_E0_NS1_11comp_targetILNS1_3genE9ELNS1_11target_archE1100ELNS1_3gpuE3ELNS1_3repE0EEENS1_30default_config_static_selectorELNS0_4arch9wavefront6targetE0EEEvSQ_,"axG",@progbits,_ZN7rocprim17ROCPRIM_400000_NS6detail17trampoline_kernelINS0_14default_configENS1_22reduce_config_selectorIiEEZNS1_11reduce_implILb1ES3_PiS7_iN6hipcub16HIPCUB_304000_NS6detail34convert_binary_result_type_wrapperINS9_3SumENS9_22TransformInputIteratorIbN2at6native12_GLOBAL__N_19NonZeroOpIdEEPKdlEEiEEEE10hipError_tPvRmT1_T2_T3_mT4_P12ihipStream_tbEUlT_E0_NS1_11comp_targetILNS1_3genE9ELNS1_11target_archE1100ELNS1_3gpuE3ELNS1_3repE0EEENS1_30default_config_static_selectorELNS0_4arch9wavefront6targetE0EEEvSQ_,comdat
.Lfunc_end361:
	.size	_ZN7rocprim17ROCPRIM_400000_NS6detail17trampoline_kernelINS0_14default_configENS1_22reduce_config_selectorIiEEZNS1_11reduce_implILb1ES3_PiS7_iN6hipcub16HIPCUB_304000_NS6detail34convert_binary_result_type_wrapperINS9_3SumENS9_22TransformInputIteratorIbN2at6native12_GLOBAL__N_19NonZeroOpIdEEPKdlEEiEEEE10hipError_tPvRmT1_T2_T3_mT4_P12ihipStream_tbEUlT_E0_NS1_11comp_targetILNS1_3genE9ELNS1_11target_archE1100ELNS1_3gpuE3ELNS1_3repE0EEENS1_30default_config_static_selectorELNS0_4arch9wavefront6targetE0EEEvSQ_, .Lfunc_end361-_ZN7rocprim17ROCPRIM_400000_NS6detail17trampoline_kernelINS0_14default_configENS1_22reduce_config_selectorIiEEZNS1_11reduce_implILb1ES3_PiS7_iN6hipcub16HIPCUB_304000_NS6detail34convert_binary_result_type_wrapperINS9_3SumENS9_22TransformInputIteratorIbN2at6native12_GLOBAL__N_19NonZeroOpIdEEPKdlEEiEEEE10hipError_tPvRmT1_T2_T3_mT4_P12ihipStream_tbEUlT_E0_NS1_11comp_targetILNS1_3genE9ELNS1_11target_archE1100ELNS1_3gpuE3ELNS1_3repE0EEENS1_30default_config_static_selectorELNS0_4arch9wavefront6targetE0EEEvSQ_
                                        ; -- End function
	.section	.AMDGPU.csdata,"",@progbits
; Kernel info:
; codeLenInByte = 1664
; NumSgprs: 24
; NumVgprs: 12
; ScratchSize: 0
; MemoryBound: 0
; FloatMode: 240
; IeeeMode: 1
; LDSByteSize: 64 bytes/workgroup (compile time only)
; SGPRBlocks: 2
; VGPRBlocks: 1
; NumSGPRsForWavesPerEU: 24
; NumVGPRsForWavesPerEU: 12
; Occupancy: 16
; WaveLimiterHint : 1
; COMPUTE_PGM_RSRC2:SCRATCH_EN: 0
; COMPUTE_PGM_RSRC2:USER_SGPR: 15
; COMPUTE_PGM_RSRC2:TRAP_HANDLER: 0
; COMPUTE_PGM_RSRC2:TGID_X_EN: 1
; COMPUTE_PGM_RSRC2:TGID_Y_EN: 0
; COMPUTE_PGM_RSRC2:TGID_Z_EN: 0
; COMPUTE_PGM_RSRC2:TIDIG_COMP_CNT: 0
	.section	.text._ZN7rocprim17ROCPRIM_400000_NS6detail17trampoline_kernelINS0_14default_configENS1_22reduce_config_selectorIiEEZNS1_11reduce_implILb1ES3_PiS7_iN6hipcub16HIPCUB_304000_NS6detail34convert_binary_result_type_wrapperINS9_3SumENS9_22TransformInputIteratorIbN2at6native12_GLOBAL__N_19NonZeroOpIdEEPKdlEEiEEEE10hipError_tPvRmT1_T2_T3_mT4_P12ihipStream_tbEUlT_E0_NS1_11comp_targetILNS1_3genE8ELNS1_11target_archE1030ELNS1_3gpuE2ELNS1_3repE0EEENS1_30default_config_static_selectorELNS0_4arch9wavefront6targetE0EEEvSQ_,"axG",@progbits,_ZN7rocprim17ROCPRIM_400000_NS6detail17trampoline_kernelINS0_14default_configENS1_22reduce_config_selectorIiEEZNS1_11reduce_implILb1ES3_PiS7_iN6hipcub16HIPCUB_304000_NS6detail34convert_binary_result_type_wrapperINS9_3SumENS9_22TransformInputIteratorIbN2at6native12_GLOBAL__N_19NonZeroOpIdEEPKdlEEiEEEE10hipError_tPvRmT1_T2_T3_mT4_P12ihipStream_tbEUlT_E0_NS1_11comp_targetILNS1_3genE8ELNS1_11target_archE1030ELNS1_3gpuE2ELNS1_3repE0EEENS1_30default_config_static_selectorELNS0_4arch9wavefront6targetE0EEEvSQ_,comdat
	.globl	_ZN7rocprim17ROCPRIM_400000_NS6detail17trampoline_kernelINS0_14default_configENS1_22reduce_config_selectorIiEEZNS1_11reduce_implILb1ES3_PiS7_iN6hipcub16HIPCUB_304000_NS6detail34convert_binary_result_type_wrapperINS9_3SumENS9_22TransformInputIteratorIbN2at6native12_GLOBAL__N_19NonZeroOpIdEEPKdlEEiEEEE10hipError_tPvRmT1_T2_T3_mT4_P12ihipStream_tbEUlT_E0_NS1_11comp_targetILNS1_3genE8ELNS1_11target_archE1030ELNS1_3gpuE2ELNS1_3repE0EEENS1_30default_config_static_selectorELNS0_4arch9wavefront6targetE0EEEvSQ_ ; -- Begin function _ZN7rocprim17ROCPRIM_400000_NS6detail17trampoline_kernelINS0_14default_configENS1_22reduce_config_selectorIiEEZNS1_11reduce_implILb1ES3_PiS7_iN6hipcub16HIPCUB_304000_NS6detail34convert_binary_result_type_wrapperINS9_3SumENS9_22TransformInputIteratorIbN2at6native12_GLOBAL__N_19NonZeroOpIdEEPKdlEEiEEEE10hipError_tPvRmT1_T2_T3_mT4_P12ihipStream_tbEUlT_E0_NS1_11comp_targetILNS1_3genE8ELNS1_11target_archE1030ELNS1_3gpuE2ELNS1_3repE0EEENS1_30default_config_static_selectorELNS0_4arch9wavefront6targetE0EEEvSQ_
	.p2align	8
	.type	_ZN7rocprim17ROCPRIM_400000_NS6detail17trampoline_kernelINS0_14default_configENS1_22reduce_config_selectorIiEEZNS1_11reduce_implILb1ES3_PiS7_iN6hipcub16HIPCUB_304000_NS6detail34convert_binary_result_type_wrapperINS9_3SumENS9_22TransformInputIteratorIbN2at6native12_GLOBAL__N_19NonZeroOpIdEEPKdlEEiEEEE10hipError_tPvRmT1_T2_T3_mT4_P12ihipStream_tbEUlT_E0_NS1_11comp_targetILNS1_3genE8ELNS1_11target_archE1030ELNS1_3gpuE2ELNS1_3repE0EEENS1_30default_config_static_selectorELNS0_4arch9wavefront6targetE0EEEvSQ_,@function
_ZN7rocprim17ROCPRIM_400000_NS6detail17trampoline_kernelINS0_14default_configENS1_22reduce_config_selectorIiEEZNS1_11reduce_implILb1ES3_PiS7_iN6hipcub16HIPCUB_304000_NS6detail34convert_binary_result_type_wrapperINS9_3SumENS9_22TransformInputIteratorIbN2at6native12_GLOBAL__N_19NonZeroOpIdEEPKdlEEiEEEE10hipError_tPvRmT1_T2_T3_mT4_P12ihipStream_tbEUlT_E0_NS1_11comp_targetILNS1_3genE8ELNS1_11target_archE1030ELNS1_3gpuE2ELNS1_3repE0EEENS1_30default_config_static_selectorELNS0_4arch9wavefront6targetE0EEEvSQ_: ; @_ZN7rocprim17ROCPRIM_400000_NS6detail17trampoline_kernelINS0_14default_configENS1_22reduce_config_selectorIiEEZNS1_11reduce_implILb1ES3_PiS7_iN6hipcub16HIPCUB_304000_NS6detail34convert_binary_result_type_wrapperINS9_3SumENS9_22TransformInputIteratorIbN2at6native12_GLOBAL__N_19NonZeroOpIdEEPKdlEEiEEEE10hipError_tPvRmT1_T2_T3_mT4_P12ihipStream_tbEUlT_E0_NS1_11comp_targetILNS1_3genE8ELNS1_11target_archE1030ELNS1_3gpuE2ELNS1_3repE0EEENS1_30default_config_static_selectorELNS0_4arch9wavefront6targetE0EEEvSQ_
; %bb.0:
	.section	.rodata,"a",@progbits
	.p2align	6, 0x0
	.amdhsa_kernel _ZN7rocprim17ROCPRIM_400000_NS6detail17trampoline_kernelINS0_14default_configENS1_22reduce_config_selectorIiEEZNS1_11reduce_implILb1ES3_PiS7_iN6hipcub16HIPCUB_304000_NS6detail34convert_binary_result_type_wrapperINS9_3SumENS9_22TransformInputIteratorIbN2at6native12_GLOBAL__N_19NonZeroOpIdEEPKdlEEiEEEE10hipError_tPvRmT1_T2_T3_mT4_P12ihipStream_tbEUlT_E0_NS1_11comp_targetILNS1_3genE8ELNS1_11target_archE1030ELNS1_3gpuE2ELNS1_3repE0EEENS1_30default_config_static_selectorELNS0_4arch9wavefront6targetE0EEEvSQ_
		.amdhsa_group_segment_fixed_size 0
		.amdhsa_private_segment_fixed_size 0
		.amdhsa_kernarg_size 56
		.amdhsa_user_sgpr_count 15
		.amdhsa_user_sgpr_dispatch_ptr 0
		.amdhsa_user_sgpr_queue_ptr 0
		.amdhsa_user_sgpr_kernarg_segment_ptr 1
		.amdhsa_user_sgpr_dispatch_id 0
		.amdhsa_user_sgpr_private_segment_size 0
		.amdhsa_wavefront_size32 1
		.amdhsa_uses_dynamic_stack 0
		.amdhsa_enable_private_segment 0
		.amdhsa_system_sgpr_workgroup_id_x 1
		.amdhsa_system_sgpr_workgroup_id_y 0
		.amdhsa_system_sgpr_workgroup_id_z 0
		.amdhsa_system_sgpr_workgroup_info 0
		.amdhsa_system_vgpr_workitem_id 0
		.amdhsa_next_free_vgpr 1
		.amdhsa_next_free_sgpr 1
		.amdhsa_reserve_vcc 0
		.amdhsa_float_round_mode_32 0
		.amdhsa_float_round_mode_16_64 0
		.amdhsa_float_denorm_mode_32 3
		.amdhsa_float_denorm_mode_16_64 3
		.amdhsa_dx10_clamp 1
		.amdhsa_ieee_mode 1
		.amdhsa_fp16_overflow 0
		.amdhsa_workgroup_processor_mode 1
		.amdhsa_memory_ordered 1
		.amdhsa_forward_progress 0
		.amdhsa_shared_vgpr_count 0
		.amdhsa_exception_fp_ieee_invalid_op 0
		.amdhsa_exception_fp_denorm_src 0
		.amdhsa_exception_fp_ieee_div_zero 0
		.amdhsa_exception_fp_ieee_overflow 0
		.amdhsa_exception_fp_ieee_underflow 0
		.amdhsa_exception_fp_ieee_inexact 0
		.amdhsa_exception_int_div_zero 0
	.end_amdhsa_kernel
	.section	.text._ZN7rocprim17ROCPRIM_400000_NS6detail17trampoline_kernelINS0_14default_configENS1_22reduce_config_selectorIiEEZNS1_11reduce_implILb1ES3_PiS7_iN6hipcub16HIPCUB_304000_NS6detail34convert_binary_result_type_wrapperINS9_3SumENS9_22TransformInputIteratorIbN2at6native12_GLOBAL__N_19NonZeroOpIdEEPKdlEEiEEEE10hipError_tPvRmT1_T2_T3_mT4_P12ihipStream_tbEUlT_E0_NS1_11comp_targetILNS1_3genE8ELNS1_11target_archE1030ELNS1_3gpuE2ELNS1_3repE0EEENS1_30default_config_static_selectorELNS0_4arch9wavefront6targetE0EEEvSQ_,"axG",@progbits,_ZN7rocprim17ROCPRIM_400000_NS6detail17trampoline_kernelINS0_14default_configENS1_22reduce_config_selectorIiEEZNS1_11reduce_implILb1ES3_PiS7_iN6hipcub16HIPCUB_304000_NS6detail34convert_binary_result_type_wrapperINS9_3SumENS9_22TransformInputIteratorIbN2at6native12_GLOBAL__N_19NonZeroOpIdEEPKdlEEiEEEE10hipError_tPvRmT1_T2_T3_mT4_P12ihipStream_tbEUlT_E0_NS1_11comp_targetILNS1_3genE8ELNS1_11target_archE1030ELNS1_3gpuE2ELNS1_3repE0EEENS1_30default_config_static_selectorELNS0_4arch9wavefront6targetE0EEEvSQ_,comdat
.Lfunc_end362:
	.size	_ZN7rocprim17ROCPRIM_400000_NS6detail17trampoline_kernelINS0_14default_configENS1_22reduce_config_selectorIiEEZNS1_11reduce_implILb1ES3_PiS7_iN6hipcub16HIPCUB_304000_NS6detail34convert_binary_result_type_wrapperINS9_3SumENS9_22TransformInputIteratorIbN2at6native12_GLOBAL__N_19NonZeroOpIdEEPKdlEEiEEEE10hipError_tPvRmT1_T2_T3_mT4_P12ihipStream_tbEUlT_E0_NS1_11comp_targetILNS1_3genE8ELNS1_11target_archE1030ELNS1_3gpuE2ELNS1_3repE0EEENS1_30default_config_static_selectorELNS0_4arch9wavefront6targetE0EEEvSQ_, .Lfunc_end362-_ZN7rocprim17ROCPRIM_400000_NS6detail17trampoline_kernelINS0_14default_configENS1_22reduce_config_selectorIiEEZNS1_11reduce_implILb1ES3_PiS7_iN6hipcub16HIPCUB_304000_NS6detail34convert_binary_result_type_wrapperINS9_3SumENS9_22TransformInputIteratorIbN2at6native12_GLOBAL__N_19NonZeroOpIdEEPKdlEEiEEEE10hipError_tPvRmT1_T2_T3_mT4_P12ihipStream_tbEUlT_E0_NS1_11comp_targetILNS1_3genE8ELNS1_11target_archE1030ELNS1_3gpuE2ELNS1_3repE0EEENS1_30default_config_static_selectorELNS0_4arch9wavefront6targetE0EEEvSQ_
                                        ; -- End function
	.section	.AMDGPU.csdata,"",@progbits
; Kernel info:
; codeLenInByte = 0
; NumSgprs: 0
; NumVgprs: 0
; ScratchSize: 0
; MemoryBound: 0
; FloatMode: 240
; IeeeMode: 1
; LDSByteSize: 0 bytes/workgroup (compile time only)
; SGPRBlocks: 0
; VGPRBlocks: 0
; NumSGPRsForWavesPerEU: 1
; NumVGPRsForWavesPerEU: 1
; Occupancy: 16
; WaveLimiterHint : 0
; COMPUTE_PGM_RSRC2:SCRATCH_EN: 0
; COMPUTE_PGM_RSRC2:USER_SGPR: 15
; COMPUTE_PGM_RSRC2:TRAP_HANDLER: 0
; COMPUTE_PGM_RSRC2:TGID_X_EN: 1
; COMPUTE_PGM_RSRC2:TGID_Y_EN: 0
; COMPUTE_PGM_RSRC2:TGID_Z_EN: 0
; COMPUTE_PGM_RSRC2:TIDIG_COMP_CNT: 0
	.section	.text._ZN7rocprim17ROCPRIM_400000_NS6detail17trampoline_kernelINS0_14default_configENS1_22reduce_config_selectorIiEEZNS1_11reduce_implILb1ES3_PiS7_iN6hipcub16HIPCUB_304000_NS6detail34convert_binary_result_type_wrapperINS9_3SumENS9_22TransformInputIteratorIbN2at6native12_GLOBAL__N_19NonZeroOpIdEEPKdlEEiEEEE10hipError_tPvRmT1_T2_T3_mT4_P12ihipStream_tbEUlT_E1_NS1_11comp_targetILNS1_3genE0ELNS1_11target_archE4294967295ELNS1_3gpuE0ELNS1_3repE0EEENS1_30default_config_static_selectorELNS0_4arch9wavefront6targetE0EEEvSQ_,"axG",@progbits,_ZN7rocprim17ROCPRIM_400000_NS6detail17trampoline_kernelINS0_14default_configENS1_22reduce_config_selectorIiEEZNS1_11reduce_implILb1ES3_PiS7_iN6hipcub16HIPCUB_304000_NS6detail34convert_binary_result_type_wrapperINS9_3SumENS9_22TransformInputIteratorIbN2at6native12_GLOBAL__N_19NonZeroOpIdEEPKdlEEiEEEE10hipError_tPvRmT1_T2_T3_mT4_P12ihipStream_tbEUlT_E1_NS1_11comp_targetILNS1_3genE0ELNS1_11target_archE4294967295ELNS1_3gpuE0ELNS1_3repE0EEENS1_30default_config_static_selectorELNS0_4arch9wavefront6targetE0EEEvSQ_,comdat
	.globl	_ZN7rocprim17ROCPRIM_400000_NS6detail17trampoline_kernelINS0_14default_configENS1_22reduce_config_selectorIiEEZNS1_11reduce_implILb1ES3_PiS7_iN6hipcub16HIPCUB_304000_NS6detail34convert_binary_result_type_wrapperINS9_3SumENS9_22TransformInputIteratorIbN2at6native12_GLOBAL__N_19NonZeroOpIdEEPKdlEEiEEEE10hipError_tPvRmT1_T2_T3_mT4_P12ihipStream_tbEUlT_E1_NS1_11comp_targetILNS1_3genE0ELNS1_11target_archE4294967295ELNS1_3gpuE0ELNS1_3repE0EEENS1_30default_config_static_selectorELNS0_4arch9wavefront6targetE0EEEvSQ_ ; -- Begin function _ZN7rocprim17ROCPRIM_400000_NS6detail17trampoline_kernelINS0_14default_configENS1_22reduce_config_selectorIiEEZNS1_11reduce_implILb1ES3_PiS7_iN6hipcub16HIPCUB_304000_NS6detail34convert_binary_result_type_wrapperINS9_3SumENS9_22TransformInputIteratorIbN2at6native12_GLOBAL__N_19NonZeroOpIdEEPKdlEEiEEEE10hipError_tPvRmT1_T2_T3_mT4_P12ihipStream_tbEUlT_E1_NS1_11comp_targetILNS1_3genE0ELNS1_11target_archE4294967295ELNS1_3gpuE0ELNS1_3repE0EEENS1_30default_config_static_selectorELNS0_4arch9wavefront6targetE0EEEvSQ_
	.p2align	8
	.type	_ZN7rocprim17ROCPRIM_400000_NS6detail17trampoline_kernelINS0_14default_configENS1_22reduce_config_selectorIiEEZNS1_11reduce_implILb1ES3_PiS7_iN6hipcub16HIPCUB_304000_NS6detail34convert_binary_result_type_wrapperINS9_3SumENS9_22TransformInputIteratorIbN2at6native12_GLOBAL__N_19NonZeroOpIdEEPKdlEEiEEEE10hipError_tPvRmT1_T2_T3_mT4_P12ihipStream_tbEUlT_E1_NS1_11comp_targetILNS1_3genE0ELNS1_11target_archE4294967295ELNS1_3gpuE0ELNS1_3repE0EEENS1_30default_config_static_selectorELNS0_4arch9wavefront6targetE0EEEvSQ_,@function
_ZN7rocprim17ROCPRIM_400000_NS6detail17trampoline_kernelINS0_14default_configENS1_22reduce_config_selectorIiEEZNS1_11reduce_implILb1ES3_PiS7_iN6hipcub16HIPCUB_304000_NS6detail34convert_binary_result_type_wrapperINS9_3SumENS9_22TransformInputIteratorIbN2at6native12_GLOBAL__N_19NonZeroOpIdEEPKdlEEiEEEE10hipError_tPvRmT1_T2_T3_mT4_P12ihipStream_tbEUlT_E1_NS1_11comp_targetILNS1_3genE0ELNS1_11target_archE4294967295ELNS1_3gpuE0ELNS1_3repE0EEENS1_30default_config_static_selectorELNS0_4arch9wavefront6targetE0EEEvSQ_: ; @_ZN7rocprim17ROCPRIM_400000_NS6detail17trampoline_kernelINS0_14default_configENS1_22reduce_config_selectorIiEEZNS1_11reduce_implILb1ES3_PiS7_iN6hipcub16HIPCUB_304000_NS6detail34convert_binary_result_type_wrapperINS9_3SumENS9_22TransformInputIteratorIbN2at6native12_GLOBAL__N_19NonZeroOpIdEEPKdlEEiEEEE10hipError_tPvRmT1_T2_T3_mT4_P12ihipStream_tbEUlT_E1_NS1_11comp_targetILNS1_3genE0ELNS1_11target_archE4294967295ELNS1_3gpuE0ELNS1_3repE0EEENS1_30default_config_static_selectorELNS0_4arch9wavefront6targetE0EEEvSQ_
; %bb.0:
	.section	.rodata,"a",@progbits
	.p2align	6, 0x0
	.amdhsa_kernel _ZN7rocprim17ROCPRIM_400000_NS6detail17trampoline_kernelINS0_14default_configENS1_22reduce_config_selectorIiEEZNS1_11reduce_implILb1ES3_PiS7_iN6hipcub16HIPCUB_304000_NS6detail34convert_binary_result_type_wrapperINS9_3SumENS9_22TransformInputIteratorIbN2at6native12_GLOBAL__N_19NonZeroOpIdEEPKdlEEiEEEE10hipError_tPvRmT1_T2_T3_mT4_P12ihipStream_tbEUlT_E1_NS1_11comp_targetILNS1_3genE0ELNS1_11target_archE4294967295ELNS1_3gpuE0ELNS1_3repE0EEENS1_30default_config_static_selectorELNS0_4arch9wavefront6targetE0EEEvSQ_
		.amdhsa_group_segment_fixed_size 0
		.amdhsa_private_segment_fixed_size 0
		.amdhsa_kernarg_size 40
		.amdhsa_user_sgpr_count 15
		.amdhsa_user_sgpr_dispatch_ptr 0
		.amdhsa_user_sgpr_queue_ptr 0
		.amdhsa_user_sgpr_kernarg_segment_ptr 1
		.amdhsa_user_sgpr_dispatch_id 0
		.amdhsa_user_sgpr_private_segment_size 0
		.amdhsa_wavefront_size32 1
		.amdhsa_uses_dynamic_stack 0
		.amdhsa_enable_private_segment 0
		.amdhsa_system_sgpr_workgroup_id_x 1
		.amdhsa_system_sgpr_workgroup_id_y 0
		.amdhsa_system_sgpr_workgroup_id_z 0
		.amdhsa_system_sgpr_workgroup_info 0
		.amdhsa_system_vgpr_workitem_id 0
		.amdhsa_next_free_vgpr 1
		.amdhsa_next_free_sgpr 1
		.amdhsa_reserve_vcc 0
		.amdhsa_float_round_mode_32 0
		.amdhsa_float_round_mode_16_64 0
		.amdhsa_float_denorm_mode_32 3
		.amdhsa_float_denorm_mode_16_64 3
		.amdhsa_dx10_clamp 1
		.amdhsa_ieee_mode 1
		.amdhsa_fp16_overflow 0
		.amdhsa_workgroup_processor_mode 1
		.amdhsa_memory_ordered 1
		.amdhsa_forward_progress 0
		.amdhsa_shared_vgpr_count 0
		.amdhsa_exception_fp_ieee_invalid_op 0
		.amdhsa_exception_fp_denorm_src 0
		.amdhsa_exception_fp_ieee_div_zero 0
		.amdhsa_exception_fp_ieee_overflow 0
		.amdhsa_exception_fp_ieee_underflow 0
		.amdhsa_exception_fp_ieee_inexact 0
		.amdhsa_exception_int_div_zero 0
	.end_amdhsa_kernel
	.section	.text._ZN7rocprim17ROCPRIM_400000_NS6detail17trampoline_kernelINS0_14default_configENS1_22reduce_config_selectorIiEEZNS1_11reduce_implILb1ES3_PiS7_iN6hipcub16HIPCUB_304000_NS6detail34convert_binary_result_type_wrapperINS9_3SumENS9_22TransformInputIteratorIbN2at6native12_GLOBAL__N_19NonZeroOpIdEEPKdlEEiEEEE10hipError_tPvRmT1_T2_T3_mT4_P12ihipStream_tbEUlT_E1_NS1_11comp_targetILNS1_3genE0ELNS1_11target_archE4294967295ELNS1_3gpuE0ELNS1_3repE0EEENS1_30default_config_static_selectorELNS0_4arch9wavefront6targetE0EEEvSQ_,"axG",@progbits,_ZN7rocprim17ROCPRIM_400000_NS6detail17trampoline_kernelINS0_14default_configENS1_22reduce_config_selectorIiEEZNS1_11reduce_implILb1ES3_PiS7_iN6hipcub16HIPCUB_304000_NS6detail34convert_binary_result_type_wrapperINS9_3SumENS9_22TransformInputIteratorIbN2at6native12_GLOBAL__N_19NonZeroOpIdEEPKdlEEiEEEE10hipError_tPvRmT1_T2_T3_mT4_P12ihipStream_tbEUlT_E1_NS1_11comp_targetILNS1_3genE0ELNS1_11target_archE4294967295ELNS1_3gpuE0ELNS1_3repE0EEENS1_30default_config_static_selectorELNS0_4arch9wavefront6targetE0EEEvSQ_,comdat
.Lfunc_end363:
	.size	_ZN7rocprim17ROCPRIM_400000_NS6detail17trampoline_kernelINS0_14default_configENS1_22reduce_config_selectorIiEEZNS1_11reduce_implILb1ES3_PiS7_iN6hipcub16HIPCUB_304000_NS6detail34convert_binary_result_type_wrapperINS9_3SumENS9_22TransformInputIteratorIbN2at6native12_GLOBAL__N_19NonZeroOpIdEEPKdlEEiEEEE10hipError_tPvRmT1_T2_T3_mT4_P12ihipStream_tbEUlT_E1_NS1_11comp_targetILNS1_3genE0ELNS1_11target_archE4294967295ELNS1_3gpuE0ELNS1_3repE0EEENS1_30default_config_static_selectorELNS0_4arch9wavefront6targetE0EEEvSQ_, .Lfunc_end363-_ZN7rocprim17ROCPRIM_400000_NS6detail17trampoline_kernelINS0_14default_configENS1_22reduce_config_selectorIiEEZNS1_11reduce_implILb1ES3_PiS7_iN6hipcub16HIPCUB_304000_NS6detail34convert_binary_result_type_wrapperINS9_3SumENS9_22TransformInputIteratorIbN2at6native12_GLOBAL__N_19NonZeroOpIdEEPKdlEEiEEEE10hipError_tPvRmT1_T2_T3_mT4_P12ihipStream_tbEUlT_E1_NS1_11comp_targetILNS1_3genE0ELNS1_11target_archE4294967295ELNS1_3gpuE0ELNS1_3repE0EEENS1_30default_config_static_selectorELNS0_4arch9wavefront6targetE0EEEvSQ_
                                        ; -- End function
	.section	.AMDGPU.csdata,"",@progbits
; Kernel info:
; codeLenInByte = 0
; NumSgprs: 0
; NumVgprs: 0
; ScratchSize: 0
; MemoryBound: 0
; FloatMode: 240
; IeeeMode: 1
; LDSByteSize: 0 bytes/workgroup (compile time only)
; SGPRBlocks: 0
; VGPRBlocks: 0
; NumSGPRsForWavesPerEU: 1
; NumVGPRsForWavesPerEU: 1
; Occupancy: 16
; WaveLimiterHint : 0
; COMPUTE_PGM_RSRC2:SCRATCH_EN: 0
; COMPUTE_PGM_RSRC2:USER_SGPR: 15
; COMPUTE_PGM_RSRC2:TRAP_HANDLER: 0
; COMPUTE_PGM_RSRC2:TGID_X_EN: 1
; COMPUTE_PGM_RSRC2:TGID_Y_EN: 0
; COMPUTE_PGM_RSRC2:TGID_Z_EN: 0
; COMPUTE_PGM_RSRC2:TIDIG_COMP_CNT: 0
	.section	.text._ZN7rocprim17ROCPRIM_400000_NS6detail17trampoline_kernelINS0_14default_configENS1_22reduce_config_selectorIiEEZNS1_11reduce_implILb1ES3_PiS7_iN6hipcub16HIPCUB_304000_NS6detail34convert_binary_result_type_wrapperINS9_3SumENS9_22TransformInputIteratorIbN2at6native12_GLOBAL__N_19NonZeroOpIdEEPKdlEEiEEEE10hipError_tPvRmT1_T2_T3_mT4_P12ihipStream_tbEUlT_E1_NS1_11comp_targetILNS1_3genE5ELNS1_11target_archE942ELNS1_3gpuE9ELNS1_3repE0EEENS1_30default_config_static_selectorELNS0_4arch9wavefront6targetE0EEEvSQ_,"axG",@progbits,_ZN7rocprim17ROCPRIM_400000_NS6detail17trampoline_kernelINS0_14default_configENS1_22reduce_config_selectorIiEEZNS1_11reduce_implILb1ES3_PiS7_iN6hipcub16HIPCUB_304000_NS6detail34convert_binary_result_type_wrapperINS9_3SumENS9_22TransformInputIteratorIbN2at6native12_GLOBAL__N_19NonZeroOpIdEEPKdlEEiEEEE10hipError_tPvRmT1_T2_T3_mT4_P12ihipStream_tbEUlT_E1_NS1_11comp_targetILNS1_3genE5ELNS1_11target_archE942ELNS1_3gpuE9ELNS1_3repE0EEENS1_30default_config_static_selectorELNS0_4arch9wavefront6targetE0EEEvSQ_,comdat
	.globl	_ZN7rocprim17ROCPRIM_400000_NS6detail17trampoline_kernelINS0_14default_configENS1_22reduce_config_selectorIiEEZNS1_11reduce_implILb1ES3_PiS7_iN6hipcub16HIPCUB_304000_NS6detail34convert_binary_result_type_wrapperINS9_3SumENS9_22TransformInputIteratorIbN2at6native12_GLOBAL__N_19NonZeroOpIdEEPKdlEEiEEEE10hipError_tPvRmT1_T2_T3_mT4_P12ihipStream_tbEUlT_E1_NS1_11comp_targetILNS1_3genE5ELNS1_11target_archE942ELNS1_3gpuE9ELNS1_3repE0EEENS1_30default_config_static_selectorELNS0_4arch9wavefront6targetE0EEEvSQ_ ; -- Begin function _ZN7rocprim17ROCPRIM_400000_NS6detail17trampoline_kernelINS0_14default_configENS1_22reduce_config_selectorIiEEZNS1_11reduce_implILb1ES3_PiS7_iN6hipcub16HIPCUB_304000_NS6detail34convert_binary_result_type_wrapperINS9_3SumENS9_22TransformInputIteratorIbN2at6native12_GLOBAL__N_19NonZeroOpIdEEPKdlEEiEEEE10hipError_tPvRmT1_T2_T3_mT4_P12ihipStream_tbEUlT_E1_NS1_11comp_targetILNS1_3genE5ELNS1_11target_archE942ELNS1_3gpuE9ELNS1_3repE0EEENS1_30default_config_static_selectorELNS0_4arch9wavefront6targetE0EEEvSQ_
	.p2align	8
	.type	_ZN7rocprim17ROCPRIM_400000_NS6detail17trampoline_kernelINS0_14default_configENS1_22reduce_config_selectorIiEEZNS1_11reduce_implILb1ES3_PiS7_iN6hipcub16HIPCUB_304000_NS6detail34convert_binary_result_type_wrapperINS9_3SumENS9_22TransformInputIteratorIbN2at6native12_GLOBAL__N_19NonZeroOpIdEEPKdlEEiEEEE10hipError_tPvRmT1_T2_T3_mT4_P12ihipStream_tbEUlT_E1_NS1_11comp_targetILNS1_3genE5ELNS1_11target_archE942ELNS1_3gpuE9ELNS1_3repE0EEENS1_30default_config_static_selectorELNS0_4arch9wavefront6targetE0EEEvSQ_,@function
_ZN7rocprim17ROCPRIM_400000_NS6detail17trampoline_kernelINS0_14default_configENS1_22reduce_config_selectorIiEEZNS1_11reduce_implILb1ES3_PiS7_iN6hipcub16HIPCUB_304000_NS6detail34convert_binary_result_type_wrapperINS9_3SumENS9_22TransformInputIteratorIbN2at6native12_GLOBAL__N_19NonZeroOpIdEEPKdlEEiEEEE10hipError_tPvRmT1_T2_T3_mT4_P12ihipStream_tbEUlT_E1_NS1_11comp_targetILNS1_3genE5ELNS1_11target_archE942ELNS1_3gpuE9ELNS1_3repE0EEENS1_30default_config_static_selectorELNS0_4arch9wavefront6targetE0EEEvSQ_: ; @_ZN7rocprim17ROCPRIM_400000_NS6detail17trampoline_kernelINS0_14default_configENS1_22reduce_config_selectorIiEEZNS1_11reduce_implILb1ES3_PiS7_iN6hipcub16HIPCUB_304000_NS6detail34convert_binary_result_type_wrapperINS9_3SumENS9_22TransformInputIteratorIbN2at6native12_GLOBAL__N_19NonZeroOpIdEEPKdlEEiEEEE10hipError_tPvRmT1_T2_T3_mT4_P12ihipStream_tbEUlT_E1_NS1_11comp_targetILNS1_3genE5ELNS1_11target_archE942ELNS1_3gpuE9ELNS1_3repE0EEENS1_30default_config_static_selectorELNS0_4arch9wavefront6targetE0EEEvSQ_
; %bb.0:
	.section	.rodata,"a",@progbits
	.p2align	6, 0x0
	.amdhsa_kernel _ZN7rocprim17ROCPRIM_400000_NS6detail17trampoline_kernelINS0_14default_configENS1_22reduce_config_selectorIiEEZNS1_11reduce_implILb1ES3_PiS7_iN6hipcub16HIPCUB_304000_NS6detail34convert_binary_result_type_wrapperINS9_3SumENS9_22TransformInputIteratorIbN2at6native12_GLOBAL__N_19NonZeroOpIdEEPKdlEEiEEEE10hipError_tPvRmT1_T2_T3_mT4_P12ihipStream_tbEUlT_E1_NS1_11comp_targetILNS1_3genE5ELNS1_11target_archE942ELNS1_3gpuE9ELNS1_3repE0EEENS1_30default_config_static_selectorELNS0_4arch9wavefront6targetE0EEEvSQ_
		.amdhsa_group_segment_fixed_size 0
		.amdhsa_private_segment_fixed_size 0
		.amdhsa_kernarg_size 40
		.amdhsa_user_sgpr_count 15
		.amdhsa_user_sgpr_dispatch_ptr 0
		.amdhsa_user_sgpr_queue_ptr 0
		.amdhsa_user_sgpr_kernarg_segment_ptr 1
		.amdhsa_user_sgpr_dispatch_id 0
		.amdhsa_user_sgpr_private_segment_size 0
		.amdhsa_wavefront_size32 1
		.amdhsa_uses_dynamic_stack 0
		.amdhsa_enable_private_segment 0
		.amdhsa_system_sgpr_workgroup_id_x 1
		.amdhsa_system_sgpr_workgroup_id_y 0
		.amdhsa_system_sgpr_workgroup_id_z 0
		.amdhsa_system_sgpr_workgroup_info 0
		.amdhsa_system_vgpr_workitem_id 0
		.amdhsa_next_free_vgpr 1
		.amdhsa_next_free_sgpr 1
		.amdhsa_reserve_vcc 0
		.amdhsa_float_round_mode_32 0
		.amdhsa_float_round_mode_16_64 0
		.amdhsa_float_denorm_mode_32 3
		.amdhsa_float_denorm_mode_16_64 3
		.amdhsa_dx10_clamp 1
		.amdhsa_ieee_mode 1
		.amdhsa_fp16_overflow 0
		.amdhsa_workgroup_processor_mode 1
		.amdhsa_memory_ordered 1
		.amdhsa_forward_progress 0
		.amdhsa_shared_vgpr_count 0
		.amdhsa_exception_fp_ieee_invalid_op 0
		.amdhsa_exception_fp_denorm_src 0
		.amdhsa_exception_fp_ieee_div_zero 0
		.amdhsa_exception_fp_ieee_overflow 0
		.amdhsa_exception_fp_ieee_underflow 0
		.amdhsa_exception_fp_ieee_inexact 0
		.amdhsa_exception_int_div_zero 0
	.end_amdhsa_kernel
	.section	.text._ZN7rocprim17ROCPRIM_400000_NS6detail17trampoline_kernelINS0_14default_configENS1_22reduce_config_selectorIiEEZNS1_11reduce_implILb1ES3_PiS7_iN6hipcub16HIPCUB_304000_NS6detail34convert_binary_result_type_wrapperINS9_3SumENS9_22TransformInputIteratorIbN2at6native12_GLOBAL__N_19NonZeroOpIdEEPKdlEEiEEEE10hipError_tPvRmT1_T2_T3_mT4_P12ihipStream_tbEUlT_E1_NS1_11comp_targetILNS1_3genE5ELNS1_11target_archE942ELNS1_3gpuE9ELNS1_3repE0EEENS1_30default_config_static_selectorELNS0_4arch9wavefront6targetE0EEEvSQ_,"axG",@progbits,_ZN7rocprim17ROCPRIM_400000_NS6detail17trampoline_kernelINS0_14default_configENS1_22reduce_config_selectorIiEEZNS1_11reduce_implILb1ES3_PiS7_iN6hipcub16HIPCUB_304000_NS6detail34convert_binary_result_type_wrapperINS9_3SumENS9_22TransformInputIteratorIbN2at6native12_GLOBAL__N_19NonZeroOpIdEEPKdlEEiEEEE10hipError_tPvRmT1_T2_T3_mT4_P12ihipStream_tbEUlT_E1_NS1_11comp_targetILNS1_3genE5ELNS1_11target_archE942ELNS1_3gpuE9ELNS1_3repE0EEENS1_30default_config_static_selectorELNS0_4arch9wavefront6targetE0EEEvSQ_,comdat
.Lfunc_end364:
	.size	_ZN7rocprim17ROCPRIM_400000_NS6detail17trampoline_kernelINS0_14default_configENS1_22reduce_config_selectorIiEEZNS1_11reduce_implILb1ES3_PiS7_iN6hipcub16HIPCUB_304000_NS6detail34convert_binary_result_type_wrapperINS9_3SumENS9_22TransformInputIteratorIbN2at6native12_GLOBAL__N_19NonZeroOpIdEEPKdlEEiEEEE10hipError_tPvRmT1_T2_T3_mT4_P12ihipStream_tbEUlT_E1_NS1_11comp_targetILNS1_3genE5ELNS1_11target_archE942ELNS1_3gpuE9ELNS1_3repE0EEENS1_30default_config_static_selectorELNS0_4arch9wavefront6targetE0EEEvSQ_, .Lfunc_end364-_ZN7rocprim17ROCPRIM_400000_NS6detail17trampoline_kernelINS0_14default_configENS1_22reduce_config_selectorIiEEZNS1_11reduce_implILb1ES3_PiS7_iN6hipcub16HIPCUB_304000_NS6detail34convert_binary_result_type_wrapperINS9_3SumENS9_22TransformInputIteratorIbN2at6native12_GLOBAL__N_19NonZeroOpIdEEPKdlEEiEEEE10hipError_tPvRmT1_T2_T3_mT4_P12ihipStream_tbEUlT_E1_NS1_11comp_targetILNS1_3genE5ELNS1_11target_archE942ELNS1_3gpuE9ELNS1_3repE0EEENS1_30default_config_static_selectorELNS0_4arch9wavefront6targetE0EEEvSQ_
                                        ; -- End function
	.section	.AMDGPU.csdata,"",@progbits
; Kernel info:
; codeLenInByte = 0
; NumSgprs: 0
; NumVgprs: 0
; ScratchSize: 0
; MemoryBound: 0
; FloatMode: 240
; IeeeMode: 1
; LDSByteSize: 0 bytes/workgroup (compile time only)
; SGPRBlocks: 0
; VGPRBlocks: 0
; NumSGPRsForWavesPerEU: 1
; NumVGPRsForWavesPerEU: 1
; Occupancy: 16
; WaveLimiterHint : 0
; COMPUTE_PGM_RSRC2:SCRATCH_EN: 0
; COMPUTE_PGM_RSRC2:USER_SGPR: 15
; COMPUTE_PGM_RSRC2:TRAP_HANDLER: 0
; COMPUTE_PGM_RSRC2:TGID_X_EN: 1
; COMPUTE_PGM_RSRC2:TGID_Y_EN: 0
; COMPUTE_PGM_RSRC2:TGID_Z_EN: 0
; COMPUTE_PGM_RSRC2:TIDIG_COMP_CNT: 0
	.section	.text._ZN7rocprim17ROCPRIM_400000_NS6detail17trampoline_kernelINS0_14default_configENS1_22reduce_config_selectorIiEEZNS1_11reduce_implILb1ES3_PiS7_iN6hipcub16HIPCUB_304000_NS6detail34convert_binary_result_type_wrapperINS9_3SumENS9_22TransformInputIteratorIbN2at6native12_GLOBAL__N_19NonZeroOpIdEEPKdlEEiEEEE10hipError_tPvRmT1_T2_T3_mT4_P12ihipStream_tbEUlT_E1_NS1_11comp_targetILNS1_3genE4ELNS1_11target_archE910ELNS1_3gpuE8ELNS1_3repE0EEENS1_30default_config_static_selectorELNS0_4arch9wavefront6targetE0EEEvSQ_,"axG",@progbits,_ZN7rocprim17ROCPRIM_400000_NS6detail17trampoline_kernelINS0_14default_configENS1_22reduce_config_selectorIiEEZNS1_11reduce_implILb1ES3_PiS7_iN6hipcub16HIPCUB_304000_NS6detail34convert_binary_result_type_wrapperINS9_3SumENS9_22TransformInputIteratorIbN2at6native12_GLOBAL__N_19NonZeroOpIdEEPKdlEEiEEEE10hipError_tPvRmT1_T2_T3_mT4_P12ihipStream_tbEUlT_E1_NS1_11comp_targetILNS1_3genE4ELNS1_11target_archE910ELNS1_3gpuE8ELNS1_3repE0EEENS1_30default_config_static_selectorELNS0_4arch9wavefront6targetE0EEEvSQ_,comdat
	.globl	_ZN7rocprim17ROCPRIM_400000_NS6detail17trampoline_kernelINS0_14default_configENS1_22reduce_config_selectorIiEEZNS1_11reduce_implILb1ES3_PiS7_iN6hipcub16HIPCUB_304000_NS6detail34convert_binary_result_type_wrapperINS9_3SumENS9_22TransformInputIteratorIbN2at6native12_GLOBAL__N_19NonZeroOpIdEEPKdlEEiEEEE10hipError_tPvRmT1_T2_T3_mT4_P12ihipStream_tbEUlT_E1_NS1_11comp_targetILNS1_3genE4ELNS1_11target_archE910ELNS1_3gpuE8ELNS1_3repE0EEENS1_30default_config_static_selectorELNS0_4arch9wavefront6targetE0EEEvSQ_ ; -- Begin function _ZN7rocprim17ROCPRIM_400000_NS6detail17trampoline_kernelINS0_14default_configENS1_22reduce_config_selectorIiEEZNS1_11reduce_implILb1ES3_PiS7_iN6hipcub16HIPCUB_304000_NS6detail34convert_binary_result_type_wrapperINS9_3SumENS9_22TransformInputIteratorIbN2at6native12_GLOBAL__N_19NonZeroOpIdEEPKdlEEiEEEE10hipError_tPvRmT1_T2_T3_mT4_P12ihipStream_tbEUlT_E1_NS1_11comp_targetILNS1_3genE4ELNS1_11target_archE910ELNS1_3gpuE8ELNS1_3repE0EEENS1_30default_config_static_selectorELNS0_4arch9wavefront6targetE0EEEvSQ_
	.p2align	8
	.type	_ZN7rocprim17ROCPRIM_400000_NS6detail17trampoline_kernelINS0_14default_configENS1_22reduce_config_selectorIiEEZNS1_11reduce_implILb1ES3_PiS7_iN6hipcub16HIPCUB_304000_NS6detail34convert_binary_result_type_wrapperINS9_3SumENS9_22TransformInputIteratorIbN2at6native12_GLOBAL__N_19NonZeroOpIdEEPKdlEEiEEEE10hipError_tPvRmT1_T2_T3_mT4_P12ihipStream_tbEUlT_E1_NS1_11comp_targetILNS1_3genE4ELNS1_11target_archE910ELNS1_3gpuE8ELNS1_3repE0EEENS1_30default_config_static_selectorELNS0_4arch9wavefront6targetE0EEEvSQ_,@function
_ZN7rocprim17ROCPRIM_400000_NS6detail17trampoline_kernelINS0_14default_configENS1_22reduce_config_selectorIiEEZNS1_11reduce_implILb1ES3_PiS7_iN6hipcub16HIPCUB_304000_NS6detail34convert_binary_result_type_wrapperINS9_3SumENS9_22TransformInputIteratorIbN2at6native12_GLOBAL__N_19NonZeroOpIdEEPKdlEEiEEEE10hipError_tPvRmT1_T2_T3_mT4_P12ihipStream_tbEUlT_E1_NS1_11comp_targetILNS1_3genE4ELNS1_11target_archE910ELNS1_3gpuE8ELNS1_3repE0EEENS1_30default_config_static_selectorELNS0_4arch9wavefront6targetE0EEEvSQ_: ; @_ZN7rocprim17ROCPRIM_400000_NS6detail17trampoline_kernelINS0_14default_configENS1_22reduce_config_selectorIiEEZNS1_11reduce_implILb1ES3_PiS7_iN6hipcub16HIPCUB_304000_NS6detail34convert_binary_result_type_wrapperINS9_3SumENS9_22TransformInputIteratorIbN2at6native12_GLOBAL__N_19NonZeroOpIdEEPKdlEEiEEEE10hipError_tPvRmT1_T2_T3_mT4_P12ihipStream_tbEUlT_E1_NS1_11comp_targetILNS1_3genE4ELNS1_11target_archE910ELNS1_3gpuE8ELNS1_3repE0EEENS1_30default_config_static_selectorELNS0_4arch9wavefront6targetE0EEEvSQ_
; %bb.0:
	.section	.rodata,"a",@progbits
	.p2align	6, 0x0
	.amdhsa_kernel _ZN7rocprim17ROCPRIM_400000_NS6detail17trampoline_kernelINS0_14default_configENS1_22reduce_config_selectorIiEEZNS1_11reduce_implILb1ES3_PiS7_iN6hipcub16HIPCUB_304000_NS6detail34convert_binary_result_type_wrapperINS9_3SumENS9_22TransformInputIteratorIbN2at6native12_GLOBAL__N_19NonZeroOpIdEEPKdlEEiEEEE10hipError_tPvRmT1_T2_T3_mT4_P12ihipStream_tbEUlT_E1_NS1_11comp_targetILNS1_3genE4ELNS1_11target_archE910ELNS1_3gpuE8ELNS1_3repE0EEENS1_30default_config_static_selectorELNS0_4arch9wavefront6targetE0EEEvSQ_
		.amdhsa_group_segment_fixed_size 0
		.amdhsa_private_segment_fixed_size 0
		.amdhsa_kernarg_size 40
		.amdhsa_user_sgpr_count 15
		.amdhsa_user_sgpr_dispatch_ptr 0
		.amdhsa_user_sgpr_queue_ptr 0
		.amdhsa_user_sgpr_kernarg_segment_ptr 1
		.amdhsa_user_sgpr_dispatch_id 0
		.amdhsa_user_sgpr_private_segment_size 0
		.amdhsa_wavefront_size32 1
		.amdhsa_uses_dynamic_stack 0
		.amdhsa_enable_private_segment 0
		.amdhsa_system_sgpr_workgroup_id_x 1
		.amdhsa_system_sgpr_workgroup_id_y 0
		.amdhsa_system_sgpr_workgroup_id_z 0
		.amdhsa_system_sgpr_workgroup_info 0
		.amdhsa_system_vgpr_workitem_id 0
		.amdhsa_next_free_vgpr 1
		.amdhsa_next_free_sgpr 1
		.amdhsa_reserve_vcc 0
		.amdhsa_float_round_mode_32 0
		.amdhsa_float_round_mode_16_64 0
		.amdhsa_float_denorm_mode_32 3
		.amdhsa_float_denorm_mode_16_64 3
		.amdhsa_dx10_clamp 1
		.amdhsa_ieee_mode 1
		.amdhsa_fp16_overflow 0
		.amdhsa_workgroup_processor_mode 1
		.amdhsa_memory_ordered 1
		.amdhsa_forward_progress 0
		.amdhsa_shared_vgpr_count 0
		.amdhsa_exception_fp_ieee_invalid_op 0
		.amdhsa_exception_fp_denorm_src 0
		.amdhsa_exception_fp_ieee_div_zero 0
		.amdhsa_exception_fp_ieee_overflow 0
		.amdhsa_exception_fp_ieee_underflow 0
		.amdhsa_exception_fp_ieee_inexact 0
		.amdhsa_exception_int_div_zero 0
	.end_amdhsa_kernel
	.section	.text._ZN7rocprim17ROCPRIM_400000_NS6detail17trampoline_kernelINS0_14default_configENS1_22reduce_config_selectorIiEEZNS1_11reduce_implILb1ES3_PiS7_iN6hipcub16HIPCUB_304000_NS6detail34convert_binary_result_type_wrapperINS9_3SumENS9_22TransformInputIteratorIbN2at6native12_GLOBAL__N_19NonZeroOpIdEEPKdlEEiEEEE10hipError_tPvRmT1_T2_T3_mT4_P12ihipStream_tbEUlT_E1_NS1_11comp_targetILNS1_3genE4ELNS1_11target_archE910ELNS1_3gpuE8ELNS1_3repE0EEENS1_30default_config_static_selectorELNS0_4arch9wavefront6targetE0EEEvSQ_,"axG",@progbits,_ZN7rocprim17ROCPRIM_400000_NS6detail17trampoline_kernelINS0_14default_configENS1_22reduce_config_selectorIiEEZNS1_11reduce_implILb1ES3_PiS7_iN6hipcub16HIPCUB_304000_NS6detail34convert_binary_result_type_wrapperINS9_3SumENS9_22TransformInputIteratorIbN2at6native12_GLOBAL__N_19NonZeroOpIdEEPKdlEEiEEEE10hipError_tPvRmT1_T2_T3_mT4_P12ihipStream_tbEUlT_E1_NS1_11comp_targetILNS1_3genE4ELNS1_11target_archE910ELNS1_3gpuE8ELNS1_3repE0EEENS1_30default_config_static_selectorELNS0_4arch9wavefront6targetE0EEEvSQ_,comdat
.Lfunc_end365:
	.size	_ZN7rocprim17ROCPRIM_400000_NS6detail17trampoline_kernelINS0_14default_configENS1_22reduce_config_selectorIiEEZNS1_11reduce_implILb1ES3_PiS7_iN6hipcub16HIPCUB_304000_NS6detail34convert_binary_result_type_wrapperINS9_3SumENS9_22TransformInputIteratorIbN2at6native12_GLOBAL__N_19NonZeroOpIdEEPKdlEEiEEEE10hipError_tPvRmT1_T2_T3_mT4_P12ihipStream_tbEUlT_E1_NS1_11comp_targetILNS1_3genE4ELNS1_11target_archE910ELNS1_3gpuE8ELNS1_3repE0EEENS1_30default_config_static_selectorELNS0_4arch9wavefront6targetE0EEEvSQ_, .Lfunc_end365-_ZN7rocprim17ROCPRIM_400000_NS6detail17trampoline_kernelINS0_14default_configENS1_22reduce_config_selectorIiEEZNS1_11reduce_implILb1ES3_PiS7_iN6hipcub16HIPCUB_304000_NS6detail34convert_binary_result_type_wrapperINS9_3SumENS9_22TransformInputIteratorIbN2at6native12_GLOBAL__N_19NonZeroOpIdEEPKdlEEiEEEE10hipError_tPvRmT1_T2_T3_mT4_P12ihipStream_tbEUlT_E1_NS1_11comp_targetILNS1_3genE4ELNS1_11target_archE910ELNS1_3gpuE8ELNS1_3repE0EEENS1_30default_config_static_selectorELNS0_4arch9wavefront6targetE0EEEvSQ_
                                        ; -- End function
	.section	.AMDGPU.csdata,"",@progbits
; Kernel info:
; codeLenInByte = 0
; NumSgprs: 0
; NumVgprs: 0
; ScratchSize: 0
; MemoryBound: 0
; FloatMode: 240
; IeeeMode: 1
; LDSByteSize: 0 bytes/workgroup (compile time only)
; SGPRBlocks: 0
; VGPRBlocks: 0
; NumSGPRsForWavesPerEU: 1
; NumVGPRsForWavesPerEU: 1
; Occupancy: 16
; WaveLimiterHint : 0
; COMPUTE_PGM_RSRC2:SCRATCH_EN: 0
; COMPUTE_PGM_RSRC2:USER_SGPR: 15
; COMPUTE_PGM_RSRC2:TRAP_HANDLER: 0
; COMPUTE_PGM_RSRC2:TGID_X_EN: 1
; COMPUTE_PGM_RSRC2:TGID_Y_EN: 0
; COMPUTE_PGM_RSRC2:TGID_Z_EN: 0
; COMPUTE_PGM_RSRC2:TIDIG_COMP_CNT: 0
	.section	.text._ZN7rocprim17ROCPRIM_400000_NS6detail17trampoline_kernelINS0_14default_configENS1_22reduce_config_selectorIiEEZNS1_11reduce_implILb1ES3_PiS7_iN6hipcub16HIPCUB_304000_NS6detail34convert_binary_result_type_wrapperINS9_3SumENS9_22TransformInputIteratorIbN2at6native12_GLOBAL__N_19NonZeroOpIdEEPKdlEEiEEEE10hipError_tPvRmT1_T2_T3_mT4_P12ihipStream_tbEUlT_E1_NS1_11comp_targetILNS1_3genE3ELNS1_11target_archE908ELNS1_3gpuE7ELNS1_3repE0EEENS1_30default_config_static_selectorELNS0_4arch9wavefront6targetE0EEEvSQ_,"axG",@progbits,_ZN7rocprim17ROCPRIM_400000_NS6detail17trampoline_kernelINS0_14default_configENS1_22reduce_config_selectorIiEEZNS1_11reduce_implILb1ES3_PiS7_iN6hipcub16HIPCUB_304000_NS6detail34convert_binary_result_type_wrapperINS9_3SumENS9_22TransformInputIteratorIbN2at6native12_GLOBAL__N_19NonZeroOpIdEEPKdlEEiEEEE10hipError_tPvRmT1_T2_T3_mT4_P12ihipStream_tbEUlT_E1_NS1_11comp_targetILNS1_3genE3ELNS1_11target_archE908ELNS1_3gpuE7ELNS1_3repE0EEENS1_30default_config_static_selectorELNS0_4arch9wavefront6targetE0EEEvSQ_,comdat
	.globl	_ZN7rocprim17ROCPRIM_400000_NS6detail17trampoline_kernelINS0_14default_configENS1_22reduce_config_selectorIiEEZNS1_11reduce_implILb1ES3_PiS7_iN6hipcub16HIPCUB_304000_NS6detail34convert_binary_result_type_wrapperINS9_3SumENS9_22TransformInputIteratorIbN2at6native12_GLOBAL__N_19NonZeroOpIdEEPKdlEEiEEEE10hipError_tPvRmT1_T2_T3_mT4_P12ihipStream_tbEUlT_E1_NS1_11comp_targetILNS1_3genE3ELNS1_11target_archE908ELNS1_3gpuE7ELNS1_3repE0EEENS1_30default_config_static_selectorELNS0_4arch9wavefront6targetE0EEEvSQ_ ; -- Begin function _ZN7rocprim17ROCPRIM_400000_NS6detail17trampoline_kernelINS0_14default_configENS1_22reduce_config_selectorIiEEZNS1_11reduce_implILb1ES3_PiS7_iN6hipcub16HIPCUB_304000_NS6detail34convert_binary_result_type_wrapperINS9_3SumENS9_22TransformInputIteratorIbN2at6native12_GLOBAL__N_19NonZeroOpIdEEPKdlEEiEEEE10hipError_tPvRmT1_T2_T3_mT4_P12ihipStream_tbEUlT_E1_NS1_11comp_targetILNS1_3genE3ELNS1_11target_archE908ELNS1_3gpuE7ELNS1_3repE0EEENS1_30default_config_static_selectorELNS0_4arch9wavefront6targetE0EEEvSQ_
	.p2align	8
	.type	_ZN7rocprim17ROCPRIM_400000_NS6detail17trampoline_kernelINS0_14default_configENS1_22reduce_config_selectorIiEEZNS1_11reduce_implILb1ES3_PiS7_iN6hipcub16HIPCUB_304000_NS6detail34convert_binary_result_type_wrapperINS9_3SumENS9_22TransformInputIteratorIbN2at6native12_GLOBAL__N_19NonZeroOpIdEEPKdlEEiEEEE10hipError_tPvRmT1_T2_T3_mT4_P12ihipStream_tbEUlT_E1_NS1_11comp_targetILNS1_3genE3ELNS1_11target_archE908ELNS1_3gpuE7ELNS1_3repE0EEENS1_30default_config_static_selectorELNS0_4arch9wavefront6targetE0EEEvSQ_,@function
_ZN7rocprim17ROCPRIM_400000_NS6detail17trampoline_kernelINS0_14default_configENS1_22reduce_config_selectorIiEEZNS1_11reduce_implILb1ES3_PiS7_iN6hipcub16HIPCUB_304000_NS6detail34convert_binary_result_type_wrapperINS9_3SumENS9_22TransformInputIteratorIbN2at6native12_GLOBAL__N_19NonZeroOpIdEEPKdlEEiEEEE10hipError_tPvRmT1_T2_T3_mT4_P12ihipStream_tbEUlT_E1_NS1_11comp_targetILNS1_3genE3ELNS1_11target_archE908ELNS1_3gpuE7ELNS1_3repE0EEENS1_30default_config_static_selectorELNS0_4arch9wavefront6targetE0EEEvSQ_: ; @_ZN7rocprim17ROCPRIM_400000_NS6detail17trampoline_kernelINS0_14default_configENS1_22reduce_config_selectorIiEEZNS1_11reduce_implILb1ES3_PiS7_iN6hipcub16HIPCUB_304000_NS6detail34convert_binary_result_type_wrapperINS9_3SumENS9_22TransformInputIteratorIbN2at6native12_GLOBAL__N_19NonZeroOpIdEEPKdlEEiEEEE10hipError_tPvRmT1_T2_T3_mT4_P12ihipStream_tbEUlT_E1_NS1_11comp_targetILNS1_3genE3ELNS1_11target_archE908ELNS1_3gpuE7ELNS1_3repE0EEENS1_30default_config_static_selectorELNS0_4arch9wavefront6targetE0EEEvSQ_
; %bb.0:
	.section	.rodata,"a",@progbits
	.p2align	6, 0x0
	.amdhsa_kernel _ZN7rocprim17ROCPRIM_400000_NS6detail17trampoline_kernelINS0_14default_configENS1_22reduce_config_selectorIiEEZNS1_11reduce_implILb1ES3_PiS7_iN6hipcub16HIPCUB_304000_NS6detail34convert_binary_result_type_wrapperINS9_3SumENS9_22TransformInputIteratorIbN2at6native12_GLOBAL__N_19NonZeroOpIdEEPKdlEEiEEEE10hipError_tPvRmT1_T2_T3_mT4_P12ihipStream_tbEUlT_E1_NS1_11comp_targetILNS1_3genE3ELNS1_11target_archE908ELNS1_3gpuE7ELNS1_3repE0EEENS1_30default_config_static_selectorELNS0_4arch9wavefront6targetE0EEEvSQ_
		.amdhsa_group_segment_fixed_size 0
		.amdhsa_private_segment_fixed_size 0
		.amdhsa_kernarg_size 40
		.amdhsa_user_sgpr_count 15
		.amdhsa_user_sgpr_dispatch_ptr 0
		.amdhsa_user_sgpr_queue_ptr 0
		.amdhsa_user_sgpr_kernarg_segment_ptr 1
		.amdhsa_user_sgpr_dispatch_id 0
		.amdhsa_user_sgpr_private_segment_size 0
		.amdhsa_wavefront_size32 1
		.amdhsa_uses_dynamic_stack 0
		.amdhsa_enable_private_segment 0
		.amdhsa_system_sgpr_workgroup_id_x 1
		.amdhsa_system_sgpr_workgroup_id_y 0
		.amdhsa_system_sgpr_workgroup_id_z 0
		.amdhsa_system_sgpr_workgroup_info 0
		.amdhsa_system_vgpr_workitem_id 0
		.amdhsa_next_free_vgpr 1
		.amdhsa_next_free_sgpr 1
		.amdhsa_reserve_vcc 0
		.amdhsa_float_round_mode_32 0
		.amdhsa_float_round_mode_16_64 0
		.amdhsa_float_denorm_mode_32 3
		.amdhsa_float_denorm_mode_16_64 3
		.amdhsa_dx10_clamp 1
		.amdhsa_ieee_mode 1
		.amdhsa_fp16_overflow 0
		.amdhsa_workgroup_processor_mode 1
		.amdhsa_memory_ordered 1
		.amdhsa_forward_progress 0
		.amdhsa_shared_vgpr_count 0
		.amdhsa_exception_fp_ieee_invalid_op 0
		.amdhsa_exception_fp_denorm_src 0
		.amdhsa_exception_fp_ieee_div_zero 0
		.amdhsa_exception_fp_ieee_overflow 0
		.amdhsa_exception_fp_ieee_underflow 0
		.amdhsa_exception_fp_ieee_inexact 0
		.amdhsa_exception_int_div_zero 0
	.end_amdhsa_kernel
	.section	.text._ZN7rocprim17ROCPRIM_400000_NS6detail17trampoline_kernelINS0_14default_configENS1_22reduce_config_selectorIiEEZNS1_11reduce_implILb1ES3_PiS7_iN6hipcub16HIPCUB_304000_NS6detail34convert_binary_result_type_wrapperINS9_3SumENS9_22TransformInputIteratorIbN2at6native12_GLOBAL__N_19NonZeroOpIdEEPKdlEEiEEEE10hipError_tPvRmT1_T2_T3_mT4_P12ihipStream_tbEUlT_E1_NS1_11comp_targetILNS1_3genE3ELNS1_11target_archE908ELNS1_3gpuE7ELNS1_3repE0EEENS1_30default_config_static_selectorELNS0_4arch9wavefront6targetE0EEEvSQ_,"axG",@progbits,_ZN7rocprim17ROCPRIM_400000_NS6detail17trampoline_kernelINS0_14default_configENS1_22reduce_config_selectorIiEEZNS1_11reduce_implILb1ES3_PiS7_iN6hipcub16HIPCUB_304000_NS6detail34convert_binary_result_type_wrapperINS9_3SumENS9_22TransformInputIteratorIbN2at6native12_GLOBAL__N_19NonZeroOpIdEEPKdlEEiEEEE10hipError_tPvRmT1_T2_T3_mT4_P12ihipStream_tbEUlT_E1_NS1_11comp_targetILNS1_3genE3ELNS1_11target_archE908ELNS1_3gpuE7ELNS1_3repE0EEENS1_30default_config_static_selectorELNS0_4arch9wavefront6targetE0EEEvSQ_,comdat
.Lfunc_end366:
	.size	_ZN7rocprim17ROCPRIM_400000_NS6detail17trampoline_kernelINS0_14default_configENS1_22reduce_config_selectorIiEEZNS1_11reduce_implILb1ES3_PiS7_iN6hipcub16HIPCUB_304000_NS6detail34convert_binary_result_type_wrapperINS9_3SumENS9_22TransformInputIteratorIbN2at6native12_GLOBAL__N_19NonZeroOpIdEEPKdlEEiEEEE10hipError_tPvRmT1_T2_T3_mT4_P12ihipStream_tbEUlT_E1_NS1_11comp_targetILNS1_3genE3ELNS1_11target_archE908ELNS1_3gpuE7ELNS1_3repE0EEENS1_30default_config_static_selectorELNS0_4arch9wavefront6targetE0EEEvSQ_, .Lfunc_end366-_ZN7rocprim17ROCPRIM_400000_NS6detail17trampoline_kernelINS0_14default_configENS1_22reduce_config_selectorIiEEZNS1_11reduce_implILb1ES3_PiS7_iN6hipcub16HIPCUB_304000_NS6detail34convert_binary_result_type_wrapperINS9_3SumENS9_22TransformInputIteratorIbN2at6native12_GLOBAL__N_19NonZeroOpIdEEPKdlEEiEEEE10hipError_tPvRmT1_T2_T3_mT4_P12ihipStream_tbEUlT_E1_NS1_11comp_targetILNS1_3genE3ELNS1_11target_archE908ELNS1_3gpuE7ELNS1_3repE0EEENS1_30default_config_static_selectorELNS0_4arch9wavefront6targetE0EEEvSQ_
                                        ; -- End function
	.section	.AMDGPU.csdata,"",@progbits
; Kernel info:
; codeLenInByte = 0
; NumSgprs: 0
; NumVgprs: 0
; ScratchSize: 0
; MemoryBound: 0
; FloatMode: 240
; IeeeMode: 1
; LDSByteSize: 0 bytes/workgroup (compile time only)
; SGPRBlocks: 0
; VGPRBlocks: 0
; NumSGPRsForWavesPerEU: 1
; NumVGPRsForWavesPerEU: 1
; Occupancy: 16
; WaveLimiterHint : 0
; COMPUTE_PGM_RSRC2:SCRATCH_EN: 0
; COMPUTE_PGM_RSRC2:USER_SGPR: 15
; COMPUTE_PGM_RSRC2:TRAP_HANDLER: 0
; COMPUTE_PGM_RSRC2:TGID_X_EN: 1
; COMPUTE_PGM_RSRC2:TGID_Y_EN: 0
; COMPUTE_PGM_RSRC2:TGID_Z_EN: 0
; COMPUTE_PGM_RSRC2:TIDIG_COMP_CNT: 0
	.section	.text._ZN7rocprim17ROCPRIM_400000_NS6detail17trampoline_kernelINS0_14default_configENS1_22reduce_config_selectorIiEEZNS1_11reduce_implILb1ES3_PiS7_iN6hipcub16HIPCUB_304000_NS6detail34convert_binary_result_type_wrapperINS9_3SumENS9_22TransformInputIteratorIbN2at6native12_GLOBAL__N_19NonZeroOpIdEEPKdlEEiEEEE10hipError_tPvRmT1_T2_T3_mT4_P12ihipStream_tbEUlT_E1_NS1_11comp_targetILNS1_3genE2ELNS1_11target_archE906ELNS1_3gpuE6ELNS1_3repE0EEENS1_30default_config_static_selectorELNS0_4arch9wavefront6targetE0EEEvSQ_,"axG",@progbits,_ZN7rocprim17ROCPRIM_400000_NS6detail17trampoline_kernelINS0_14default_configENS1_22reduce_config_selectorIiEEZNS1_11reduce_implILb1ES3_PiS7_iN6hipcub16HIPCUB_304000_NS6detail34convert_binary_result_type_wrapperINS9_3SumENS9_22TransformInputIteratorIbN2at6native12_GLOBAL__N_19NonZeroOpIdEEPKdlEEiEEEE10hipError_tPvRmT1_T2_T3_mT4_P12ihipStream_tbEUlT_E1_NS1_11comp_targetILNS1_3genE2ELNS1_11target_archE906ELNS1_3gpuE6ELNS1_3repE0EEENS1_30default_config_static_selectorELNS0_4arch9wavefront6targetE0EEEvSQ_,comdat
	.globl	_ZN7rocprim17ROCPRIM_400000_NS6detail17trampoline_kernelINS0_14default_configENS1_22reduce_config_selectorIiEEZNS1_11reduce_implILb1ES3_PiS7_iN6hipcub16HIPCUB_304000_NS6detail34convert_binary_result_type_wrapperINS9_3SumENS9_22TransformInputIteratorIbN2at6native12_GLOBAL__N_19NonZeroOpIdEEPKdlEEiEEEE10hipError_tPvRmT1_T2_T3_mT4_P12ihipStream_tbEUlT_E1_NS1_11comp_targetILNS1_3genE2ELNS1_11target_archE906ELNS1_3gpuE6ELNS1_3repE0EEENS1_30default_config_static_selectorELNS0_4arch9wavefront6targetE0EEEvSQ_ ; -- Begin function _ZN7rocprim17ROCPRIM_400000_NS6detail17trampoline_kernelINS0_14default_configENS1_22reduce_config_selectorIiEEZNS1_11reduce_implILb1ES3_PiS7_iN6hipcub16HIPCUB_304000_NS6detail34convert_binary_result_type_wrapperINS9_3SumENS9_22TransformInputIteratorIbN2at6native12_GLOBAL__N_19NonZeroOpIdEEPKdlEEiEEEE10hipError_tPvRmT1_T2_T3_mT4_P12ihipStream_tbEUlT_E1_NS1_11comp_targetILNS1_3genE2ELNS1_11target_archE906ELNS1_3gpuE6ELNS1_3repE0EEENS1_30default_config_static_selectorELNS0_4arch9wavefront6targetE0EEEvSQ_
	.p2align	8
	.type	_ZN7rocprim17ROCPRIM_400000_NS6detail17trampoline_kernelINS0_14default_configENS1_22reduce_config_selectorIiEEZNS1_11reduce_implILb1ES3_PiS7_iN6hipcub16HIPCUB_304000_NS6detail34convert_binary_result_type_wrapperINS9_3SumENS9_22TransformInputIteratorIbN2at6native12_GLOBAL__N_19NonZeroOpIdEEPKdlEEiEEEE10hipError_tPvRmT1_T2_T3_mT4_P12ihipStream_tbEUlT_E1_NS1_11comp_targetILNS1_3genE2ELNS1_11target_archE906ELNS1_3gpuE6ELNS1_3repE0EEENS1_30default_config_static_selectorELNS0_4arch9wavefront6targetE0EEEvSQ_,@function
_ZN7rocprim17ROCPRIM_400000_NS6detail17trampoline_kernelINS0_14default_configENS1_22reduce_config_selectorIiEEZNS1_11reduce_implILb1ES3_PiS7_iN6hipcub16HIPCUB_304000_NS6detail34convert_binary_result_type_wrapperINS9_3SumENS9_22TransformInputIteratorIbN2at6native12_GLOBAL__N_19NonZeroOpIdEEPKdlEEiEEEE10hipError_tPvRmT1_T2_T3_mT4_P12ihipStream_tbEUlT_E1_NS1_11comp_targetILNS1_3genE2ELNS1_11target_archE906ELNS1_3gpuE6ELNS1_3repE0EEENS1_30default_config_static_selectorELNS0_4arch9wavefront6targetE0EEEvSQ_: ; @_ZN7rocprim17ROCPRIM_400000_NS6detail17trampoline_kernelINS0_14default_configENS1_22reduce_config_selectorIiEEZNS1_11reduce_implILb1ES3_PiS7_iN6hipcub16HIPCUB_304000_NS6detail34convert_binary_result_type_wrapperINS9_3SumENS9_22TransformInputIteratorIbN2at6native12_GLOBAL__N_19NonZeroOpIdEEPKdlEEiEEEE10hipError_tPvRmT1_T2_T3_mT4_P12ihipStream_tbEUlT_E1_NS1_11comp_targetILNS1_3genE2ELNS1_11target_archE906ELNS1_3gpuE6ELNS1_3repE0EEENS1_30default_config_static_selectorELNS0_4arch9wavefront6targetE0EEEvSQ_
; %bb.0:
	.section	.rodata,"a",@progbits
	.p2align	6, 0x0
	.amdhsa_kernel _ZN7rocprim17ROCPRIM_400000_NS6detail17trampoline_kernelINS0_14default_configENS1_22reduce_config_selectorIiEEZNS1_11reduce_implILb1ES3_PiS7_iN6hipcub16HIPCUB_304000_NS6detail34convert_binary_result_type_wrapperINS9_3SumENS9_22TransformInputIteratorIbN2at6native12_GLOBAL__N_19NonZeroOpIdEEPKdlEEiEEEE10hipError_tPvRmT1_T2_T3_mT4_P12ihipStream_tbEUlT_E1_NS1_11comp_targetILNS1_3genE2ELNS1_11target_archE906ELNS1_3gpuE6ELNS1_3repE0EEENS1_30default_config_static_selectorELNS0_4arch9wavefront6targetE0EEEvSQ_
		.amdhsa_group_segment_fixed_size 0
		.amdhsa_private_segment_fixed_size 0
		.amdhsa_kernarg_size 40
		.amdhsa_user_sgpr_count 15
		.amdhsa_user_sgpr_dispatch_ptr 0
		.amdhsa_user_sgpr_queue_ptr 0
		.amdhsa_user_sgpr_kernarg_segment_ptr 1
		.amdhsa_user_sgpr_dispatch_id 0
		.amdhsa_user_sgpr_private_segment_size 0
		.amdhsa_wavefront_size32 1
		.amdhsa_uses_dynamic_stack 0
		.amdhsa_enable_private_segment 0
		.amdhsa_system_sgpr_workgroup_id_x 1
		.amdhsa_system_sgpr_workgroup_id_y 0
		.amdhsa_system_sgpr_workgroup_id_z 0
		.amdhsa_system_sgpr_workgroup_info 0
		.amdhsa_system_vgpr_workitem_id 0
		.amdhsa_next_free_vgpr 1
		.amdhsa_next_free_sgpr 1
		.amdhsa_reserve_vcc 0
		.amdhsa_float_round_mode_32 0
		.amdhsa_float_round_mode_16_64 0
		.amdhsa_float_denorm_mode_32 3
		.amdhsa_float_denorm_mode_16_64 3
		.amdhsa_dx10_clamp 1
		.amdhsa_ieee_mode 1
		.amdhsa_fp16_overflow 0
		.amdhsa_workgroup_processor_mode 1
		.amdhsa_memory_ordered 1
		.amdhsa_forward_progress 0
		.amdhsa_shared_vgpr_count 0
		.amdhsa_exception_fp_ieee_invalid_op 0
		.amdhsa_exception_fp_denorm_src 0
		.amdhsa_exception_fp_ieee_div_zero 0
		.amdhsa_exception_fp_ieee_overflow 0
		.amdhsa_exception_fp_ieee_underflow 0
		.amdhsa_exception_fp_ieee_inexact 0
		.amdhsa_exception_int_div_zero 0
	.end_amdhsa_kernel
	.section	.text._ZN7rocprim17ROCPRIM_400000_NS6detail17trampoline_kernelINS0_14default_configENS1_22reduce_config_selectorIiEEZNS1_11reduce_implILb1ES3_PiS7_iN6hipcub16HIPCUB_304000_NS6detail34convert_binary_result_type_wrapperINS9_3SumENS9_22TransformInputIteratorIbN2at6native12_GLOBAL__N_19NonZeroOpIdEEPKdlEEiEEEE10hipError_tPvRmT1_T2_T3_mT4_P12ihipStream_tbEUlT_E1_NS1_11comp_targetILNS1_3genE2ELNS1_11target_archE906ELNS1_3gpuE6ELNS1_3repE0EEENS1_30default_config_static_selectorELNS0_4arch9wavefront6targetE0EEEvSQ_,"axG",@progbits,_ZN7rocprim17ROCPRIM_400000_NS6detail17trampoline_kernelINS0_14default_configENS1_22reduce_config_selectorIiEEZNS1_11reduce_implILb1ES3_PiS7_iN6hipcub16HIPCUB_304000_NS6detail34convert_binary_result_type_wrapperINS9_3SumENS9_22TransformInputIteratorIbN2at6native12_GLOBAL__N_19NonZeroOpIdEEPKdlEEiEEEE10hipError_tPvRmT1_T2_T3_mT4_P12ihipStream_tbEUlT_E1_NS1_11comp_targetILNS1_3genE2ELNS1_11target_archE906ELNS1_3gpuE6ELNS1_3repE0EEENS1_30default_config_static_selectorELNS0_4arch9wavefront6targetE0EEEvSQ_,comdat
.Lfunc_end367:
	.size	_ZN7rocprim17ROCPRIM_400000_NS6detail17trampoline_kernelINS0_14default_configENS1_22reduce_config_selectorIiEEZNS1_11reduce_implILb1ES3_PiS7_iN6hipcub16HIPCUB_304000_NS6detail34convert_binary_result_type_wrapperINS9_3SumENS9_22TransformInputIteratorIbN2at6native12_GLOBAL__N_19NonZeroOpIdEEPKdlEEiEEEE10hipError_tPvRmT1_T2_T3_mT4_P12ihipStream_tbEUlT_E1_NS1_11comp_targetILNS1_3genE2ELNS1_11target_archE906ELNS1_3gpuE6ELNS1_3repE0EEENS1_30default_config_static_selectorELNS0_4arch9wavefront6targetE0EEEvSQ_, .Lfunc_end367-_ZN7rocprim17ROCPRIM_400000_NS6detail17trampoline_kernelINS0_14default_configENS1_22reduce_config_selectorIiEEZNS1_11reduce_implILb1ES3_PiS7_iN6hipcub16HIPCUB_304000_NS6detail34convert_binary_result_type_wrapperINS9_3SumENS9_22TransformInputIteratorIbN2at6native12_GLOBAL__N_19NonZeroOpIdEEPKdlEEiEEEE10hipError_tPvRmT1_T2_T3_mT4_P12ihipStream_tbEUlT_E1_NS1_11comp_targetILNS1_3genE2ELNS1_11target_archE906ELNS1_3gpuE6ELNS1_3repE0EEENS1_30default_config_static_selectorELNS0_4arch9wavefront6targetE0EEEvSQ_
                                        ; -- End function
	.section	.AMDGPU.csdata,"",@progbits
; Kernel info:
; codeLenInByte = 0
; NumSgprs: 0
; NumVgprs: 0
; ScratchSize: 0
; MemoryBound: 0
; FloatMode: 240
; IeeeMode: 1
; LDSByteSize: 0 bytes/workgroup (compile time only)
; SGPRBlocks: 0
; VGPRBlocks: 0
; NumSGPRsForWavesPerEU: 1
; NumVGPRsForWavesPerEU: 1
; Occupancy: 16
; WaveLimiterHint : 0
; COMPUTE_PGM_RSRC2:SCRATCH_EN: 0
; COMPUTE_PGM_RSRC2:USER_SGPR: 15
; COMPUTE_PGM_RSRC2:TRAP_HANDLER: 0
; COMPUTE_PGM_RSRC2:TGID_X_EN: 1
; COMPUTE_PGM_RSRC2:TGID_Y_EN: 0
; COMPUTE_PGM_RSRC2:TGID_Z_EN: 0
; COMPUTE_PGM_RSRC2:TIDIG_COMP_CNT: 0
	.section	.text._ZN7rocprim17ROCPRIM_400000_NS6detail17trampoline_kernelINS0_14default_configENS1_22reduce_config_selectorIiEEZNS1_11reduce_implILb1ES3_PiS7_iN6hipcub16HIPCUB_304000_NS6detail34convert_binary_result_type_wrapperINS9_3SumENS9_22TransformInputIteratorIbN2at6native12_GLOBAL__N_19NonZeroOpIdEEPKdlEEiEEEE10hipError_tPvRmT1_T2_T3_mT4_P12ihipStream_tbEUlT_E1_NS1_11comp_targetILNS1_3genE10ELNS1_11target_archE1201ELNS1_3gpuE5ELNS1_3repE0EEENS1_30default_config_static_selectorELNS0_4arch9wavefront6targetE0EEEvSQ_,"axG",@progbits,_ZN7rocprim17ROCPRIM_400000_NS6detail17trampoline_kernelINS0_14default_configENS1_22reduce_config_selectorIiEEZNS1_11reduce_implILb1ES3_PiS7_iN6hipcub16HIPCUB_304000_NS6detail34convert_binary_result_type_wrapperINS9_3SumENS9_22TransformInputIteratorIbN2at6native12_GLOBAL__N_19NonZeroOpIdEEPKdlEEiEEEE10hipError_tPvRmT1_T2_T3_mT4_P12ihipStream_tbEUlT_E1_NS1_11comp_targetILNS1_3genE10ELNS1_11target_archE1201ELNS1_3gpuE5ELNS1_3repE0EEENS1_30default_config_static_selectorELNS0_4arch9wavefront6targetE0EEEvSQ_,comdat
	.globl	_ZN7rocprim17ROCPRIM_400000_NS6detail17trampoline_kernelINS0_14default_configENS1_22reduce_config_selectorIiEEZNS1_11reduce_implILb1ES3_PiS7_iN6hipcub16HIPCUB_304000_NS6detail34convert_binary_result_type_wrapperINS9_3SumENS9_22TransformInputIteratorIbN2at6native12_GLOBAL__N_19NonZeroOpIdEEPKdlEEiEEEE10hipError_tPvRmT1_T2_T3_mT4_P12ihipStream_tbEUlT_E1_NS1_11comp_targetILNS1_3genE10ELNS1_11target_archE1201ELNS1_3gpuE5ELNS1_3repE0EEENS1_30default_config_static_selectorELNS0_4arch9wavefront6targetE0EEEvSQ_ ; -- Begin function _ZN7rocprim17ROCPRIM_400000_NS6detail17trampoline_kernelINS0_14default_configENS1_22reduce_config_selectorIiEEZNS1_11reduce_implILb1ES3_PiS7_iN6hipcub16HIPCUB_304000_NS6detail34convert_binary_result_type_wrapperINS9_3SumENS9_22TransformInputIteratorIbN2at6native12_GLOBAL__N_19NonZeroOpIdEEPKdlEEiEEEE10hipError_tPvRmT1_T2_T3_mT4_P12ihipStream_tbEUlT_E1_NS1_11comp_targetILNS1_3genE10ELNS1_11target_archE1201ELNS1_3gpuE5ELNS1_3repE0EEENS1_30default_config_static_selectorELNS0_4arch9wavefront6targetE0EEEvSQ_
	.p2align	8
	.type	_ZN7rocprim17ROCPRIM_400000_NS6detail17trampoline_kernelINS0_14default_configENS1_22reduce_config_selectorIiEEZNS1_11reduce_implILb1ES3_PiS7_iN6hipcub16HIPCUB_304000_NS6detail34convert_binary_result_type_wrapperINS9_3SumENS9_22TransformInputIteratorIbN2at6native12_GLOBAL__N_19NonZeroOpIdEEPKdlEEiEEEE10hipError_tPvRmT1_T2_T3_mT4_P12ihipStream_tbEUlT_E1_NS1_11comp_targetILNS1_3genE10ELNS1_11target_archE1201ELNS1_3gpuE5ELNS1_3repE0EEENS1_30default_config_static_selectorELNS0_4arch9wavefront6targetE0EEEvSQ_,@function
_ZN7rocprim17ROCPRIM_400000_NS6detail17trampoline_kernelINS0_14default_configENS1_22reduce_config_selectorIiEEZNS1_11reduce_implILb1ES3_PiS7_iN6hipcub16HIPCUB_304000_NS6detail34convert_binary_result_type_wrapperINS9_3SumENS9_22TransformInputIteratorIbN2at6native12_GLOBAL__N_19NonZeroOpIdEEPKdlEEiEEEE10hipError_tPvRmT1_T2_T3_mT4_P12ihipStream_tbEUlT_E1_NS1_11comp_targetILNS1_3genE10ELNS1_11target_archE1201ELNS1_3gpuE5ELNS1_3repE0EEENS1_30default_config_static_selectorELNS0_4arch9wavefront6targetE0EEEvSQ_: ; @_ZN7rocprim17ROCPRIM_400000_NS6detail17trampoline_kernelINS0_14default_configENS1_22reduce_config_selectorIiEEZNS1_11reduce_implILb1ES3_PiS7_iN6hipcub16HIPCUB_304000_NS6detail34convert_binary_result_type_wrapperINS9_3SumENS9_22TransformInputIteratorIbN2at6native12_GLOBAL__N_19NonZeroOpIdEEPKdlEEiEEEE10hipError_tPvRmT1_T2_T3_mT4_P12ihipStream_tbEUlT_E1_NS1_11comp_targetILNS1_3genE10ELNS1_11target_archE1201ELNS1_3gpuE5ELNS1_3repE0EEENS1_30default_config_static_selectorELNS0_4arch9wavefront6targetE0EEEvSQ_
; %bb.0:
	.section	.rodata,"a",@progbits
	.p2align	6, 0x0
	.amdhsa_kernel _ZN7rocprim17ROCPRIM_400000_NS6detail17trampoline_kernelINS0_14default_configENS1_22reduce_config_selectorIiEEZNS1_11reduce_implILb1ES3_PiS7_iN6hipcub16HIPCUB_304000_NS6detail34convert_binary_result_type_wrapperINS9_3SumENS9_22TransformInputIteratorIbN2at6native12_GLOBAL__N_19NonZeroOpIdEEPKdlEEiEEEE10hipError_tPvRmT1_T2_T3_mT4_P12ihipStream_tbEUlT_E1_NS1_11comp_targetILNS1_3genE10ELNS1_11target_archE1201ELNS1_3gpuE5ELNS1_3repE0EEENS1_30default_config_static_selectorELNS0_4arch9wavefront6targetE0EEEvSQ_
		.amdhsa_group_segment_fixed_size 0
		.amdhsa_private_segment_fixed_size 0
		.amdhsa_kernarg_size 40
		.amdhsa_user_sgpr_count 15
		.amdhsa_user_sgpr_dispatch_ptr 0
		.amdhsa_user_sgpr_queue_ptr 0
		.amdhsa_user_sgpr_kernarg_segment_ptr 1
		.amdhsa_user_sgpr_dispatch_id 0
		.amdhsa_user_sgpr_private_segment_size 0
		.amdhsa_wavefront_size32 1
		.amdhsa_uses_dynamic_stack 0
		.amdhsa_enable_private_segment 0
		.amdhsa_system_sgpr_workgroup_id_x 1
		.amdhsa_system_sgpr_workgroup_id_y 0
		.amdhsa_system_sgpr_workgroup_id_z 0
		.amdhsa_system_sgpr_workgroup_info 0
		.amdhsa_system_vgpr_workitem_id 0
		.amdhsa_next_free_vgpr 1
		.amdhsa_next_free_sgpr 1
		.amdhsa_reserve_vcc 0
		.amdhsa_float_round_mode_32 0
		.amdhsa_float_round_mode_16_64 0
		.amdhsa_float_denorm_mode_32 3
		.amdhsa_float_denorm_mode_16_64 3
		.amdhsa_dx10_clamp 1
		.amdhsa_ieee_mode 1
		.amdhsa_fp16_overflow 0
		.amdhsa_workgroup_processor_mode 1
		.amdhsa_memory_ordered 1
		.amdhsa_forward_progress 0
		.amdhsa_shared_vgpr_count 0
		.amdhsa_exception_fp_ieee_invalid_op 0
		.amdhsa_exception_fp_denorm_src 0
		.amdhsa_exception_fp_ieee_div_zero 0
		.amdhsa_exception_fp_ieee_overflow 0
		.amdhsa_exception_fp_ieee_underflow 0
		.amdhsa_exception_fp_ieee_inexact 0
		.amdhsa_exception_int_div_zero 0
	.end_amdhsa_kernel
	.section	.text._ZN7rocprim17ROCPRIM_400000_NS6detail17trampoline_kernelINS0_14default_configENS1_22reduce_config_selectorIiEEZNS1_11reduce_implILb1ES3_PiS7_iN6hipcub16HIPCUB_304000_NS6detail34convert_binary_result_type_wrapperINS9_3SumENS9_22TransformInputIteratorIbN2at6native12_GLOBAL__N_19NonZeroOpIdEEPKdlEEiEEEE10hipError_tPvRmT1_T2_T3_mT4_P12ihipStream_tbEUlT_E1_NS1_11comp_targetILNS1_3genE10ELNS1_11target_archE1201ELNS1_3gpuE5ELNS1_3repE0EEENS1_30default_config_static_selectorELNS0_4arch9wavefront6targetE0EEEvSQ_,"axG",@progbits,_ZN7rocprim17ROCPRIM_400000_NS6detail17trampoline_kernelINS0_14default_configENS1_22reduce_config_selectorIiEEZNS1_11reduce_implILb1ES3_PiS7_iN6hipcub16HIPCUB_304000_NS6detail34convert_binary_result_type_wrapperINS9_3SumENS9_22TransformInputIteratorIbN2at6native12_GLOBAL__N_19NonZeroOpIdEEPKdlEEiEEEE10hipError_tPvRmT1_T2_T3_mT4_P12ihipStream_tbEUlT_E1_NS1_11comp_targetILNS1_3genE10ELNS1_11target_archE1201ELNS1_3gpuE5ELNS1_3repE0EEENS1_30default_config_static_selectorELNS0_4arch9wavefront6targetE0EEEvSQ_,comdat
.Lfunc_end368:
	.size	_ZN7rocprim17ROCPRIM_400000_NS6detail17trampoline_kernelINS0_14default_configENS1_22reduce_config_selectorIiEEZNS1_11reduce_implILb1ES3_PiS7_iN6hipcub16HIPCUB_304000_NS6detail34convert_binary_result_type_wrapperINS9_3SumENS9_22TransformInputIteratorIbN2at6native12_GLOBAL__N_19NonZeroOpIdEEPKdlEEiEEEE10hipError_tPvRmT1_T2_T3_mT4_P12ihipStream_tbEUlT_E1_NS1_11comp_targetILNS1_3genE10ELNS1_11target_archE1201ELNS1_3gpuE5ELNS1_3repE0EEENS1_30default_config_static_selectorELNS0_4arch9wavefront6targetE0EEEvSQ_, .Lfunc_end368-_ZN7rocprim17ROCPRIM_400000_NS6detail17trampoline_kernelINS0_14default_configENS1_22reduce_config_selectorIiEEZNS1_11reduce_implILb1ES3_PiS7_iN6hipcub16HIPCUB_304000_NS6detail34convert_binary_result_type_wrapperINS9_3SumENS9_22TransformInputIteratorIbN2at6native12_GLOBAL__N_19NonZeroOpIdEEPKdlEEiEEEE10hipError_tPvRmT1_T2_T3_mT4_P12ihipStream_tbEUlT_E1_NS1_11comp_targetILNS1_3genE10ELNS1_11target_archE1201ELNS1_3gpuE5ELNS1_3repE0EEENS1_30default_config_static_selectorELNS0_4arch9wavefront6targetE0EEEvSQ_
                                        ; -- End function
	.section	.AMDGPU.csdata,"",@progbits
; Kernel info:
; codeLenInByte = 0
; NumSgprs: 0
; NumVgprs: 0
; ScratchSize: 0
; MemoryBound: 0
; FloatMode: 240
; IeeeMode: 1
; LDSByteSize: 0 bytes/workgroup (compile time only)
; SGPRBlocks: 0
; VGPRBlocks: 0
; NumSGPRsForWavesPerEU: 1
; NumVGPRsForWavesPerEU: 1
; Occupancy: 16
; WaveLimiterHint : 0
; COMPUTE_PGM_RSRC2:SCRATCH_EN: 0
; COMPUTE_PGM_RSRC2:USER_SGPR: 15
; COMPUTE_PGM_RSRC2:TRAP_HANDLER: 0
; COMPUTE_PGM_RSRC2:TGID_X_EN: 1
; COMPUTE_PGM_RSRC2:TGID_Y_EN: 0
; COMPUTE_PGM_RSRC2:TGID_Z_EN: 0
; COMPUTE_PGM_RSRC2:TIDIG_COMP_CNT: 0
	.section	.text._ZN7rocprim17ROCPRIM_400000_NS6detail17trampoline_kernelINS0_14default_configENS1_22reduce_config_selectorIiEEZNS1_11reduce_implILb1ES3_PiS7_iN6hipcub16HIPCUB_304000_NS6detail34convert_binary_result_type_wrapperINS9_3SumENS9_22TransformInputIteratorIbN2at6native12_GLOBAL__N_19NonZeroOpIdEEPKdlEEiEEEE10hipError_tPvRmT1_T2_T3_mT4_P12ihipStream_tbEUlT_E1_NS1_11comp_targetILNS1_3genE10ELNS1_11target_archE1200ELNS1_3gpuE4ELNS1_3repE0EEENS1_30default_config_static_selectorELNS0_4arch9wavefront6targetE0EEEvSQ_,"axG",@progbits,_ZN7rocprim17ROCPRIM_400000_NS6detail17trampoline_kernelINS0_14default_configENS1_22reduce_config_selectorIiEEZNS1_11reduce_implILb1ES3_PiS7_iN6hipcub16HIPCUB_304000_NS6detail34convert_binary_result_type_wrapperINS9_3SumENS9_22TransformInputIteratorIbN2at6native12_GLOBAL__N_19NonZeroOpIdEEPKdlEEiEEEE10hipError_tPvRmT1_T2_T3_mT4_P12ihipStream_tbEUlT_E1_NS1_11comp_targetILNS1_3genE10ELNS1_11target_archE1200ELNS1_3gpuE4ELNS1_3repE0EEENS1_30default_config_static_selectorELNS0_4arch9wavefront6targetE0EEEvSQ_,comdat
	.globl	_ZN7rocprim17ROCPRIM_400000_NS6detail17trampoline_kernelINS0_14default_configENS1_22reduce_config_selectorIiEEZNS1_11reduce_implILb1ES3_PiS7_iN6hipcub16HIPCUB_304000_NS6detail34convert_binary_result_type_wrapperINS9_3SumENS9_22TransformInputIteratorIbN2at6native12_GLOBAL__N_19NonZeroOpIdEEPKdlEEiEEEE10hipError_tPvRmT1_T2_T3_mT4_P12ihipStream_tbEUlT_E1_NS1_11comp_targetILNS1_3genE10ELNS1_11target_archE1200ELNS1_3gpuE4ELNS1_3repE0EEENS1_30default_config_static_selectorELNS0_4arch9wavefront6targetE0EEEvSQ_ ; -- Begin function _ZN7rocprim17ROCPRIM_400000_NS6detail17trampoline_kernelINS0_14default_configENS1_22reduce_config_selectorIiEEZNS1_11reduce_implILb1ES3_PiS7_iN6hipcub16HIPCUB_304000_NS6detail34convert_binary_result_type_wrapperINS9_3SumENS9_22TransformInputIteratorIbN2at6native12_GLOBAL__N_19NonZeroOpIdEEPKdlEEiEEEE10hipError_tPvRmT1_T2_T3_mT4_P12ihipStream_tbEUlT_E1_NS1_11comp_targetILNS1_3genE10ELNS1_11target_archE1200ELNS1_3gpuE4ELNS1_3repE0EEENS1_30default_config_static_selectorELNS0_4arch9wavefront6targetE0EEEvSQ_
	.p2align	8
	.type	_ZN7rocprim17ROCPRIM_400000_NS6detail17trampoline_kernelINS0_14default_configENS1_22reduce_config_selectorIiEEZNS1_11reduce_implILb1ES3_PiS7_iN6hipcub16HIPCUB_304000_NS6detail34convert_binary_result_type_wrapperINS9_3SumENS9_22TransformInputIteratorIbN2at6native12_GLOBAL__N_19NonZeroOpIdEEPKdlEEiEEEE10hipError_tPvRmT1_T2_T3_mT4_P12ihipStream_tbEUlT_E1_NS1_11comp_targetILNS1_3genE10ELNS1_11target_archE1200ELNS1_3gpuE4ELNS1_3repE0EEENS1_30default_config_static_selectorELNS0_4arch9wavefront6targetE0EEEvSQ_,@function
_ZN7rocprim17ROCPRIM_400000_NS6detail17trampoline_kernelINS0_14default_configENS1_22reduce_config_selectorIiEEZNS1_11reduce_implILb1ES3_PiS7_iN6hipcub16HIPCUB_304000_NS6detail34convert_binary_result_type_wrapperINS9_3SumENS9_22TransformInputIteratorIbN2at6native12_GLOBAL__N_19NonZeroOpIdEEPKdlEEiEEEE10hipError_tPvRmT1_T2_T3_mT4_P12ihipStream_tbEUlT_E1_NS1_11comp_targetILNS1_3genE10ELNS1_11target_archE1200ELNS1_3gpuE4ELNS1_3repE0EEENS1_30default_config_static_selectorELNS0_4arch9wavefront6targetE0EEEvSQ_: ; @_ZN7rocprim17ROCPRIM_400000_NS6detail17trampoline_kernelINS0_14default_configENS1_22reduce_config_selectorIiEEZNS1_11reduce_implILb1ES3_PiS7_iN6hipcub16HIPCUB_304000_NS6detail34convert_binary_result_type_wrapperINS9_3SumENS9_22TransformInputIteratorIbN2at6native12_GLOBAL__N_19NonZeroOpIdEEPKdlEEiEEEE10hipError_tPvRmT1_T2_T3_mT4_P12ihipStream_tbEUlT_E1_NS1_11comp_targetILNS1_3genE10ELNS1_11target_archE1200ELNS1_3gpuE4ELNS1_3repE0EEENS1_30default_config_static_selectorELNS0_4arch9wavefront6targetE0EEEvSQ_
; %bb.0:
	.section	.rodata,"a",@progbits
	.p2align	6, 0x0
	.amdhsa_kernel _ZN7rocprim17ROCPRIM_400000_NS6detail17trampoline_kernelINS0_14default_configENS1_22reduce_config_selectorIiEEZNS1_11reduce_implILb1ES3_PiS7_iN6hipcub16HIPCUB_304000_NS6detail34convert_binary_result_type_wrapperINS9_3SumENS9_22TransformInputIteratorIbN2at6native12_GLOBAL__N_19NonZeroOpIdEEPKdlEEiEEEE10hipError_tPvRmT1_T2_T3_mT4_P12ihipStream_tbEUlT_E1_NS1_11comp_targetILNS1_3genE10ELNS1_11target_archE1200ELNS1_3gpuE4ELNS1_3repE0EEENS1_30default_config_static_selectorELNS0_4arch9wavefront6targetE0EEEvSQ_
		.amdhsa_group_segment_fixed_size 0
		.amdhsa_private_segment_fixed_size 0
		.amdhsa_kernarg_size 40
		.amdhsa_user_sgpr_count 15
		.amdhsa_user_sgpr_dispatch_ptr 0
		.amdhsa_user_sgpr_queue_ptr 0
		.amdhsa_user_sgpr_kernarg_segment_ptr 1
		.amdhsa_user_sgpr_dispatch_id 0
		.amdhsa_user_sgpr_private_segment_size 0
		.amdhsa_wavefront_size32 1
		.amdhsa_uses_dynamic_stack 0
		.amdhsa_enable_private_segment 0
		.amdhsa_system_sgpr_workgroup_id_x 1
		.amdhsa_system_sgpr_workgroup_id_y 0
		.amdhsa_system_sgpr_workgroup_id_z 0
		.amdhsa_system_sgpr_workgroup_info 0
		.amdhsa_system_vgpr_workitem_id 0
		.amdhsa_next_free_vgpr 1
		.amdhsa_next_free_sgpr 1
		.amdhsa_reserve_vcc 0
		.amdhsa_float_round_mode_32 0
		.amdhsa_float_round_mode_16_64 0
		.amdhsa_float_denorm_mode_32 3
		.amdhsa_float_denorm_mode_16_64 3
		.amdhsa_dx10_clamp 1
		.amdhsa_ieee_mode 1
		.amdhsa_fp16_overflow 0
		.amdhsa_workgroup_processor_mode 1
		.amdhsa_memory_ordered 1
		.amdhsa_forward_progress 0
		.amdhsa_shared_vgpr_count 0
		.amdhsa_exception_fp_ieee_invalid_op 0
		.amdhsa_exception_fp_denorm_src 0
		.amdhsa_exception_fp_ieee_div_zero 0
		.amdhsa_exception_fp_ieee_overflow 0
		.amdhsa_exception_fp_ieee_underflow 0
		.amdhsa_exception_fp_ieee_inexact 0
		.amdhsa_exception_int_div_zero 0
	.end_amdhsa_kernel
	.section	.text._ZN7rocprim17ROCPRIM_400000_NS6detail17trampoline_kernelINS0_14default_configENS1_22reduce_config_selectorIiEEZNS1_11reduce_implILb1ES3_PiS7_iN6hipcub16HIPCUB_304000_NS6detail34convert_binary_result_type_wrapperINS9_3SumENS9_22TransformInputIteratorIbN2at6native12_GLOBAL__N_19NonZeroOpIdEEPKdlEEiEEEE10hipError_tPvRmT1_T2_T3_mT4_P12ihipStream_tbEUlT_E1_NS1_11comp_targetILNS1_3genE10ELNS1_11target_archE1200ELNS1_3gpuE4ELNS1_3repE0EEENS1_30default_config_static_selectorELNS0_4arch9wavefront6targetE0EEEvSQ_,"axG",@progbits,_ZN7rocprim17ROCPRIM_400000_NS6detail17trampoline_kernelINS0_14default_configENS1_22reduce_config_selectorIiEEZNS1_11reduce_implILb1ES3_PiS7_iN6hipcub16HIPCUB_304000_NS6detail34convert_binary_result_type_wrapperINS9_3SumENS9_22TransformInputIteratorIbN2at6native12_GLOBAL__N_19NonZeroOpIdEEPKdlEEiEEEE10hipError_tPvRmT1_T2_T3_mT4_P12ihipStream_tbEUlT_E1_NS1_11comp_targetILNS1_3genE10ELNS1_11target_archE1200ELNS1_3gpuE4ELNS1_3repE0EEENS1_30default_config_static_selectorELNS0_4arch9wavefront6targetE0EEEvSQ_,comdat
.Lfunc_end369:
	.size	_ZN7rocprim17ROCPRIM_400000_NS6detail17trampoline_kernelINS0_14default_configENS1_22reduce_config_selectorIiEEZNS1_11reduce_implILb1ES3_PiS7_iN6hipcub16HIPCUB_304000_NS6detail34convert_binary_result_type_wrapperINS9_3SumENS9_22TransformInputIteratorIbN2at6native12_GLOBAL__N_19NonZeroOpIdEEPKdlEEiEEEE10hipError_tPvRmT1_T2_T3_mT4_P12ihipStream_tbEUlT_E1_NS1_11comp_targetILNS1_3genE10ELNS1_11target_archE1200ELNS1_3gpuE4ELNS1_3repE0EEENS1_30default_config_static_selectorELNS0_4arch9wavefront6targetE0EEEvSQ_, .Lfunc_end369-_ZN7rocprim17ROCPRIM_400000_NS6detail17trampoline_kernelINS0_14default_configENS1_22reduce_config_selectorIiEEZNS1_11reduce_implILb1ES3_PiS7_iN6hipcub16HIPCUB_304000_NS6detail34convert_binary_result_type_wrapperINS9_3SumENS9_22TransformInputIteratorIbN2at6native12_GLOBAL__N_19NonZeroOpIdEEPKdlEEiEEEE10hipError_tPvRmT1_T2_T3_mT4_P12ihipStream_tbEUlT_E1_NS1_11comp_targetILNS1_3genE10ELNS1_11target_archE1200ELNS1_3gpuE4ELNS1_3repE0EEENS1_30default_config_static_selectorELNS0_4arch9wavefront6targetE0EEEvSQ_
                                        ; -- End function
	.section	.AMDGPU.csdata,"",@progbits
; Kernel info:
; codeLenInByte = 0
; NumSgprs: 0
; NumVgprs: 0
; ScratchSize: 0
; MemoryBound: 0
; FloatMode: 240
; IeeeMode: 1
; LDSByteSize: 0 bytes/workgroup (compile time only)
; SGPRBlocks: 0
; VGPRBlocks: 0
; NumSGPRsForWavesPerEU: 1
; NumVGPRsForWavesPerEU: 1
; Occupancy: 16
; WaveLimiterHint : 0
; COMPUTE_PGM_RSRC2:SCRATCH_EN: 0
; COMPUTE_PGM_RSRC2:USER_SGPR: 15
; COMPUTE_PGM_RSRC2:TRAP_HANDLER: 0
; COMPUTE_PGM_RSRC2:TGID_X_EN: 1
; COMPUTE_PGM_RSRC2:TGID_Y_EN: 0
; COMPUTE_PGM_RSRC2:TGID_Z_EN: 0
; COMPUTE_PGM_RSRC2:TIDIG_COMP_CNT: 0
	.section	.text._ZN7rocprim17ROCPRIM_400000_NS6detail17trampoline_kernelINS0_14default_configENS1_22reduce_config_selectorIiEEZNS1_11reduce_implILb1ES3_PiS7_iN6hipcub16HIPCUB_304000_NS6detail34convert_binary_result_type_wrapperINS9_3SumENS9_22TransformInputIteratorIbN2at6native12_GLOBAL__N_19NonZeroOpIdEEPKdlEEiEEEE10hipError_tPvRmT1_T2_T3_mT4_P12ihipStream_tbEUlT_E1_NS1_11comp_targetILNS1_3genE9ELNS1_11target_archE1100ELNS1_3gpuE3ELNS1_3repE0EEENS1_30default_config_static_selectorELNS0_4arch9wavefront6targetE0EEEvSQ_,"axG",@progbits,_ZN7rocprim17ROCPRIM_400000_NS6detail17trampoline_kernelINS0_14default_configENS1_22reduce_config_selectorIiEEZNS1_11reduce_implILb1ES3_PiS7_iN6hipcub16HIPCUB_304000_NS6detail34convert_binary_result_type_wrapperINS9_3SumENS9_22TransformInputIteratorIbN2at6native12_GLOBAL__N_19NonZeroOpIdEEPKdlEEiEEEE10hipError_tPvRmT1_T2_T3_mT4_P12ihipStream_tbEUlT_E1_NS1_11comp_targetILNS1_3genE9ELNS1_11target_archE1100ELNS1_3gpuE3ELNS1_3repE0EEENS1_30default_config_static_selectorELNS0_4arch9wavefront6targetE0EEEvSQ_,comdat
	.globl	_ZN7rocprim17ROCPRIM_400000_NS6detail17trampoline_kernelINS0_14default_configENS1_22reduce_config_selectorIiEEZNS1_11reduce_implILb1ES3_PiS7_iN6hipcub16HIPCUB_304000_NS6detail34convert_binary_result_type_wrapperINS9_3SumENS9_22TransformInputIteratorIbN2at6native12_GLOBAL__N_19NonZeroOpIdEEPKdlEEiEEEE10hipError_tPvRmT1_T2_T3_mT4_P12ihipStream_tbEUlT_E1_NS1_11comp_targetILNS1_3genE9ELNS1_11target_archE1100ELNS1_3gpuE3ELNS1_3repE0EEENS1_30default_config_static_selectorELNS0_4arch9wavefront6targetE0EEEvSQ_ ; -- Begin function _ZN7rocprim17ROCPRIM_400000_NS6detail17trampoline_kernelINS0_14default_configENS1_22reduce_config_selectorIiEEZNS1_11reduce_implILb1ES3_PiS7_iN6hipcub16HIPCUB_304000_NS6detail34convert_binary_result_type_wrapperINS9_3SumENS9_22TransformInputIteratorIbN2at6native12_GLOBAL__N_19NonZeroOpIdEEPKdlEEiEEEE10hipError_tPvRmT1_T2_T3_mT4_P12ihipStream_tbEUlT_E1_NS1_11comp_targetILNS1_3genE9ELNS1_11target_archE1100ELNS1_3gpuE3ELNS1_3repE0EEENS1_30default_config_static_selectorELNS0_4arch9wavefront6targetE0EEEvSQ_
	.p2align	8
	.type	_ZN7rocprim17ROCPRIM_400000_NS6detail17trampoline_kernelINS0_14default_configENS1_22reduce_config_selectorIiEEZNS1_11reduce_implILb1ES3_PiS7_iN6hipcub16HIPCUB_304000_NS6detail34convert_binary_result_type_wrapperINS9_3SumENS9_22TransformInputIteratorIbN2at6native12_GLOBAL__N_19NonZeroOpIdEEPKdlEEiEEEE10hipError_tPvRmT1_T2_T3_mT4_P12ihipStream_tbEUlT_E1_NS1_11comp_targetILNS1_3genE9ELNS1_11target_archE1100ELNS1_3gpuE3ELNS1_3repE0EEENS1_30default_config_static_selectorELNS0_4arch9wavefront6targetE0EEEvSQ_,@function
_ZN7rocprim17ROCPRIM_400000_NS6detail17trampoline_kernelINS0_14default_configENS1_22reduce_config_selectorIiEEZNS1_11reduce_implILb1ES3_PiS7_iN6hipcub16HIPCUB_304000_NS6detail34convert_binary_result_type_wrapperINS9_3SumENS9_22TransformInputIteratorIbN2at6native12_GLOBAL__N_19NonZeroOpIdEEPKdlEEiEEEE10hipError_tPvRmT1_T2_T3_mT4_P12ihipStream_tbEUlT_E1_NS1_11comp_targetILNS1_3genE9ELNS1_11target_archE1100ELNS1_3gpuE3ELNS1_3repE0EEENS1_30default_config_static_selectorELNS0_4arch9wavefront6targetE0EEEvSQ_: ; @_ZN7rocprim17ROCPRIM_400000_NS6detail17trampoline_kernelINS0_14default_configENS1_22reduce_config_selectorIiEEZNS1_11reduce_implILb1ES3_PiS7_iN6hipcub16HIPCUB_304000_NS6detail34convert_binary_result_type_wrapperINS9_3SumENS9_22TransformInputIteratorIbN2at6native12_GLOBAL__N_19NonZeroOpIdEEPKdlEEiEEEE10hipError_tPvRmT1_T2_T3_mT4_P12ihipStream_tbEUlT_E1_NS1_11comp_targetILNS1_3genE9ELNS1_11target_archE1100ELNS1_3gpuE3ELNS1_3repE0EEENS1_30default_config_static_selectorELNS0_4arch9wavefront6targetE0EEEvSQ_
; %bb.0:
	s_clause 0x1
	s_load_b32 s24, s[0:1], 0x4
	s_load_b128 s[16:19], s[0:1], 0x8
	s_mov_b32 s20, s15
	s_waitcnt lgkmcnt(0)
	s_cmp_lt_i32 s24, 8
	s_cbranch_scc1 .LBB370_11
; %bb.1:
	s_cmp_gt_i32 s24, 15
	s_cbranch_scc0 .LBB370_12
; %bb.2:
	s_cmp_gt_i32 s24, 31
	s_cbranch_scc0 .LBB370_13
; %bb.3:
	s_cmp_eq_u32 s24, 32
	s_mov_b32 s6, 0
	s_cbranch_scc0 .LBB370_14
; %bb.4:
	s_mov_b32 s21, 0
	s_lshl_b32 s4, s20, 13
	s_mov_b32 s5, s21
	s_lshr_b64 s[8:9], s[18:19], 13
	s_lshl_b64 s[2:3], s[4:5], 2
	s_delay_alu instid0(SALU_CYCLE_1)
	s_add_u32 s2, s16, s2
	s_addc_u32 s3, s17, s3
	s_cmp_lg_u64 s[8:9], s[20:21]
	s_cbranch_scc0 .LBB370_23
; %bb.5:
	v_lshlrev_b32_e32 v5, 2, v0
	s_clause 0x1
	global_load_b32 v9, v5, s[2:3]
	global_load_b32 v10, v5, s[2:3] offset:1024
	v_add_co_u32 v7, s5, s2, v5
	s_delay_alu instid0(VALU_DEP_1) | instskip(SKIP_1) | instid1(VALU_DEP_2)
	v_add_co_ci_u32_e64 v8, null, s3, 0, s5
	s_mov_b32 s5, exec_lo
	v_add_co_u32 v1, vcc_lo, 0x1000, v7
	s_delay_alu instid0(VALU_DEP_2)
	v_add_co_ci_u32_e32 v2, vcc_lo, 0, v8, vcc_lo
	s_clause 0x2
	global_load_b32 v11, v5, s[2:3] offset:2048
	global_load_b32 v12, v5, s[2:3] offset:3072
	global_load_b32 v13, v[1:2], off offset:1024
	v_add_co_u32 v3, vcc_lo, v7, 0x2000
	v_add_co_ci_u32_e32 v4, vcc_lo, 0, v8, vcc_lo
	v_add_co_u32 v5, vcc_lo, 0x2000, v7
	v_add_co_ci_u32_e32 v6, vcc_lo, 0, v8, vcc_lo
	s_clause 0x4
	global_load_b32 v14, v[3:4], off offset:-4096
	global_load_b32 v15, v[3:4], off
	global_load_b32 v16, v[1:2], off offset:2048
	global_load_b32 v17, v[1:2], off offset:3072
	;; [unrolled: 1-line block ×3, first 2 shown]
	v_add_co_u32 v1, vcc_lo, 0x3000, v7
	v_add_co_ci_u32_e32 v2, vcc_lo, 0, v8, vcc_lo
	s_clause 0x2
	global_load_b32 v19, v[5:6], off offset:2048
	global_load_b32 v20, v[5:6], off offset:3072
	;; [unrolled: 1-line block ×3, first 2 shown]
	v_add_co_u32 v3, vcc_lo, v7, 0x4000
	v_add_co_ci_u32_e32 v4, vcc_lo, 0, v8, vcc_lo
	v_add_co_u32 v5, vcc_lo, 0x4000, v7
	v_add_co_ci_u32_e32 v6, vcc_lo, 0, v8, vcc_lo
	s_clause 0x4
	global_load_b32 v22, v[3:4], off offset:-4096
	global_load_b32 v23, v[3:4], off
	global_load_b32 v24, v[1:2], off offset:2048
	global_load_b32 v25, v[1:2], off offset:3072
	;; [unrolled: 1-line block ×3, first 2 shown]
	v_add_co_u32 v1, vcc_lo, 0x5000, v7
	v_add_co_ci_u32_e32 v2, vcc_lo, 0, v8, vcc_lo
	v_add_co_u32 v3, vcc_lo, v7, 0x6000
	v_add_co_ci_u32_e32 v4, vcc_lo, 0, v8, vcc_lo
	s_clause 0x3
	global_load_b32 v27, v[5:6], off offset:2048
	global_load_b32 v28, v[5:6], off offset:3072
	global_load_b32 v29, v[3:4], off offset:-4096
	global_load_b32 v30, v[1:2], off offset:1024
	v_add_co_u32 v5, vcc_lo, 0x6000, v7
	v_add_co_ci_u32_e32 v6, vcc_lo, 0, v8, vcc_lo
	s_clause 0x3
	global_load_b32 v31, v[1:2], off offset:2048
	global_load_b32 v32, v[1:2], off offset:3072
	global_load_b32 v3, v[3:4], off
	global_load_b32 v4, v[5:6], off offset:1024
	v_add_co_u32 v1, vcc_lo, 0x7000, v7
	v_add_co_ci_u32_e32 v2, vcc_lo, 0, v8, vcc_lo
	s_clause 0x5
	global_load_b32 v7, v[5:6], off offset:2048
	global_load_b32 v5, v[5:6], off offset:3072
	global_load_b32 v6, v[1:2], off
	global_load_b32 v8, v[1:2], off offset:1024
	global_load_b32 v33, v[1:2], off offset:2048
	;; [unrolled: 1-line block ×3, first 2 shown]
	s_waitcnt vmcnt(30)
	v_add_nc_u32_e32 v2, v10, v9
	s_waitcnt vmcnt(28)
	s_delay_alu instid0(VALU_DEP_1) | instskip(SKIP_1) | instid1(VALU_DEP_1)
	v_add3_u32 v2, v2, v11, v12
	s_waitcnt vmcnt(26)
	v_add3_u32 v2, v2, v14, v13
	s_waitcnt vmcnt(23)
	s_delay_alu instid0(VALU_DEP_1) | instskip(SKIP_1) | instid1(VALU_DEP_1)
	v_add3_u32 v2, v2, v16, v17
	s_waitcnt vmcnt(22)
	v_add3_u32 v2, v2, v15, v18
	;; [unrolled: 5-line block ×6, first 2 shown]
	v_mov_b32_e32 v3, 0
	s_waitcnt vmcnt(4)
	s_delay_alu instid0(VALU_DEP_2) | instskip(SKIP_1) | instid1(VALU_DEP_1)
	v_add3_u32 v2, v2, v7, v5
	s_waitcnt vmcnt(2)
	v_add3_u32 v2, v2, v6, v8
	s_waitcnt vmcnt(0)
	s_delay_alu instid0(VALU_DEP_1) | instskip(NEXT) | instid1(VALU_DEP_1)
	v_add3_u32 v1, v2, v33, v1
	v_mov_b32_dpp v2, v1 quad_perm:[1,0,3,2] row_mask:0xf bank_mask:0xf
	s_delay_alu instid0(VALU_DEP_1) | instskip(NEXT) | instid1(VALU_DEP_1)
	v_add_nc_u32_e32 v1, v2, v1
	v_mov_b32_dpp v2, v1 quad_perm:[2,3,0,1] row_mask:0xf bank_mask:0xf
	s_delay_alu instid0(VALU_DEP_1) | instskip(NEXT) | instid1(VALU_DEP_1)
	v_add_nc_u32_e32 v1, v1, v2
	v_mov_b32_dpp v2, v1 row_ror:4 row_mask:0xf bank_mask:0xf
	s_delay_alu instid0(VALU_DEP_1) | instskip(NEXT) | instid1(VALU_DEP_1)
	v_add_nc_u32_e32 v1, v1, v2
	v_mov_b32_dpp v2, v1 row_ror:8 row_mask:0xf bank_mask:0xf
	s_delay_alu instid0(VALU_DEP_1)
	v_add_nc_u32_e32 v1, v1, v2
	ds_swizzle_b32 v2, v1 offset:swizzle(BROADCAST,32,15)
	s_waitcnt lgkmcnt(0)
	v_add_nc_u32_e32 v1, v1, v2
	v_mbcnt_lo_u32_b32 v2, -1, 0
	ds_bpermute_b32 v1, v3, v1 offset:124
	v_cmpx_eq_u32_e32 0, v2
	s_cbranch_execz .LBB370_7
; %bb.6:
	v_lshrrev_b32_e32 v3, 3, v0
	s_delay_alu instid0(VALU_DEP_1)
	v_and_b32_e32 v3, 28, v3
	s_waitcnt lgkmcnt(0)
	ds_store_b32 v3, v1 offset:96
.LBB370_7:
	s_or_b32 exec_lo, exec_lo, s5
	s_delay_alu instid0(SALU_CYCLE_1)
	s_mov_b32 s5, exec_lo
	s_waitcnt lgkmcnt(0)
	s_barrier
	buffer_gl0_inv
	v_cmpx_gt_u32_e32 32, v0
	s_cbranch_execz .LBB370_9
; %bb.8:
	v_lshl_or_b32 v1, v2, 2, 0x60
	v_and_b32_e32 v3, 7, v2
	ds_load_b32 v1, v1
	v_cmp_ne_u32_e32 vcc_lo, 7, v3
	v_add_co_ci_u32_e32 v4, vcc_lo, 0, v2, vcc_lo
	v_cmp_gt_u32_e32 vcc_lo, 6, v3
	s_delay_alu instid0(VALU_DEP_2) | instskip(SKIP_2) | instid1(VALU_DEP_2)
	v_lshlrev_b32_e32 v4, 2, v4
	v_cndmask_b32_e64 v5, 0, 1, vcc_lo
	v_cmp_gt_u32_e32 vcc_lo, 4, v3
	v_lshlrev_b32_e32 v5, 1, v5
	v_cndmask_b32_e64 v3, 0, 1, vcc_lo
	s_waitcnt lgkmcnt(0)
	ds_bpermute_b32 v4, v4, v1
	v_add_lshl_u32 v5, v5, v2, 2
	v_lshlrev_b32_e32 v3, 2, v3
	s_delay_alu instid0(VALU_DEP_1)
	v_add_lshl_u32 v2, v3, v2, 2
	s_waitcnt lgkmcnt(0)
	v_add_nc_u32_e32 v1, v4, v1
	ds_bpermute_b32 v4, v5, v1
	s_waitcnt lgkmcnt(0)
	v_add_nc_u32_e32 v1, v4, v1
	ds_bpermute_b32 v2, v2, v1
	s_waitcnt lgkmcnt(0)
	v_add_nc_u32_e32 v1, v2, v1
.LBB370_9:
	s_or_b32 exec_lo, exec_lo, s5
.LBB370_10:
	v_cmp_eq_u32_e64 s2, 0, v0
	s_and_b32 vcc_lo, exec_lo, s6
	s_cbranch_vccnz .LBB370_15
	s_branch .LBB370_93
.LBB370_11:
	s_mov_b32 s2, 0
                                        ; implicit-def: $vgpr1
	s_cbranch_execnz .LBB370_166
	s_branch .LBB370_224
.LBB370_12:
	s_mov_b32 s2, 0
                                        ; implicit-def: $vgpr1
	s_cbranch_execnz .LBB370_134
	s_branch .LBB370_142
.LBB370_13:
	s_mov_b32 s6, -1
.LBB370_14:
	s_mov_b32 s2, 0
                                        ; implicit-def: $vgpr1
	s_and_b32 vcc_lo, exec_lo, s6
	s_cbranch_vccz .LBB370_93
.LBB370_15:
	s_cmp_eq_u32 s24, 16
	s_cbranch_scc0 .LBB370_22
; %bb.16:
	s_mov_b32 s21, 0
	s_lshl_b32 s2, s20, 12
	s_mov_b32 s3, s21
	s_lshr_b64 s[6:7], s[18:19], 12
	s_lshl_b64 s[4:5], s[2:3], 2
	s_delay_alu instid0(SALU_CYCLE_1)
	s_add_u32 s22, s16, s4
	s_addc_u32 s23, s17, s5
	s_cmp_lg_u64 s[6:7], s[20:21]
	s_cbranch_scc0 .LBB370_94
; %bb.17:
	v_lshlrev_b32_e32 v5, 2, v0
	s_clause 0x1
	global_load_b32 v9, v5, s[22:23]
	global_load_b32 v10, v5, s[22:23] offset:1024
	v_add_co_u32 v7, s3, s22, v5
	s_delay_alu instid0(VALU_DEP_1) | instskip(SKIP_1) | instid1(VALU_DEP_2)
	v_add_co_ci_u32_e64 v8, null, s23, 0, s3
	s_mov_b32 s3, exec_lo
	v_add_co_u32 v1, vcc_lo, 0x1000, v7
	s_delay_alu instid0(VALU_DEP_2)
	v_add_co_ci_u32_e32 v2, vcc_lo, 0, v8, vcc_lo
	v_add_co_u32 v3, vcc_lo, v7, 0x2000
	v_add_co_ci_u32_e32 v4, vcc_lo, 0, v8, vcc_lo
	s_clause 0x3
	global_load_b32 v11, v5, s[22:23] offset:2048
	global_load_b32 v12, v5, s[22:23] offset:3072
	global_load_b32 v13, v[3:4], off offset:-4096
	global_load_b32 v14, v[1:2], off offset:1024
	v_add_co_u32 v5, vcc_lo, 0x2000, v7
	v_add_co_ci_u32_e32 v6, vcc_lo, 0, v8, vcc_lo
	s_clause 0x3
	global_load_b32 v15, v[1:2], off offset:2048
	global_load_b32 v16, v[1:2], off offset:3072
	global_load_b32 v3, v[3:4], off
	global_load_b32 v4, v[5:6], off offset:1024
	v_add_co_u32 v1, vcc_lo, 0x3000, v7
	v_add_co_ci_u32_e32 v2, vcc_lo, 0, v8, vcc_lo
	s_clause 0x5
	global_load_b32 v7, v[5:6], off offset:2048
	global_load_b32 v5, v[5:6], off offset:3072
	global_load_b32 v6, v[1:2], off
	global_load_b32 v8, v[1:2], off offset:1024
	global_load_b32 v17, v[1:2], off offset:2048
	;; [unrolled: 1-line block ×3, first 2 shown]
	s_waitcnt vmcnt(14)
	v_add_nc_u32_e32 v2, v10, v9
	s_waitcnt vmcnt(12)
	s_delay_alu instid0(VALU_DEP_1) | instskip(SKIP_1) | instid1(VALU_DEP_1)
	v_add3_u32 v2, v2, v11, v12
	s_waitcnt vmcnt(10)
	v_add3_u32 v2, v2, v13, v14
	s_waitcnt vmcnt(8)
	s_delay_alu instid0(VALU_DEP_1) | instskip(SKIP_1) | instid1(VALU_DEP_1)
	v_add3_u32 v2, v2, v15, v16
	s_waitcnt vmcnt(6)
	v_add3_u32 v2, v2, v3, v4
	v_mov_b32_e32 v3, 0
	s_waitcnt vmcnt(4)
	s_delay_alu instid0(VALU_DEP_2) | instskip(SKIP_1) | instid1(VALU_DEP_1)
	v_add3_u32 v2, v2, v7, v5
	s_waitcnt vmcnt(2)
	v_add3_u32 v2, v2, v6, v8
	s_waitcnt vmcnt(0)
	s_delay_alu instid0(VALU_DEP_1) | instskip(NEXT) | instid1(VALU_DEP_1)
	v_add3_u32 v1, v2, v17, v1
	v_mov_b32_dpp v2, v1 quad_perm:[1,0,3,2] row_mask:0xf bank_mask:0xf
	s_delay_alu instid0(VALU_DEP_1) | instskip(NEXT) | instid1(VALU_DEP_1)
	v_add_nc_u32_e32 v1, v2, v1
	v_mov_b32_dpp v2, v1 quad_perm:[2,3,0,1] row_mask:0xf bank_mask:0xf
	s_delay_alu instid0(VALU_DEP_1) | instskip(NEXT) | instid1(VALU_DEP_1)
	v_add_nc_u32_e32 v1, v1, v2
	v_mov_b32_dpp v2, v1 row_ror:4 row_mask:0xf bank_mask:0xf
	s_delay_alu instid0(VALU_DEP_1) | instskip(NEXT) | instid1(VALU_DEP_1)
	v_add_nc_u32_e32 v1, v1, v2
	v_mov_b32_dpp v2, v1 row_ror:8 row_mask:0xf bank_mask:0xf
	s_delay_alu instid0(VALU_DEP_1)
	v_add_nc_u32_e32 v1, v1, v2
	ds_swizzle_b32 v2, v1 offset:swizzle(BROADCAST,32,15)
	s_waitcnt lgkmcnt(0)
	v_add_nc_u32_e32 v1, v1, v2
	v_mbcnt_lo_u32_b32 v2, -1, 0
	ds_bpermute_b32 v1, v3, v1 offset:124
	v_cmpx_eq_u32_e32 0, v2
	s_cbranch_execz .LBB370_19
; %bb.18:
	v_lshrrev_b32_e32 v3, 3, v0
	s_delay_alu instid0(VALU_DEP_1)
	v_and_b32_e32 v3, 28, v3
	s_waitcnt lgkmcnt(0)
	ds_store_b32 v3, v1
.LBB370_19:
	s_or_b32 exec_lo, exec_lo, s3
	s_delay_alu instid0(SALU_CYCLE_1)
	s_mov_b32 s3, exec_lo
	s_waitcnt lgkmcnt(0)
	s_barrier
	buffer_gl0_inv
	v_cmpx_gt_u32_e32 32, v0
	s_cbranch_execz .LBB370_21
; %bb.20:
	v_and_b32_e32 v1, 7, v2
	s_delay_alu instid0(VALU_DEP_1) | instskip(SKIP_4) | instid1(VALU_DEP_2)
	v_lshlrev_b32_e32 v3, 2, v1
	v_cmp_ne_u32_e32 vcc_lo, 7, v1
	ds_load_b32 v3, v3
	v_add_co_ci_u32_e32 v4, vcc_lo, 0, v2, vcc_lo
	v_cmp_gt_u32_e32 vcc_lo, 6, v1
	v_lshlrev_b32_e32 v4, 2, v4
	v_cndmask_b32_e64 v5, 0, 1, vcc_lo
	v_cmp_gt_u32_e32 vcc_lo, 4, v1
	s_delay_alu instid0(VALU_DEP_2) | instskip(SKIP_1) | instid1(VALU_DEP_2)
	v_lshlrev_b32_e32 v5, 1, v5
	v_cndmask_b32_e64 v1, 0, 1, vcc_lo
	v_add_lshl_u32 v5, v5, v2, 2
	s_delay_alu instid0(VALU_DEP_2)
	v_lshlrev_b32_e32 v1, 2, v1
	s_waitcnt lgkmcnt(0)
	ds_bpermute_b32 v4, v4, v3
	v_add_lshl_u32 v1, v1, v2, 2
	s_waitcnt lgkmcnt(0)
	v_add_nc_u32_e32 v3, v4, v3
	ds_bpermute_b32 v4, v5, v3
	s_waitcnt lgkmcnt(0)
	v_add_nc_u32_e32 v3, v4, v3
	ds_bpermute_b32 v1, v1, v3
	s_waitcnt lgkmcnt(0)
	v_add_nc_u32_e32 v1, v1, v3
.LBB370_21:
	s_or_b32 exec_lo, exec_lo, s3
	s_mov_b32 s3, 0
	s_branch .LBB370_95
.LBB370_22:
                                        ; implicit-def: $vgpr1
	s_branch .LBB370_142
.LBB370_23:
                                        ; implicit-def: $vgpr1
	s_cbranch_execz .LBB370_10
; %bb.24:
	s_sub_i32 s4, s18, s4
	s_mov_b32 s5, exec_lo
                                        ; implicit-def: $vgpr1
	v_cmpx_gt_u32_e64 s4, v0
	s_cbranch_execz .LBB370_26
; %bb.25:
	v_lshlrev_b32_e32 v1, 2, v0
	global_load_b32 v1, v1, s[2:3]
.LBB370_26:
	s_or_b32 exec_lo, exec_lo, s5
	v_or_b32_e32 v3, 0x100, v0
	v_mov_b32_e32 v2, 0
	s_delay_alu instid0(VALU_DEP_2)
	v_cmp_gt_u32_e32 vcc_lo, s4, v3
	v_mov_b32_e32 v3, 0
	s_and_saveexec_b32 s5, vcc_lo
	s_cbranch_execz .LBB370_28
; %bb.27:
	v_lshlrev_b32_e32 v3, 2, v0
	global_load_b32 v3, v3, s[2:3] offset:1024
.LBB370_28:
	s_or_b32 exec_lo, exec_lo, s5
	v_or_b32_e32 v4, 0x200, v0
	s_mov_b32 s5, exec_lo
	s_delay_alu instid0(VALU_DEP_1)
	v_cmpx_gt_u32_e64 s4, v4
	s_cbranch_execz .LBB370_30
; %bb.29:
	v_lshlrev_b32_e32 v2, 2, v0
	global_load_b32 v2, v2, s[2:3] offset:2048
.LBB370_30:
	s_or_b32 exec_lo, exec_lo, s5
	v_or_b32_e32 v5, 0x300, v0
	v_mov_b32_e32 v4, 0
	s_delay_alu instid0(VALU_DEP_2)
	v_cmp_gt_u32_e32 vcc_lo, s4, v5
	v_mov_b32_e32 v5, 0
	s_and_saveexec_b32 s5, vcc_lo
	s_cbranch_execz .LBB370_32
; %bb.31:
	v_lshlrev_b32_e32 v5, 2, v0
	global_load_b32 v5, v5, s[2:3] offset:3072
.LBB370_32:
	s_or_b32 exec_lo, exec_lo, s5
	v_or_b32_e32 v6, 0x400, v0
	s_mov_b32 s5, exec_lo
	s_delay_alu instid0(VALU_DEP_1)
	v_cmpx_gt_u32_e64 s4, v6
	s_cbranch_execz .LBB370_34
; %bb.33:
	v_lshlrev_b32_e32 v4, 2, v6
	global_load_b32 v4, v4, s[2:3]
.LBB370_34:
	s_or_b32 exec_lo, exec_lo, s5
	v_or_b32_e32 v8, 0x500, v0
	v_dual_mov_b32 v6, 0 :: v_dual_mov_b32 v7, 0
	s_mov_b32 s5, exec_lo
	s_delay_alu instid0(VALU_DEP_2)
	v_cmpx_gt_u32_e64 s4, v8
	s_cbranch_execz .LBB370_36
; %bb.35:
	v_lshlrev_b32_e32 v7, 2, v8
	global_load_b32 v7, v7, s[2:3]
.LBB370_36:
	s_or_b32 exec_lo, exec_lo, s5
	v_or_b32_e32 v8, 0x600, v0
	s_mov_b32 s5, exec_lo
	s_delay_alu instid0(VALU_DEP_1)
	v_cmpx_gt_u32_e64 s4, v8
	s_cbranch_execz .LBB370_38
; %bb.37:
	v_lshlrev_b32_e32 v6, 2, v8
	global_load_b32 v6, v6, s[2:3]
.LBB370_38:
	s_or_b32 exec_lo, exec_lo, s5
	v_or_b32_e32 v10, 0x700, v0
	v_dual_mov_b32 v8, 0 :: v_dual_mov_b32 v9, 0
	s_mov_b32 s5, exec_lo
	s_delay_alu instid0(VALU_DEP_2)
	v_cmpx_gt_u32_e64 s4, v10
	s_cbranch_execz .LBB370_40
; %bb.39:
	v_lshlrev_b32_e32 v9, 2, v10
	global_load_b32 v9, v9, s[2:3]
.LBB370_40:
	;; [unrolled: 21-line block ×13, first 2 shown]
	s_or_b32 exec_lo, exec_lo, s5
	v_or_b32_e32 v32, 0x1e00, v0
	s_mov_b32 s5, exec_lo
	s_delay_alu instid0(VALU_DEP_1)
	v_cmpx_gt_u32_e64 s4, v32
	s_cbranch_execz .LBB370_86
; %bb.85:
	v_lshlrev_b32_e32 v30, 2, v32
	global_load_b32 v30, v30, s[2:3]
.LBB370_86:
	s_or_b32 exec_lo, exec_lo, s5
	v_or_b32_e32 v33, 0x1f00, v0
	v_mov_b32_e32 v32, 0
	s_mov_b32 s5, exec_lo
	s_delay_alu instid0(VALU_DEP_2)
	v_cmpx_gt_u32_e64 s4, v33
	s_cbranch_execz .LBB370_88
; %bb.87:
	v_lshlrev_b32_e32 v32, 2, v33
	global_load_b32 v32, v32, s[2:3]
.LBB370_88:
	s_or_b32 exec_lo, exec_lo, s5
	s_waitcnt vmcnt(0)
	v_add_nc_u32_e32 v1, v3, v1
	s_min_u32 s2, s4, 0x100
	s_mov_b32 s3, exec_lo
	s_delay_alu instid0(VALU_DEP_1) | instskip(SKIP_1) | instid1(VALU_DEP_2)
	v_add3_u32 v1, v1, v2, v5
	v_mbcnt_lo_u32_b32 v2, -1, 0
	v_add3_u32 v1, v1, v4, v7
	s_delay_alu instid0(VALU_DEP_2) | instskip(NEXT) | instid1(VALU_DEP_2)
	v_cmp_ne_u32_e32 vcc_lo, 31, v2
	v_add3_u32 v1, v1, v6, v9
	v_add_co_ci_u32_e32 v3, vcc_lo, 0, v2, vcc_lo
	v_cmp_gt_u32_e32 vcc_lo, 30, v2
	v_add_nc_u32_e32 v6, 1, v2
	s_delay_alu instid0(VALU_DEP_4) | instskip(NEXT) | instid1(VALU_DEP_4)
	v_add3_u32 v1, v1, v8, v11
	v_lshlrev_b32_e32 v3, 2, v3
	v_cndmask_b32_e64 v5, 0, 1, vcc_lo
	s_delay_alu instid0(VALU_DEP_3) | instskip(NEXT) | instid1(VALU_DEP_2)
	v_add3_u32 v1, v1, v10, v13
	v_lshlrev_b32_e32 v5, 1, v5
	s_delay_alu instid0(VALU_DEP_2) | instskip(NEXT) | instid1(VALU_DEP_2)
	v_add3_u32 v1, v1, v12, v15
	v_add_lshl_u32 v5, v5, v2, 2
	s_delay_alu instid0(VALU_DEP_2) | instskip(NEXT) | instid1(VALU_DEP_1)
	v_add3_u32 v1, v1, v14, v17
	v_add3_u32 v1, v1, v16, v19
	s_delay_alu instid0(VALU_DEP_1) | instskip(NEXT) | instid1(VALU_DEP_1)
	v_add3_u32 v1, v1, v18, v21
	v_add3_u32 v1, v1, v20, v23
	s_delay_alu instid0(VALU_DEP_1) | instskip(NEXT) | instid1(VALU_DEP_1)
	v_add3_u32 v1, v1, v22, v25
	v_add3_u32 v1, v1, v24, v27
	s_delay_alu instid0(VALU_DEP_1) | instskip(NEXT) | instid1(VALU_DEP_1)
	v_add3_u32 v1, v1, v26, v29
	v_add3_u32 v1, v1, v28, v31
	s_delay_alu instid0(VALU_DEP_1) | instskip(SKIP_2) | instid1(VALU_DEP_1)
	v_add3_u32 v1, v1, v30, v32
	ds_bpermute_b32 v3, v3, v1
	v_and_b32_e32 v4, 0xe0, v0
	v_sub_nc_u32_e64 v4, s2, v4 clamp
	s_delay_alu instid0(VALU_DEP_1) | instskip(SKIP_3) | instid1(VALU_DEP_2)
	v_cmp_lt_u32_e32 vcc_lo, v6, v4
	s_waitcnt lgkmcnt(0)
	v_dual_cndmask_b32 v3, 0, v3 :: v_dual_add_nc_u32 v6, 2, v2
	v_cmp_gt_u32_e32 vcc_lo, 28, v2
	v_add_nc_u32_e32 v1, v3, v1
	ds_bpermute_b32 v3, v5, v1
	v_cndmask_b32_e64 v5, 0, 1, vcc_lo
	v_cmp_lt_u32_e32 vcc_lo, v6, v4
	v_add_nc_u32_e32 v6, 4, v2
	s_delay_alu instid0(VALU_DEP_3) | instskip(NEXT) | instid1(VALU_DEP_1)
	v_lshlrev_b32_e32 v5, 2, v5
	v_add_lshl_u32 v5, v5, v2, 2
	s_waitcnt lgkmcnt(0)
	v_cndmask_b32_e32 v3, 0, v3, vcc_lo
	v_cmp_gt_u32_e32 vcc_lo, 24, v2
	s_delay_alu instid0(VALU_DEP_2) | instskip(SKIP_4) | instid1(VALU_DEP_3)
	v_add_nc_u32_e32 v1, v1, v3
	ds_bpermute_b32 v3, v5, v1
	v_cndmask_b32_e64 v5, 0, 1, vcc_lo
	v_cmp_lt_u32_e32 vcc_lo, v6, v4
	v_add_nc_u32_e32 v6, 8, v2
	v_lshlrev_b32_e32 v5, 3, v5
	s_delay_alu instid0(VALU_DEP_1) | instskip(SKIP_3) | instid1(VALU_DEP_2)
	v_add_lshl_u32 v5, v5, v2, 2
	s_waitcnt lgkmcnt(0)
	v_cndmask_b32_e32 v3, 0, v3, vcc_lo
	v_cmp_gt_u32_e32 vcc_lo, 16, v2
	v_add_nc_u32_e32 v1, v1, v3
	ds_bpermute_b32 v3, v5, v1
	v_cndmask_b32_e64 v5, 0, 1, vcc_lo
	v_cmp_lt_u32_e32 vcc_lo, v6, v4
	s_delay_alu instid0(VALU_DEP_2) | instskip(NEXT) | instid1(VALU_DEP_1)
	v_lshlrev_b32_e32 v5, 4, v5
	v_add_lshl_u32 v5, v5, v2, 2
	s_waitcnt lgkmcnt(0)
	v_cndmask_b32_e32 v3, 0, v3, vcc_lo
	s_delay_alu instid0(VALU_DEP_1) | instskip(SKIP_2) | instid1(VALU_DEP_1)
	v_add_nc_u32_e32 v1, v1, v3
	ds_bpermute_b32 v3, v5, v1
	v_add_nc_u32_e32 v5, 16, v2
	v_cmp_lt_u32_e32 vcc_lo, v5, v4
	s_waitcnt lgkmcnt(0)
	v_cndmask_b32_e32 v3, 0, v3, vcc_lo
	s_delay_alu instid0(VALU_DEP_1)
	v_add_nc_u32_e32 v1, v1, v3
	v_cmpx_eq_u32_e32 0, v2
	s_cbranch_execz .LBB370_90
; %bb.89:
	v_lshrrev_b32_e32 v3, 3, v0
	s_delay_alu instid0(VALU_DEP_1)
	v_and_b32_e32 v3, 28, v3
	ds_store_b32 v3, v1 offset:192
.LBB370_90:
	s_or_b32 exec_lo, exec_lo, s3
	s_delay_alu instid0(SALU_CYCLE_1)
	s_mov_b32 s3, exec_lo
	s_waitcnt lgkmcnt(0)
	s_barrier
	buffer_gl0_inv
	v_cmpx_gt_u32_e32 8, v0
	s_cbranch_execz .LBB370_92
; %bb.91:
	v_and_b32_e32 v3, 7, v2
	s_add_i32 s2, s2, 31
	s_delay_alu instid0(SALU_CYCLE_1) | instskip(NEXT) | instid1(VALU_DEP_1)
	s_lshr_b32 s2, s2, 5
	v_cmp_ne_u32_e32 vcc_lo, 7, v3
	v_add_nc_u32_e32 v6, 1, v3
	v_add_co_ci_u32_e32 v4, vcc_lo, 0, v2, vcc_lo
	v_cmp_gt_u32_e32 vcc_lo, 6, v3
	s_delay_alu instid0(VALU_DEP_2) | instskip(SKIP_3) | instid1(VALU_DEP_3)
	v_lshlrev_b32_e32 v4, 2, v4
	v_cndmask_b32_e64 v5, 0, 1, vcc_lo
	v_cmp_gt_u32_e32 vcc_lo, s2, v6
	v_lshlrev_b32_e32 v1, 2, v2
	v_lshlrev_b32_e32 v5, 1, v5
	ds_load_b32 v1, v1 offset:192
	v_add_lshl_u32 v5, v5, v2, 2
	s_waitcnt lgkmcnt(0)
	ds_bpermute_b32 v4, v4, v1
	s_waitcnt lgkmcnt(0)
	v_cndmask_b32_e32 v4, 0, v4, vcc_lo
	v_cmp_gt_u32_e32 vcc_lo, 4, v3
	s_delay_alu instid0(VALU_DEP_2) | instskip(SKIP_3) | instid1(VALU_DEP_1)
	v_add_nc_u32_e32 v1, v4, v1
	v_cndmask_b32_e64 v6, 0, 1, vcc_lo
	ds_bpermute_b32 v4, v5, v1
	v_add_nc_u32_e32 v5, 2, v3
	v_cmp_gt_u32_e32 vcc_lo, s2, v5
	v_lshlrev_b32_e32 v5, 2, v6
	s_delay_alu instid0(VALU_DEP_1) | instskip(SKIP_2) | instid1(VALU_DEP_1)
	v_add_lshl_u32 v2, v5, v2, 2
	s_waitcnt lgkmcnt(0)
	v_dual_cndmask_b32 v4, 0, v4 :: v_dual_add_nc_u32 v3, 4, v3
	v_add_nc_u32_e32 v1, v1, v4
	s_delay_alu instid0(VALU_DEP_2) | instskip(SKIP_3) | instid1(VALU_DEP_1)
	v_cmp_gt_u32_e32 vcc_lo, s2, v3
	ds_bpermute_b32 v2, v2, v1
	s_waitcnt lgkmcnt(0)
	v_cndmask_b32_e32 v2, 0, v2, vcc_lo
	v_add_nc_u32_e32 v1, v1, v2
.LBB370_92:
	s_or_b32 exec_lo, exec_lo, s3
	v_cmp_eq_u32_e64 s2, 0, v0
	s_and_b32 vcc_lo, exec_lo, s6
	s_cbranch_vccnz .LBB370_15
.LBB370_93:
	s_branch .LBB370_142
.LBB370_94:
	s_mov_b32 s3, -1
                                        ; implicit-def: $vgpr1
.LBB370_95:
	s_delay_alu instid0(SALU_CYCLE_1)
	s_and_b32 vcc_lo, exec_lo, s3
	s_cbranch_vccz .LBB370_133
; %bb.96:
	s_sub_i32 s25, s18, s2
	s_mov_b32 s2, exec_lo
                                        ; implicit-def: $vgpr1_vgpr2_vgpr3_vgpr4_vgpr5_vgpr6_vgpr7_vgpr8_vgpr9_vgpr10_vgpr11_vgpr12_vgpr13_vgpr14_vgpr15_vgpr16
	v_cmpx_gt_u32_e64 s25, v0
	s_cbranch_execz .LBB370_98
; %bb.97:
	v_lshlrev_b32_e32 v1, 2, v0
	global_load_b32 v1, v1, s[22:23]
.LBB370_98:
	s_or_b32 exec_lo, exec_lo, s2
	v_or_b32_e32 v17, 0x100, v0
	s_delay_alu instid0(VALU_DEP_1)
	v_cmp_gt_u32_e32 vcc_lo, s25, v17
	s_and_saveexec_b32 s2, vcc_lo
	s_cbranch_execz .LBB370_100
; %bb.99:
	v_lshlrev_b32_e32 v2, 2, v0
	global_load_b32 v2, v2, s[22:23] offset:1024
.LBB370_100:
	s_or_b32 exec_lo, exec_lo, s2
	v_or_b32_e32 v17, 0x200, v0
	s_delay_alu instid0(VALU_DEP_1) | instskip(NEXT) | instid1(VALU_DEP_1)
	v_cmp_gt_u32_e64 s2, s25, v17
	s_and_saveexec_b32 s3, s2
	s_cbranch_execz .LBB370_102
; %bb.101:
	v_lshlrev_b32_e32 v3, 2, v0
	global_load_b32 v3, v3, s[22:23] offset:2048
.LBB370_102:
	s_or_b32 exec_lo, exec_lo, s3
	v_or_b32_e32 v17, 0x300, v0
	s_delay_alu instid0(VALU_DEP_1) | instskip(NEXT) | instid1(VALU_DEP_1)
	v_cmp_gt_u32_e64 s3, s25, v17
	s_and_saveexec_b32 s4, s3
	s_cbranch_execz .LBB370_104
; %bb.103:
	v_lshlrev_b32_e32 v4, 2, v0
	global_load_b32 v4, v4, s[22:23] offset:3072
.LBB370_104:
	s_or_b32 exec_lo, exec_lo, s4
	v_or_b32_e32 v17, 0x400, v0
	s_delay_alu instid0(VALU_DEP_1) | instskip(NEXT) | instid1(VALU_DEP_1)
	v_cmp_gt_u32_e64 s4, s25, v17
	s_and_saveexec_b32 s5, s4
	s_cbranch_execz .LBB370_106
; %bb.105:
	v_lshlrev_b32_e32 v5, 2, v17
	global_load_b32 v5, v5, s[22:23]
.LBB370_106:
	s_or_b32 exec_lo, exec_lo, s5
	v_or_b32_e32 v17, 0x500, v0
	s_delay_alu instid0(VALU_DEP_1) | instskip(NEXT) | instid1(VALU_DEP_1)
	v_cmp_gt_u32_e64 s5, s25, v17
	s_and_saveexec_b32 s6, s5
	s_cbranch_execz .LBB370_108
; %bb.107:
	v_lshlrev_b32_e32 v6, 2, v17
	global_load_b32 v6, v6, s[22:23]
.LBB370_108:
	s_or_b32 exec_lo, exec_lo, s6
	v_or_b32_e32 v17, 0x600, v0
	s_delay_alu instid0(VALU_DEP_1) | instskip(NEXT) | instid1(VALU_DEP_1)
	v_cmp_gt_u32_e64 s6, s25, v17
	s_and_saveexec_b32 s7, s6
	;; [unrolled: 10-line block ×11, first 2 shown]
	s_cbranch_execz .LBB370_128
; %bb.127:
	v_lshlrev_b32_e32 v16, 2, v17
	global_load_b32 v16, v16, s[22:23]
.LBB370_128:
	s_or_b32 exec_lo, exec_lo, s26
	s_waitcnt vmcnt(0)
	v_cndmask_b32_e32 v2, 0, v2, vcc_lo
	v_cndmask_b32_e64 v3, 0, v3, s2
	v_cndmask_b32_e64 v4, 0, v4, s3
	s_min_u32 s2, s25, 0x100
	s_mov_b32 s3, exec_lo
	v_add_nc_u32_e32 v1, v2, v1
	v_cndmask_b32_e64 v2, 0, v5, s4
	v_cndmask_b32_e64 v5, 0, v6, s5
	;; [unrolled: 1-line block ×3, first 2 shown]
	s_delay_alu instid0(VALU_DEP_4) | instskip(SKIP_3) | instid1(VALU_DEP_4)
	v_add3_u32 v1, v1, v3, v4
	v_cndmask_b32_e64 v3, 0, v7, s6
	v_cndmask_b32_e64 v4, 0, v8, s7
	;; [unrolled: 1-line block ×3, first 2 shown]
	v_add3_u32 v1, v1, v2, v5
	v_cndmask_b32_e64 v2, 0, v9, s8
	v_cndmask_b32_e64 v5, 0, v10, s9
	s_delay_alu instid0(VALU_DEP_3) | instskip(SKIP_2) | instid1(VALU_DEP_3)
	v_add3_u32 v1, v1, v3, v4
	v_cndmask_b32_e64 v3, 0, v11, s10
	v_cndmask_b32_e64 v4, 0, v12, s11
	v_add3_u32 v1, v1, v2, v5
	v_mbcnt_lo_u32_b32 v2, -1, 0
	v_cndmask_b32_e64 v5, 0, v13, s12
	s_delay_alu instid0(VALU_DEP_3) | instskip(NEXT) | instid1(VALU_DEP_3)
	v_add3_u32 v1, v1, v3, v4
	v_cmp_ne_u32_e32 vcc_lo, 31, v2
	v_cndmask_b32_e64 v3, 0, v16, s15
	s_delay_alu instid0(VALU_DEP_3) | instskip(SKIP_3) | instid1(VALU_DEP_4)
	v_add3_u32 v1, v1, v5, v6
	v_add_co_ci_u32_e32 v4, vcc_lo, 0, v2, vcc_lo
	v_cmp_gt_u32_e32 vcc_lo, 30, v2
	v_add_nc_u32_e32 v6, 1, v2
	v_add3_u32 v1, v1, v7, v3
	s_delay_alu instid0(VALU_DEP_4) | instskip(SKIP_4) | instid1(VALU_DEP_2)
	v_lshlrev_b32_e32 v4, 2, v4
	v_cndmask_b32_e64 v5, 0, 1, vcc_lo
	ds_bpermute_b32 v3, v4, v1
	v_and_b32_e32 v4, 0xe0, v0
	v_lshlrev_b32_e32 v5, 1, v5
	v_sub_nc_u32_e64 v4, s2, v4 clamp
	s_delay_alu instid0(VALU_DEP_2) | instskip(NEXT) | instid1(VALU_DEP_2)
	v_add_lshl_u32 v5, v5, v2, 2
	v_cmp_lt_u32_e32 vcc_lo, v6, v4
	s_waitcnt lgkmcnt(0)
	v_dual_cndmask_b32 v3, 0, v3 :: v_dual_add_nc_u32 v6, 2, v2
	v_cmp_gt_u32_e32 vcc_lo, 28, v2
	s_delay_alu instid0(VALU_DEP_2) | instskip(SKIP_4) | instid1(VALU_DEP_3)
	v_add_nc_u32_e32 v1, v1, v3
	ds_bpermute_b32 v3, v5, v1
	v_cndmask_b32_e64 v5, 0, 1, vcc_lo
	v_cmp_lt_u32_e32 vcc_lo, v6, v4
	v_add_nc_u32_e32 v6, 4, v2
	v_lshlrev_b32_e32 v5, 2, v5
	s_delay_alu instid0(VALU_DEP_1) | instskip(SKIP_3) | instid1(VALU_DEP_2)
	v_add_lshl_u32 v5, v5, v2, 2
	s_waitcnt lgkmcnt(0)
	v_cndmask_b32_e32 v3, 0, v3, vcc_lo
	v_cmp_gt_u32_e32 vcc_lo, 24, v2
	v_add_nc_u32_e32 v1, v1, v3
	ds_bpermute_b32 v3, v5, v1
	v_cndmask_b32_e64 v5, 0, 1, vcc_lo
	v_cmp_lt_u32_e32 vcc_lo, v6, v4
	v_add_nc_u32_e32 v6, 8, v2
	s_delay_alu instid0(VALU_DEP_3) | instskip(NEXT) | instid1(VALU_DEP_1)
	v_lshlrev_b32_e32 v5, 3, v5
	v_add_lshl_u32 v5, v5, v2, 2
	s_waitcnt lgkmcnt(0)
	v_cndmask_b32_e32 v3, 0, v3, vcc_lo
	v_cmp_gt_u32_e32 vcc_lo, 16, v2
	s_delay_alu instid0(VALU_DEP_2) | instskip(SKIP_3) | instid1(VALU_DEP_2)
	v_add_nc_u32_e32 v1, v1, v3
	ds_bpermute_b32 v3, v5, v1
	v_cndmask_b32_e64 v5, 0, 1, vcc_lo
	v_cmp_lt_u32_e32 vcc_lo, v6, v4
	v_lshlrev_b32_e32 v5, 4, v5
	s_delay_alu instid0(VALU_DEP_1) | instskip(SKIP_2) | instid1(VALU_DEP_1)
	v_add_lshl_u32 v5, v5, v2, 2
	s_waitcnt lgkmcnt(0)
	v_cndmask_b32_e32 v3, 0, v3, vcc_lo
	v_add_nc_u32_e32 v1, v1, v3
	ds_bpermute_b32 v3, v5, v1
	v_add_nc_u32_e32 v5, 16, v2
	s_delay_alu instid0(VALU_DEP_1) | instskip(SKIP_2) | instid1(VALU_DEP_1)
	v_cmp_lt_u32_e32 vcc_lo, v5, v4
	s_waitcnt lgkmcnt(0)
	v_cndmask_b32_e32 v3, 0, v3, vcc_lo
	v_add_nc_u32_e32 v1, v1, v3
	v_cmpx_eq_u32_e32 0, v2
	s_cbranch_execz .LBB370_130
; %bb.129:
	v_lshrrev_b32_e32 v3, 3, v0
	s_delay_alu instid0(VALU_DEP_1)
	v_and_b32_e32 v3, 28, v3
	ds_store_b32 v3, v1 offset:192
.LBB370_130:
	s_or_b32 exec_lo, exec_lo, s3
	s_delay_alu instid0(SALU_CYCLE_1)
	s_mov_b32 s3, exec_lo
	s_waitcnt lgkmcnt(0)
	s_barrier
	buffer_gl0_inv
	v_cmpx_gt_u32_e32 8, v0
	s_cbranch_execz .LBB370_132
; %bb.131:
	v_and_b32_e32 v3, 7, v2
	s_add_i32 s2, s2, 31
	s_delay_alu instid0(SALU_CYCLE_1) | instskip(NEXT) | instid1(VALU_DEP_1)
	s_lshr_b32 s2, s2, 5
	v_cmp_ne_u32_e32 vcc_lo, 7, v3
	v_add_nc_u32_e32 v6, 1, v3
	v_add_co_ci_u32_e32 v4, vcc_lo, 0, v2, vcc_lo
	v_cmp_gt_u32_e32 vcc_lo, 6, v3
	s_delay_alu instid0(VALU_DEP_2) | instskip(SKIP_3) | instid1(VALU_DEP_3)
	v_lshlrev_b32_e32 v4, 2, v4
	v_cndmask_b32_e64 v5, 0, 1, vcc_lo
	v_cmp_gt_u32_e32 vcc_lo, s2, v6
	v_lshlrev_b32_e32 v1, 2, v2
	v_lshlrev_b32_e32 v5, 1, v5
	ds_load_b32 v1, v1 offset:192
	v_add_lshl_u32 v5, v5, v2, 2
	s_waitcnt lgkmcnt(0)
	ds_bpermute_b32 v4, v4, v1
	s_waitcnt lgkmcnt(0)
	v_cndmask_b32_e32 v4, 0, v4, vcc_lo
	v_cmp_gt_u32_e32 vcc_lo, 4, v3
	s_delay_alu instid0(VALU_DEP_2) | instskip(SKIP_3) | instid1(VALU_DEP_1)
	v_add_nc_u32_e32 v1, v4, v1
	v_cndmask_b32_e64 v6, 0, 1, vcc_lo
	ds_bpermute_b32 v4, v5, v1
	v_add_nc_u32_e32 v5, 2, v3
	v_cmp_gt_u32_e32 vcc_lo, s2, v5
	v_lshlrev_b32_e32 v5, 2, v6
	s_delay_alu instid0(VALU_DEP_1) | instskip(SKIP_2) | instid1(VALU_DEP_1)
	v_add_lshl_u32 v2, v5, v2, 2
	s_waitcnt lgkmcnt(0)
	v_dual_cndmask_b32 v4, 0, v4 :: v_dual_add_nc_u32 v3, 4, v3
	v_add_nc_u32_e32 v1, v1, v4
	s_delay_alu instid0(VALU_DEP_2) | instskip(SKIP_3) | instid1(VALU_DEP_1)
	v_cmp_gt_u32_e32 vcc_lo, s2, v3
	ds_bpermute_b32 v2, v2, v1
	s_waitcnt lgkmcnt(0)
	v_cndmask_b32_e32 v2, 0, v2, vcc_lo
	v_add_nc_u32_e32 v1, v1, v2
.LBB370_132:
	s_or_b32 exec_lo, exec_lo, s3
.LBB370_133:
	v_cmp_eq_u32_e64 s2, 0, v0
	s_branch .LBB370_142
.LBB370_134:
	s_cmp_eq_u32 s24, 8
	s_cbranch_scc0 .LBB370_141
; %bb.135:
	s_mov_b32 s21, 0
	s_lshl_b32 s2, s20, 11
	s_mov_b32 s3, s21
	s_lshr_b64 s[6:7], s[18:19], 11
	s_lshl_b64 s[4:5], s[2:3], 2
	s_delay_alu instid0(SALU_CYCLE_1)
	s_add_u32 s8, s16, s4
	s_addc_u32 s9, s17, s5
	s_cmp_lg_u64 s[6:7], s[20:21]
	s_cbranch_scc0 .LBB370_143
; %bb.136:
	v_lshlrev_b32_e32 v3, 2, v0
	s_clause 0x1
	global_load_b32 v4, v3, s[8:9]
	global_load_b32 v5, v3, s[8:9] offset:1024
	v_add_co_u32 v1, s3, s8, v3
	s_delay_alu instid0(VALU_DEP_1) | instskip(SKIP_1) | instid1(VALU_DEP_2)
	v_add_co_ci_u32_e64 v2, null, s9, 0, s3
	s_mov_b32 s3, exec_lo
	v_add_co_u32 v1, vcc_lo, 0x1000, v1
	s_delay_alu instid0(VALU_DEP_2)
	v_add_co_ci_u32_e32 v2, vcc_lo, 0, v2, vcc_lo
	s_clause 0x5
	global_load_b32 v6, v3, s[8:9] offset:2048
	global_load_b32 v3, v3, s[8:9] offset:3072
	global_load_b32 v7, v[1:2], off
	global_load_b32 v8, v[1:2], off offset:1024
	global_load_b32 v9, v[1:2], off offset:2048
	;; [unrolled: 1-line block ×3, first 2 shown]
	s_waitcnt vmcnt(6)
	v_add_nc_u32_e32 v2, v5, v4
	s_waitcnt vmcnt(4)
	s_delay_alu instid0(VALU_DEP_1) | instskip(SKIP_2) | instid1(VALU_DEP_2)
	v_add3_u32 v2, v2, v6, v3
	v_mov_b32_e32 v3, 0
	s_waitcnt vmcnt(2)
	v_add3_u32 v2, v2, v7, v8
	s_waitcnt vmcnt(0)
	s_delay_alu instid0(VALU_DEP_1) | instskip(NEXT) | instid1(VALU_DEP_1)
	v_add3_u32 v1, v2, v9, v1
	v_mov_b32_dpp v2, v1 quad_perm:[1,0,3,2] row_mask:0xf bank_mask:0xf
	s_delay_alu instid0(VALU_DEP_1) | instskip(NEXT) | instid1(VALU_DEP_1)
	v_add_nc_u32_e32 v1, v2, v1
	v_mov_b32_dpp v2, v1 quad_perm:[2,3,0,1] row_mask:0xf bank_mask:0xf
	s_delay_alu instid0(VALU_DEP_1) | instskip(NEXT) | instid1(VALU_DEP_1)
	v_add_nc_u32_e32 v1, v1, v2
	v_mov_b32_dpp v2, v1 row_ror:4 row_mask:0xf bank_mask:0xf
	s_delay_alu instid0(VALU_DEP_1) | instskip(NEXT) | instid1(VALU_DEP_1)
	v_add_nc_u32_e32 v1, v1, v2
	v_mov_b32_dpp v2, v1 row_ror:8 row_mask:0xf bank_mask:0xf
	s_delay_alu instid0(VALU_DEP_1)
	v_add_nc_u32_e32 v1, v1, v2
	ds_swizzle_b32 v2, v1 offset:swizzle(BROADCAST,32,15)
	s_waitcnt lgkmcnt(0)
	v_add_nc_u32_e32 v1, v1, v2
	v_mbcnt_lo_u32_b32 v2, -1, 0
	ds_bpermute_b32 v1, v3, v1 offset:124
	v_cmpx_eq_u32_e32 0, v2
	s_cbranch_execz .LBB370_138
; %bb.137:
	v_lshrrev_b32_e32 v3, 3, v0
	s_delay_alu instid0(VALU_DEP_1)
	v_and_b32_e32 v3, 28, v3
	s_waitcnt lgkmcnt(0)
	ds_store_b32 v3, v1 offset:160
.LBB370_138:
	s_or_b32 exec_lo, exec_lo, s3
	s_delay_alu instid0(SALU_CYCLE_1)
	s_mov_b32 s3, exec_lo
	s_waitcnt lgkmcnt(0)
	s_barrier
	buffer_gl0_inv
	v_cmpx_gt_u32_e32 32, v0
	s_cbranch_execz .LBB370_140
; %bb.139:
	v_and_b32_e32 v1, 7, v2
	s_delay_alu instid0(VALU_DEP_1) | instskip(SKIP_4) | instid1(VALU_DEP_2)
	v_lshlrev_b32_e32 v3, 2, v1
	v_cmp_ne_u32_e32 vcc_lo, 7, v1
	ds_load_b32 v3, v3 offset:160
	v_add_co_ci_u32_e32 v4, vcc_lo, 0, v2, vcc_lo
	v_cmp_gt_u32_e32 vcc_lo, 6, v1
	v_lshlrev_b32_e32 v4, 2, v4
	v_cndmask_b32_e64 v5, 0, 1, vcc_lo
	v_cmp_gt_u32_e32 vcc_lo, 4, v1
	s_delay_alu instid0(VALU_DEP_2) | instskip(SKIP_1) | instid1(VALU_DEP_2)
	v_lshlrev_b32_e32 v5, 1, v5
	v_cndmask_b32_e64 v1, 0, 1, vcc_lo
	v_add_lshl_u32 v5, v5, v2, 2
	s_delay_alu instid0(VALU_DEP_2)
	v_lshlrev_b32_e32 v1, 2, v1
	s_waitcnt lgkmcnt(0)
	ds_bpermute_b32 v4, v4, v3
	v_add_lshl_u32 v1, v1, v2, 2
	s_waitcnt lgkmcnt(0)
	v_add_nc_u32_e32 v3, v4, v3
	ds_bpermute_b32 v4, v5, v3
	s_waitcnt lgkmcnt(0)
	v_add_nc_u32_e32 v3, v4, v3
	ds_bpermute_b32 v1, v1, v3
	s_waitcnt lgkmcnt(0)
	v_add_nc_u32_e32 v1, v1, v3
.LBB370_140:
	s_or_b32 exec_lo, exec_lo, s3
	s_branch .LBB370_165
.LBB370_141:
                                        ; implicit-def: $vgpr1
.LBB370_142:
	s_branch .LBB370_224
.LBB370_143:
                                        ; implicit-def: $vgpr1
	s_cbranch_execz .LBB370_165
; %bb.144:
	s_sub_i32 s10, s18, s2
	s_mov_b32 s2, exec_lo
                                        ; implicit-def: $vgpr1_vgpr2_vgpr3_vgpr4_vgpr5_vgpr6_vgpr7_vgpr8
	v_cmpx_gt_u32_e64 s10, v0
	s_cbranch_execz .LBB370_146
; %bb.145:
	v_lshlrev_b32_e32 v1, 2, v0
	global_load_b32 v1, v1, s[8:9]
.LBB370_146:
	s_or_b32 exec_lo, exec_lo, s2
	v_or_b32_e32 v9, 0x100, v0
	s_delay_alu instid0(VALU_DEP_1)
	v_cmp_gt_u32_e32 vcc_lo, s10, v9
	s_and_saveexec_b32 s2, vcc_lo
	s_cbranch_execz .LBB370_148
; %bb.147:
	v_lshlrev_b32_e32 v2, 2, v0
	global_load_b32 v2, v2, s[8:9] offset:1024
.LBB370_148:
	s_or_b32 exec_lo, exec_lo, s2
	v_or_b32_e32 v9, 0x200, v0
	s_delay_alu instid0(VALU_DEP_1) | instskip(NEXT) | instid1(VALU_DEP_1)
	v_cmp_gt_u32_e64 s2, s10, v9
	s_and_saveexec_b32 s3, s2
	s_cbranch_execz .LBB370_150
; %bb.149:
	v_lshlrev_b32_e32 v3, 2, v0
	global_load_b32 v3, v3, s[8:9] offset:2048
.LBB370_150:
	s_or_b32 exec_lo, exec_lo, s3
	v_or_b32_e32 v9, 0x300, v0
	s_delay_alu instid0(VALU_DEP_1) | instskip(NEXT) | instid1(VALU_DEP_1)
	v_cmp_gt_u32_e64 s3, s10, v9
	s_and_saveexec_b32 s4, s3
	;; [unrolled: 10-line block ×3, first 2 shown]
	s_cbranch_execz .LBB370_154
; %bb.153:
	v_lshlrev_b32_e32 v5, 2, v9
	global_load_b32 v5, v5, s[8:9]
.LBB370_154:
	s_or_b32 exec_lo, exec_lo, s5
	v_or_b32_e32 v9, 0x500, v0
	s_delay_alu instid0(VALU_DEP_1) | instskip(NEXT) | instid1(VALU_DEP_1)
	v_cmp_gt_u32_e64 s5, s10, v9
	s_and_saveexec_b32 s6, s5
	s_cbranch_execz .LBB370_156
; %bb.155:
	v_lshlrev_b32_e32 v6, 2, v9
	global_load_b32 v6, v6, s[8:9]
.LBB370_156:
	s_or_b32 exec_lo, exec_lo, s6
	v_or_b32_e32 v9, 0x600, v0
	s_delay_alu instid0(VALU_DEP_1) | instskip(NEXT) | instid1(VALU_DEP_1)
	v_cmp_gt_u32_e64 s6, s10, v9
	s_and_saveexec_b32 s7, s6
	;; [unrolled: 10-line block ×3, first 2 shown]
	s_cbranch_execz .LBB370_160
; %bb.159:
	v_lshlrev_b32_e32 v8, 2, v9
	global_load_b32 v8, v8, s[8:9]
.LBB370_160:
	s_or_b32 exec_lo, exec_lo, s11
	s_waitcnt vmcnt(0)
	v_cndmask_b32_e32 v2, 0, v2, vcc_lo
	v_cndmask_b32_e64 v3, 0, v3, s2
	v_cndmask_b32_e64 v4, 0, v4, s3
	;; [unrolled: 1-line block ×4, first 2 shown]
	v_add_nc_u32_e32 v1, v2, v1
	v_mbcnt_lo_u32_b32 v2, -1, 0
	v_cndmask_b32_e64 v7, 0, v7, s6
	s_min_u32 s2, s10, 0x100
	s_mov_b32 s3, exec_lo
	v_add3_u32 v1, v1, v3, v4
	v_cmp_ne_u32_e32 vcc_lo, 31, v2
	v_cndmask_b32_e64 v3, 0, v8, s7
	s_delay_alu instid0(VALU_DEP_3) | instskip(SKIP_3) | instid1(VALU_DEP_4)
	v_add3_u32 v1, v1, v5, v6
	v_add_co_ci_u32_e32 v4, vcc_lo, 0, v2, vcc_lo
	v_cmp_gt_u32_e32 vcc_lo, 30, v2
	v_add_nc_u32_e32 v6, 1, v2
	v_add3_u32 v1, v1, v7, v3
	s_delay_alu instid0(VALU_DEP_4) | instskip(SKIP_4) | instid1(VALU_DEP_2)
	v_lshlrev_b32_e32 v4, 2, v4
	v_cndmask_b32_e64 v5, 0, 1, vcc_lo
	ds_bpermute_b32 v3, v4, v1
	v_and_b32_e32 v4, 0xe0, v0
	v_lshlrev_b32_e32 v5, 1, v5
	v_sub_nc_u32_e64 v4, s2, v4 clamp
	s_delay_alu instid0(VALU_DEP_2) | instskip(NEXT) | instid1(VALU_DEP_2)
	v_add_lshl_u32 v5, v5, v2, 2
	v_cmp_lt_u32_e32 vcc_lo, v6, v4
	s_waitcnt lgkmcnt(0)
	v_dual_cndmask_b32 v3, 0, v3 :: v_dual_add_nc_u32 v6, 2, v2
	v_cmp_gt_u32_e32 vcc_lo, 28, v2
	s_delay_alu instid0(VALU_DEP_2) | instskip(SKIP_4) | instid1(VALU_DEP_3)
	v_add_nc_u32_e32 v1, v1, v3
	ds_bpermute_b32 v3, v5, v1
	v_cndmask_b32_e64 v5, 0, 1, vcc_lo
	v_cmp_lt_u32_e32 vcc_lo, v6, v4
	v_add_nc_u32_e32 v6, 4, v2
	v_lshlrev_b32_e32 v5, 2, v5
	s_delay_alu instid0(VALU_DEP_1) | instskip(SKIP_3) | instid1(VALU_DEP_2)
	v_add_lshl_u32 v5, v5, v2, 2
	s_waitcnt lgkmcnt(0)
	v_cndmask_b32_e32 v3, 0, v3, vcc_lo
	v_cmp_gt_u32_e32 vcc_lo, 24, v2
	v_add_nc_u32_e32 v1, v1, v3
	ds_bpermute_b32 v3, v5, v1
	v_cndmask_b32_e64 v5, 0, 1, vcc_lo
	v_cmp_lt_u32_e32 vcc_lo, v6, v4
	v_add_nc_u32_e32 v6, 8, v2
	s_delay_alu instid0(VALU_DEP_3) | instskip(NEXT) | instid1(VALU_DEP_1)
	v_lshlrev_b32_e32 v5, 3, v5
	v_add_lshl_u32 v5, v5, v2, 2
	s_waitcnt lgkmcnt(0)
	v_cndmask_b32_e32 v3, 0, v3, vcc_lo
	v_cmp_gt_u32_e32 vcc_lo, 16, v2
	s_delay_alu instid0(VALU_DEP_2) | instskip(SKIP_3) | instid1(VALU_DEP_2)
	v_add_nc_u32_e32 v1, v1, v3
	ds_bpermute_b32 v3, v5, v1
	v_cndmask_b32_e64 v5, 0, 1, vcc_lo
	v_cmp_lt_u32_e32 vcc_lo, v6, v4
	v_lshlrev_b32_e32 v5, 4, v5
	s_delay_alu instid0(VALU_DEP_1) | instskip(SKIP_2) | instid1(VALU_DEP_1)
	v_add_lshl_u32 v5, v5, v2, 2
	s_waitcnt lgkmcnt(0)
	v_cndmask_b32_e32 v3, 0, v3, vcc_lo
	v_add_nc_u32_e32 v1, v1, v3
	ds_bpermute_b32 v3, v5, v1
	v_add_nc_u32_e32 v5, 16, v2
	s_delay_alu instid0(VALU_DEP_1) | instskip(SKIP_2) | instid1(VALU_DEP_1)
	v_cmp_lt_u32_e32 vcc_lo, v5, v4
	s_waitcnt lgkmcnt(0)
	v_cndmask_b32_e32 v3, 0, v3, vcc_lo
	v_add_nc_u32_e32 v1, v1, v3
	v_cmpx_eq_u32_e32 0, v2
	s_cbranch_execz .LBB370_162
; %bb.161:
	v_lshrrev_b32_e32 v3, 3, v0
	s_delay_alu instid0(VALU_DEP_1)
	v_and_b32_e32 v3, 28, v3
	ds_store_b32 v3, v1 offset:192
.LBB370_162:
	s_or_b32 exec_lo, exec_lo, s3
	s_delay_alu instid0(SALU_CYCLE_1)
	s_mov_b32 s3, exec_lo
	s_waitcnt lgkmcnt(0)
	s_barrier
	buffer_gl0_inv
	v_cmpx_gt_u32_e32 8, v0
	s_cbranch_execz .LBB370_164
; %bb.163:
	v_and_b32_e32 v3, 7, v2
	s_add_i32 s2, s2, 31
	s_delay_alu instid0(SALU_CYCLE_1) | instskip(NEXT) | instid1(VALU_DEP_1)
	s_lshr_b32 s2, s2, 5
	v_cmp_ne_u32_e32 vcc_lo, 7, v3
	v_add_nc_u32_e32 v6, 1, v3
	v_add_co_ci_u32_e32 v4, vcc_lo, 0, v2, vcc_lo
	v_cmp_gt_u32_e32 vcc_lo, 6, v3
	s_delay_alu instid0(VALU_DEP_2) | instskip(SKIP_3) | instid1(VALU_DEP_3)
	v_lshlrev_b32_e32 v4, 2, v4
	v_cndmask_b32_e64 v5, 0, 1, vcc_lo
	v_cmp_gt_u32_e32 vcc_lo, s2, v6
	v_lshlrev_b32_e32 v1, 2, v2
	v_lshlrev_b32_e32 v5, 1, v5
	ds_load_b32 v1, v1 offset:192
	v_add_lshl_u32 v5, v5, v2, 2
	s_waitcnt lgkmcnt(0)
	ds_bpermute_b32 v4, v4, v1
	s_waitcnt lgkmcnt(0)
	v_cndmask_b32_e32 v4, 0, v4, vcc_lo
	v_cmp_gt_u32_e32 vcc_lo, 4, v3
	s_delay_alu instid0(VALU_DEP_2) | instskip(SKIP_3) | instid1(VALU_DEP_1)
	v_add_nc_u32_e32 v1, v4, v1
	v_cndmask_b32_e64 v6, 0, 1, vcc_lo
	ds_bpermute_b32 v4, v5, v1
	v_add_nc_u32_e32 v5, 2, v3
	v_cmp_gt_u32_e32 vcc_lo, s2, v5
	v_lshlrev_b32_e32 v5, 2, v6
	s_delay_alu instid0(VALU_DEP_1) | instskip(SKIP_2) | instid1(VALU_DEP_1)
	v_add_lshl_u32 v2, v5, v2, 2
	s_waitcnt lgkmcnt(0)
	v_dual_cndmask_b32 v4, 0, v4 :: v_dual_add_nc_u32 v3, 4, v3
	v_add_nc_u32_e32 v1, v1, v4
	s_delay_alu instid0(VALU_DEP_2) | instskip(SKIP_3) | instid1(VALU_DEP_1)
	v_cmp_gt_u32_e32 vcc_lo, s2, v3
	ds_bpermute_b32 v2, v2, v1
	s_waitcnt lgkmcnt(0)
	v_cndmask_b32_e32 v2, 0, v2, vcc_lo
	v_add_nc_u32_e32 v1, v1, v2
.LBB370_164:
	s_or_b32 exec_lo, exec_lo, s3
.LBB370_165:
	v_cmp_eq_u32_e64 s2, 0, v0
	s_branch .LBB370_224
.LBB370_166:
	s_cmp_gt_i32 s24, 1
	s_cbranch_scc0 .LBB370_175
; %bb.167:
	s_cmp_gt_i32 s24, 3
	s_cbranch_scc0 .LBB370_176
; %bb.168:
	s_cmp_eq_u32 s24, 4
	s_cbranch_scc0 .LBB370_177
; %bb.169:
	s_mov_b32 s21, 0
	s_lshl_b32 s2, s20, 10
	s_mov_b32 s3, s21
	s_lshr_b64 s[6:7], s[18:19], 10
	s_lshl_b64 s[4:5], s[2:3], 2
	s_delay_alu instid0(SALU_CYCLE_1)
	s_add_u32 s4, s16, s4
	s_addc_u32 s5, s17, s5
	s_cmp_lg_u64 s[6:7], s[20:21]
	s_cbranch_scc0 .LBB370_179
; %bb.170:
	v_lshlrev_b32_e32 v1, 2, v0
	s_mov_b32 s3, exec_lo
	s_clause 0x3
	global_load_b32 v2, v1, s[4:5]
	global_load_b32 v3, v1, s[4:5] offset:1024
	global_load_b32 v4, v1, s[4:5] offset:2048
	;; [unrolled: 1-line block ×3, first 2 shown]
	s_waitcnt vmcnt(2)
	v_add_nc_u32_e32 v2, v3, v2
	s_waitcnt vmcnt(0)
	s_delay_alu instid0(VALU_DEP_1) | instskip(NEXT) | instid1(VALU_DEP_1)
	v_add3_u32 v1, v2, v4, v1
	v_mov_b32_dpp v2, v1 quad_perm:[1,0,3,2] row_mask:0xf bank_mask:0xf
	s_delay_alu instid0(VALU_DEP_1) | instskip(NEXT) | instid1(VALU_DEP_1)
	v_add_nc_u32_e32 v1, v2, v1
	v_mov_b32_dpp v2, v1 quad_perm:[2,3,0,1] row_mask:0xf bank_mask:0xf
	s_delay_alu instid0(VALU_DEP_1) | instskip(NEXT) | instid1(VALU_DEP_1)
	v_add_nc_u32_e32 v1, v1, v2
	v_mov_b32_dpp v2, v1 row_ror:4 row_mask:0xf bank_mask:0xf
	s_delay_alu instid0(VALU_DEP_1) | instskip(NEXT) | instid1(VALU_DEP_1)
	v_add_nc_u32_e32 v1, v1, v2
	v_mov_b32_dpp v2, v1 row_ror:8 row_mask:0xf bank_mask:0xf
	s_delay_alu instid0(VALU_DEP_1)
	v_add_nc_u32_e32 v1, v1, v2
	ds_swizzle_b32 v2, v1 offset:swizzle(BROADCAST,32,15)
	s_waitcnt lgkmcnt(0)
	v_dual_mov_b32 v2, 0 :: v_dual_add_nc_u32 v1, v1, v2
	ds_bpermute_b32 v1, v2, v1 offset:124
	v_mbcnt_lo_u32_b32 v2, -1, 0
	s_delay_alu instid0(VALU_DEP_1)
	v_cmpx_eq_u32_e32 0, v2
	s_cbranch_execz .LBB370_172
; %bb.171:
	v_lshrrev_b32_e32 v3, 3, v0
	s_delay_alu instid0(VALU_DEP_1)
	v_and_b32_e32 v3, 28, v3
	s_waitcnt lgkmcnt(0)
	ds_store_b32 v3, v1 offset:128
.LBB370_172:
	s_or_b32 exec_lo, exec_lo, s3
	s_delay_alu instid0(SALU_CYCLE_1)
	s_mov_b32 s3, exec_lo
	s_waitcnt lgkmcnt(0)
	s_barrier
	buffer_gl0_inv
	v_cmpx_gt_u32_e32 32, v0
	s_cbranch_execz .LBB370_174
; %bb.173:
	v_and_b32_e32 v1, 7, v2
	s_delay_alu instid0(VALU_DEP_1) | instskip(SKIP_4) | instid1(VALU_DEP_2)
	v_lshlrev_b32_e32 v3, 2, v1
	v_cmp_ne_u32_e32 vcc_lo, 7, v1
	ds_load_b32 v3, v3 offset:128
	v_add_co_ci_u32_e32 v4, vcc_lo, 0, v2, vcc_lo
	v_cmp_gt_u32_e32 vcc_lo, 6, v1
	v_lshlrev_b32_e32 v4, 2, v4
	v_cndmask_b32_e64 v5, 0, 1, vcc_lo
	v_cmp_gt_u32_e32 vcc_lo, 4, v1
	s_delay_alu instid0(VALU_DEP_2) | instskip(SKIP_1) | instid1(VALU_DEP_2)
	v_lshlrev_b32_e32 v5, 1, v5
	v_cndmask_b32_e64 v1, 0, 1, vcc_lo
	v_add_lshl_u32 v5, v5, v2, 2
	s_delay_alu instid0(VALU_DEP_2)
	v_lshlrev_b32_e32 v1, 2, v1
	s_waitcnt lgkmcnt(0)
	ds_bpermute_b32 v4, v4, v3
	v_add_lshl_u32 v1, v1, v2, 2
	s_waitcnt lgkmcnt(0)
	v_add_nc_u32_e32 v3, v4, v3
	ds_bpermute_b32 v4, v5, v3
	s_waitcnt lgkmcnt(0)
	v_add_nc_u32_e32 v3, v4, v3
	ds_bpermute_b32 v1, v1, v3
	s_waitcnt lgkmcnt(0)
	v_add_nc_u32_e32 v1, v1, v3
.LBB370_174:
	s_or_b32 exec_lo, exec_lo, s3
	s_mov_b32 s3, 0
	s_branch .LBB370_180
.LBB370_175:
                                        ; implicit-def: $vgpr1
	s_cbranch_execnz .LBB370_215
	s_branch .LBB370_224
.LBB370_176:
                                        ; implicit-def: $vgpr1
	s_cbranch_execz .LBB370_178
	s_branch .LBB370_195
.LBB370_177:
                                        ; implicit-def: $vgpr1
.LBB370_178:
	s_branch .LBB370_224
.LBB370_179:
	s_mov_b32 s3, -1
                                        ; implicit-def: $vgpr1
.LBB370_180:
	s_delay_alu instid0(SALU_CYCLE_1)
	s_and_b32 vcc_lo, exec_lo, s3
	s_cbranch_vccz .LBB370_194
; %bb.181:
	s_sub_i32 s6, s18, s2
	s_mov_b32 s2, exec_lo
                                        ; implicit-def: $vgpr1_vgpr2_vgpr3_vgpr4
	v_cmpx_gt_u32_e64 s6, v0
	s_cbranch_execz .LBB370_183
; %bb.182:
	v_lshlrev_b32_e32 v1, 2, v0
	global_load_b32 v1, v1, s[4:5]
.LBB370_183:
	s_or_b32 exec_lo, exec_lo, s2
	v_or_b32_e32 v5, 0x100, v0
	s_delay_alu instid0(VALU_DEP_1)
	v_cmp_gt_u32_e32 vcc_lo, s6, v5
	s_and_saveexec_b32 s2, vcc_lo
	s_cbranch_execz .LBB370_185
; %bb.184:
	v_lshlrev_b32_e32 v2, 2, v0
	global_load_b32 v2, v2, s[4:5] offset:1024
.LBB370_185:
	s_or_b32 exec_lo, exec_lo, s2
	v_or_b32_e32 v5, 0x200, v0
	s_delay_alu instid0(VALU_DEP_1) | instskip(NEXT) | instid1(VALU_DEP_1)
	v_cmp_gt_u32_e64 s2, s6, v5
	s_and_saveexec_b32 s3, s2
	s_cbranch_execz .LBB370_187
; %bb.186:
	v_lshlrev_b32_e32 v3, 2, v0
	global_load_b32 v3, v3, s[4:5] offset:2048
.LBB370_187:
	s_or_b32 exec_lo, exec_lo, s3
	v_or_b32_e32 v5, 0x300, v0
	s_delay_alu instid0(VALU_DEP_1) | instskip(NEXT) | instid1(VALU_DEP_1)
	v_cmp_gt_u32_e64 s3, s6, v5
	s_and_saveexec_b32 s7, s3
	s_cbranch_execz .LBB370_189
; %bb.188:
	v_lshlrev_b32_e32 v4, 2, v0
	global_load_b32 v4, v4, s[4:5] offset:3072
.LBB370_189:
	s_or_b32 exec_lo, exec_lo, s7
	s_waitcnt vmcnt(0)
	v_cndmask_b32_e32 v5, 0, v2, vcc_lo
	v_mbcnt_lo_u32_b32 v2, -1, 0
	v_cndmask_b32_e64 v3, 0, v3, s2
	v_cndmask_b32_e64 v4, 0, v4, s3
	s_min_u32 s2, s6, 0x100
	v_add_nc_u32_e32 v1, v5, v1
	v_cmp_ne_u32_e32 vcc_lo, 31, v2
	s_mov_b32 s3, exec_lo
	s_delay_alu instid0(VALU_DEP_2) | instskip(SKIP_3) | instid1(VALU_DEP_3)
	v_add3_u32 v1, v1, v3, v4
	v_and_b32_e32 v4, 0xe0, v0
	v_add_co_ci_u32_e32 v5, vcc_lo, 0, v2, vcc_lo
	v_cmp_gt_u32_e32 vcc_lo, 30, v2
	v_sub_nc_u32_e64 v4, s2, v4 clamp
	s_delay_alu instid0(VALU_DEP_3) | instskip(SKIP_4) | instid1(VALU_DEP_2)
	v_lshlrev_b32_e32 v3, 2, v5
	v_cndmask_b32_e64 v5, 0, 1, vcc_lo
	ds_bpermute_b32 v3, v3, v1
	v_add_nc_u32_e32 v6, 1, v2
	v_lshlrev_b32_e32 v5, 1, v5
	v_cmp_lt_u32_e32 vcc_lo, v6, v4
	s_delay_alu instid0(VALU_DEP_2) | instskip(SKIP_3) | instid1(VALU_DEP_2)
	v_add_lshl_u32 v5, v5, v2, 2
	s_waitcnt lgkmcnt(0)
	v_cndmask_b32_e32 v3, 0, v3, vcc_lo
	v_cmp_gt_u32_e32 vcc_lo, 28, v2
	v_add_nc_u32_e32 v1, v3, v1
	ds_bpermute_b32 v3, v5, v1
	v_add_nc_u32_e32 v6, 2, v2
	v_cndmask_b32_e64 v5, 0, 1, vcc_lo
	s_delay_alu instid0(VALU_DEP_2) | instskip(NEXT) | instid1(VALU_DEP_2)
	v_cmp_lt_u32_e32 vcc_lo, v6, v4
	v_lshlrev_b32_e32 v5, 2, v5
	s_delay_alu instid0(VALU_DEP_1) | instskip(SKIP_3) | instid1(VALU_DEP_2)
	v_add_lshl_u32 v5, v5, v2, 2
	s_waitcnt lgkmcnt(0)
	v_cndmask_b32_e32 v3, 0, v3, vcc_lo
	v_cmp_gt_u32_e32 vcc_lo, 24, v2
	v_add_nc_u32_e32 v1, v1, v3
	ds_bpermute_b32 v3, v5, v1
	v_add_nc_u32_e32 v6, 4, v2
	v_cndmask_b32_e64 v5, 0, 1, vcc_lo
	s_delay_alu instid0(VALU_DEP_2) | instskip(NEXT) | instid1(VALU_DEP_2)
	v_cmp_lt_u32_e32 vcc_lo, v6, v4
	v_lshlrev_b32_e32 v5, 3, v5
	s_delay_alu instid0(VALU_DEP_1) | instskip(SKIP_3) | instid1(VALU_DEP_2)
	v_add_lshl_u32 v5, v5, v2, 2
	s_waitcnt lgkmcnt(0)
	v_cndmask_b32_e32 v3, 0, v3, vcc_lo
	v_cmp_gt_u32_e32 vcc_lo, 16, v2
	v_add_nc_u32_e32 v1, v1, v3
	ds_bpermute_b32 v3, v5, v1
	v_add_nc_u32_e32 v6, 8, v2
	v_cndmask_b32_e64 v5, 0, 1, vcc_lo
	s_delay_alu instid0(VALU_DEP_2) | instskip(NEXT) | instid1(VALU_DEP_2)
	v_cmp_lt_u32_e32 vcc_lo, v6, v4
	v_lshlrev_b32_e32 v5, 4, v5
	s_delay_alu instid0(VALU_DEP_1) | instskip(SKIP_2) | instid1(VALU_DEP_1)
	v_add_lshl_u32 v5, v5, v2, 2
	s_waitcnt lgkmcnt(0)
	v_cndmask_b32_e32 v3, 0, v3, vcc_lo
	v_add_nc_u32_e32 v1, v1, v3
	ds_bpermute_b32 v3, v5, v1
	v_add_nc_u32_e32 v5, 16, v2
	s_delay_alu instid0(VALU_DEP_1) | instskip(SKIP_2) | instid1(VALU_DEP_1)
	v_cmp_lt_u32_e32 vcc_lo, v5, v4
	s_waitcnt lgkmcnt(0)
	v_cndmask_b32_e32 v3, 0, v3, vcc_lo
	v_add_nc_u32_e32 v1, v1, v3
	v_cmpx_eq_u32_e32 0, v2
	s_cbranch_execz .LBB370_191
; %bb.190:
	v_lshrrev_b32_e32 v3, 3, v0
	s_delay_alu instid0(VALU_DEP_1)
	v_and_b32_e32 v3, 28, v3
	ds_store_b32 v3, v1 offset:192
.LBB370_191:
	s_or_b32 exec_lo, exec_lo, s3
	s_delay_alu instid0(SALU_CYCLE_1)
	s_mov_b32 s3, exec_lo
	s_waitcnt lgkmcnt(0)
	s_barrier
	buffer_gl0_inv
	v_cmpx_gt_u32_e32 8, v0
	s_cbranch_execz .LBB370_193
; %bb.192:
	v_and_b32_e32 v3, 7, v2
	s_add_i32 s2, s2, 31
	s_delay_alu instid0(SALU_CYCLE_1) | instskip(NEXT) | instid1(VALU_DEP_1)
	s_lshr_b32 s2, s2, 5
	v_cmp_ne_u32_e32 vcc_lo, 7, v3
	v_add_nc_u32_e32 v6, 1, v3
	v_add_co_ci_u32_e32 v4, vcc_lo, 0, v2, vcc_lo
	v_cmp_gt_u32_e32 vcc_lo, 6, v3
	s_delay_alu instid0(VALU_DEP_2) | instskip(SKIP_3) | instid1(VALU_DEP_3)
	v_lshlrev_b32_e32 v4, 2, v4
	v_cndmask_b32_e64 v5, 0, 1, vcc_lo
	v_cmp_gt_u32_e32 vcc_lo, s2, v6
	v_lshlrev_b32_e32 v1, 2, v2
	v_lshlrev_b32_e32 v5, 1, v5
	ds_load_b32 v1, v1 offset:192
	v_add_lshl_u32 v5, v5, v2, 2
	s_waitcnt lgkmcnt(0)
	ds_bpermute_b32 v4, v4, v1
	s_waitcnt lgkmcnt(0)
	v_cndmask_b32_e32 v4, 0, v4, vcc_lo
	v_cmp_gt_u32_e32 vcc_lo, 4, v3
	s_delay_alu instid0(VALU_DEP_2) | instskip(SKIP_3) | instid1(VALU_DEP_1)
	v_add_nc_u32_e32 v1, v4, v1
	v_cndmask_b32_e64 v6, 0, 1, vcc_lo
	ds_bpermute_b32 v4, v5, v1
	v_add_nc_u32_e32 v5, 2, v3
	v_cmp_gt_u32_e32 vcc_lo, s2, v5
	v_lshlrev_b32_e32 v5, 2, v6
	s_delay_alu instid0(VALU_DEP_1) | instskip(SKIP_2) | instid1(VALU_DEP_1)
	v_add_lshl_u32 v2, v5, v2, 2
	s_waitcnt lgkmcnt(0)
	v_dual_cndmask_b32 v4, 0, v4 :: v_dual_add_nc_u32 v3, 4, v3
	v_add_nc_u32_e32 v1, v1, v4
	s_delay_alu instid0(VALU_DEP_2) | instskip(SKIP_3) | instid1(VALU_DEP_1)
	v_cmp_gt_u32_e32 vcc_lo, s2, v3
	ds_bpermute_b32 v2, v2, v1
	s_waitcnt lgkmcnt(0)
	v_cndmask_b32_e32 v2, 0, v2, vcc_lo
	v_add_nc_u32_e32 v1, v1, v2
.LBB370_193:
	s_or_b32 exec_lo, exec_lo, s3
.LBB370_194:
	v_cmp_eq_u32_e64 s2, 0, v0
	s_branch .LBB370_178
.LBB370_195:
	s_cmp_eq_u32 s24, 2
	s_cbranch_scc0 .LBB370_202
; %bb.196:
	s_mov_b32 s21, 0
	s_lshl_b32 s4, s20, 9
	s_mov_b32 s5, s21
	s_lshr_b64 s[6:7], s[18:19], 9
	s_lshl_b64 s[2:3], s[4:5], 2
	s_delay_alu instid0(SALU_CYCLE_1)
	s_add_u32 s2, s16, s2
	s_addc_u32 s3, s17, s3
	s_cmp_lg_u64 s[6:7], s[20:21]
	s_cbranch_scc0 .LBB370_203
; %bb.197:
	v_lshlrev_b32_e32 v1, 2, v0
	s_mov_b32 s5, exec_lo
	s_clause 0x1
	global_load_b32 v2, v1, s[2:3]
	global_load_b32 v1, v1, s[2:3] offset:1024
	s_waitcnt vmcnt(0)
	v_add_nc_u32_e32 v1, v1, v2
	s_delay_alu instid0(VALU_DEP_1) | instskip(NEXT) | instid1(VALU_DEP_1)
	v_mov_b32_dpp v2, v1 quad_perm:[1,0,3,2] row_mask:0xf bank_mask:0xf
	v_add_nc_u32_e32 v1, v2, v1
	s_delay_alu instid0(VALU_DEP_1) | instskip(NEXT) | instid1(VALU_DEP_1)
	v_mov_b32_dpp v2, v1 quad_perm:[2,3,0,1] row_mask:0xf bank_mask:0xf
	v_add_nc_u32_e32 v1, v1, v2
	s_delay_alu instid0(VALU_DEP_1) | instskip(NEXT) | instid1(VALU_DEP_1)
	v_mov_b32_dpp v2, v1 row_ror:4 row_mask:0xf bank_mask:0xf
	v_add_nc_u32_e32 v1, v1, v2
	s_delay_alu instid0(VALU_DEP_1) | instskip(NEXT) | instid1(VALU_DEP_1)
	v_mov_b32_dpp v2, v1 row_ror:8 row_mask:0xf bank_mask:0xf
	v_add_nc_u32_e32 v1, v1, v2
	ds_swizzle_b32 v2, v1 offset:swizzle(BROADCAST,32,15)
	s_waitcnt lgkmcnt(0)
	v_dual_mov_b32 v2, 0 :: v_dual_add_nc_u32 v1, v1, v2
	ds_bpermute_b32 v1, v2, v1 offset:124
	v_mbcnt_lo_u32_b32 v2, -1, 0
	s_delay_alu instid0(VALU_DEP_1)
	v_cmpx_eq_u32_e32 0, v2
	s_cbranch_execz .LBB370_199
; %bb.198:
	v_lshrrev_b32_e32 v3, 3, v0
	s_delay_alu instid0(VALU_DEP_1)
	v_and_b32_e32 v3, 28, v3
	s_waitcnt lgkmcnt(0)
	ds_store_b32 v3, v1 offset:64
.LBB370_199:
	s_or_b32 exec_lo, exec_lo, s5
	s_delay_alu instid0(SALU_CYCLE_1)
	s_mov_b32 s5, exec_lo
	s_waitcnt lgkmcnt(0)
	s_barrier
	buffer_gl0_inv
	v_cmpx_gt_u32_e32 32, v0
	s_cbranch_execz .LBB370_201
; %bb.200:
	v_and_b32_e32 v1, 7, v2
	s_delay_alu instid0(VALU_DEP_1) | instskip(SKIP_4) | instid1(VALU_DEP_2)
	v_lshlrev_b32_e32 v3, 2, v1
	v_cmp_ne_u32_e32 vcc_lo, 7, v1
	ds_load_b32 v3, v3 offset:64
	v_add_co_ci_u32_e32 v4, vcc_lo, 0, v2, vcc_lo
	v_cmp_gt_u32_e32 vcc_lo, 6, v1
	v_lshlrev_b32_e32 v4, 2, v4
	v_cndmask_b32_e64 v5, 0, 1, vcc_lo
	v_cmp_gt_u32_e32 vcc_lo, 4, v1
	s_delay_alu instid0(VALU_DEP_2) | instskip(SKIP_1) | instid1(VALU_DEP_2)
	v_lshlrev_b32_e32 v5, 1, v5
	v_cndmask_b32_e64 v1, 0, 1, vcc_lo
	v_add_lshl_u32 v5, v5, v2, 2
	s_delay_alu instid0(VALU_DEP_2)
	v_lshlrev_b32_e32 v1, 2, v1
	s_waitcnt lgkmcnt(0)
	ds_bpermute_b32 v4, v4, v3
	v_add_lshl_u32 v1, v1, v2, 2
	s_waitcnt lgkmcnt(0)
	v_add_nc_u32_e32 v3, v4, v3
	ds_bpermute_b32 v4, v5, v3
	s_waitcnt lgkmcnt(0)
	v_add_nc_u32_e32 v3, v4, v3
	ds_bpermute_b32 v1, v1, v3
	s_waitcnt lgkmcnt(0)
	v_add_nc_u32_e32 v1, v1, v3
.LBB370_201:
	s_or_b32 exec_lo, exec_lo, s5
	s_mov_b32 s5, 0
	s_branch .LBB370_204
.LBB370_202:
                                        ; implicit-def: $vgpr1
	s_branch .LBB370_224
.LBB370_203:
	s_mov_b32 s5, -1
                                        ; implicit-def: $vgpr1
.LBB370_204:
	s_delay_alu instid0(SALU_CYCLE_1)
	s_and_b32 vcc_lo, exec_lo, s5
	s_cbranch_vccz .LBB370_214
; %bb.205:
	s_sub_i32 s4, s18, s4
	s_mov_b32 s5, exec_lo
                                        ; implicit-def: $vgpr1_vgpr2
	v_cmpx_gt_u32_e64 s4, v0
	s_cbranch_execz .LBB370_207
; %bb.206:
	v_lshlrev_b32_e32 v1, 2, v0
	global_load_b32 v1, v1, s[2:3]
.LBB370_207:
	s_or_b32 exec_lo, exec_lo, s5
	v_or_b32_e32 v3, 0x100, v0
	s_delay_alu instid0(VALU_DEP_1)
	v_cmp_gt_u32_e32 vcc_lo, s4, v3
	s_and_saveexec_b32 s5, vcc_lo
	s_cbranch_execz .LBB370_209
; %bb.208:
	v_lshlrev_b32_e32 v2, 2, v0
	global_load_b32 v2, v2, s[2:3] offset:1024
.LBB370_209:
	s_or_b32 exec_lo, exec_lo, s5
	v_mbcnt_lo_u32_b32 v3, -1, 0
	s_waitcnt vmcnt(0)
	v_cndmask_b32_e32 v2, 0, v2, vcc_lo
	s_min_u32 s2, s4, 0x100
	s_mov_b32 s3, exec_lo
	v_cmp_ne_u32_e32 vcc_lo, 31, v3
	v_add_nc_u32_e32 v6, 1, v3
	v_add_co_ci_u32_e32 v4, vcc_lo, 0, v3, vcc_lo
	v_cmp_gt_u32_e32 vcc_lo, 30, v3
	v_cndmask_b32_e64 v5, 0, 1, vcc_lo
	s_delay_alu instid0(VALU_DEP_1) | instskip(SKIP_3) | instid1(VALU_DEP_4)
	v_lshlrev_b32_e32 v5, 1, v5
	v_add_nc_u32_e32 v1, v2, v1
	v_lshlrev_b32_e32 v2, 2, v4
	v_and_b32_e32 v4, 0xe0, v0
	v_add_lshl_u32 v5, v5, v3, 2
	ds_bpermute_b32 v2, v2, v1
	v_sub_nc_u32_e64 v4, s2, v4 clamp
	s_delay_alu instid0(VALU_DEP_1) | instskip(SKIP_4) | instid1(VALU_DEP_2)
	v_cmp_lt_u32_e32 vcc_lo, v6, v4
	v_add_nc_u32_e32 v6, 2, v3
	s_waitcnt lgkmcnt(0)
	v_cndmask_b32_e32 v2, 0, v2, vcc_lo
	v_cmp_gt_u32_e32 vcc_lo, 28, v3
	v_add_nc_u32_e32 v1, v2, v1
	ds_bpermute_b32 v2, v5, v1
	v_cndmask_b32_e64 v5, 0, 1, vcc_lo
	v_cmp_lt_u32_e32 vcc_lo, v6, v4
	v_add_nc_u32_e32 v6, 4, v3
	s_delay_alu instid0(VALU_DEP_3) | instskip(NEXT) | instid1(VALU_DEP_1)
	v_lshlrev_b32_e32 v5, 2, v5
	v_add_lshl_u32 v5, v5, v3, 2
	s_waitcnt lgkmcnt(0)
	v_cndmask_b32_e32 v2, 0, v2, vcc_lo
	v_cmp_gt_u32_e32 vcc_lo, 24, v3
	s_delay_alu instid0(VALU_DEP_2) | instskip(SKIP_4) | instid1(VALU_DEP_3)
	v_add_nc_u32_e32 v1, v1, v2
	ds_bpermute_b32 v2, v5, v1
	v_cndmask_b32_e64 v5, 0, 1, vcc_lo
	v_cmp_lt_u32_e32 vcc_lo, v6, v4
	v_add_nc_u32_e32 v6, 8, v3
	v_lshlrev_b32_e32 v5, 3, v5
	s_delay_alu instid0(VALU_DEP_1) | instskip(SKIP_3) | instid1(VALU_DEP_2)
	v_add_lshl_u32 v5, v5, v3, 2
	s_waitcnt lgkmcnt(0)
	v_cndmask_b32_e32 v2, 0, v2, vcc_lo
	v_cmp_gt_u32_e32 vcc_lo, 16, v3
	v_add_nc_u32_e32 v1, v1, v2
	ds_bpermute_b32 v2, v5, v1
	v_cndmask_b32_e64 v5, 0, 1, vcc_lo
	v_cmp_lt_u32_e32 vcc_lo, v6, v4
	s_delay_alu instid0(VALU_DEP_2) | instskip(NEXT) | instid1(VALU_DEP_1)
	v_lshlrev_b32_e32 v5, 4, v5
	v_add_lshl_u32 v5, v5, v3, 2
	s_waitcnt lgkmcnt(0)
	v_cndmask_b32_e32 v2, 0, v2, vcc_lo
	s_delay_alu instid0(VALU_DEP_1) | instskip(SKIP_2) | instid1(VALU_DEP_1)
	v_add_nc_u32_e32 v1, v1, v2
	ds_bpermute_b32 v2, v5, v1
	v_add_nc_u32_e32 v5, 16, v3
	v_cmp_lt_u32_e32 vcc_lo, v5, v4
	s_waitcnt lgkmcnt(0)
	v_cndmask_b32_e32 v2, 0, v2, vcc_lo
	s_delay_alu instid0(VALU_DEP_1)
	v_add_nc_u32_e32 v1, v1, v2
	v_cmpx_eq_u32_e32 0, v3
	s_cbranch_execz .LBB370_211
; %bb.210:
	v_lshrrev_b32_e32 v2, 3, v0
	s_delay_alu instid0(VALU_DEP_1)
	v_and_b32_e32 v2, 28, v2
	ds_store_b32 v2, v1 offset:192
.LBB370_211:
	s_or_b32 exec_lo, exec_lo, s3
	s_delay_alu instid0(SALU_CYCLE_1)
	s_mov_b32 s3, exec_lo
	s_waitcnt lgkmcnt(0)
	s_barrier
	buffer_gl0_inv
	v_cmpx_gt_u32_e32 8, v0
	s_cbranch_execz .LBB370_213
; %bb.212:
	v_and_b32_e32 v2, 7, v3
	s_add_i32 s2, s2, 31
	s_delay_alu instid0(SALU_CYCLE_1) | instskip(NEXT) | instid1(VALU_DEP_1)
	s_lshr_b32 s2, s2, 5
	v_cmp_ne_u32_e32 vcc_lo, 7, v2
	v_add_nc_u32_e32 v6, 1, v2
	v_add_co_ci_u32_e32 v4, vcc_lo, 0, v3, vcc_lo
	v_cmp_gt_u32_e32 vcc_lo, 6, v2
	s_delay_alu instid0(VALU_DEP_2) | instskip(SKIP_3) | instid1(VALU_DEP_3)
	v_lshlrev_b32_e32 v4, 2, v4
	v_cndmask_b32_e64 v5, 0, 1, vcc_lo
	v_cmp_gt_u32_e32 vcc_lo, s2, v6
	v_lshlrev_b32_e32 v1, 2, v3
	v_lshlrev_b32_e32 v5, 1, v5
	ds_load_b32 v1, v1 offset:192
	v_add_lshl_u32 v5, v5, v3, 2
	s_waitcnt lgkmcnt(0)
	ds_bpermute_b32 v4, v4, v1
	s_waitcnt lgkmcnt(0)
	v_cndmask_b32_e32 v4, 0, v4, vcc_lo
	v_cmp_gt_u32_e32 vcc_lo, 4, v2
	s_delay_alu instid0(VALU_DEP_2) | instskip(SKIP_4) | instid1(VALU_DEP_2)
	v_add_nc_u32_e32 v1, v4, v1
	v_cndmask_b32_e64 v6, 0, 1, vcc_lo
	ds_bpermute_b32 v4, v5, v1
	v_add_nc_u32_e32 v5, 2, v2
	v_add_nc_u32_e32 v2, 4, v2
	v_cmp_gt_u32_e32 vcc_lo, s2, v5
	v_lshlrev_b32_e32 v5, 2, v6
	s_delay_alu instid0(VALU_DEP_1) | instskip(SKIP_3) | instid1(VALU_DEP_2)
	v_add_lshl_u32 v3, v5, v3, 2
	s_waitcnt lgkmcnt(0)
	v_cndmask_b32_e32 v4, 0, v4, vcc_lo
	v_cmp_gt_u32_e32 vcc_lo, s2, v2
	v_add_nc_u32_e32 v1, v1, v4
	ds_bpermute_b32 v3, v3, v1
	s_waitcnt lgkmcnt(0)
	v_cndmask_b32_e32 v2, 0, v3, vcc_lo
	s_delay_alu instid0(VALU_DEP_1)
	v_add_nc_u32_e32 v1, v1, v2
.LBB370_213:
	s_or_b32 exec_lo, exec_lo, s3
.LBB370_214:
	v_cmp_eq_u32_e64 s2, 0, v0
	s_branch .LBB370_224
.LBB370_215:
	s_cmp_eq_u32 s24, 1
	s_cbranch_scc0 .LBB370_223
; %bb.216:
	s_mov_b32 s3, 0
	v_mbcnt_lo_u32_b32 v2, -1, 0
	s_lshr_b64 s[4:5], s[18:19], 8
	s_mov_b32 s21, s3
	s_lshl_b32 s2, s20, 8
	s_cmp_lg_u64 s[4:5], s[20:21]
	s_cbranch_scc0 .LBB370_227
; %bb.217:
	s_lshl_b64 s[4:5], s[2:3], 2
	v_lshlrev_b32_e32 v1, 2, v0
	s_add_u32 s4, s16, s4
	s_addc_u32 s5, s17, s5
	global_load_b32 v1, v1, s[4:5]
	s_mov_b32 s4, exec_lo
	s_waitcnt vmcnt(0)
	v_mov_b32_dpp v3, v1 quad_perm:[1,0,3,2] row_mask:0xf bank_mask:0xf
	s_delay_alu instid0(VALU_DEP_1) | instskip(NEXT) | instid1(VALU_DEP_1)
	v_add_nc_u32_e32 v1, v3, v1
	v_mov_b32_dpp v3, v1 quad_perm:[2,3,0,1] row_mask:0xf bank_mask:0xf
	s_delay_alu instid0(VALU_DEP_1) | instskip(NEXT) | instid1(VALU_DEP_1)
	v_add_nc_u32_e32 v1, v1, v3
	v_mov_b32_dpp v3, v1 row_ror:4 row_mask:0xf bank_mask:0xf
	s_delay_alu instid0(VALU_DEP_1) | instskip(NEXT) | instid1(VALU_DEP_1)
	v_add_nc_u32_e32 v1, v1, v3
	v_mov_b32_dpp v3, v1 row_ror:8 row_mask:0xf bank_mask:0xf
	s_delay_alu instid0(VALU_DEP_1)
	v_add_nc_u32_e32 v1, v1, v3
	ds_swizzle_b32 v3, v1 offset:swizzle(BROADCAST,32,15)
	s_waitcnt lgkmcnt(0)
	v_add_nc_u32_e32 v1, v1, v3
	v_mov_b32_e32 v3, 0
	ds_bpermute_b32 v1, v3, v1 offset:124
	v_cmpx_eq_u32_e32 0, v2
	s_cbranch_execz .LBB370_219
; %bb.218:
	v_lshrrev_b32_e32 v3, 3, v0
	s_delay_alu instid0(VALU_DEP_1)
	v_and_b32_e32 v3, 28, v3
	s_waitcnt lgkmcnt(0)
	ds_store_b32 v3, v1 offset:32
.LBB370_219:
	s_or_b32 exec_lo, exec_lo, s4
	s_delay_alu instid0(SALU_CYCLE_1)
	s_mov_b32 s4, exec_lo
	s_waitcnt lgkmcnt(0)
	s_barrier
	buffer_gl0_inv
	v_cmpx_gt_u32_e32 32, v0
	s_cbranch_execz .LBB370_221
; %bb.220:
	v_and_b32_e32 v1, 7, v2
	s_delay_alu instid0(VALU_DEP_1) | instskip(SKIP_4) | instid1(VALU_DEP_2)
	v_lshlrev_b32_e32 v3, 2, v1
	v_cmp_ne_u32_e32 vcc_lo, 7, v1
	ds_load_b32 v3, v3 offset:32
	v_add_co_ci_u32_e32 v4, vcc_lo, 0, v2, vcc_lo
	v_cmp_gt_u32_e32 vcc_lo, 6, v1
	v_lshlrev_b32_e32 v4, 2, v4
	v_cndmask_b32_e64 v5, 0, 1, vcc_lo
	v_cmp_gt_u32_e32 vcc_lo, 4, v1
	s_delay_alu instid0(VALU_DEP_2) | instskip(SKIP_1) | instid1(VALU_DEP_2)
	v_lshlrev_b32_e32 v5, 1, v5
	v_cndmask_b32_e64 v1, 0, 1, vcc_lo
	v_add_lshl_u32 v5, v5, v2, 2
	s_delay_alu instid0(VALU_DEP_2)
	v_lshlrev_b32_e32 v1, 2, v1
	s_waitcnt lgkmcnt(0)
	ds_bpermute_b32 v4, v4, v3
	v_add_lshl_u32 v1, v1, v2, 2
	s_waitcnt lgkmcnt(0)
	v_add_nc_u32_e32 v3, v4, v3
	ds_bpermute_b32 v4, v5, v3
	s_waitcnt lgkmcnt(0)
	v_add_nc_u32_e32 v3, v4, v3
	ds_bpermute_b32 v1, v1, v3
	s_waitcnt lgkmcnt(0)
	v_add_nc_u32_e32 v1, v1, v3
.LBB370_221:
	s_or_b32 exec_lo, exec_lo, s4
.LBB370_222:
	v_cmp_eq_u32_e64 s2, 0, v0
	s_delay_alu instid0(VALU_DEP_1)
	s_and_saveexec_b32 s3, s2
	s_cbranch_execnz .LBB370_225
	s_branch .LBB370_226
.LBB370_223:
                                        ; implicit-def: $vgpr1
                                        ; implicit-def: $sgpr20_sgpr21
.LBB370_224:
	s_delay_alu instid0(VALU_DEP_1)
	s_and_saveexec_b32 s3, s2
	s_cbranch_execz .LBB370_226
.LBB370_225:
	s_clause 0x1
	s_load_b64 s[2:3], s[0:1], 0x18
	s_load_b32 s4, s[0:1], 0x20
	s_lshl_b64 s[0:1], s[20:21], 2
	s_waitcnt lgkmcnt(0)
	s_add_u32 s0, s2, s0
	s_addc_u32 s1, s3, s1
	s_cmp_lg_u64 s[18:19], 0
	s_cselect_b32 vcc_lo, -1, 0
	v_dual_cndmask_b32 v0, 0, v1 :: v_dual_mov_b32 v1, 0
	s_delay_alu instid0(VALU_DEP_1)
	v_add_nc_u32_e32 v0, s4, v0
	global_store_b32 v1, v0, s[0:1]
.LBB370_226:
	s_nop 0
	s_sendmsg sendmsg(MSG_DEALLOC_VGPRS)
	s_endpgm
.LBB370_227:
                                        ; implicit-def: $vgpr1
	s_cbranch_execz .LBB370_222
; %bb.228:
	s_sub_i32 s4, s18, s2
	s_mov_b32 s5, exec_lo
                                        ; implicit-def: $vgpr1
	v_cmpx_gt_u32_e64 s4, v0
	s_cbranch_execz .LBB370_230
; %bb.229:
	s_lshl_b64 s[2:3], s[2:3], 2
	v_lshlrev_b32_e32 v1, 2, v0
	s_add_u32 s2, s16, s2
	s_addc_u32 s3, s17, s3
	global_load_b32 v1, v1, s[2:3]
.LBB370_230:
	s_or_b32 exec_lo, exec_lo, s5
	v_cmp_ne_u32_e32 vcc_lo, 31, v2
	s_min_u32 s2, s4, 0x100
	v_add_nc_u32_e32 v5, 1, v2
	s_mov_b32 s3, exec_lo
	v_add_co_ci_u32_e32 v3, vcc_lo, 0, v2, vcc_lo
	v_cmp_gt_u32_e32 vcc_lo, 30, v2
	s_delay_alu instid0(VALU_DEP_2)
	v_lshlrev_b32_e32 v3, 2, v3
	v_cndmask_b32_e64 v6, 0, 1, vcc_lo
	s_waitcnt vmcnt(0)
	ds_bpermute_b32 v3, v3, v1
	v_and_b32_e32 v4, 0xe0, v0
	v_lshlrev_b32_e32 v6, 1, v6
	s_delay_alu instid0(VALU_DEP_2) | instskip(NEXT) | instid1(VALU_DEP_1)
	v_sub_nc_u32_e64 v4, s2, v4 clamp
	v_cmp_lt_u32_e32 vcc_lo, v5, v4
	s_delay_alu instid0(VALU_DEP_3) | instskip(SKIP_3) | instid1(VALU_DEP_2)
	v_add_lshl_u32 v5, v6, v2, 2
	s_waitcnt lgkmcnt(0)
	v_dual_cndmask_b32 v3, 0, v3 :: v_dual_add_nc_u32 v6, 2, v2
	v_cmp_gt_u32_e32 vcc_lo, 28, v2
	v_add_nc_u32_e32 v1, v3, v1
	ds_bpermute_b32 v3, v5, v1
	v_cndmask_b32_e64 v5, 0, 1, vcc_lo
	v_cmp_lt_u32_e32 vcc_lo, v6, v4
	v_add_nc_u32_e32 v6, 4, v2
	s_delay_alu instid0(VALU_DEP_3) | instskip(NEXT) | instid1(VALU_DEP_1)
	v_lshlrev_b32_e32 v5, 2, v5
	v_add_lshl_u32 v5, v5, v2, 2
	s_waitcnt lgkmcnt(0)
	v_cndmask_b32_e32 v3, 0, v3, vcc_lo
	v_cmp_gt_u32_e32 vcc_lo, 24, v2
	s_delay_alu instid0(VALU_DEP_2) | instskip(SKIP_4) | instid1(VALU_DEP_3)
	v_add_nc_u32_e32 v1, v1, v3
	ds_bpermute_b32 v3, v5, v1
	v_cndmask_b32_e64 v5, 0, 1, vcc_lo
	v_cmp_lt_u32_e32 vcc_lo, v6, v4
	v_add_nc_u32_e32 v6, 8, v2
	v_lshlrev_b32_e32 v5, 3, v5
	s_delay_alu instid0(VALU_DEP_1) | instskip(SKIP_3) | instid1(VALU_DEP_2)
	v_add_lshl_u32 v5, v5, v2, 2
	s_waitcnt lgkmcnt(0)
	v_cndmask_b32_e32 v3, 0, v3, vcc_lo
	v_cmp_gt_u32_e32 vcc_lo, 16, v2
	v_add_nc_u32_e32 v1, v1, v3
	ds_bpermute_b32 v3, v5, v1
	v_cndmask_b32_e64 v5, 0, 1, vcc_lo
	v_cmp_lt_u32_e32 vcc_lo, v6, v4
	s_delay_alu instid0(VALU_DEP_2) | instskip(NEXT) | instid1(VALU_DEP_1)
	v_lshlrev_b32_e32 v5, 4, v5
	v_add_lshl_u32 v5, v5, v2, 2
	s_waitcnt lgkmcnt(0)
	v_cndmask_b32_e32 v3, 0, v3, vcc_lo
	s_delay_alu instid0(VALU_DEP_1) | instskip(SKIP_2) | instid1(VALU_DEP_1)
	v_add_nc_u32_e32 v1, v1, v3
	ds_bpermute_b32 v3, v5, v1
	v_add_nc_u32_e32 v5, 16, v2
	v_cmp_lt_u32_e32 vcc_lo, v5, v4
	s_waitcnt lgkmcnt(0)
	v_cndmask_b32_e32 v3, 0, v3, vcc_lo
	s_delay_alu instid0(VALU_DEP_1)
	v_add_nc_u32_e32 v1, v1, v3
	v_cmpx_eq_u32_e32 0, v2
	s_cbranch_execz .LBB370_232
; %bb.231:
	v_lshrrev_b32_e32 v3, 3, v0
	s_delay_alu instid0(VALU_DEP_1)
	v_and_b32_e32 v3, 28, v3
	ds_store_b32 v3, v1 offset:192
.LBB370_232:
	s_or_b32 exec_lo, exec_lo, s3
	s_delay_alu instid0(SALU_CYCLE_1)
	s_mov_b32 s3, exec_lo
	s_waitcnt lgkmcnt(0)
	s_barrier
	buffer_gl0_inv
	v_cmpx_gt_u32_e32 8, v0
	s_cbranch_execz .LBB370_234
; %bb.233:
	v_and_b32_e32 v3, 7, v2
	s_add_i32 s2, s2, 31
	s_delay_alu instid0(SALU_CYCLE_1) | instskip(NEXT) | instid1(VALU_DEP_1)
	s_lshr_b32 s2, s2, 5
	v_cmp_ne_u32_e32 vcc_lo, 7, v3
	v_add_nc_u32_e32 v6, 1, v3
	v_add_co_ci_u32_e32 v4, vcc_lo, 0, v2, vcc_lo
	v_cmp_gt_u32_e32 vcc_lo, 6, v3
	s_delay_alu instid0(VALU_DEP_2) | instskip(SKIP_3) | instid1(VALU_DEP_3)
	v_lshlrev_b32_e32 v4, 2, v4
	v_cndmask_b32_e64 v5, 0, 1, vcc_lo
	v_cmp_gt_u32_e32 vcc_lo, s2, v6
	v_lshlrev_b32_e32 v1, 2, v2
	v_lshlrev_b32_e32 v5, 1, v5
	ds_load_b32 v1, v1 offset:192
	v_add_lshl_u32 v5, v5, v2, 2
	s_waitcnt lgkmcnt(0)
	ds_bpermute_b32 v4, v4, v1
	s_waitcnt lgkmcnt(0)
	v_cndmask_b32_e32 v4, 0, v4, vcc_lo
	v_cmp_gt_u32_e32 vcc_lo, 4, v3
	s_delay_alu instid0(VALU_DEP_2) | instskip(SKIP_3) | instid1(VALU_DEP_1)
	v_add_nc_u32_e32 v1, v4, v1
	v_cndmask_b32_e64 v6, 0, 1, vcc_lo
	ds_bpermute_b32 v4, v5, v1
	v_add_nc_u32_e32 v5, 2, v3
	v_cmp_gt_u32_e32 vcc_lo, s2, v5
	v_lshlrev_b32_e32 v5, 2, v6
	s_delay_alu instid0(VALU_DEP_1) | instskip(SKIP_2) | instid1(VALU_DEP_1)
	v_add_lshl_u32 v2, v5, v2, 2
	s_waitcnt lgkmcnt(0)
	v_dual_cndmask_b32 v4, 0, v4 :: v_dual_add_nc_u32 v3, 4, v3
	v_add_nc_u32_e32 v1, v1, v4
	s_delay_alu instid0(VALU_DEP_2) | instskip(SKIP_3) | instid1(VALU_DEP_1)
	v_cmp_gt_u32_e32 vcc_lo, s2, v3
	ds_bpermute_b32 v2, v2, v1
	s_waitcnt lgkmcnt(0)
	v_cndmask_b32_e32 v2, 0, v2, vcc_lo
	v_add_nc_u32_e32 v1, v1, v2
.LBB370_234:
	s_or_b32 exec_lo, exec_lo, s3
	v_cmp_eq_u32_e64 s2, 0, v0
	s_delay_alu instid0(VALU_DEP_1)
	s_and_saveexec_b32 s3, s2
	s_cbranch_execnz .LBB370_225
	s_branch .LBB370_226
	.section	.rodata,"a",@progbits
	.p2align	6, 0x0
	.amdhsa_kernel _ZN7rocprim17ROCPRIM_400000_NS6detail17trampoline_kernelINS0_14default_configENS1_22reduce_config_selectorIiEEZNS1_11reduce_implILb1ES3_PiS7_iN6hipcub16HIPCUB_304000_NS6detail34convert_binary_result_type_wrapperINS9_3SumENS9_22TransformInputIteratorIbN2at6native12_GLOBAL__N_19NonZeroOpIdEEPKdlEEiEEEE10hipError_tPvRmT1_T2_T3_mT4_P12ihipStream_tbEUlT_E1_NS1_11comp_targetILNS1_3genE9ELNS1_11target_archE1100ELNS1_3gpuE3ELNS1_3repE0EEENS1_30default_config_static_selectorELNS0_4arch9wavefront6targetE0EEEvSQ_
		.amdhsa_group_segment_fixed_size 224
		.amdhsa_private_segment_fixed_size 0
		.amdhsa_kernarg_size 40
		.amdhsa_user_sgpr_count 15
		.amdhsa_user_sgpr_dispatch_ptr 0
		.amdhsa_user_sgpr_queue_ptr 0
		.amdhsa_user_sgpr_kernarg_segment_ptr 1
		.amdhsa_user_sgpr_dispatch_id 0
		.amdhsa_user_sgpr_private_segment_size 0
		.amdhsa_wavefront_size32 1
		.amdhsa_uses_dynamic_stack 0
		.amdhsa_enable_private_segment 0
		.amdhsa_system_sgpr_workgroup_id_x 1
		.amdhsa_system_sgpr_workgroup_id_y 0
		.amdhsa_system_sgpr_workgroup_id_z 0
		.amdhsa_system_sgpr_workgroup_info 0
		.amdhsa_system_vgpr_workitem_id 0
		.amdhsa_next_free_vgpr 34
		.amdhsa_next_free_sgpr 27
		.amdhsa_reserve_vcc 1
		.amdhsa_float_round_mode_32 0
		.amdhsa_float_round_mode_16_64 0
		.amdhsa_float_denorm_mode_32 3
		.amdhsa_float_denorm_mode_16_64 3
		.amdhsa_dx10_clamp 1
		.amdhsa_ieee_mode 1
		.amdhsa_fp16_overflow 0
		.amdhsa_workgroup_processor_mode 1
		.amdhsa_memory_ordered 1
		.amdhsa_forward_progress 0
		.amdhsa_shared_vgpr_count 0
		.amdhsa_exception_fp_ieee_invalid_op 0
		.amdhsa_exception_fp_denorm_src 0
		.amdhsa_exception_fp_ieee_div_zero 0
		.amdhsa_exception_fp_ieee_overflow 0
		.amdhsa_exception_fp_ieee_underflow 0
		.amdhsa_exception_fp_ieee_inexact 0
		.amdhsa_exception_int_div_zero 0
	.end_amdhsa_kernel
	.section	.text._ZN7rocprim17ROCPRIM_400000_NS6detail17trampoline_kernelINS0_14default_configENS1_22reduce_config_selectorIiEEZNS1_11reduce_implILb1ES3_PiS7_iN6hipcub16HIPCUB_304000_NS6detail34convert_binary_result_type_wrapperINS9_3SumENS9_22TransformInputIteratorIbN2at6native12_GLOBAL__N_19NonZeroOpIdEEPKdlEEiEEEE10hipError_tPvRmT1_T2_T3_mT4_P12ihipStream_tbEUlT_E1_NS1_11comp_targetILNS1_3genE9ELNS1_11target_archE1100ELNS1_3gpuE3ELNS1_3repE0EEENS1_30default_config_static_selectorELNS0_4arch9wavefront6targetE0EEEvSQ_,"axG",@progbits,_ZN7rocprim17ROCPRIM_400000_NS6detail17trampoline_kernelINS0_14default_configENS1_22reduce_config_selectorIiEEZNS1_11reduce_implILb1ES3_PiS7_iN6hipcub16HIPCUB_304000_NS6detail34convert_binary_result_type_wrapperINS9_3SumENS9_22TransformInputIteratorIbN2at6native12_GLOBAL__N_19NonZeroOpIdEEPKdlEEiEEEE10hipError_tPvRmT1_T2_T3_mT4_P12ihipStream_tbEUlT_E1_NS1_11comp_targetILNS1_3genE9ELNS1_11target_archE1100ELNS1_3gpuE3ELNS1_3repE0EEENS1_30default_config_static_selectorELNS0_4arch9wavefront6targetE0EEEvSQ_,comdat
.Lfunc_end370:
	.size	_ZN7rocprim17ROCPRIM_400000_NS6detail17trampoline_kernelINS0_14default_configENS1_22reduce_config_selectorIiEEZNS1_11reduce_implILb1ES3_PiS7_iN6hipcub16HIPCUB_304000_NS6detail34convert_binary_result_type_wrapperINS9_3SumENS9_22TransformInputIteratorIbN2at6native12_GLOBAL__N_19NonZeroOpIdEEPKdlEEiEEEE10hipError_tPvRmT1_T2_T3_mT4_P12ihipStream_tbEUlT_E1_NS1_11comp_targetILNS1_3genE9ELNS1_11target_archE1100ELNS1_3gpuE3ELNS1_3repE0EEENS1_30default_config_static_selectorELNS0_4arch9wavefront6targetE0EEEvSQ_, .Lfunc_end370-_ZN7rocprim17ROCPRIM_400000_NS6detail17trampoline_kernelINS0_14default_configENS1_22reduce_config_selectorIiEEZNS1_11reduce_implILb1ES3_PiS7_iN6hipcub16HIPCUB_304000_NS6detail34convert_binary_result_type_wrapperINS9_3SumENS9_22TransformInputIteratorIbN2at6native12_GLOBAL__N_19NonZeroOpIdEEPKdlEEiEEEE10hipError_tPvRmT1_T2_T3_mT4_P12ihipStream_tbEUlT_E1_NS1_11comp_targetILNS1_3genE9ELNS1_11target_archE1100ELNS1_3gpuE3ELNS1_3repE0EEENS1_30default_config_static_selectorELNS0_4arch9wavefront6targetE0EEEvSQ_
                                        ; -- End function
	.section	.AMDGPU.csdata,"",@progbits
; Kernel info:
; codeLenInByte = 10768
; NumSgprs: 29
; NumVgprs: 34
; ScratchSize: 0
; MemoryBound: 0
; FloatMode: 240
; IeeeMode: 1
; LDSByteSize: 224 bytes/workgroup (compile time only)
; SGPRBlocks: 3
; VGPRBlocks: 4
; NumSGPRsForWavesPerEU: 29
; NumVGPRsForWavesPerEU: 34
; Occupancy: 16
; WaveLimiterHint : 1
; COMPUTE_PGM_RSRC2:SCRATCH_EN: 0
; COMPUTE_PGM_RSRC2:USER_SGPR: 15
; COMPUTE_PGM_RSRC2:TRAP_HANDLER: 0
; COMPUTE_PGM_RSRC2:TGID_X_EN: 1
; COMPUTE_PGM_RSRC2:TGID_Y_EN: 0
; COMPUTE_PGM_RSRC2:TGID_Z_EN: 0
; COMPUTE_PGM_RSRC2:TIDIG_COMP_CNT: 0
	.section	.text._ZN7rocprim17ROCPRIM_400000_NS6detail17trampoline_kernelINS0_14default_configENS1_22reduce_config_selectorIiEEZNS1_11reduce_implILb1ES3_PiS7_iN6hipcub16HIPCUB_304000_NS6detail34convert_binary_result_type_wrapperINS9_3SumENS9_22TransformInputIteratorIbN2at6native12_GLOBAL__N_19NonZeroOpIdEEPKdlEEiEEEE10hipError_tPvRmT1_T2_T3_mT4_P12ihipStream_tbEUlT_E1_NS1_11comp_targetILNS1_3genE8ELNS1_11target_archE1030ELNS1_3gpuE2ELNS1_3repE0EEENS1_30default_config_static_selectorELNS0_4arch9wavefront6targetE0EEEvSQ_,"axG",@progbits,_ZN7rocprim17ROCPRIM_400000_NS6detail17trampoline_kernelINS0_14default_configENS1_22reduce_config_selectorIiEEZNS1_11reduce_implILb1ES3_PiS7_iN6hipcub16HIPCUB_304000_NS6detail34convert_binary_result_type_wrapperINS9_3SumENS9_22TransformInputIteratorIbN2at6native12_GLOBAL__N_19NonZeroOpIdEEPKdlEEiEEEE10hipError_tPvRmT1_T2_T3_mT4_P12ihipStream_tbEUlT_E1_NS1_11comp_targetILNS1_3genE8ELNS1_11target_archE1030ELNS1_3gpuE2ELNS1_3repE0EEENS1_30default_config_static_selectorELNS0_4arch9wavefront6targetE0EEEvSQ_,comdat
	.globl	_ZN7rocprim17ROCPRIM_400000_NS6detail17trampoline_kernelINS0_14default_configENS1_22reduce_config_selectorIiEEZNS1_11reduce_implILb1ES3_PiS7_iN6hipcub16HIPCUB_304000_NS6detail34convert_binary_result_type_wrapperINS9_3SumENS9_22TransformInputIteratorIbN2at6native12_GLOBAL__N_19NonZeroOpIdEEPKdlEEiEEEE10hipError_tPvRmT1_T2_T3_mT4_P12ihipStream_tbEUlT_E1_NS1_11comp_targetILNS1_3genE8ELNS1_11target_archE1030ELNS1_3gpuE2ELNS1_3repE0EEENS1_30default_config_static_selectorELNS0_4arch9wavefront6targetE0EEEvSQ_ ; -- Begin function _ZN7rocprim17ROCPRIM_400000_NS6detail17trampoline_kernelINS0_14default_configENS1_22reduce_config_selectorIiEEZNS1_11reduce_implILb1ES3_PiS7_iN6hipcub16HIPCUB_304000_NS6detail34convert_binary_result_type_wrapperINS9_3SumENS9_22TransformInputIteratorIbN2at6native12_GLOBAL__N_19NonZeroOpIdEEPKdlEEiEEEE10hipError_tPvRmT1_T2_T3_mT4_P12ihipStream_tbEUlT_E1_NS1_11comp_targetILNS1_3genE8ELNS1_11target_archE1030ELNS1_3gpuE2ELNS1_3repE0EEENS1_30default_config_static_selectorELNS0_4arch9wavefront6targetE0EEEvSQ_
	.p2align	8
	.type	_ZN7rocprim17ROCPRIM_400000_NS6detail17trampoline_kernelINS0_14default_configENS1_22reduce_config_selectorIiEEZNS1_11reduce_implILb1ES3_PiS7_iN6hipcub16HIPCUB_304000_NS6detail34convert_binary_result_type_wrapperINS9_3SumENS9_22TransformInputIteratorIbN2at6native12_GLOBAL__N_19NonZeroOpIdEEPKdlEEiEEEE10hipError_tPvRmT1_T2_T3_mT4_P12ihipStream_tbEUlT_E1_NS1_11comp_targetILNS1_3genE8ELNS1_11target_archE1030ELNS1_3gpuE2ELNS1_3repE0EEENS1_30default_config_static_selectorELNS0_4arch9wavefront6targetE0EEEvSQ_,@function
_ZN7rocprim17ROCPRIM_400000_NS6detail17trampoline_kernelINS0_14default_configENS1_22reduce_config_selectorIiEEZNS1_11reduce_implILb1ES3_PiS7_iN6hipcub16HIPCUB_304000_NS6detail34convert_binary_result_type_wrapperINS9_3SumENS9_22TransformInputIteratorIbN2at6native12_GLOBAL__N_19NonZeroOpIdEEPKdlEEiEEEE10hipError_tPvRmT1_T2_T3_mT4_P12ihipStream_tbEUlT_E1_NS1_11comp_targetILNS1_3genE8ELNS1_11target_archE1030ELNS1_3gpuE2ELNS1_3repE0EEENS1_30default_config_static_selectorELNS0_4arch9wavefront6targetE0EEEvSQ_: ; @_ZN7rocprim17ROCPRIM_400000_NS6detail17trampoline_kernelINS0_14default_configENS1_22reduce_config_selectorIiEEZNS1_11reduce_implILb1ES3_PiS7_iN6hipcub16HIPCUB_304000_NS6detail34convert_binary_result_type_wrapperINS9_3SumENS9_22TransformInputIteratorIbN2at6native12_GLOBAL__N_19NonZeroOpIdEEPKdlEEiEEEE10hipError_tPvRmT1_T2_T3_mT4_P12ihipStream_tbEUlT_E1_NS1_11comp_targetILNS1_3genE8ELNS1_11target_archE1030ELNS1_3gpuE2ELNS1_3repE0EEENS1_30default_config_static_selectorELNS0_4arch9wavefront6targetE0EEEvSQ_
; %bb.0:
	.section	.rodata,"a",@progbits
	.p2align	6, 0x0
	.amdhsa_kernel _ZN7rocprim17ROCPRIM_400000_NS6detail17trampoline_kernelINS0_14default_configENS1_22reduce_config_selectorIiEEZNS1_11reduce_implILb1ES3_PiS7_iN6hipcub16HIPCUB_304000_NS6detail34convert_binary_result_type_wrapperINS9_3SumENS9_22TransformInputIteratorIbN2at6native12_GLOBAL__N_19NonZeroOpIdEEPKdlEEiEEEE10hipError_tPvRmT1_T2_T3_mT4_P12ihipStream_tbEUlT_E1_NS1_11comp_targetILNS1_3genE8ELNS1_11target_archE1030ELNS1_3gpuE2ELNS1_3repE0EEENS1_30default_config_static_selectorELNS0_4arch9wavefront6targetE0EEEvSQ_
		.amdhsa_group_segment_fixed_size 0
		.amdhsa_private_segment_fixed_size 0
		.amdhsa_kernarg_size 40
		.amdhsa_user_sgpr_count 15
		.amdhsa_user_sgpr_dispatch_ptr 0
		.amdhsa_user_sgpr_queue_ptr 0
		.amdhsa_user_sgpr_kernarg_segment_ptr 1
		.amdhsa_user_sgpr_dispatch_id 0
		.amdhsa_user_sgpr_private_segment_size 0
		.amdhsa_wavefront_size32 1
		.amdhsa_uses_dynamic_stack 0
		.amdhsa_enable_private_segment 0
		.amdhsa_system_sgpr_workgroup_id_x 1
		.amdhsa_system_sgpr_workgroup_id_y 0
		.amdhsa_system_sgpr_workgroup_id_z 0
		.amdhsa_system_sgpr_workgroup_info 0
		.amdhsa_system_vgpr_workitem_id 0
		.amdhsa_next_free_vgpr 1
		.amdhsa_next_free_sgpr 1
		.amdhsa_reserve_vcc 0
		.amdhsa_float_round_mode_32 0
		.amdhsa_float_round_mode_16_64 0
		.amdhsa_float_denorm_mode_32 3
		.amdhsa_float_denorm_mode_16_64 3
		.amdhsa_dx10_clamp 1
		.amdhsa_ieee_mode 1
		.amdhsa_fp16_overflow 0
		.amdhsa_workgroup_processor_mode 1
		.amdhsa_memory_ordered 1
		.amdhsa_forward_progress 0
		.amdhsa_shared_vgpr_count 0
		.amdhsa_exception_fp_ieee_invalid_op 0
		.amdhsa_exception_fp_denorm_src 0
		.amdhsa_exception_fp_ieee_div_zero 0
		.amdhsa_exception_fp_ieee_overflow 0
		.amdhsa_exception_fp_ieee_underflow 0
		.amdhsa_exception_fp_ieee_inexact 0
		.amdhsa_exception_int_div_zero 0
	.end_amdhsa_kernel
	.section	.text._ZN7rocprim17ROCPRIM_400000_NS6detail17trampoline_kernelINS0_14default_configENS1_22reduce_config_selectorIiEEZNS1_11reduce_implILb1ES3_PiS7_iN6hipcub16HIPCUB_304000_NS6detail34convert_binary_result_type_wrapperINS9_3SumENS9_22TransformInputIteratorIbN2at6native12_GLOBAL__N_19NonZeroOpIdEEPKdlEEiEEEE10hipError_tPvRmT1_T2_T3_mT4_P12ihipStream_tbEUlT_E1_NS1_11comp_targetILNS1_3genE8ELNS1_11target_archE1030ELNS1_3gpuE2ELNS1_3repE0EEENS1_30default_config_static_selectorELNS0_4arch9wavefront6targetE0EEEvSQ_,"axG",@progbits,_ZN7rocprim17ROCPRIM_400000_NS6detail17trampoline_kernelINS0_14default_configENS1_22reduce_config_selectorIiEEZNS1_11reduce_implILb1ES3_PiS7_iN6hipcub16HIPCUB_304000_NS6detail34convert_binary_result_type_wrapperINS9_3SumENS9_22TransformInputIteratorIbN2at6native12_GLOBAL__N_19NonZeroOpIdEEPKdlEEiEEEE10hipError_tPvRmT1_T2_T3_mT4_P12ihipStream_tbEUlT_E1_NS1_11comp_targetILNS1_3genE8ELNS1_11target_archE1030ELNS1_3gpuE2ELNS1_3repE0EEENS1_30default_config_static_selectorELNS0_4arch9wavefront6targetE0EEEvSQ_,comdat
.Lfunc_end371:
	.size	_ZN7rocprim17ROCPRIM_400000_NS6detail17trampoline_kernelINS0_14default_configENS1_22reduce_config_selectorIiEEZNS1_11reduce_implILb1ES3_PiS7_iN6hipcub16HIPCUB_304000_NS6detail34convert_binary_result_type_wrapperINS9_3SumENS9_22TransformInputIteratorIbN2at6native12_GLOBAL__N_19NonZeroOpIdEEPKdlEEiEEEE10hipError_tPvRmT1_T2_T3_mT4_P12ihipStream_tbEUlT_E1_NS1_11comp_targetILNS1_3genE8ELNS1_11target_archE1030ELNS1_3gpuE2ELNS1_3repE0EEENS1_30default_config_static_selectorELNS0_4arch9wavefront6targetE0EEEvSQ_, .Lfunc_end371-_ZN7rocprim17ROCPRIM_400000_NS6detail17trampoline_kernelINS0_14default_configENS1_22reduce_config_selectorIiEEZNS1_11reduce_implILb1ES3_PiS7_iN6hipcub16HIPCUB_304000_NS6detail34convert_binary_result_type_wrapperINS9_3SumENS9_22TransformInputIteratorIbN2at6native12_GLOBAL__N_19NonZeroOpIdEEPKdlEEiEEEE10hipError_tPvRmT1_T2_T3_mT4_P12ihipStream_tbEUlT_E1_NS1_11comp_targetILNS1_3genE8ELNS1_11target_archE1030ELNS1_3gpuE2ELNS1_3repE0EEENS1_30default_config_static_selectorELNS0_4arch9wavefront6targetE0EEEvSQ_
                                        ; -- End function
	.section	.AMDGPU.csdata,"",@progbits
; Kernel info:
; codeLenInByte = 0
; NumSgprs: 0
; NumVgprs: 0
; ScratchSize: 0
; MemoryBound: 0
; FloatMode: 240
; IeeeMode: 1
; LDSByteSize: 0 bytes/workgroup (compile time only)
; SGPRBlocks: 0
; VGPRBlocks: 0
; NumSGPRsForWavesPerEU: 1
; NumVGPRsForWavesPerEU: 1
; Occupancy: 16
; WaveLimiterHint : 0
; COMPUTE_PGM_RSRC2:SCRATCH_EN: 0
; COMPUTE_PGM_RSRC2:USER_SGPR: 15
; COMPUTE_PGM_RSRC2:TRAP_HANDLER: 0
; COMPUTE_PGM_RSRC2:TGID_X_EN: 1
; COMPUTE_PGM_RSRC2:TGID_Y_EN: 0
; COMPUTE_PGM_RSRC2:TGID_Z_EN: 0
; COMPUTE_PGM_RSRC2:TIDIG_COMP_CNT: 0
	.section	.text._ZN7rocprim17ROCPRIM_400000_NS6detail17trampoline_kernelINS0_14default_configENS1_22reduce_config_selectorIbEEZNS1_11reduce_implILb1ES3_N6hipcub16HIPCUB_304000_NS22TransformInputIteratorIbN2at6native12_GLOBAL__N_19NonZeroOpIdEEPKdlEEPiiNS8_6detail34convert_binary_result_type_wrapperINS8_3SumESH_iEEEE10hipError_tPvRmT1_T2_T3_mT4_P12ihipStream_tbEUlT_E0_NS1_11comp_targetILNS1_3genE0ELNS1_11target_archE4294967295ELNS1_3gpuE0ELNS1_3repE0EEENS1_30default_config_static_selectorELNS0_4arch9wavefront6targetE0EEEvSQ_,"axG",@progbits,_ZN7rocprim17ROCPRIM_400000_NS6detail17trampoline_kernelINS0_14default_configENS1_22reduce_config_selectorIbEEZNS1_11reduce_implILb1ES3_N6hipcub16HIPCUB_304000_NS22TransformInputIteratorIbN2at6native12_GLOBAL__N_19NonZeroOpIdEEPKdlEEPiiNS8_6detail34convert_binary_result_type_wrapperINS8_3SumESH_iEEEE10hipError_tPvRmT1_T2_T3_mT4_P12ihipStream_tbEUlT_E0_NS1_11comp_targetILNS1_3genE0ELNS1_11target_archE4294967295ELNS1_3gpuE0ELNS1_3repE0EEENS1_30default_config_static_selectorELNS0_4arch9wavefront6targetE0EEEvSQ_,comdat
	.globl	_ZN7rocprim17ROCPRIM_400000_NS6detail17trampoline_kernelINS0_14default_configENS1_22reduce_config_selectorIbEEZNS1_11reduce_implILb1ES3_N6hipcub16HIPCUB_304000_NS22TransformInputIteratorIbN2at6native12_GLOBAL__N_19NonZeroOpIdEEPKdlEEPiiNS8_6detail34convert_binary_result_type_wrapperINS8_3SumESH_iEEEE10hipError_tPvRmT1_T2_T3_mT4_P12ihipStream_tbEUlT_E0_NS1_11comp_targetILNS1_3genE0ELNS1_11target_archE4294967295ELNS1_3gpuE0ELNS1_3repE0EEENS1_30default_config_static_selectorELNS0_4arch9wavefront6targetE0EEEvSQ_ ; -- Begin function _ZN7rocprim17ROCPRIM_400000_NS6detail17trampoline_kernelINS0_14default_configENS1_22reduce_config_selectorIbEEZNS1_11reduce_implILb1ES3_N6hipcub16HIPCUB_304000_NS22TransformInputIteratorIbN2at6native12_GLOBAL__N_19NonZeroOpIdEEPKdlEEPiiNS8_6detail34convert_binary_result_type_wrapperINS8_3SumESH_iEEEE10hipError_tPvRmT1_T2_T3_mT4_P12ihipStream_tbEUlT_E0_NS1_11comp_targetILNS1_3genE0ELNS1_11target_archE4294967295ELNS1_3gpuE0ELNS1_3repE0EEENS1_30default_config_static_selectorELNS0_4arch9wavefront6targetE0EEEvSQ_
	.p2align	8
	.type	_ZN7rocprim17ROCPRIM_400000_NS6detail17trampoline_kernelINS0_14default_configENS1_22reduce_config_selectorIbEEZNS1_11reduce_implILb1ES3_N6hipcub16HIPCUB_304000_NS22TransformInputIteratorIbN2at6native12_GLOBAL__N_19NonZeroOpIdEEPKdlEEPiiNS8_6detail34convert_binary_result_type_wrapperINS8_3SumESH_iEEEE10hipError_tPvRmT1_T2_T3_mT4_P12ihipStream_tbEUlT_E0_NS1_11comp_targetILNS1_3genE0ELNS1_11target_archE4294967295ELNS1_3gpuE0ELNS1_3repE0EEENS1_30default_config_static_selectorELNS0_4arch9wavefront6targetE0EEEvSQ_,@function
_ZN7rocprim17ROCPRIM_400000_NS6detail17trampoline_kernelINS0_14default_configENS1_22reduce_config_selectorIbEEZNS1_11reduce_implILb1ES3_N6hipcub16HIPCUB_304000_NS22TransformInputIteratorIbN2at6native12_GLOBAL__N_19NonZeroOpIdEEPKdlEEPiiNS8_6detail34convert_binary_result_type_wrapperINS8_3SumESH_iEEEE10hipError_tPvRmT1_T2_T3_mT4_P12ihipStream_tbEUlT_E0_NS1_11comp_targetILNS1_3genE0ELNS1_11target_archE4294967295ELNS1_3gpuE0ELNS1_3repE0EEENS1_30default_config_static_selectorELNS0_4arch9wavefront6targetE0EEEvSQ_: ; @_ZN7rocprim17ROCPRIM_400000_NS6detail17trampoline_kernelINS0_14default_configENS1_22reduce_config_selectorIbEEZNS1_11reduce_implILb1ES3_N6hipcub16HIPCUB_304000_NS22TransformInputIteratorIbN2at6native12_GLOBAL__N_19NonZeroOpIdEEPKdlEEPiiNS8_6detail34convert_binary_result_type_wrapperINS8_3SumESH_iEEEE10hipError_tPvRmT1_T2_T3_mT4_P12ihipStream_tbEUlT_E0_NS1_11comp_targetILNS1_3genE0ELNS1_11target_archE4294967295ELNS1_3gpuE0ELNS1_3repE0EEENS1_30default_config_static_selectorELNS0_4arch9wavefront6targetE0EEEvSQ_
; %bb.0:
	.section	.rodata,"a",@progbits
	.p2align	6, 0x0
	.amdhsa_kernel _ZN7rocprim17ROCPRIM_400000_NS6detail17trampoline_kernelINS0_14default_configENS1_22reduce_config_selectorIbEEZNS1_11reduce_implILb1ES3_N6hipcub16HIPCUB_304000_NS22TransformInputIteratorIbN2at6native12_GLOBAL__N_19NonZeroOpIdEEPKdlEEPiiNS8_6detail34convert_binary_result_type_wrapperINS8_3SumESH_iEEEE10hipError_tPvRmT1_T2_T3_mT4_P12ihipStream_tbEUlT_E0_NS1_11comp_targetILNS1_3genE0ELNS1_11target_archE4294967295ELNS1_3gpuE0ELNS1_3repE0EEENS1_30default_config_static_selectorELNS0_4arch9wavefront6targetE0EEEvSQ_
		.amdhsa_group_segment_fixed_size 0
		.amdhsa_private_segment_fixed_size 0
		.amdhsa_kernarg_size 64
		.amdhsa_user_sgpr_count 15
		.amdhsa_user_sgpr_dispatch_ptr 0
		.amdhsa_user_sgpr_queue_ptr 0
		.amdhsa_user_sgpr_kernarg_segment_ptr 1
		.amdhsa_user_sgpr_dispatch_id 0
		.amdhsa_user_sgpr_private_segment_size 0
		.amdhsa_wavefront_size32 1
		.amdhsa_uses_dynamic_stack 0
		.amdhsa_enable_private_segment 0
		.amdhsa_system_sgpr_workgroup_id_x 1
		.amdhsa_system_sgpr_workgroup_id_y 0
		.amdhsa_system_sgpr_workgroup_id_z 0
		.amdhsa_system_sgpr_workgroup_info 0
		.amdhsa_system_vgpr_workitem_id 0
		.amdhsa_next_free_vgpr 1
		.amdhsa_next_free_sgpr 1
		.amdhsa_reserve_vcc 0
		.amdhsa_float_round_mode_32 0
		.amdhsa_float_round_mode_16_64 0
		.amdhsa_float_denorm_mode_32 3
		.amdhsa_float_denorm_mode_16_64 3
		.amdhsa_dx10_clamp 1
		.amdhsa_ieee_mode 1
		.amdhsa_fp16_overflow 0
		.amdhsa_workgroup_processor_mode 1
		.amdhsa_memory_ordered 1
		.amdhsa_forward_progress 0
		.amdhsa_shared_vgpr_count 0
		.amdhsa_exception_fp_ieee_invalid_op 0
		.amdhsa_exception_fp_denorm_src 0
		.amdhsa_exception_fp_ieee_div_zero 0
		.amdhsa_exception_fp_ieee_overflow 0
		.amdhsa_exception_fp_ieee_underflow 0
		.amdhsa_exception_fp_ieee_inexact 0
		.amdhsa_exception_int_div_zero 0
	.end_amdhsa_kernel
	.section	.text._ZN7rocprim17ROCPRIM_400000_NS6detail17trampoline_kernelINS0_14default_configENS1_22reduce_config_selectorIbEEZNS1_11reduce_implILb1ES3_N6hipcub16HIPCUB_304000_NS22TransformInputIteratorIbN2at6native12_GLOBAL__N_19NonZeroOpIdEEPKdlEEPiiNS8_6detail34convert_binary_result_type_wrapperINS8_3SumESH_iEEEE10hipError_tPvRmT1_T2_T3_mT4_P12ihipStream_tbEUlT_E0_NS1_11comp_targetILNS1_3genE0ELNS1_11target_archE4294967295ELNS1_3gpuE0ELNS1_3repE0EEENS1_30default_config_static_selectorELNS0_4arch9wavefront6targetE0EEEvSQ_,"axG",@progbits,_ZN7rocprim17ROCPRIM_400000_NS6detail17trampoline_kernelINS0_14default_configENS1_22reduce_config_selectorIbEEZNS1_11reduce_implILb1ES3_N6hipcub16HIPCUB_304000_NS22TransformInputIteratorIbN2at6native12_GLOBAL__N_19NonZeroOpIdEEPKdlEEPiiNS8_6detail34convert_binary_result_type_wrapperINS8_3SumESH_iEEEE10hipError_tPvRmT1_T2_T3_mT4_P12ihipStream_tbEUlT_E0_NS1_11comp_targetILNS1_3genE0ELNS1_11target_archE4294967295ELNS1_3gpuE0ELNS1_3repE0EEENS1_30default_config_static_selectorELNS0_4arch9wavefront6targetE0EEEvSQ_,comdat
.Lfunc_end372:
	.size	_ZN7rocprim17ROCPRIM_400000_NS6detail17trampoline_kernelINS0_14default_configENS1_22reduce_config_selectorIbEEZNS1_11reduce_implILb1ES3_N6hipcub16HIPCUB_304000_NS22TransformInputIteratorIbN2at6native12_GLOBAL__N_19NonZeroOpIdEEPKdlEEPiiNS8_6detail34convert_binary_result_type_wrapperINS8_3SumESH_iEEEE10hipError_tPvRmT1_T2_T3_mT4_P12ihipStream_tbEUlT_E0_NS1_11comp_targetILNS1_3genE0ELNS1_11target_archE4294967295ELNS1_3gpuE0ELNS1_3repE0EEENS1_30default_config_static_selectorELNS0_4arch9wavefront6targetE0EEEvSQ_, .Lfunc_end372-_ZN7rocprim17ROCPRIM_400000_NS6detail17trampoline_kernelINS0_14default_configENS1_22reduce_config_selectorIbEEZNS1_11reduce_implILb1ES3_N6hipcub16HIPCUB_304000_NS22TransformInputIteratorIbN2at6native12_GLOBAL__N_19NonZeroOpIdEEPKdlEEPiiNS8_6detail34convert_binary_result_type_wrapperINS8_3SumESH_iEEEE10hipError_tPvRmT1_T2_T3_mT4_P12ihipStream_tbEUlT_E0_NS1_11comp_targetILNS1_3genE0ELNS1_11target_archE4294967295ELNS1_3gpuE0ELNS1_3repE0EEENS1_30default_config_static_selectorELNS0_4arch9wavefront6targetE0EEEvSQ_
                                        ; -- End function
	.section	.AMDGPU.csdata,"",@progbits
; Kernel info:
; codeLenInByte = 0
; NumSgprs: 0
; NumVgprs: 0
; ScratchSize: 0
; MemoryBound: 0
; FloatMode: 240
; IeeeMode: 1
; LDSByteSize: 0 bytes/workgroup (compile time only)
; SGPRBlocks: 0
; VGPRBlocks: 0
; NumSGPRsForWavesPerEU: 1
; NumVGPRsForWavesPerEU: 1
; Occupancy: 16
; WaveLimiterHint : 0
; COMPUTE_PGM_RSRC2:SCRATCH_EN: 0
; COMPUTE_PGM_RSRC2:USER_SGPR: 15
; COMPUTE_PGM_RSRC2:TRAP_HANDLER: 0
; COMPUTE_PGM_RSRC2:TGID_X_EN: 1
; COMPUTE_PGM_RSRC2:TGID_Y_EN: 0
; COMPUTE_PGM_RSRC2:TGID_Z_EN: 0
; COMPUTE_PGM_RSRC2:TIDIG_COMP_CNT: 0
	.section	.text._ZN7rocprim17ROCPRIM_400000_NS6detail17trampoline_kernelINS0_14default_configENS1_22reduce_config_selectorIbEEZNS1_11reduce_implILb1ES3_N6hipcub16HIPCUB_304000_NS22TransformInputIteratorIbN2at6native12_GLOBAL__N_19NonZeroOpIdEEPKdlEEPiiNS8_6detail34convert_binary_result_type_wrapperINS8_3SumESH_iEEEE10hipError_tPvRmT1_T2_T3_mT4_P12ihipStream_tbEUlT_E0_NS1_11comp_targetILNS1_3genE5ELNS1_11target_archE942ELNS1_3gpuE9ELNS1_3repE0EEENS1_30default_config_static_selectorELNS0_4arch9wavefront6targetE0EEEvSQ_,"axG",@progbits,_ZN7rocprim17ROCPRIM_400000_NS6detail17trampoline_kernelINS0_14default_configENS1_22reduce_config_selectorIbEEZNS1_11reduce_implILb1ES3_N6hipcub16HIPCUB_304000_NS22TransformInputIteratorIbN2at6native12_GLOBAL__N_19NonZeroOpIdEEPKdlEEPiiNS8_6detail34convert_binary_result_type_wrapperINS8_3SumESH_iEEEE10hipError_tPvRmT1_T2_T3_mT4_P12ihipStream_tbEUlT_E0_NS1_11comp_targetILNS1_3genE5ELNS1_11target_archE942ELNS1_3gpuE9ELNS1_3repE0EEENS1_30default_config_static_selectorELNS0_4arch9wavefront6targetE0EEEvSQ_,comdat
	.globl	_ZN7rocprim17ROCPRIM_400000_NS6detail17trampoline_kernelINS0_14default_configENS1_22reduce_config_selectorIbEEZNS1_11reduce_implILb1ES3_N6hipcub16HIPCUB_304000_NS22TransformInputIteratorIbN2at6native12_GLOBAL__N_19NonZeroOpIdEEPKdlEEPiiNS8_6detail34convert_binary_result_type_wrapperINS8_3SumESH_iEEEE10hipError_tPvRmT1_T2_T3_mT4_P12ihipStream_tbEUlT_E0_NS1_11comp_targetILNS1_3genE5ELNS1_11target_archE942ELNS1_3gpuE9ELNS1_3repE0EEENS1_30default_config_static_selectorELNS0_4arch9wavefront6targetE0EEEvSQ_ ; -- Begin function _ZN7rocprim17ROCPRIM_400000_NS6detail17trampoline_kernelINS0_14default_configENS1_22reduce_config_selectorIbEEZNS1_11reduce_implILb1ES3_N6hipcub16HIPCUB_304000_NS22TransformInputIteratorIbN2at6native12_GLOBAL__N_19NonZeroOpIdEEPKdlEEPiiNS8_6detail34convert_binary_result_type_wrapperINS8_3SumESH_iEEEE10hipError_tPvRmT1_T2_T3_mT4_P12ihipStream_tbEUlT_E0_NS1_11comp_targetILNS1_3genE5ELNS1_11target_archE942ELNS1_3gpuE9ELNS1_3repE0EEENS1_30default_config_static_selectorELNS0_4arch9wavefront6targetE0EEEvSQ_
	.p2align	8
	.type	_ZN7rocprim17ROCPRIM_400000_NS6detail17trampoline_kernelINS0_14default_configENS1_22reduce_config_selectorIbEEZNS1_11reduce_implILb1ES3_N6hipcub16HIPCUB_304000_NS22TransformInputIteratorIbN2at6native12_GLOBAL__N_19NonZeroOpIdEEPKdlEEPiiNS8_6detail34convert_binary_result_type_wrapperINS8_3SumESH_iEEEE10hipError_tPvRmT1_T2_T3_mT4_P12ihipStream_tbEUlT_E0_NS1_11comp_targetILNS1_3genE5ELNS1_11target_archE942ELNS1_3gpuE9ELNS1_3repE0EEENS1_30default_config_static_selectorELNS0_4arch9wavefront6targetE0EEEvSQ_,@function
_ZN7rocprim17ROCPRIM_400000_NS6detail17trampoline_kernelINS0_14default_configENS1_22reduce_config_selectorIbEEZNS1_11reduce_implILb1ES3_N6hipcub16HIPCUB_304000_NS22TransformInputIteratorIbN2at6native12_GLOBAL__N_19NonZeroOpIdEEPKdlEEPiiNS8_6detail34convert_binary_result_type_wrapperINS8_3SumESH_iEEEE10hipError_tPvRmT1_T2_T3_mT4_P12ihipStream_tbEUlT_E0_NS1_11comp_targetILNS1_3genE5ELNS1_11target_archE942ELNS1_3gpuE9ELNS1_3repE0EEENS1_30default_config_static_selectorELNS0_4arch9wavefront6targetE0EEEvSQ_: ; @_ZN7rocprim17ROCPRIM_400000_NS6detail17trampoline_kernelINS0_14default_configENS1_22reduce_config_selectorIbEEZNS1_11reduce_implILb1ES3_N6hipcub16HIPCUB_304000_NS22TransformInputIteratorIbN2at6native12_GLOBAL__N_19NonZeroOpIdEEPKdlEEPiiNS8_6detail34convert_binary_result_type_wrapperINS8_3SumESH_iEEEE10hipError_tPvRmT1_T2_T3_mT4_P12ihipStream_tbEUlT_E0_NS1_11comp_targetILNS1_3genE5ELNS1_11target_archE942ELNS1_3gpuE9ELNS1_3repE0EEENS1_30default_config_static_selectorELNS0_4arch9wavefront6targetE0EEEvSQ_
; %bb.0:
	.section	.rodata,"a",@progbits
	.p2align	6, 0x0
	.amdhsa_kernel _ZN7rocprim17ROCPRIM_400000_NS6detail17trampoline_kernelINS0_14default_configENS1_22reduce_config_selectorIbEEZNS1_11reduce_implILb1ES3_N6hipcub16HIPCUB_304000_NS22TransformInputIteratorIbN2at6native12_GLOBAL__N_19NonZeroOpIdEEPKdlEEPiiNS8_6detail34convert_binary_result_type_wrapperINS8_3SumESH_iEEEE10hipError_tPvRmT1_T2_T3_mT4_P12ihipStream_tbEUlT_E0_NS1_11comp_targetILNS1_3genE5ELNS1_11target_archE942ELNS1_3gpuE9ELNS1_3repE0EEENS1_30default_config_static_selectorELNS0_4arch9wavefront6targetE0EEEvSQ_
		.amdhsa_group_segment_fixed_size 0
		.amdhsa_private_segment_fixed_size 0
		.amdhsa_kernarg_size 64
		.amdhsa_user_sgpr_count 15
		.amdhsa_user_sgpr_dispatch_ptr 0
		.amdhsa_user_sgpr_queue_ptr 0
		.amdhsa_user_sgpr_kernarg_segment_ptr 1
		.amdhsa_user_sgpr_dispatch_id 0
		.amdhsa_user_sgpr_private_segment_size 0
		.amdhsa_wavefront_size32 1
		.amdhsa_uses_dynamic_stack 0
		.amdhsa_enable_private_segment 0
		.amdhsa_system_sgpr_workgroup_id_x 1
		.amdhsa_system_sgpr_workgroup_id_y 0
		.amdhsa_system_sgpr_workgroup_id_z 0
		.amdhsa_system_sgpr_workgroup_info 0
		.amdhsa_system_vgpr_workitem_id 0
		.amdhsa_next_free_vgpr 1
		.amdhsa_next_free_sgpr 1
		.amdhsa_reserve_vcc 0
		.amdhsa_float_round_mode_32 0
		.amdhsa_float_round_mode_16_64 0
		.amdhsa_float_denorm_mode_32 3
		.amdhsa_float_denorm_mode_16_64 3
		.amdhsa_dx10_clamp 1
		.amdhsa_ieee_mode 1
		.amdhsa_fp16_overflow 0
		.amdhsa_workgroup_processor_mode 1
		.amdhsa_memory_ordered 1
		.amdhsa_forward_progress 0
		.amdhsa_shared_vgpr_count 0
		.amdhsa_exception_fp_ieee_invalid_op 0
		.amdhsa_exception_fp_denorm_src 0
		.amdhsa_exception_fp_ieee_div_zero 0
		.amdhsa_exception_fp_ieee_overflow 0
		.amdhsa_exception_fp_ieee_underflow 0
		.amdhsa_exception_fp_ieee_inexact 0
		.amdhsa_exception_int_div_zero 0
	.end_amdhsa_kernel
	.section	.text._ZN7rocprim17ROCPRIM_400000_NS6detail17trampoline_kernelINS0_14default_configENS1_22reduce_config_selectorIbEEZNS1_11reduce_implILb1ES3_N6hipcub16HIPCUB_304000_NS22TransformInputIteratorIbN2at6native12_GLOBAL__N_19NonZeroOpIdEEPKdlEEPiiNS8_6detail34convert_binary_result_type_wrapperINS8_3SumESH_iEEEE10hipError_tPvRmT1_T2_T3_mT4_P12ihipStream_tbEUlT_E0_NS1_11comp_targetILNS1_3genE5ELNS1_11target_archE942ELNS1_3gpuE9ELNS1_3repE0EEENS1_30default_config_static_selectorELNS0_4arch9wavefront6targetE0EEEvSQ_,"axG",@progbits,_ZN7rocprim17ROCPRIM_400000_NS6detail17trampoline_kernelINS0_14default_configENS1_22reduce_config_selectorIbEEZNS1_11reduce_implILb1ES3_N6hipcub16HIPCUB_304000_NS22TransformInputIteratorIbN2at6native12_GLOBAL__N_19NonZeroOpIdEEPKdlEEPiiNS8_6detail34convert_binary_result_type_wrapperINS8_3SumESH_iEEEE10hipError_tPvRmT1_T2_T3_mT4_P12ihipStream_tbEUlT_E0_NS1_11comp_targetILNS1_3genE5ELNS1_11target_archE942ELNS1_3gpuE9ELNS1_3repE0EEENS1_30default_config_static_selectorELNS0_4arch9wavefront6targetE0EEEvSQ_,comdat
.Lfunc_end373:
	.size	_ZN7rocprim17ROCPRIM_400000_NS6detail17trampoline_kernelINS0_14default_configENS1_22reduce_config_selectorIbEEZNS1_11reduce_implILb1ES3_N6hipcub16HIPCUB_304000_NS22TransformInputIteratorIbN2at6native12_GLOBAL__N_19NonZeroOpIdEEPKdlEEPiiNS8_6detail34convert_binary_result_type_wrapperINS8_3SumESH_iEEEE10hipError_tPvRmT1_T2_T3_mT4_P12ihipStream_tbEUlT_E0_NS1_11comp_targetILNS1_3genE5ELNS1_11target_archE942ELNS1_3gpuE9ELNS1_3repE0EEENS1_30default_config_static_selectorELNS0_4arch9wavefront6targetE0EEEvSQ_, .Lfunc_end373-_ZN7rocprim17ROCPRIM_400000_NS6detail17trampoline_kernelINS0_14default_configENS1_22reduce_config_selectorIbEEZNS1_11reduce_implILb1ES3_N6hipcub16HIPCUB_304000_NS22TransformInputIteratorIbN2at6native12_GLOBAL__N_19NonZeroOpIdEEPKdlEEPiiNS8_6detail34convert_binary_result_type_wrapperINS8_3SumESH_iEEEE10hipError_tPvRmT1_T2_T3_mT4_P12ihipStream_tbEUlT_E0_NS1_11comp_targetILNS1_3genE5ELNS1_11target_archE942ELNS1_3gpuE9ELNS1_3repE0EEENS1_30default_config_static_selectorELNS0_4arch9wavefront6targetE0EEEvSQ_
                                        ; -- End function
	.section	.AMDGPU.csdata,"",@progbits
; Kernel info:
; codeLenInByte = 0
; NumSgprs: 0
; NumVgprs: 0
; ScratchSize: 0
; MemoryBound: 0
; FloatMode: 240
; IeeeMode: 1
; LDSByteSize: 0 bytes/workgroup (compile time only)
; SGPRBlocks: 0
; VGPRBlocks: 0
; NumSGPRsForWavesPerEU: 1
; NumVGPRsForWavesPerEU: 1
; Occupancy: 16
; WaveLimiterHint : 0
; COMPUTE_PGM_RSRC2:SCRATCH_EN: 0
; COMPUTE_PGM_RSRC2:USER_SGPR: 15
; COMPUTE_PGM_RSRC2:TRAP_HANDLER: 0
; COMPUTE_PGM_RSRC2:TGID_X_EN: 1
; COMPUTE_PGM_RSRC2:TGID_Y_EN: 0
; COMPUTE_PGM_RSRC2:TGID_Z_EN: 0
; COMPUTE_PGM_RSRC2:TIDIG_COMP_CNT: 0
	.section	.text._ZN7rocprim17ROCPRIM_400000_NS6detail17trampoline_kernelINS0_14default_configENS1_22reduce_config_selectorIbEEZNS1_11reduce_implILb1ES3_N6hipcub16HIPCUB_304000_NS22TransformInputIteratorIbN2at6native12_GLOBAL__N_19NonZeroOpIdEEPKdlEEPiiNS8_6detail34convert_binary_result_type_wrapperINS8_3SumESH_iEEEE10hipError_tPvRmT1_T2_T3_mT4_P12ihipStream_tbEUlT_E0_NS1_11comp_targetILNS1_3genE4ELNS1_11target_archE910ELNS1_3gpuE8ELNS1_3repE0EEENS1_30default_config_static_selectorELNS0_4arch9wavefront6targetE0EEEvSQ_,"axG",@progbits,_ZN7rocprim17ROCPRIM_400000_NS6detail17trampoline_kernelINS0_14default_configENS1_22reduce_config_selectorIbEEZNS1_11reduce_implILb1ES3_N6hipcub16HIPCUB_304000_NS22TransformInputIteratorIbN2at6native12_GLOBAL__N_19NonZeroOpIdEEPKdlEEPiiNS8_6detail34convert_binary_result_type_wrapperINS8_3SumESH_iEEEE10hipError_tPvRmT1_T2_T3_mT4_P12ihipStream_tbEUlT_E0_NS1_11comp_targetILNS1_3genE4ELNS1_11target_archE910ELNS1_3gpuE8ELNS1_3repE0EEENS1_30default_config_static_selectorELNS0_4arch9wavefront6targetE0EEEvSQ_,comdat
	.globl	_ZN7rocprim17ROCPRIM_400000_NS6detail17trampoline_kernelINS0_14default_configENS1_22reduce_config_selectorIbEEZNS1_11reduce_implILb1ES3_N6hipcub16HIPCUB_304000_NS22TransformInputIteratorIbN2at6native12_GLOBAL__N_19NonZeroOpIdEEPKdlEEPiiNS8_6detail34convert_binary_result_type_wrapperINS8_3SumESH_iEEEE10hipError_tPvRmT1_T2_T3_mT4_P12ihipStream_tbEUlT_E0_NS1_11comp_targetILNS1_3genE4ELNS1_11target_archE910ELNS1_3gpuE8ELNS1_3repE0EEENS1_30default_config_static_selectorELNS0_4arch9wavefront6targetE0EEEvSQ_ ; -- Begin function _ZN7rocprim17ROCPRIM_400000_NS6detail17trampoline_kernelINS0_14default_configENS1_22reduce_config_selectorIbEEZNS1_11reduce_implILb1ES3_N6hipcub16HIPCUB_304000_NS22TransformInputIteratorIbN2at6native12_GLOBAL__N_19NonZeroOpIdEEPKdlEEPiiNS8_6detail34convert_binary_result_type_wrapperINS8_3SumESH_iEEEE10hipError_tPvRmT1_T2_T3_mT4_P12ihipStream_tbEUlT_E0_NS1_11comp_targetILNS1_3genE4ELNS1_11target_archE910ELNS1_3gpuE8ELNS1_3repE0EEENS1_30default_config_static_selectorELNS0_4arch9wavefront6targetE0EEEvSQ_
	.p2align	8
	.type	_ZN7rocprim17ROCPRIM_400000_NS6detail17trampoline_kernelINS0_14default_configENS1_22reduce_config_selectorIbEEZNS1_11reduce_implILb1ES3_N6hipcub16HIPCUB_304000_NS22TransformInputIteratorIbN2at6native12_GLOBAL__N_19NonZeroOpIdEEPKdlEEPiiNS8_6detail34convert_binary_result_type_wrapperINS8_3SumESH_iEEEE10hipError_tPvRmT1_T2_T3_mT4_P12ihipStream_tbEUlT_E0_NS1_11comp_targetILNS1_3genE4ELNS1_11target_archE910ELNS1_3gpuE8ELNS1_3repE0EEENS1_30default_config_static_selectorELNS0_4arch9wavefront6targetE0EEEvSQ_,@function
_ZN7rocprim17ROCPRIM_400000_NS6detail17trampoline_kernelINS0_14default_configENS1_22reduce_config_selectorIbEEZNS1_11reduce_implILb1ES3_N6hipcub16HIPCUB_304000_NS22TransformInputIteratorIbN2at6native12_GLOBAL__N_19NonZeroOpIdEEPKdlEEPiiNS8_6detail34convert_binary_result_type_wrapperINS8_3SumESH_iEEEE10hipError_tPvRmT1_T2_T3_mT4_P12ihipStream_tbEUlT_E0_NS1_11comp_targetILNS1_3genE4ELNS1_11target_archE910ELNS1_3gpuE8ELNS1_3repE0EEENS1_30default_config_static_selectorELNS0_4arch9wavefront6targetE0EEEvSQ_: ; @_ZN7rocprim17ROCPRIM_400000_NS6detail17trampoline_kernelINS0_14default_configENS1_22reduce_config_selectorIbEEZNS1_11reduce_implILb1ES3_N6hipcub16HIPCUB_304000_NS22TransformInputIteratorIbN2at6native12_GLOBAL__N_19NonZeroOpIdEEPKdlEEPiiNS8_6detail34convert_binary_result_type_wrapperINS8_3SumESH_iEEEE10hipError_tPvRmT1_T2_T3_mT4_P12ihipStream_tbEUlT_E0_NS1_11comp_targetILNS1_3genE4ELNS1_11target_archE910ELNS1_3gpuE8ELNS1_3repE0EEENS1_30default_config_static_selectorELNS0_4arch9wavefront6targetE0EEEvSQ_
; %bb.0:
	.section	.rodata,"a",@progbits
	.p2align	6, 0x0
	.amdhsa_kernel _ZN7rocprim17ROCPRIM_400000_NS6detail17trampoline_kernelINS0_14default_configENS1_22reduce_config_selectorIbEEZNS1_11reduce_implILb1ES3_N6hipcub16HIPCUB_304000_NS22TransformInputIteratorIbN2at6native12_GLOBAL__N_19NonZeroOpIdEEPKdlEEPiiNS8_6detail34convert_binary_result_type_wrapperINS8_3SumESH_iEEEE10hipError_tPvRmT1_T2_T3_mT4_P12ihipStream_tbEUlT_E0_NS1_11comp_targetILNS1_3genE4ELNS1_11target_archE910ELNS1_3gpuE8ELNS1_3repE0EEENS1_30default_config_static_selectorELNS0_4arch9wavefront6targetE0EEEvSQ_
		.amdhsa_group_segment_fixed_size 0
		.amdhsa_private_segment_fixed_size 0
		.amdhsa_kernarg_size 64
		.amdhsa_user_sgpr_count 15
		.amdhsa_user_sgpr_dispatch_ptr 0
		.amdhsa_user_sgpr_queue_ptr 0
		.amdhsa_user_sgpr_kernarg_segment_ptr 1
		.amdhsa_user_sgpr_dispatch_id 0
		.amdhsa_user_sgpr_private_segment_size 0
		.amdhsa_wavefront_size32 1
		.amdhsa_uses_dynamic_stack 0
		.amdhsa_enable_private_segment 0
		.amdhsa_system_sgpr_workgroup_id_x 1
		.amdhsa_system_sgpr_workgroup_id_y 0
		.amdhsa_system_sgpr_workgroup_id_z 0
		.amdhsa_system_sgpr_workgroup_info 0
		.amdhsa_system_vgpr_workitem_id 0
		.amdhsa_next_free_vgpr 1
		.amdhsa_next_free_sgpr 1
		.amdhsa_reserve_vcc 0
		.amdhsa_float_round_mode_32 0
		.amdhsa_float_round_mode_16_64 0
		.amdhsa_float_denorm_mode_32 3
		.amdhsa_float_denorm_mode_16_64 3
		.amdhsa_dx10_clamp 1
		.amdhsa_ieee_mode 1
		.amdhsa_fp16_overflow 0
		.amdhsa_workgroup_processor_mode 1
		.amdhsa_memory_ordered 1
		.amdhsa_forward_progress 0
		.amdhsa_shared_vgpr_count 0
		.amdhsa_exception_fp_ieee_invalid_op 0
		.amdhsa_exception_fp_denorm_src 0
		.amdhsa_exception_fp_ieee_div_zero 0
		.amdhsa_exception_fp_ieee_overflow 0
		.amdhsa_exception_fp_ieee_underflow 0
		.amdhsa_exception_fp_ieee_inexact 0
		.amdhsa_exception_int_div_zero 0
	.end_amdhsa_kernel
	.section	.text._ZN7rocprim17ROCPRIM_400000_NS6detail17trampoline_kernelINS0_14default_configENS1_22reduce_config_selectorIbEEZNS1_11reduce_implILb1ES3_N6hipcub16HIPCUB_304000_NS22TransformInputIteratorIbN2at6native12_GLOBAL__N_19NonZeroOpIdEEPKdlEEPiiNS8_6detail34convert_binary_result_type_wrapperINS8_3SumESH_iEEEE10hipError_tPvRmT1_T2_T3_mT4_P12ihipStream_tbEUlT_E0_NS1_11comp_targetILNS1_3genE4ELNS1_11target_archE910ELNS1_3gpuE8ELNS1_3repE0EEENS1_30default_config_static_selectorELNS0_4arch9wavefront6targetE0EEEvSQ_,"axG",@progbits,_ZN7rocprim17ROCPRIM_400000_NS6detail17trampoline_kernelINS0_14default_configENS1_22reduce_config_selectorIbEEZNS1_11reduce_implILb1ES3_N6hipcub16HIPCUB_304000_NS22TransformInputIteratorIbN2at6native12_GLOBAL__N_19NonZeroOpIdEEPKdlEEPiiNS8_6detail34convert_binary_result_type_wrapperINS8_3SumESH_iEEEE10hipError_tPvRmT1_T2_T3_mT4_P12ihipStream_tbEUlT_E0_NS1_11comp_targetILNS1_3genE4ELNS1_11target_archE910ELNS1_3gpuE8ELNS1_3repE0EEENS1_30default_config_static_selectorELNS0_4arch9wavefront6targetE0EEEvSQ_,comdat
.Lfunc_end374:
	.size	_ZN7rocprim17ROCPRIM_400000_NS6detail17trampoline_kernelINS0_14default_configENS1_22reduce_config_selectorIbEEZNS1_11reduce_implILb1ES3_N6hipcub16HIPCUB_304000_NS22TransformInputIteratorIbN2at6native12_GLOBAL__N_19NonZeroOpIdEEPKdlEEPiiNS8_6detail34convert_binary_result_type_wrapperINS8_3SumESH_iEEEE10hipError_tPvRmT1_T2_T3_mT4_P12ihipStream_tbEUlT_E0_NS1_11comp_targetILNS1_3genE4ELNS1_11target_archE910ELNS1_3gpuE8ELNS1_3repE0EEENS1_30default_config_static_selectorELNS0_4arch9wavefront6targetE0EEEvSQ_, .Lfunc_end374-_ZN7rocprim17ROCPRIM_400000_NS6detail17trampoline_kernelINS0_14default_configENS1_22reduce_config_selectorIbEEZNS1_11reduce_implILb1ES3_N6hipcub16HIPCUB_304000_NS22TransformInputIteratorIbN2at6native12_GLOBAL__N_19NonZeroOpIdEEPKdlEEPiiNS8_6detail34convert_binary_result_type_wrapperINS8_3SumESH_iEEEE10hipError_tPvRmT1_T2_T3_mT4_P12ihipStream_tbEUlT_E0_NS1_11comp_targetILNS1_3genE4ELNS1_11target_archE910ELNS1_3gpuE8ELNS1_3repE0EEENS1_30default_config_static_selectorELNS0_4arch9wavefront6targetE0EEEvSQ_
                                        ; -- End function
	.section	.AMDGPU.csdata,"",@progbits
; Kernel info:
; codeLenInByte = 0
; NumSgprs: 0
; NumVgprs: 0
; ScratchSize: 0
; MemoryBound: 0
; FloatMode: 240
; IeeeMode: 1
; LDSByteSize: 0 bytes/workgroup (compile time only)
; SGPRBlocks: 0
; VGPRBlocks: 0
; NumSGPRsForWavesPerEU: 1
; NumVGPRsForWavesPerEU: 1
; Occupancy: 16
; WaveLimiterHint : 0
; COMPUTE_PGM_RSRC2:SCRATCH_EN: 0
; COMPUTE_PGM_RSRC2:USER_SGPR: 15
; COMPUTE_PGM_RSRC2:TRAP_HANDLER: 0
; COMPUTE_PGM_RSRC2:TGID_X_EN: 1
; COMPUTE_PGM_RSRC2:TGID_Y_EN: 0
; COMPUTE_PGM_RSRC2:TGID_Z_EN: 0
; COMPUTE_PGM_RSRC2:TIDIG_COMP_CNT: 0
	.section	.text._ZN7rocprim17ROCPRIM_400000_NS6detail17trampoline_kernelINS0_14default_configENS1_22reduce_config_selectorIbEEZNS1_11reduce_implILb1ES3_N6hipcub16HIPCUB_304000_NS22TransformInputIteratorIbN2at6native12_GLOBAL__N_19NonZeroOpIdEEPKdlEEPiiNS8_6detail34convert_binary_result_type_wrapperINS8_3SumESH_iEEEE10hipError_tPvRmT1_T2_T3_mT4_P12ihipStream_tbEUlT_E0_NS1_11comp_targetILNS1_3genE3ELNS1_11target_archE908ELNS1_3gpuE7ELNS1_3repE0EEENS1_30default_config_static_selectorELNS0_4arch9wavefront6targetE0EEEvSQ_,"axG",@progbits,_ZN7rocprim17ROCPRIM_400000_NS6detail17trampoline_kernelINS0_14default_configENS1_22reduce_config_selectorIbEEZNS1_11reduce_implILb1ES3_N6hipcub16HIPCUB_304000_NS22TransformInputIteratorIbN2at6native12_GLOBAL__N_19NonZeroOpIdEEPKdlEEPiiNS8_6detail34convert_binary_result_type_wrapperINS8_3SumESH_iEEEE10hipError_tPvRmT1_T2_T3_mT4_P12ihipStream_tbEUlT_E0_NS1_11comp_targetILNS1_3genE3ELNS1_11target_archE908ELNS1_3gpuE7ELNS1_3repE0EEENS1_30default_config_static_selectorELNS0_4arch9wavefront6targetE0EEEvSQ_,comdat
	.globl	_ZN7rocprim17ROCPRIM_400000_NS6detail17trampoline_kernelINS0_14default_configENS1_22reduce_config_selectorIbEEZNS1_11reduce_implILb1ES3_N6hipcub16HIPCUB_304000_NS22TransformInputIteratorIbN2at6native12_GLOBAL__N_19NonZeroOpIdEEPKdlEEPiiNS8_6detail34convert_binary_result_type_wrapperINS8_3SumESH_iEEEE10hipError_tPvRmT1_T2_T3_mT4_P12ihipStream_tbEUlT_E0_NS1_11comp_targetILNS1_3genE3ELNS1_11target_archE908ELNS1_3gpuE7ELNS1_3repE0EEENS1_30default_config_static_selectorELNS0_4arch9wavefront6targetE0EEEvSQ_ ; -- Begin function _ZN7rocprim17ROCPRIM_400000_NS6detail17trampoline_kernelINS0_14default_configENS1_22reduce_config_selectorIbEEZNS1_11reduce_implILb1ES3_N6hipcub16HIPCUB_304000_NS22TransformInputIteratorIbN2at6native12_GLOBAL__N_19NonZeroOpIdEEPKdlEEPiiNS8_6detail34convert_binary_result_type_wrapperINS8_3SumESH_iEEEE10hipError_tPvRmT1_T2_T3_mT4_P12ihipStream_tbEUlT_E0_NS1_11comp_targetILNS1_3genE3ELNS1_11target_archE908ELNS1_3gpuE7ELNS1_3repE0EEENS1_30default_config_static_selectorELNS0_4arch9wavefront6targetE0EEEvSQ_
	.p2align	8
	.type	_ZN7rocprim17ROCPRIM_400000_NS6detail17trampoline_kernelINS0_14default_configENS1_22reduce_config_selectorIbEEZNS1_11reduce_implILb1ES3_N6hipcub16HIPCUB_304000_NS22TransformInputIteratorIbN2at6native12_GLOBAL__N_19NonZeroOpIdEEPKdlEEPiiNS8_6detail34convert_binary_result_type_wrapperINS8_3SumESH_iEEEE10hipError_tPvRmT1_T2_T3_mT4_P12ihipStream_tbEUlT_E0_NS1_11comp_targetILNS1_3genE3ELNS1_11target_archE908ELNS1_3gpuE7ELNS1_3repE0EEENS1_30default_config_static_selectorELNS0_4arch9wavefront6targetE0EEEvSQ_,@function
_ZN7rocprim17ROCPRIM_400000_NS6detail17trampoline_kernelINS0_14default_configENS1_22reduce_config_selectorIbEEZNS1_11reduce_implILb1ES3_N6hipcub16HIPCUB_304000_NS22TransformInputIteratorIbN2at6native12_GLOBAL__N_19NonZeroOpIdEEPKdlEEPiiNS8_6detail34convert_binary_result_type_wrapperINS8_3SumESH_iEEEE10hipError_tPvRmT1_T2_T3_mT4_P12ihipStream_tbEUlT_E0_NS1_11comp_targetILNS1_3genE3ELNS1_11target_archE908ELNS1_3gpuE7ELNS1_3repE0EEENS1_30default_config_static_selectorELNS0_4arch9wavefront6targetE0EEEvSQ_: ; @_ZN7rocprim17ROCPRIM_400000_NS6detail17trampoline_kernelINS0_14default_configENS1_22reduce_config_selectorIbEEZNS1_11reduce_implILb1ES3_N6hipcub16HIPCUB_304000_NS22TransformInputIteratorIbN2at6native12_GLOBAL__N_19NonZeroOpIdEEPKdlEEPiiNS8_6detail34convert_binary_result_type_wrapperINS8_3SumESH_iEEEE10hipError_tPvRmT1_T2_T3_mT4_P12ihipStream_tbEUlT_E0_NS1_11comp_targetILNS1_3genE3ELNS1_11target_archE908ELNS1_3gpuE7ELNS1_3repE0EEENS1_30default_config_static_selectorELNS0_4arch9wavefront6targetE0EEEvSQ_
; %bb.0:
	.section	.rodata,"a",@progbits
	.p2align	6, 0x0
	.amdhsa_kernel _ZN7rocprim17ROCPRIM_400000_NS6detail17trampoline_kernelINS0_14default_configENS1_22reduce_config_selectorIbEEZNS1_11reduce_implILb1ES3_N6hipcub16HIPCUB_304000_NS22TransformInputIteratorIbN2at6native12_GLOBAL__N_19NonZeroOpIdEEPKdlEEPiiNS8_6detail34convert_binary_result_type_wrapperINS8_3SumESH_iEEEE10hipError_tPvRmT1_T2_T3_mT4_P12ihipStream_tbEUlT_E0_NS1_11comp_targetILNS1_3genE3ELNS1_11target_archE908ELNS1_3gpuE7ELNS1_3repE0EEENS1_30default_config_static_selectorELNS0_4arch9wavefront6targetE0EEEvSQ_
		.amdhsa_group_segment_fixed_size 0
		.amdhsa_private_segment_fixed_size 0
		.amdhsa_kernarg_size 64
		.amdhsa_user_sgpr_count 15
		.amdhsa_user_sgpr_dispatch_ptr 0
		.amdhsa_user_sgpr_queue_ptr 0
		.amdhsa_user_sgpr_kernarg_segment_ptr 1
		.amdhsa_user_sgpr_dispatch_id 0
		.amdhsa_user_sgpr_private_segment_size 0
		.amdhsa_wavefront_size32 1
		.amdhsa_uses_dynamic_stack 0
		.amdhsa_enable_private_segment 0
		.amdhsa_system_sgpr_workgroup_id_x 1
		.amdhsa_system_sgpr_workgroup_id_y 0
		.amdhsa_system_sgpr_workgroup_id_z 0
		.amdhsa_system_sgpr_workgroup_info 0
		.amdhsa_system_vgpr_workitem_id 0
		.amdhsa_next_free_vgpr 1
		.amdhsa_next_free_sgpr 1
		.amdhsa_reserve_vcc 0
		.amdhsa_float_round_mode_32 0
		.amdhsa_float_round_mode_16_64 0
		.amdhsa_float_denorm_mode_32 3
		.amdhsa_float_denorm_mode_16_64 3
		.amdhsa_dx10_clamp 1
		.amdhsa_ieee_mode 1
		.amdhsa_fp16_overflow 0
		.amdhsa_workgroup_processor_mode 1
		.amdhsa_memory_ordered 1
		.amdhsa_forward_progress 0
		.amdhsa_shared_vgpr_count 0
		.amdhsa_exception_fp_ieee_invalid_op 0
		.amdhsa_exception_fp_denorm_src 0
		.amdhsa_exception_fp_ieee_div_zero 0
		.amdhsa_exception_fp_ieee_overflow 0
		.amdhsa_exception_fp_ieee_underflow 0
		.amdhsa_exception_fp_ieee_inexact 0
		.amdhsa_exception_int_div_zero 0
	.end_amdhsa_kernel
	.section	.text._ZN7rocprim17ROCPRIM_400000_NS6detail17trampoline_kernelINS0_14default_configENS1_22reduce_config_selectorIbEEZNS1_11reduce_implILb1ES3_N6hipcub16HIPCUB_304000_NS22TransformInputIteratorIbN2at6native12_GLOBAL__N_19NonZeroOpIdEEPKdlEEPiiNS8_6detail34convert_binary_result_type_wrapperINS8_3SumESH_iEEEE10hipError_tPvRmT1_T2_T3_mT4_P12ihipStream_tbEUlT_E0_NS1_11comp_targetILNS1_3genE3ELNS1_11target_archE908ELNS1_3gpuE7ELNS1_3repE0EEENS1_30default_config_static_selectorELNS0_4arch9wavefront6targetE0EEEvSQ_,"axG",@progbits,_ZN7rocprim17ROCPRIM_400000_NS6detail17trampoline_kernelINS0_14default_configENS1_22reduce_config_selectorIbEEZNS1_11reduce_implILb1ES3_N6hipcub16HIPCUB_304000_NS22TransformInputIteratorIbN2at6native12_GLOBAL__N_19NonZeroOpIdEEPKdlEEPiiNS8_6detail34convert_binary_result_type_wrapperINS8_3SumESH_iEEEE10hipError_tPvRmT1_T2_T3_mT4_P12ihipStream_tbEUlT_E0_NS1_11comp_targetILNS1_3genE3ELNS1_11target_archE908ELNS1_3gpuE7ELNS1_3repE0EEENS1_30default_config_static_selectorELNS0_4arch9wavefront6targetE0EEEvSQ_,comdat
.Lfunc_end375:
	.size	_ZN7rocprim17ROCPRIM_400000_NS6detail17trampoline_kernelINS0_14default_configENS1_22reduce_config_selectorIbEEZNS1_11reduce_implILb1ES3_N6hipcub16HIPCUB_304000_NS22TransformInputIteratorIbN2at6native12_GLOBAL__N_19NonZeroOpIdEEPKdlEEPiiNS8_6detail34convert_binary_result_type_wrapperINS8_3SumESH_iEEEE10hipError_tPvRmT1_T2_T3_mT4_P12ihipStream_tbEUlT_E0_NS1_11comp_targetILNS1_3genE3ELNS1_11target_archE908ELNS1_3gpuE7ELNS1_3repE0EEENS1_30default_config_static_selectorELNS0_4arch9wavefront6targetE0EEEvSQ_, .Lfunc_end375-_ZN7rocprim17ROCPRIM_400000_NS6detail17trampoline_kernelINS0_14default_configENS1_22reduce_config_selectorIbEEZNS1_11reduce_implILb1ES3_N6hipcub16HIPCUB_304000_NS22TransformInputIteratorIbN2at6native12_GLOBAL__N_19NonZeroOpIdEEPKdlEEPiiNS8_6detail34convert_binary_result_type_wrapperINS8_3SumESH_iEEEE10hipError_tPvRmT1_T2_T3_mT4_P12ihipStream_tbEUlT_E0_NS1_11comp_targetILNS1_3genE3ELNS1_11target_archE908ELNS1_3gpuE7ELNS1_3repE0EEENS1_30default_config_static_selectorELNS0_4arch9wavefront6targetE0EEEvSQ_
                                        ; -- End function
	.section	.AMDGPU.csdata,"",@progbits
; Kernel info:
; codeLenInByte = 0
; NumSgprs: 0
; NumVgprs: 0
; ScratchSize: 0
; MemoryBound: 0
; FloatMode: 240
; IeeeMode: 1
; LDSByteSize: 0 bytes/workgroup (compile time only)
; SGPRBlocks: 0
; VGPRBlocks: 0
; NumSGPRsForWavesPerEU: 1
; NumVGPRsForWavesPerEU: 1
; Occupancy: 16
; WaveLimiterHint : 0
; COMPUTE_PGM_RSRC2:SCRATCH_EN: 0
; COMPUTE_PGM_RSRC2:USER_SGPR: 15
; COMPUTE_PGM_RSRC2:TRAP_HANDLER: 0
; COMPUTE_PGM_RSRC2:TGID_X_EN: 1
; COMPUTE_PGM_RSRC2:TGID_Y_EN: 0
; COMPUTE_PGM_RSRC2:TGID_Z_EN: 0
; COMPUTE_PGM_RSRC2:TIDIG_COMP_CNT: 0
	.section	.text._ZN7rocprim17ROCPRIM_400000_NS6detail17trampoline_kernelINS0_14default_configENS1_22reduce_config_selectorIbEEZNS1_11reduce_implILb1ES3_N6hipcub16HIPCUB_304000_NS22TransformInputIteratorIbN2at6native12_GLOBAL__N_19NonZeroOpIdEEPKdlEEPiiNS8_6detail34convert_binary_result_type_wrapperINS8_3SumESH_iEEEE10hipError_tPvRmT1_T2_T3_mT4_P12ihipStream_tbEUlT_E0_NS1_11comp_targetILNS1_3genE2ELNS1_11target_archE906ELNS1_3gpuE6ELNS1_3repE0EEENS1_30default_config_static_selectorELNS0_4arch9wavefront6targetE0EEEvSQ_,"axG",@progbits,_ZN7rocprim17ROCPRIM_400000_NS6detail17trampoline_kernelINS0_14default_configENS1_22reduce_config_selectorIbEEZNS1_11reduce_implILb1ES3_N6hipcub16HIPCUB_304000_NS22TransformInputIteratorIbN2at6native12_GLOBAL__N_19NonZeroOpIdEEPKdlEEPiiNS8_6detail34convert_binary_result_type_wrapperINS8_3SumESH_iEEEE10hipError_tPvRmT1_T2_T3_mT4_P12ihipStream_tbEUlT_E0_NS1_11comp_targetILNS1_3genE2ELNS1_11target_archE906ELNS1_3gpuE6ELNS1_3repE0EEENS1_30default_config_static_selectorELNS0_4arch9wavefront6targetE0EEEvSQ_,comdat
	.globl	_ZN7rocprim17ROCPRIM_400000_NS6detail17trampoline_kernelINS0_14default_configENS1_22reduce_config_selectorIbEEZNS1_11reduce_implILb1ES3_N6hipcub16HIPCUB_304000_NS22TransformInputIteratorIbN2at6native12_GLOBAL__N_19NonZeroOpIdEEPKdlEEPiiNS8_6detail34convert_binary_result_type_wrapperINS8_3SumESH_iEEEE10hipError_tPvRmT1_T2_T3_mT4_P12ihipStream_tbEUlT_E0_NS1_11comp_targetILNS1_3genE2ELNS1_11target_archE906ELNS1_3gpuE6ELNS1_3repE0EEENS1_30default_config_static_selectorELNS0_4arch9wavefront6targetE0EEEvSQ_ ; -- Begin function _ZN7rocprim17ROCPRIM_400000_NS6detail17trampoline_kernelINS0_14default_configENS1_22reduce_config_selectorIbEEZNS1_11reduce_implILb1ES3_N6hipcub16HIPCUB_304000_NS22TransformInputIteratorIbN2at6native12_GLOBAL__N_19NonZeroOpIdEEPKdlEEPiiNS8_6detail34convert_binary_result_type_wrapperINS8_3SumESH_iEEEE10hipError_tPvRmT1_T2_T3_mT4_P12ihipStream_tbEUlT_E0_NS1_11comp_targetILNS1_3genE2ELNS1_11target_archE906ELNS1_3gpuE6ELNS1_3repE0EEENS1_30default_config_static_selectorELNS0_4arch9wavefront6targetE0EEEvSQ_
	.p2align	8
	.type	_ZN7rocprim17ROCPRIM_400000_NS6detail17trampoline_kernelINS0_14default_configENS1_22reduce_config_selectorIbEEZNS1_11reduce_implILb1ES3_N6hipcub16HIPCUB_304000_NS22TransformInputIteratorIbN2at6native12_GLOBAL__N_19NonZeroOpIdEEPKdlEEPiiNS8_6detail34convert_binary_result_type_wrapperINS8_3SumESH_iEEEE10hipError_tPvRmT1_T2_T3_mT4_P12ihipStream_tbEUlT_E0_NS1_11comp_targetILNS1_3genE2ELNS1_11target_archE906ELNS1_3gpuE6ELNS1_3repE0EEENS1_30default_config_static_selectorELNS0_4arch9wavefront6targetE0EEEvSQ_,@function
_ZN7rocprim17ROCPRIM_400000_NS6detail17trampoline_kernelINS0_14default_configENS1_22reduce_config_selectorIbEEZNS1_11reduce_implILb1ES3_N6hipcub16HIPCUB_304000_NS22TransformInputIteratorIbN2at6native12_GLOBAL__N_19NonZeroOpIdEEPKdlEEPiiNS8_6detail34convert_binary_result_type_wrapperINS8_3SumESH_iEEEE10hipError_tPvRmT1_T2_T3_mT4_P12ihipStream_tbEUlT_E0_NS1_11comp_targetILNS1_3genE2ELNS1_11target_archE906ELNS1_3gpuE6ELNS1_3repE0EEENS1_30default_config_static_selectorELNS0_4arch9wavefront6targetE0EEEvSQ_: ; @_ZN7rocprim17ROCPRIM_400000_NS6detail17trampoline_kernelINS0_14default_configENS1_22reduce_config_selectorIbEEZNS1_11reduce_implILb1ES3_N6hipcub16HIPCUB_304000_NS22TransformInputIteratorIbN2at6native12_GLOBAL__N_19NonZeroOpIdEEPKdlEEPiiNS8_6detail34convert_binary_result_type_wrapperINS8_3SumESH_iEEEE10hipError_tPvRmT1_T2_T3_mT4_P12ihipStream_tbEUlT_E0_NS1_11comp_targetILNS1_3genE2ELNS1_11target_archE906ELNS1_3gpuE6ELNS1_3repE0EEENS1_30default_config_static_selectorELNS0_4arch9wavefront6targetE0EEEvSQ_
; %bb.0:
	.section	.rodata,"a",@progbits
	.p2align	6, 0x0
	.amdhsa_kernel _ZN7rocprim17ROCPRIM_400000_NS6detail17trampoline_kernelINS0_14default_configENS1_22reduce_config_selectorIbEEZNS1_11reduce_implILb1ES3_N6hipcub16HIPCUB_304000_NS22TransformInputIteratorIbN2at6native12_GLOBAL__N_19NonZeroOpIdEEPKdlEEPiiNS8_6detail34convert_binary_result_type_wrapperINS8_3SumESH_iEEEE10hipError_tPvRmT1_T2_T3_mT4_P12ihipStream_tbEUlT_E0_NS1_11comp_targetILNS1_3genE2ELNS1_11target_archE906ELNS1_3gpuE6ELNS1_3repE0EEENS1_30default_config_static_selectorELNS0_4arch9wavefront6targetE0EEEvSQ_
		.amdhsa_group_segment_fixed_size 0
		.amdhsa_private_segment_fixed_size 0
		.amdhsa_kernarg_size 64
		.amdhsa_user_sgpr_count 15
		.amdhsa_user_sgpr_dispatch_ptr 0
		.amdhsa_user_sgpr_queue_ptr 0
		.amdhsa_user_sgpr_kernarg_segment_ptr 1
		.amdhsa_user_sgpr_dispatch_id 0
		.amdhsa_user_sgpr_private_segment_size 0
		.amdhsa_wavefront_size32 1
		.amdhsa_uses_dynamic_stack 0
		.amdhsa_enable_private_segment 0
		.amdhsa_system_sgpr_workgroup_id_x 1
		.amdhsa_system_sgpr_workgroup_id_y 0
		.amdhsa_system_sgpr_workgroup_id_z 0
		.amdhsa_system_sgpr_workgroup_info 0
		.amdhsa_system_vgpr_workitem_id 0
		.amdhsa_next_free_vgpr 1
		.amdhsa_next_free_sgpr 1
		.amdhsa_reserve_vcc 0
		.amdhsa_float_round_mode_32 0
		.amdhsa_float_round_mode_16_64 0
		.amdhsa_float_denorm_mode_32 3
		.amdhsa_float_denorm_mode_16_64 3
		.amdhsa_dx10_clamp 1
		.amdhsa_ieee_mode 1
		.amdhsa_fp16_overflow 0
		.amdhsa_workgroup_processor_mode 1
		.amdhsa_memory_ordered 1
		.amdhsa_forward_progress 0
		.amdhsa_shared_vgpr_count 0
		.amdhsa_exception_fp_ieee_invalid_op 0
		.amdhsa_exception_fp_denorm_src 0
		.amdhsa_exception_fp_ieee_div_zero 0
		.amdhsa_exception_fp_ieee_overflow 0
		.amdhsa_exception_fp_ieee_underflow 0
		.amdhsa_exception_fp_ieee_inexact 0
		.amdhsa_exception_int_div_zero 0
	.end_amdhsa_kernel
	.section	.text._ZN7rocprim17ROCPRIM_400000_NS6detail17trampoline_kernelINS0_14default_configENS1_22reduce_config_selectorIbEEZNS1_11reduce_implILb1ES3_N6hipcub16HIPCUB_304000_NS22TransformInputIteratorIbN2at6native12_GLOBAL__N_19NonZeroOpIdEEPKdlEEPiiNS8_6detail34convert_binary_result_type_wrapperINS8_3SumESH_iEEEE10hipError_tPvRmT1_T2_T3_mT4_P12ihipStream_tbEUlT_E0_NS1_11comp_targetILNS1_3genE2ELNS1_11target_archE906ELNS1_3gpuE6ELNS1_3repE0EEENS1_30default_config_static_selectorELNS0_4arch9wavefront6targetE0EEEvSQ_,"axG",@progbits,_ZN7rocprim17ROCPRIM_400000_NS6detail17trampoline_kernelINS0_14default_configENS1_22reduce_config_selectorIbEEZNS1_11reduce_implILb1ES3_N6hipcub16HIPCUB_304000_NS22TransformInputIteratorIbN2at6native12_GLOBAL__N_19NonZeroOpIdEEPKdlEEPiiNS8_6detail34convert_binary_result_type_wrapperINS8_3SumESH_iEEEE10hipError_tPvRmT1_T2_T3_mT4_P12ihipStream_tbEUlT_E0_NS1_11comp_targetILNS1_3genE2ELNS1_11target_archE906ELNS1_3gpuE6ELNS1_3repE0EEENS1_30default_config_static_selectorELNS0_4arch9wavefront6targetE0EEEvSQ_,comdat
.Lfunc_end376:
	.size	_ZN7rocprim17ROCPRIM_400000_NS6detail17trampoline_kernelINS0_14default_configENS1_22reduce_config_selectorIbEEZNS1_11reduce_implILb1ES3_N6hipcub16HIPCUB_304000_NS22TransformInputIteratorIbN2at6native12_GLOBAL__N_19NonZeroOpIdEEPKdlEEPiiNS8_6detail34convert_binary_result_type_wrapperINS8_3SumESH_iEEEE10hipError_tPvRmT1_T2_T3_mT4_P12ihipStream_tbEUlT_E0_NS1_11comp_targetILNS1_3genE2ELNS1_11target_archE906ELNS1_3gpuE6ELNS1_3repE0EEENS1_30default_config_static_selectorELNS0_4arch9wavefront6targetE0EEEvSQ_, .Lfunc_end376-_ZN7rocprim17ROCPRIM_400000_NS6detail17trampoline_kernelINS0_14default_configENS1_22reduce_config_selectorIbEEZNS1_11reduce_implILb1ES3_N6hipcub16HIPCUB_304000_NS22TransformInputIteratorIbN2at6native12_GLOBAL__N_19NonZeroOpIdEEPKdlEEPiiNS8_6detail34convert_binary_result_type_wrapperINS8_3SumESH_iEEEE10hipError_tPvRmT1_T2_T3_mT4_P12ihipStream_tbEUlT_E0_NS1_11comp_targetILNS1_3genE2ELNS1_11target_archE906ELNS1_3gpuE6ELNS1_3repE0EEENS1_30default_config_static_selectorELNS0_4arch9wavefront6targetE0EEEvSQ_
                                        ; -- End function
	.section	.AMDGPU.csdata,"",@progbits
; Kernel info:
; codeLenInByte = 0
; NumSgprs: 0
; NumVgprs: 0
; ScratchSize: 0
; MemoryBound: 0
; FloatMode: 240
; IeeeMode: 1
; LDSByteSize: 0 bytes/workgroup (compile time only)
; SGPRBlocks: 0
; VGPRBlocks: 0
; NumSGPRsForWavesPerEU: 1
; NumVGPRsForWavesPerEU: 1
; Occupancy: 16
; WaveLimiterHint : 0
; COMPUTE_PGM_RSRC2:SCRATCH_EN: 0
; COMPUTE_PGM_RSRC2:USER_SGPR: 15
; COMPUTE_PGM_RSRC2:TRAP_HANDLER: 0
; COMPUTE_PGM_RSRC2:TGID_X_EN: 1
; COMPUTE_PGM_RSRC2:TGID_Y_EN: 0
; COMPUTE_PGM_RSRC2:TGID_Z_EN: 0
; COMPUTE_PGM_RSRC2:TIDIG_COMP_CNT: 0
	.section	.text._ZN7rocprim17ROCPRIM_400000_NS6detail17trampoline_kernelINS0_14default_configENS1_22reduce_config_selectorIbEEZNS1_11reduce_implILb1ES3_N6hipcub16HIPCUB_304000_NS22TransformInputIteratorIbN2at6native12_GLOBAL__N_19NonZeroOpIdEEPKdlEEPiiNS8_6detail34convert_binary_result_type_wrapperINS8_3SumESH_iEEEE10hipError_tPvRmT1_T2_T3_mT4_P12ihipStream_tbEUlT_E0_NS1_11comp_targetILNS1_3genE10ELNS1_11target_archE1201ELNS1_3gpuE5ELNS1_3repE0EEENS1_30default_config_static_selectorELNS0_4arch9wavefront6targetE0EEEvSQ_,"axG",@progbits,_ZN7rocprim17ROCPRIM_400000_NS6detail17trampoline_kernelINS0_14default_configENS1_22reduce_config_selectorIbEEZNS1_11reduce_implILb1ES3_N6hipcub16HIPCUB_304000_NS22TransformInputIteratorIbN2at6native12_GLOBAL__N_19NonZeroOpIdEEPKdlEEPiiNS8_6detail34convert_binary_result_type_wrapperINS8_3SumESH_iEEEE10hipError_tPvRmT1_T2_T3_mT4_P12ihipStream_tbEUlT_E0_NS1_11comp_targetILNS1_3genE10ELNS1_11target_archE1201ELNS1_3gpuE5ELNS1_3repE0EEENS1_30default_config_static_selectorELNS0_4arch9wavefront6targetE0EEEvSQ_,comdat
	.globl	_ZN7rocprim17ROCPRIM_400000_NS6detail17trampoline_kernelINS0_14default_configENS1_22reduce_config_selectorIbEEZNS1_11reduce_implILb1ES3_N6hipcub16HIPCUB_304000_NS22TransformInputIteratorIbN2at6native12_GLOBAL__N_19NonZeroOpIdEEPKdlEEPiiNS8_6detail34convert_binary_result_type_wrapperINS8_3SumESH_iEEEE10hipError_tPvRmT1_T2_T3_mT4_P12ihipStream_tbEUlT_E0_NS1_11comp_targetILNS1_3genE10ELNS1_11target_archE1201ELNS1_3gpuE5ELNS1_3repE0EEENS1_30default_config_static_selectorELNS0_4arch9wavefront6targetE0EEEvSQ_ ; -- Begin function _ZN7rocprim17ROCPRIM_400000_NS6detail17trampoline_kernelINS0_14default_configENS1_22reduce_config_selectorIbEEZNS1_11reduce_implILb1ES3_N6hipcub16HIPCUB_304000_NS22TransformInputIteratorIbN2at6native12_GLOBAL__N_19NonZeroOpIdEEPKdlEEPiiNS8_6detail34convert_binary_result_type_wrapperINS8_3SumESH_iEEEE10hipError_tPvRmT1_T2_T3_mT4_P12ihipStream_tbEUlT_E0_NS1_11comp_targetILNS1_3genE10ELNS1_11target_archE1201ELNS1_3gpuE5ELNS1_3repE0EEENS1_30default_config_static_selectorELNS0_4arch9wavefront6targetE0EEEvSQ_
	.p2align	8
	.type	_ZN7rocprim17ROCPRIM_400000_NS6detail17trampoline_kernelINS0_14default_configENS1_22reduce_config_selectorIbEEZNS1_11reduce_implILb1ES3_N6hipcub16HIPCUB_304000_NS22TransformInputIteratorIbN2at6native12_GLOBAL__N_19NonZeroOpIdEEPKdlEEPiiNS8_6detail34convert_binary_result_type_wrapperINS8_3SumESH_iEEEE10hipError_tPvRmT1_T2_T3_mT4_P12ihipStream_tbEUlT_E0_NS1_11comp_targetILNS1_3genE10ELNS1_11target_archE1201ELNS1_3gpuE5ELNS1_3repE0EEENS1_30default_config_static_selectorELNS0_4arch9wavefront6targetE0EEEvSQ_,@function
_ZN7rocprim17ROCPRIM_400000_NS6detail17trampoline_kernelINS0_14default_configENS1_22reduce_config_selectorIbEEZNS1_11reduce_implILb1ES3_N6hipcub16HIPCUB_304000_NS22TransformInputIteratorIbN2at6native12_GLOBAL__N_19NonZeroOpIdEEPKdlEEPiiNS8_6detail34convert_binary_result_type_wrapperINS8_3SumESH_iEEEE10hipError_tPvRmT1_T2_T3_mT4_P12ihipStream_tbEUlT_E0_NS1_11comp_targetILNS1_3genE10ELNS1_11target_archE1201ELNS1_3gpuE5ELNS1_3repE0EEENS1_30default_config_static_selectorELNS0_4arch9wavefront6targetE0EEEvSQ_: ; @_ZN7rocprim17ROCPRIM_400000_NS6detail17trampoline_kernelINS0_14default_configENS1_22reduce_config_selectorIbEEZNS1_11reduce_implILb1ES3_N6hipcub16HIPCUB_304000_NS22TransformInputIteratorIbN2at6native12_GLOBAL__N_19NonZeroOpIdEEPKdlEEPiiNS8_6detail34convert_binary_result_type_wrapperINS8_3SumESH_iEEEE10hipError_tPvRmT1_T2_T3_mT4_P12ihipStream_tbEUlT_E0_NS1_11comp_targetILNS1_3genE10ELNS1_11target_archE1201ELNS1_3gpuE5ELNS1_3repE0EEENS1_30default_config_static_selectorELNS0_4arch9wavefront6targetE0EEEvSQ_
; %bb.0:
	.section	.rodata,"a",@progbits
	.p2align	6, 0x0
	.amdhsa_kernel _ZN7rocprim17ROCPRIM_400000_NS6detail17trampoline_kernelINS0_14default_configENS1_22reduce_config_selectorIbEEZNS1_11reduce_implILb1ES3_N6hipcub16HIPCUB_304000_NS22TransformInputIteratorIbN2at6native12_GLOBAL__N_19NonZeroOpIdEEPKdlEEPiiNS8_6detail34convert_binary_result_type_wrapperINS8_3SumESH_iEEEE10hipError_tPvRmT1_T2_T3_mT4_P12ihipStream_tbEUlT_E0_NS1_11comp_targetILNS1_3genE10ELNS1_11target_archE1201ELNS1_3gpuE5ELNS1_3repE0EEENS1_30default_config_static_selectorELNS0_4arch9wavefront6targetE0EEEvSQ_
		.amdhsa_group_segment_fixed_size 0
		.amdhsa_private_segment_fixed_size 0
		.amdhsa_kernarg_size 64
		.amdhsa_user_sgpr_count 15
		.amdhsa_user_sgpr_dispatch_ptr 0
		.amdhsa_user_sgpr_queue_ptr 0
		.amdhsa_user_sgpr_kernarg_segment_ptr 1
		.amdhsa_user_sgpr_dispatch_id 0
		.amdhsa_user_sgpr_private_segment_size 0
		.amdhsa_wavefront_size32 1
		.amdhsa_uses_dynamic_stack 0
		.amdhsa_enable_private_segment 0
		.amdhsa_system_sgpr_workgroup_id_x 1
		.amdhsa_system_sgpr_workgroup_id_y 0
		.amdhsa_system_sgpr_workgroup_id_z 0
		.amdhsa_system_sgpr_workgroup_info 0
		.amdhsa_system_vgpr_workitem_id 0
		.amdhsa_next_free_vgpr 1
		.amdhsa_next_free_sgpr 1
		.amdhsa_reserve_vcc 0
		.amdhsa_float_round_mode_32 0
		.amdhsa_float_round_mode_16_64 0
		.amdhsa_float_denorm_mode_32 3
		.amdhsa_float_denorm_mode_16_64 3
		.amdhsa_dx10_clamp 1
		.amdhsa_ieee_mode 1
		.amdhsa_fp16_overflow 0
		.amdhsa_workgroup_processor_mode 1
		.amdhsa_memory_ordered 1
		.amdhsa_forward_progress 0
		.amdhsa_shared_vgpr_count 0
		.amdhsa_exception_fp_ieee_invalid_op 0
		.amdhsa_exception_fp_denorm_src 0
		.amdhsa_exception_fp_ieee_div_zero 0
		.amdhsa_exception_fp_ieee_overflow 0
		.amdhsa_exception_fp_ieee_underflow 0
		.amdhsa_exception_fp_ieee_inexact 0
		.amdhsa_exception_int_div_zero 0
	.end_amdhsa_kernel
	.section	.text._ZN7rocprim17ROCPRIM_400000_NS6detail17trampoline_kernelINS0_14default_configENS1_22reduce_config_selectorIbEEZNS1_11reduce_implILb1ES3_N6hipcub16HIPCUB_304000_NS22TransformInputIteratorIbN2at6native12_GLOBAL__N_19NonZeroOpIdEEPKdlEEPiiNS8_6detail34convert_binary_result_type_wrapperINS8_3SumESH_iEEEE10hipError_tPvRmT1_T2_T3_mT4_P12ihipStream_tbEUlT_E0_NS1_11comp_targetILNS1_3genE10ELNS1_11target_archE1201ELNS1_3gpuE5ELNS1_3repE0EEENS1_30default_config_static_selectorELNS0_4arch9wavefront6targetE0EEEvSQ_,"axG",@progbits,_ZN7rocprim17ROCPRIM_400000_NS6detail17trampoline_kernelINS0_14default_configENS1_22reduce_config_selectorIbEEZNS1_11reduce_implILb1ES3_N6hipcub16HIPCUB_304000_NS22TransformInputIteratorIbN2at6native12_GLOBAL__N_19NonZeroOpIdEEPKdlEEPiiNS8_6detail34convert_binary_result_type_wrapperINS8_3SumESH_iEEEE10hipError_tPvRmT1_T2_T3_mT4_P12ihipStream_tbEUlT_E0_NS1_11comp_targetILNS1_3genE10ELNS1_11target_archE1201ELNS1_3gpuE5ELNS1_3repE0EEENS1_30default_config_static_selectorELNS0_4arch9wavefront6targetE0EEEvSQ_,comdat
.Lfunc_end377:
	.size	_ZN7rocprim17ROCPRIM_400000_NS6detail17trampoline_kernelINS0_14default_configENS1_22reduce_config_selectorIbEEZNS1_11reduce_implILb1ES3_N6hipcub16HIPCUB_304000_NS22TransformInputIteratorIbN2at6native12_GLOBAL__N_19NonZeroOpIdEEPKdlEEPiiNS8_6detail34convert_binary_result_type_wrapperINS8_3SumESH_iEEEE10hipError_tPvRmT1_T2_T3_mT4_P12ihipStream_tbEUlT_E0_NS1_11comp_targetILNS1_3genE10ELNS1_11target_archE1201ELNS1_3gpuE5ELNS1_3repE0EEENS1_30default_config_static_selectorELNS0_4arch9wavefront6targetE0EEEvSQ_, .Lfunc_end377-_ZN7rocprim17ROCPRIM_400000_NS6detail17trampoline_kernelINS0_14default_configENS1_22reduce_config_selectorIbEEZNS1_11reduce_implILb1ES3_N6hipcub16HIPCUB_304000_NS22TransformInputIteratorIbN2at6native12_GLOBAL__N_19NonZeroOpIdEEPKdlEEPiiNS8_6detail34convert_binary_result_type_wrapperINS8_3SumESH_iEEEE10hipError_tPvRmT1_T2_T3_mT4_P12ihipStream_tbEUlT_E0_NS1_11comp_targetILNS1_3genE10ELNS1_11target_archE1201ELNS1_3gpuE5ELNS1_3repE0EEENS1_30default_config_static_selectorELNS0_4arch9wavefront6targetE0EEEvSQ_
                                        ; -- End function
	.section	.AMDGPU.csdata,"",@progbits
; Kernel info:
; codeLenInByte = 0
; NumSgprs: 0
; NumVgprs: 0
; ScratchSize: 0
; MemoryBound: 0
; FloatMode: 240
; IeeeMode: 1
; LDSByteSize: 0 bytes/workgroup (compile time only)
; SGPRBlocks: 0
; VGPRBlocks: 0
; NumSGPRsForWavesPerEU: 1
; NumVGPRsForWavesPerEU: 1
; Occupancy: 16
; WaveLimiterHint : 0
; COMPUTE_PGM_RSRC2:SCRATCH_EN: 0
; COMPUTE_PGM_RSRC2:USER_SGPR: 15
; COMPUTE_PGM_RSRC2:TRAP_HANDLER: 0
; COMPUTE_PGM_RSRC2:TGID_X_EN: 1
; COMPUTE_PGM_RSRC2:TGID_Y_EN: 0
; COMPUTE_PGM_RSRC2:TGID_Z_EN: 0
; COMPUTE_PGM_RSRC2:TIDIG_COMP_CNT: 0
	.section	.text._ZN7rocprim17ROCPRIM_400000_NS6detail17trampoline_kernelINS0_14default_configENS1_22reduce_config_selectorIbEEZNS1_11reduce_implILb1ES3_N6hipcub16HIPCUB_304000_NS22TransformInputIteratorIbN2at6native12_GLOBAL__N_19NonZeroOpIdEEPKdlEEPiiNS8_6detail34convert_binary_result_type_wrapperINS8_3SumESH_iEEEE10hipError_tPvRmT1_T2_T3_mT4_P12ihipStream_tbEUlT_E0_NS1_11comp_targetILNS1_3genE10ELNS1_11target_archE1200ELNS1_3gpuE4ELNS1_3repE0EEENS1_30default_config_static_selectorELNS0_4arch9wavefront6targetE0EEEvSQ_,"axG",@progbits,_ZN7rocprim17ROCPRIM_400000_NS6detail17trampoline_kernelINS0_14default_configENS1_22reduce_config_selectorIbEEZNS1_11reduce_implILb1ES3_N6hipcub16HIPCUB_304000_NS22TransformInputIteratorIbN2at6native12_GLOBAL__N_19NonZeroOpIdEEPKdlEEPiiNS8_6detail34convert_binary_result_type_wrapperINS8_3SumESH_iEEEE10hipError_tPvRmT1_T2_T3_mT4_P12ihipStream_tbEUlT_E0_NS1_11comp_targetILNS1_3genE10ELNS1_11target_archE1200ELNS1_3gpuE4ELNS1_3repE0EEENS1_30default_config_static_selectorELNS0_4arch9wavefront6targetE0EEEvSQ_,comdat
	.globl	_ZN7rocprim17ROCPRIM_400000_NS6detail17trampoline_kernelINS0_14default_configENS1_22reduce_config_selectorIbEEZNS1_11reduce_implILb1ES3_N6hipcub16HIPCUB_304000_NS22TransformInputIteratorIbN2at6native12_GLOBAL__N_19NonZeroOpIdEEPKdlEEPiiNS8_6detail34convert_binary_result_type_wrapperINS8_3SumESH_iEEEE10hipError_tPvRmT1_T2_T3_mT4_P12ihipStream_tbEUlT_E0_NS1_11comp_targetILNS1_3genE10ELNS1_11target_archE1200ELNS1_3gpuE4ELNS1_3repE0EEENS1_30default_config_static_selectorELNS0_4arch9wavefront6targetE0EEEvSQ_ ; -- Begin function _ZN7rocprim17ROCPRIM_400000_NS6detail17trampoline_kernelINS0_14default_configENS1_22reduce_config_selectorIbEEZNS1_11reduce_implILb1ES3_N6hipcub16HIPCUB_304000_NS22TransformInputIteratorIbN2at6native12_GLOBAL__N_19NonZeroOpIdEEPKdlEEPiiNS8_6detail34convert_binary_result_type_wrapperINS8_3SumESH_iEEEE10hipError_tPvRmT1_T2_T3_mT4_P12ihipStream_tbEUlT_E0_NS1_11comp_targetILNS1_3genE10ELNS1_11target_archE1200ELNS1_3gpuE4ELNS1_3repE0EEENS1_30default_config_static_selectorELNS0_4arch9wavefront6targetE0EEEvSQ_
	.p2align	8
	.type	_ZN7rocprim17ROCPRIM_400000_NS6detail17trampoline_kernelINS0_14default_configENS1_22reduce_config_selectorIbEEZNS1_11reduce_implILb1ES3_N6hipcub16HIPCUB_304000_NS22TransformInputIteratorIbN2at6native12_GLOBAL__N_19NonZeroOpIdEEPKdlEEPiiNS8_6detail34convert_binary_result_type_wrapperINS8_3SumESH_iEEEE10hipError_tPvRmT1_T2_T3_mT4_P12ihipStream_tbEUlT_E0_NS1_11comp_targetILNS1_3genE10ELNS1_11target_archE1200ELNS1_3gpuE4ELNS1_3repE0EEENS1_30default_config_static_selectorELNS0_4arch9wavefront6targetE0EEEvSQ_,@function
_ZN7rocprim17ROCPRIM_400000_NS6detail17trampoline_kernelINS0_14default_configENS1_22reduce_config_selectorIbEEZNS1_11reduce_implILb1ES3_N6hipcub16HIPCUB_304000_NS22TransformInputIteratorIbN2at6native12_GLOBAL__N_19NonZeroOpIdEEPKdlEEPiiNS8_6detail34convert_binary_result_type_wrapperINS8_3SumESH_iEEEE10hipError_tPvRmT1_T2_T3_mT4_P12ihipStream_tbEUlT_E0_NS1_11comp_targetILNS1_3genE10ELNS1_11target_archE1200ELNS1_3gpuE4ELNS1_3repE0EEENS1_30default_config_static_selectorELNS0_4arch9wavefront6targetE0EEEvSQ_: ; @_ZN7rocprim17ROCPRIM_400000_NS6detail17trampoline_kernelINS0_14default_configENS1_22reduce_config_selectorIbEEZNS1_11reduce_implILb1ES3_N6hipcub16HIPCUB_304000_NS22TransformInputIteratorIbN2at6native12_GLOBAL__N_19NonZeroOpIdEEPKdlEEPiiNS8_6detail34convert_binary_result_type_wrapperINS8_3SumESH_iEEEE10hipError_tPvRmT1_T2_T3_mT4_P12ihipStream_tbEUlT_E0_NS1_11comp_targetILNS1_3genE10ELNS1_11target_archE1200ELNS1_3gpuE4ELNS1_3repE0EEENS1_30default_config_static_selectorELNS0_4arch9wavefront6targetE0EEEvSQ_
; %bb.0:
	.section	.rodata,"a",@progbits
	.p2align	6, 0x0
	.amdhsa_kernel _ZN7rocprim17ROCPRIM_400000_NS6detail17trampoline_kernelINS0_14default_configENS1_22reduce_config_selectorIbEEZNS1_11reduce_implILb1ES3_N6hipcub16HIPCUB_304000_NS22TransformInputIteratorIbN2at6native12_GLOBAL__N_19NonZeroOpIdEEPKdlEEPiiNS8_6detail34convert_binary_result_type_wrapperINS8_3SumESH_iEEEE10hipError_tPvRmT1_T2_T3_mT4_P12ihipStream_tbEUlT_E0_NS1_11comp_targetILNS1_3genE10ELNS1_11target_archE1200ELNS1_3gpuE4ELNS1_3repE0EEENS1_30default_config_static_selectorELNS0_4arch9wavefront6targetE0EEEvSQ_
		.amdhsa_group_segment_fixed_size 0
		.amdhsa_private_segment_fixed_size 0
		.amdhsa_kernarg_size 64
		.amdhsa_user_sgpr_count 15
		.amdhsa_user_sgpr_dispatch_ptr 0
		.amdhsa_user_sgpr_queue_ptr 0
		.amdhsa_user_sgpr_kernarg_segment_ptr 1
		.amdhsa_user_sgpr_dispatch_id 0
		.amdhsa_user_sgpr_private_segment_size 0
		.amdhsa_wavefront_size32 1
		.amdhsa_uses_dynamic_stack 0
		.amdhsa_enable_private_segment 0
		.amdhsa_system_sgpr_workgroup_id_x 1
		.amdhsa_system_sgpr_workgroup_id_y 0
		.amdhsa_system_sgpr_workgroup_id_z 0
		.amdhsa_system_sgpr_workgroup_info 0
		.amdhsa_system_vgpr_workitem_id 0
		.amdhsa_next_free_vgpr 1
		.amdhsa_next_free_sgpr 1
		.amdhsa_reserve_vcc 0
		.amdhsa_float_round_mode_32 0
		.amdhsa_float_round_mode_16_64 0
		.amdhsa_float_denorm_mode_32 3
		.amdhsa_float_denorm_mode_16_64 3
		.amdhsa_dx10_clamp 1
		.amdhsa_ieee_mode 1
		.amdhsa_fp16_overflow 0
		.amdhsa_workgroup_processor_mode 1
		.amdhsa_memory_ordered 1
		.amdhsa_forward_progress 0
		.amdhsa_shared_vgpr_count 0
		.amdhsa_exception_fp_ieee_invalid_op 0
		.amdhsa_exception_fp_denorm_src 0
		.amdhsa_exception_fp_ieee_div_zero 0
		.amdhsa_exception_fp_ieee_overflow 0
		.amdhsa_exception_fp_ieee_underflow 0
		.amdhsa_exception_fp_ieee_inexact 0
		.amdhsa_exception_int_div_zero 0
	.end_amdhsa_kernel
	.section	.text._ZN7rocprim17ROCPRIM_400000_NS6detail17trampoline_kernelINS0_14default_configENS1_22reduce_config_selectorIbEEZNS1_11reduce_implILb1ES3_N6hipcub16HIPCUB_304000_NS22TransformInputIteratorIbN2at6native12_GLOBAL__N_19NonZeroOpIdEEPKdlEEPiiNS8_6detail34convert_binary_result_type_wrapperINS8_3SumESH_iEEEE10hipError_tPvRmT1_T2_T3_mT4_P12ihipStream_tbEUlT_E0_NS1_11comp_targetILNS1_3genE10ELNS1_11target_archE1200ELNS1_3gpuE4ELNS1_3repE0EEENS1_30default_config_static_selectorELNS0_4arch9wavefront6targetE0EEEvSQ_,"axG",@progbits,_ZN7rocprim17ROCPRIM_400000_NS6detail17trampoline_kernelINS0_14default_configENS1_22reduce_config_selectorIbEEZNS1_11reduce_implILb1ES3_N6hipcub16HIPCUB_304000_NS22TransformInputIteratorIbN2at6native12_GLOBAL__N_19NonZeroOpIdEEPKdlEEPiiNS8_6detail34convert_binary_result_type_wrapperINS8_3SumESH_iEEEE10hipError_tPvRmT1_T2_T3_mT4_P12ihipStream_tbEUlT_E0_NS1_11comp_targetILNS1_3genE10ELNS1_11target_archE1200ELNS1_3gpuE4ELNS1_3repE0EEENS1_30default_config_static_selectorELNS0_4arch9wavefront6targetE0EEEvSQ_,comdat
.Lfunc_end378:
	.size	_ZN7rocprim17ROCPRIM_400000_NS6detail17trampoline_kernelINS0_14default_configENS1_22reduce_config_selectorIbEEZNS1_11reduce_implILb1ES3_N6hipcub16HIPCUB_304000_NS22TransformInputIteratorIbN2at6native12_GLOBAL__N_19NonZeroOpIdEEPKdlEEPiiNS8_6detail34convert_binary_result_type_wrapperINS8_3SumESH_iEEEE10hipError_tPvRmT1_T2_T3_mT4_P12ihipStream_tbEUlT_E0_NS1_11comp_targetILNS1_3genE10ELNS1_11target_archE1200ELNS1_3gpuE4ELNS1_3repE0EEENS1_30default_config_static_selectorELNS0_4arch9wavefront6targetE0EEEvSQ_, .Lfunc_end378-_ZN7rocprim17ROCPRIM_400000_NS6detail17trampoline_kernelINS0_14default_configENS1_22reduce_config_selectorIbEEZNS1_11reduce_implILb1ES3_N6hipcub16HIPCUB_304000_NS22TransformInputIteratorIbN2at6native12_GLOBAL__N_19NonZeroOpIdEEPKdlEEPiiNS8_6detail34convert_binary_result_type_wrapperINS8_3SumESH_iEEEE10hipError_tPvRmT1_T2_T3_mT4_P12ihipStream_tbEUlT_E0_NS1_11comp_targetILNS1_3genE10ELNS1_11target_archE1200ELNS1_3gpuE4ELNS1_3repE0EEENS1_30default_config_static_selectorELNS0_4arch9wavefront6targetE0EEEvSQ_
                                        ; -- End function
	.section	.AMDGPU.csdata,"",@progbits
; Kernel info:
; codeLenInByte = 0
; NumSgprs: 0
; NumVgprs: 0
; ScratchSize: 0
; MemoryBound: 0
; FloatMode: 240
; IeeeMode: 1
; LDSByteSize: 0 bytes/workgroup (compile time only)
; SGPRBlocks: 0
; VGPRBlocks: 0
; NumSGPRsForWavesPerEU: 1
; NumVGPRsForWavesPerEU: 1
; Occupancy: 16
; WaveLimiterHint : 0
; COMPUTE_PGM_RSRC2:SCRATCH_EN: 0
; COMPUTE_PGM_RSRC2:USER_SGPR: 15
; COMPUTE_PGM_RSRC2:TRAP_HANDLER: 0
; COMPUTE_PGM_RSRC2:TGID_X_EN: 1
; COMPUTE_PGM_RSRC2:TGID_Y_EN: 0
; COMPUTE_PGM_RSRC2:TGID_Z_EN: 0
; COMPUTE_PGM_RSRC2:TIDIG_COMP_CNT: 0
	.section	.text._ZN7rocprim17ROCPRIM_400000_NS6detail17trampoline_kernelINS0_14default_configENS1_22reduce_config_selectorIbEEZNS1_11reduce_implILb1ES3_N6hipcub16HIPCUB_304000_NS22TransformInputIteratorIbN2at6native12_GLOBAL__N_19NonZeroOpIdEEPKdlEEPiiNS8_6detail34convert_binary_result_type_wrapperINS8_3SumESH_iEEEE10hipError_tPvRmT1_T2_T3_mT4_P12ihipStream_tbEUlT_E0_NS1_11comp_targetILNS1_3genE9ELNS1_11target_archE1100ELNS1_3gpuE3ELNS1_3repE0EEENS1_30default_config_static_selectorELNS0_4arch9wavefront6targetE0EEEvSQ_,"axG",@progbits,_ZN7rocprim17ROCPRIM_400000_NS6detail17trampoline_kernelINS0_14default_configENS1_22reduce_config_selectorIbEEZNS1_11reduce_implILb1ES3_N6hipcub16HIPCUB_304000_NS22TransformInputIteratorIbN2at6native12_GLOBAL__N_19NonZeroOpIdEEPKdlEEPiiNS8_6detail34convert_binary_result_type_wrapperINS8_3SumESH_iEEEE10hipError_tPvRmT1_T2_T3_mT4_P12ihipStream_tbEUlT_E0_NS1_11comp_targetILNS1_3genE9ELNS1_11target_archE1100ELNS1_3gpuE3ELNS1_3repE0EEENS1_30default_config_static_selectorELNS0_4arch9wavefront6targetE0EEEvSQ_,comdat
	.globl	_ZN7rocprim17ROCPRIM_400000_NS6detail17trampoline_kernelINS0_14default_configENS1_22reduce_config_selectorIbEEZNS1_11reduce_implILb1ES3_N6hipcub16HIPCUB_304000_NS22TransformInputIteratorIbN2at6native12_GLOBAL__N_19NonZeroOpIdEEPKdlEEPiiNS8_6detail34convert_binary_result_type_wrapperINS8_3SumESH_iEEEE10hipError_tPvRmT1_T2_T3_mT4_P12ihipStream_tbEUlT_E0_NS1_11comp_targetILNS1_3genE9ELNS1_11target_archE1100ELNS1_3gpuE3ELNS1_3repE0EEENS1_30default_config_static_selectorELNS0_4arch9wavefront6targetE0EEEvSQ_ ; -- Begin function _ZN7rocprim17ROCPRIM_400000_NS6detail17trampoline_kernelINS0_14default_configENS1_22reduce_config_selectorIbEEZNS1_11reduce_implILb1ES3_N6hipcub16HIPCUB_304000_NS22TransformInputIteratorIbN2at6native12_GLOBAL__N_19NonZeroOpIdEEPKdlEEPiiNS8_6detail34convert_binary_result_type_wrapperINS8_3SumESH_iEEEE10hipError_tPvRmT1_T2_T3_mT4_P12ihipStream_tbEUlT_E0_NS1_11comp_targetILNS1_3genE9ELNS1_11target_archE1100ELNS1_3gpuE3ELNS1_3repE0EEENS1_30default_config_static_selectorELNS0_4arch9wavefront6targetE0EEEvSQ_
	.p2align	8
	.type	_ZN7rocprim17ROCPRIM_400000_NS6detail17trampoline_kernelINS0_14default_configENS1_22reduce_config_selectorIbEEZNS1_11reduce_implILb1ES3_N6hipcub16HIPCUB_304000_NS22TransformInputIteratorIbN2at6native12_GLOBAL__N_19NonZeroOpIdEEPKdlEEPiiNS8_6detail34convert_binary_result_type_wrapperINS8_3SumESH_iEEEE10hipError_tPvRmT1_T2_T3_mT4_P12ihipStream_tbEUlT_E0_NS1_11comp_targetILNS1_3genE9ELNS1_11target_archE1100ELNS1_3gpuE3ELNS1_3repE0EEENS1_30default_config_static_selectorELNS0_4arch9wavefront6targetE0EEEvSQ_,@function
_ZN7rocprim17ROCPRIM_400000_NS6detail17trampoline_kernelINS0_14default_configENS1_22reduce_config_selectorIbEEZNS1_11reduce_implILb1ES3_N6hipcub16HIPCUB_304000_NS22TransformInputIteratorIbN2at6native12_GLOBAL__N_19NonZeroOpIdEEPKdlEEPiiNS8_6detail34convert_binary_result_type_wrapperINS8_3SumESH_iEEEE10hipError_tPvRmT1_T2_T3_mT4_P12ihipStream_tbEUlT_E0_NS1_11comp_targetILNS1_3genE9ELNS1_11target_archE1100ELNS1_3gpuE3ELNS1_3repE0EEENS1_30default_config_static_selectorELNS0_4arch9wavefront6targetE0EEEvSQ_: ; @_ZN7rocprim17ROCPRIM_400000_NS6detail17trampoline_kernelINS0_14default_configENS1_22reduce_config_selectorIbEEZNS1_11reduce_implILb1ES3_N6hipcub16HIPCUB_304000_NS22TransformInputIteratorIbN2at6native12_GLOBAL__N_19NonZeroOpIdEEPKdlEEPiiNS8_6detail34convert_binary_result_type_wrapperINS8_3SumESH_iEEEE10hipError_tPvRmT1_T2_T3_mT4_P12ihipStream_tbEUlT_E0_NS1_11comp_targetILNS1_3genE9ELNS1_11target_archE1100ELNS1_3gpuE3ELNS1_3repE0EEENS1_30default_config_static_selectorELNS0_4arch9wavefront6targetE0EEEvSQ_
; %bb.0:
	s_clause 0x2
	s_load_b256 s[16:23], s[0:1], 0x10
	s_load_b64 s[4:5], s[0:1], 0x0
	s_load_b64 s[26:27], s[0:1], 0x30
	s_mov_b32 s3, 0
	v_lshlrev_b32_e32 v18, 3, v0
	v_mbcnt_lo_u32_b32 v17, -1, 0
	s_mov_b32 s24, s15
	s_mov_b32 s25, s3
	s_waitcnt lgkmcnt(0)
	s_lshl_b64 s[6:7], s[16:17], 3
	s_delay_alu instid0(SALU_CYCLE_1) | instskip(SKIP_4) | instid1(SALU_CYCLE_1)
	s_add_u32 s8, s4, s6
	s_addc_u32 s9, s5, s7
	s_lshl_b32 s2, s15, 11
	s_lshr_b64 s[6:7], s[18:19], 11
	s_lshl_b64 s[4:5], s[2:3], 3
	s_add_u32 s16, s8, s4
	s_addc_u32 s17, s9, s5
	s_cmp_lg_u64 s[6:7], s[24:25]
	s_cbranch_scc0 .LBB379_6
; %bb.1:
	s_clause 0x2
	global_load_b64 v[1:2], v18, s[16:17]
	global_load_b64 v[3:4], v18, s[16:17] offset:1024
	global_load_b64 v[5:6], v18, s[16:17] offset:2048
	v_add_co_u32 v25, s3, s16, v18
	s_delay_alu instid0(VALU_DEP_1) | instskip(SKIP_1) | instid1(VALU_DEP_2)
	v_add_co_ci_u32_e64 v26, null, s17, 0, s3
	s_mov_b32 s3, exec_lo
	v_add_co_u32 v7, vcc_lo, v25, 0x2000
	s_delay_alu instid0(VALU_DEP_2)
	v_add_co_ci_u32_e32 v8, vcc_lo, 0, v26, vcc_lo
	v_add_co_u32 v9, vcc_lo, 0x1000, v25
	v_add_co_ci_u32_e32 v10, vcc_lo, 0, v26, vcc_lo
	s_clause 0x2
	global_load_b64 v[11:12], v[7:8], off offset:-4096
	global_load_b64 v[13:14], v18, s[16:17] offset:3072
	global_load_b64 v[15:16], v[9:10], off offset:2048
	v_add_co_u32 v19, vcc_lo, 0x2000, v25
	v_add_co_ci_u32_e32 v20, vcc_lo, 0, v26, vcc_lo
	s_clause 0x3
	global_load_b64 v[21:22], v[9:10], off offset:1024
	global_load_b64 v[9:10], v[9:10], off offset:3072
	global_load_b64 v[7:8], v[7:8], off
	global_load_b64 v[23:24], v[19:20], off offset:2048
	v_add_co_u32 v25, vcc_lo, 0x3000, v25
	v_add_co_ci_u32_e32 v26, vcc_lo, 0, v26, vcc_lo
	s_clause 0x5
	global_load_b64 v[27:28], v[19:20], off offset:1024
	global_load_b64 v[29:30], v[25:26], off
	global_load_b64 v[19:20], v[19:20], off offset:3072
	global_load_b64 v[31:32], v[25:26], off offset:2048
	;; [unrolled: 1-line block ×4, first 2 shown]
	s_waitcnt vmcnt(15)
	v_cmp_neq_f64_e32 vcc_lo, 0, v[1:2]
	v_cndmask_b32_e64 v1, 0, 1, vcc_lo
	s_waitcnt vmcnt(13)
	v_cmp_neq_f64_e32 vcc_lo, 0, v[5:6]
	v_cndmask_b32_e64 v2, 0, 1, vcc_lo
	v_cmp_neq_f64_e32 vcc_lo, 0, v[3:4]
	v_add_co_ci_u32_e32 v1, vcc_lo, 0, v1, vcc_lo
	s_waitcnt vmcnt(12)
	v_cmp_neq_f64_e32 vcc_lo, 0, v[11:12]
	v_cndmask_b32_e64 v3, 0, 1, vcc_lo
	s_waitcnt vmcnt(11)
	v_cmp_neq_f64_e32 vcc_lo, 0, v[13:14]
	v_add_co_ci_u32_e32 v1, vcc_lo, v1, v2, vcc_lo
	s_waitcnt vmcnt(10)
	v_cmp_neq_f64_e32 vcc_lo, 0, v[15:16]
	v_cndmask_b32_e64 v2, 0, 1, vcc_lo
	s_waitcnt vmcnt(9)
	v_cmp_neq_f64_e32 vcc_lo, 0, v[21:22]
	v_add_co_ci_u32_e32 v1, vcc_lo, v1, v3, vcc_lo
	s_waitcnt vmcnt(7)
	v_cmp_neq_f64_e32 vcc_lo, 0, v[7:8]
	v_cndmask_b32_e64 v3, 0, 1, vcc_lo
	v_cmp_neq_f64_e32 vcc_lo, 0, v[9:10]
	v_add_co_ci_u32_e32 v1, vcc_lo, v1, v2, vcc_lo
	s_waitcnt vmcnt(6)
	v_cmp_neq_f64_e32 vcc_lo, 0, v[23:24]
	v_cndmask_b32_e64 v2, 0, 1, vcc_lo
	s_waitcnt vmcnt(5)
	v_cmp_neq_f64_e32 vcc_lo, 0, v[27:28]
	v_add_co_ci_u32_e32 v1, vcc_lo, v1, v3, vcc_lo
	s_waitcnt vmcnt(4)
	v_cmp_neq_f64_e32 vcc_lo, 0, v[29:30]
	v_cndmask_b32_e64 v3, 0, 1, vcc_lo
	s_waitcnt vmcnt(3)
	;; [unrolled: 6-line block ×3, first 2 shown]
	v_cmp_neq_f64_e32 vcc_lo, 0, v[33:34]
	v_add_co_ci_u32_e32 v1, vcc_lo, v1, v3, vcc_lo
	s_waitcnt vmcnt(0)
	v_cmp_neq_f64_e32 vcc_lo, 0, v[25:26]
	v_mov_b32_e32 v3, 0
	s_delay_alu instid0(VALU_DEP_3) | instskip(NEXT) | instid1(VALU_DEP_1)
	v_add_co_ci_u32_e32 v1, vcc_lo, v1, v2, vcc_lo
	v_mov_b32_dpp v2, v1 quad_perm:[1,0,3,2] row_mask:0xf bank_mask:0xf
	s_delay_alu instid0(VALU_DEP_1) | instskip(NEXT) | instid1(VALU_DEP_1)
	v_add_nc_u32_e32 v1, v1, v2
	v_mov_b32_dpp v2, v1 quad_perm:[2,3,0,1] row_mask:0xf bank_mask:0xf
	s_delay_alu instid0(VALU_DEP_1) | instskip(NEXT) | instid1(VALU_DEP_1)
	v_add_nc_u32_e32 v1, v1, v2
	v_mov_b32_dpp v2, v1 row_ror:4 row_mask:0xf bank_mask:0xf
	s_delay_alu instid0(VALU_DEP_1) | instskip(NEXT) | instid1(VALU_DEP_1)
	v_add_nc_u32_e32 v1, v1, v2
	v_mov_b32_dpp v2, v1 row_ror:8 row_mask:0xf bank_mask:0xf
	s_delay_alu instid0(VALU_DEP_1)
	v_add_nc_u32_e32 v1, v1, v2
	ds_swizzle_b32 v2, v1 offset:swizzle(BROADCAST,32,15)
	s_waitcnt lgkmcnt(0)
	v_add_nc_u32_e32 v1, v1, v2
	ds_bpermute_b32 v1, v3, v1 offset:124
	v_cmpx_eq_u32_e32 0, v17
	s_cbranch_execz .LBB379_3
; %bb.2:
	v_lshrrev_b32_e32 v2, 3, v0
	s_delay_alu instid0(VALU_DEP_1)
	v_and_b32_e32 v2, 12, v2
	s_waitcnt lgkmcnt(0)
	ds_store_b32 v2, v1
.LBB379_3:
	s_or_b32 exec_lo, exec_lo, s3
	s_delay_alu instid0(SALU_CYCLE_1)
	s_mov_b32 s3, exec_lo
	s_waitcnt lgkmcnt(0)
	s_barrier
	buffer_gl0_inv
	v_cmpx_gt_u32_e32 32, v0
	s_cbranch_execz .LBB379_5
; %bb.4:
	v_and_b32_e32 v1, 3, v17
	s_delay_alu instid0(VALU_DEP_1) | instskip(SKIP_4) | instid1(VALU_DEP_2)
	v_lshlrev_b32_e32 v2, 2, v1
	v_cmp_ne_u32_e32 vcc_lo, 3, v1
	ds_load_b32 v2, v2
	v_add_co_ci_u32_e32 v3, vcc_lo, 0, v17, vcc_lo
	v_cmp_gt_u32_e32 vcc_lo, 2, v1
	v_lshlrev_b32_e32 v3, 2, v3
	v_cndmask_b32_e64 v1, 0, 1, vcc_lo
	s_delay_alu instid0(VALU_DEP_1) | instskip(NEXT) | instid1(VALU_DEP_1)
	v_lshlrev_b32_e32 v1, 1, v1
	v_add_lshl_u32 v1, v1, v17, 2
	s_waitcnt lgkmcnt(0)
	ds_bpermute_b32 v3, v3, v2
	s_waitcnt lgkmcnt(0)
	v_add_nc_u32_e32 v2, v3, v2
	ds_bpermute_b32 v1, v1, v2
	s_waitcnt lgkmcnt(0)
	v_add_nc_u32_e32 v1, v1, v2
.LBB379_5:
	s_or_b32 exec_lo, exec_lo, s3
	s_branch .LBB379_44
.LBB379_6:
                                        ; implicit-def: $vgpr1
	s_cbranch_execz .LBB379_44
; %bb.7:
	s_sub_i32 s28, s18, s2
	s_mov_b32 s2, exec_lo
                                        ; implicit-def: $vgpr1_vgpr2_vgpr3_vgpr4_vgpr5_vgpr6_vgpr7_vgpr8_vgpr9_vgpr10_vgpr11_vgpr12_vgpr13_vgpr14_vgpr15_vgpr16
	v_cmpx_gt_u32_e64 s28, v0
	s_cbranch_execz .LBB379_9
; %bb.8:
	global_load_b64 v[1:2], v18, s[16:17]
	s_waitcnt vmcnt(0)
	v_cmp_neq_f64_e32 vcc_lo, 0, v[1:2]
	v_cndmask_b32_e64 v1, 0, 1, vcc_lo
.LBB379_9:
	s_or_b32 exec_lo, exec_lo, s2
	v_or_b32_e32 v19, 0x80, v0
	s_delay_alu instid0(VALU_DEP_1)
	v_cmp_gt_u32_e32 vcc_lo, s28, v19
	s_and_saveexec_b32 s3, vcc_lo
	s_cbranch_execz .LBB379_11
; %bb.10:
	global_load_b64 v[19:20], v18, s[16:17] offset:1024
	s_waitcnt vmcnt(0)
	v_cmp_neq_f64_e64 s2, 0, v[19:20]
	s_delay_alu instid0(VALU_DEP_1)
	v_cndmask_b32_e64 v2, 0, 1, s2
.LBB379_11:
	s_or_b32 exec_lo, exec_lo, s3
	v_or_b32_e32 v19, 0x100, v0
	s_delay_alu instid0(VALU_DEP_1) | instskip(NEXT) | instid1(VALU_DEP_1)
	v_cmp_gt_u32_e64 s2, s28, v19
	s_and_saveexec_b32 s4, s2
	s_cbranch_execz .LBB379_13
; %bb.12:
	global_load_b64 v[19:20], v18, s[16:17] offset:2048
	s_waitcnt vmcnt(0)
	v_cmp_neq_f64_e64 s3, 0, v[19:20]
	s_delay_alu instid0(VALU_DEP_1)
	v_cndmask_b32_e64 v3, 0, 1, s3
.LBB379_13:
	s_or_b32 exec_lo, exec_lo, s4
	v_or_b32_e32 v19, 0x180, v0
	s_delay_alu instid0(VALU_DEP_1) | instskip(NEXT) | instid1(VALU_DEP_1)
	v_cmp_gt_u32_e64 s3, s28, v19
	s_and_saveexec_b32 s5, s3
	;; [unrolled: 13-line block ×3, first 2 shown]
	s_cbranch_execz .LBB379_17
; %bb.16:
	v_lshlrev_b32_e32 v5, 3, v18
	global_load_b64 v[18:19], v5, s[16:17]
	s_waitcnt vmcnt(0)
	v_cmp_neq_f64_e64 s5, 0, v[18:19]
	s_delay_alu instid0(VALU_DEP_1)
	v_cndmask_b32_e64 v5, 0, 1, s5
.LBB379_17:
	s_or_b32 exec_lo, exec_lo, s6
	v_or_b32_e32 v18, 0x280, v0
	s_delay_alu instid0(VALU_DEP_1) | instskip(NEXT) | instid1(VALU_DEP_1)
	v_cmp_gt_u32_e64 s5, s28, v18
	s_and_saveexec_b32 s7, s5
	s_cbranch_execz .LBB379_19
; %bb.18:
	v_lshlrev_b32_e32 v6, 3, v18
	global_load_b64 v[18:19], v6, s[16:17]
	s_waitcnt vmcnt(0)
	v_cmp_neq_f64_e64 s6, 0, v[18:19]
	s_delay_alu instid0(VALU_DEP_1)
	v_cndmask_b32_e64 v6, 0, 1, s6
.LBB379_19:
	s_or_b32 exec_lo, exec_lo, s7
	v_or_b32_e32 v18, 0x300, v0
	s_delay_alu instid0(VALU_DEP_1) | instskip(NEXT) | instid1(VALU_DEP_1)
	v_cmp_gt_u32_e64 s6, s28, v18
	s_and_saveexec_b32 s8, s6
	;; [unrolled: 14-line block ×11, first 2 shown]
	s_cbranch_execz .LBB379_39
; %bb.38:
	v_lshlrev_b32_e32 v16, 3, v18
	global_load_b64 v[18:19], v16, s[16:17]
	s_waitcnt vmcnt(0)
	v_cmp_neq_f64_e64 s16, 0, v[18:19]
	s_delay_alu instid0(VALU_DEP_1)
	v_cndmask_b32_e64 v16, 0, 1, s16
.LBB379_39:
	s_or_b32 exec_lo, exec_lo, s29
	v_cndmask_b32_e32 v2, 0, v2, vcc_lo
	v_cndmask_b32_e64 v3, 0, v3, s2
	v_cndmask_b32_e64 v4, 0, v4, s3
	v_cmp_ne_u32_e32 vcc_lo, 31, v17
	s_min_u32 s2, s28, 0x80
	v_add_nc_u32_e32 v1, v2, v1
	v_cndmask_b32_e64 v2, 0, v5, s4
	v_cndmask_b32_e64 v5, 0, v6, s5
	;; [unrolled: 1-line block ×3, first 2 shown]
	s_mov_b32 s3, exec_lo
	v_add3_u32 v1, v1, v3, v4
	v_cndmask_b32_e64 v3, 0, v7, s6
	v_cndmask_b32_e64 v4, 0, v8, s7
	s_delay_alu instid0(VALU_DEP_3) | instskip(SKIP_2) | instid1(VALU_DEP_3)
	v_add3_u32 v1, v1, v2, v5
	v_cndmask_b32_e64 v2, 0, v9, s8
	v_cndmask_b32_e64 v5, 0, v10, s9
	v_add3_u32 v1, v1, v3, v4
	v_cndmask_b32_e64 v3, 0, v11, s10
	v_cndmask_b32_e64 v4, 0, v12, s11
	s_delay_alu instid0(VALU_DEP_3) | instskip(SKIP_2) | instid1(VALU_DEP_3)
	v_add3_u32 v1, v1, v2, v5
	v_cndmask_b32_e64 v2, 0, v13, s12
	v_cndmask_b32_e64 v5, 0, v14, s13
	v_add3_u32 v1, v1, v3, v4
	v_cndmask_b32_e64 v3, 0, v16, s15
	v_add_co_ci_u32_e32 v4, vcc_lo, 0, v17, vcc_lo
	v_cmp_gt_u32_e32 vcc_lo, 30, v17
	s_delay_alu instid0(VALU_DEP_4) | instskip(NEXT) | instid1(VALU_DEP_3)
	v_add3_u32 v1, v1, v2, v5
	v_lshlrev_b32_e32 v2, 2, v4
	v_add_nc_u32_e32 v4, 1, v17
	v_cndmask_b32_e64 v5, 0, 1, vcc_lo
	s_delay_alu instid0(VALU_DEP_4) | instskip(SKIP_1) | instid1(VALU_DEP_3)
	v_add3_u32 v1, v1, v6, v3
	v_and_b32_e32 v3, 0x60, v0
	v_lshlrev_b32_e32 v5, 1, v5
	ds_bpermute_b32 v2, v2, v1
	v_sub_nc_u32_e64 v3, s2, v3 clamp
	s_delay_alu instid0(VALU_DEP_1) | instskip(SKIP_4) | instid1(VALU_DEP_2)
	v_cmp_lt_u32_e32 vcc_lo, v4, v3
	v_add_lshl_u32 v4, v5, v17, 2
	s_waitcnt lgkmcnt(0)
	v_dual_cndmask_b32 v2, 0, v2 :: v_dual_add_nc_u32 v5, 2, v17
	v_cmp_gt_u32_e32 vcc_lo, 28, v17
	v_add_nc_u32_e32 v1, v1, v2
	ds_bpermute_b32 v2, v4, v1
	v_cndmask_b32_e64 v4, 0, 1, vcc_lo
	v_cmp_lt_u32_e32 vcc_lo, v5, v3
	v_add_nc_u32_e32 v5, 4, v17
	s_delay_alu instid0(VALU_DEP_3) | instskip(NEXT) | instid1(VALU_DEP_1)
	v_lshlrev_b32_e32 v4, 2, v4
	v_add_lshl_u32 v4, v4, v17, 2
	s_waitcnt lgkmcnt(0)
	v_cndmask_b32_e32 v2, 0, v2, vcc_lo
	v_cmp_gt_u32_e32 vcc_lo, 24, v17
	s_delay_alu instid0(VALU_DEP_2) | instskip(SKIP_4) | instid1(VALU_DEP_3)
	v_add_nc_u32_e32 v1, v1, v2
	ds_bpermute_b32 v2, v4, v1
	v_cndmask_b32_e64 v4, 0, 1, vcc_lo
	v_cmp_lt_u32_e32 vcc_lo, v5, v3
	v_add_nc_u32_e32 v5, 8, v17
	v_lshlrev_b32_e32 v4, 3, v4
	s_delay_alu instid0(VALU_DEP_1) | instskip(SKIP_3) | instid1(VALU_DEP_2)
	v_add_lshl_u32 v4, v4, v17, 2
	s_waitcnt lgkmcnt(0)
	v_cndmask_b32_e32 v2, 0, v2, vcc_lo
	v_cmp_gt_u32_e32 vcc_lo, 16, v17
	v_add_nc_u32_e32 v1, v1, v2
	ds_bpermute_b32 v2, v4, v1
	v_cndmask_b32_e64 v4, 0, 1, vcc_lo
	v_cmp_lt_u32_e32 vcc_lo, v5, v3
	s_delay_alu instid0(VALU_DEP_2) | instskip(NEXT) | instid1(VALU_DEP_1)
	v_lshlrev_b32_e32 v4, 4, v4
	v_add_lshl_u32 v4, v4, v17, 2
	s_waitcnt lgkmcnt(0)
	v_cndmask_b32_e32 v2, 0, v2, vcc_lo
	s_delay_alu instid0(VALU_DEP_1) | instskip(SKIP_2) | instid1(VALU_DEP_1)
	v_add_nc_u32_e32 v1, v1, v2
	ds_bpermute_b32 v2, v4, v1
	v_add_nc_u32_e32 v4, 16, v17
	v_cmp_lt_u32_e32 vcc_lo, v4, v3
	s_waitcnt lgkmcnt(0)
	v_cndmask_b32_e32 v2, 0, v2, vcc_lo
	s_delay_alu instid0(VALU_DEP_1)
	v_add_nc_u32_e32 v1, v1, v2
	v_cmpx_eq_u32_e32 0, v17
	s_cbranch_execz .LBB379_41
; %bb.40:
	v_lshrrev_b32_e32 v2, 3, v0
	s_delay_alu instid0(VALU_DEP_1)
	v_and_b32_e32 v2, 12, v2
	ds_store_b32 v2, v1 offset:16
.LBB379_41:
	s_or_b32 exec_lo, exec_lo, s3
	s_delay_alu instid0(SALU_CYCLE_1)
	s_mov_b32 s3, exec_lo
	s_waitcnt lgkmcnt(0)
	s_barrier
	buffer_gl0_inv
	v_cmpx_gt_u32_e32 4, v0
	s_cbranch_execz .LBB379_43
; %bb.42:
	v_lshlrev_b32_e32 v1, 2, v17
	v_and_b32_e32 v2, 3, v17
	s_add_i32 s2, s2, 31
	s_delay_alu instid0(SALU_CYCLE_1)
	s_lshr_b32 s2, s2, 5
	ds_load_b32 v1, v1 offset:16
	v_cmp_ne_u32_e32 vcc_lo, 3, v2
	v_add_nc_u32_e32 v4, 1, v2
	v_add_co_ci_u32_e32 v3, vcc_lo, 0, v17, vcc_lo
	v_cmp_gt_u32_e32 vcc_lo, 2, v2
	s_delay_alu instid0(VALU_DEP_2) | instskip(SKIP_2) | instid1(VALU_DEP_2)
	v_lshlrev_b32_e32 v3, 2, v3
	v_cndmask_b32_e64 v5, 0, 1, vcc_lo
	v_cmp_gt_u32_e32 vcc_lo, s2, v4
	v_lshlrev_b32_e32 v4, 1, v5
	s_waitcnt lgkmcnt(0)
	ds_bpermute_b32 v3, v3, v1
	s_waitcnt lgkmcnt(0)
	v_dual_cndmask_b32 v3, 0, v3 :: v_dual_add_nc_u32 v2, 2, v2
	s_delay_alu instid0(VALU_DEP_1) | instskip(SKIP_1) | instid1(VALU_DEP_3)
	v_add_nc_u32_e32 v1, v3, v1
	v_add_lshl_u32 v3, v4, v17, 2
	v_cmp_gt_u32_e32 vcc_lo, s2, v2
	ds_bpermute_b32 v3, v3, v1
	s_waitcnt lgkmcnt(0)
	v_cndmask_b32_e32 v2, 0, v3, vcc_lo
	s_delay_alu instid0(VALU_DEP_1)
	v_add_nc_u32_e32 v1, v1, v2
.LBB379_43:
	s_or_b32 exec_lo, exec_lo, s3
.LBB379_44:
	s_load_b32 s0, s[0:1], 0x38
	s_mov_b32 s1, exec_lo
	v_cmpx_eq_u32_e32 0, v0
	s_cbranch_execz .LBB379_46
; %bb.45:
	s_mul_i32 s1, s26, s23
	s_mul_hi_u32 s2, s26, s22
	s_mul_i32 s3, s27, s22
	s_add_i32 s1, s2, s1
	s_mul_i32 s2, s26, s22
	s_add_i32 s3, s1, s3
	s_delay_alu instid0(SALU_CYCLE_1) | instskip(NEXT) | instid1(SALU_CYCLE_1)
	s_lshl_b64 s[2:3], s[2:3], 2
	s_add_u32 s2, s20, s2
	s_addc_u32 s3, s21, s3
	s_cmp_eq_u64 s[18:19], 0
	s_cselect_b32 s1, -1, 0
	s_waitcnt lgkmcnt(0)
	v_cndmask_b32_e64 v0, v1, s0, s1
	s_lshl_b64 s[0:1], s[24:25], 2
	v_mov_b32_e32 v1, 0
	s_add_u32 s0, s2, s0
	s_addc_u32 s1, s3, s1
	global_store_b32 v1, v0, s[0:1]
.LBB379_46:
	s_nop 0
	s_sendmsg sendmsg(MSG_DEALLOC_VGPRS)
	s_endpgm
	.section	.rodata,"a",@progbits
	.p2align	6, 0x0
	.amdhsa_kernel _ZN7rocprim17ROCPRIM_400000_NS6detail17trampoline_kernelINS0_14default_configENS1_22reduce_config_selectorIbEEZNS1_11reduce_implILb1ES3_N6hipcub16HIPCUB_304000_NS22TransformInputIteratorIbN2at6native12_GLOBAL__N_19NonZeroOpIdEEPKdlEEPiiNS8_6detail34convert_binary_result_type_wrapperINS8_3SumESH_iEEEE10hipError_tPvRmT1_T2_T3_mT4_P12ihipStream_tbEUlT_E0_NS1_11comp_targetILNS1_3genE9ELNS1_11target_archE1100ELNS1_3gpuE3ELNS1_3repE0EEENS1_30default_config_static_selectorELNS0_4arch9wavefront6targetE0EEEvSQ_
		.amdhsa_group_segment_fixed_size 32
		.amdhsa_private_segment_fixed_size 0
		.amdhsa_kernarg_size 64
		.amdhsa_user_sgpr_count 15
		.amdhsa_user_sgpr_dispatch_ptr 0
		.amdhsa_user_sgpr_queue_ptr 0
		.amdhsa_user_sgpr_kernarg_segment_ptr 1
		.amdhsa_user_sgpr_dispatch_id 0
		.amdhsa_user_sgpr_private_segment_size 0
		.amdhsa_wavefront_size32 1
		.amdhsa_uses_dynamic_stack 0
		.amdhsa_enable_private_segment 0
		.amdhsa_system_sgpr_workgroup_id_x 1
		.amdhsa_system_sgpr_workgroup_id_y 0
		.amdhsa_system_sgpr_workgroup_id_z 0
		.amdhsa_system_sgpr_workgroup_info 0
		.amdhsa_system_vgpr_workitem_id 0
		.amdhsa_next_free_vgpr 35
		.amdhsa_next_free_sgpr 30
		.amdhsa_reserve_vcc 1
		.amdhsa_float_round_mode_32 0
		.amdhsa_float_round_mode_16_64 0
		.amdhsa_float_denorm_mode_32 3
		.amdhsa_float_denorm_mode_16_64 3
		.amdhsa_dx10_clamp 1
		.amdhsa_ieee_mode 1
		.amdhsa_fp16_overflow 0
		.amdhsa_workgroup_processor_mode 1
		.amdhsa_memory_ordered 1
		.amdhsa_forward_progress 0
		.amdhsa_shared_vgpr_count 0
		.amdhsa_exception_fp_ieee_invalid_op 0
		.amdhsa_exception_fp_denorm_src 0
		.amdhsa_exception_fp_ieee_div_zero 0
		.amdhsa_exception_fp_ieee_overflow 0
		.amdhsa_exception_fp_ieee_underflow 0
		.amdhsa_exception_fp_ieee_inexact 0
		.amdhsa_exception_int_div_zero 0
	.end_amdhsa_kernel
	.section	.text._ZN7rocprim17ROCPRIM_400000_NS6detail17trampoline_kernelINS0_14default_configENS1_22reduce_config_selectorIbEEZNS1_11reduce_implILb1ES3_N6hipcub16HIPCUB_304000_NS22TransformInputIteratorIbN2at6native12_GLOBAL__N_19NonZeroOpIdEEPKdlEEPiiNS8_6detail34convert_binary_result_type_wrapperINS8_3SumESH_iEEEE10hipError_tPvRmT1_T2_T3_mT4_P12ihipStream_tbEUlT_E0_NS1_11comp_targetILNS1_3genE9ELNS1_11target_archE1100ELNS1_3gpuE3ELNS1_3repE0EEENS1_30default_config_static_selectorELNS0_4arch9wavefront6targetE0EEEvSQ_,"axG",@progbits,_ZN7rocprim17ROCPRIM_400000_NS6detail17trampoline_kernelINS0_14default_configENS1_22reduce_config_selectorIbEEZNS1_11reduce_implILb1ES3_N6hipcub16HIPCUB_304000_NS22TransformInputIteratorIbN2at6native12_GLOBAL__N_19NonZeroOpIdEEPKdlEEPiiNS8_6detail34convert_binary_result_type_wrapperINS8_3SumESH_iEEEE10hipError_tPvRmT1_T2_T3_mT4_P12ihipStream_tbEUlT_E0_NS1_11comp_targetILNS1_3genE9ELNS1_11target_archE1100ELNS1_3gpuE3ELNS1_3repE0EEENS1_30default_config_static_selectorELNS0_4arch9wavefront6targetE0EEEvSQ_,comdat
.Lfunc_end379:
	.size	_ZN7rocprim17ROCPRIM_400000_NS6detail17trampoline_kernelINS0_14default_configENS1_22reduce_config_selectorIbEEZNS1_11reduce_implILb1ES3_N6hipcub16HIPCUB_304000_NS22TransformInputIteratorIbN2at6native12_GLOBAL__N_19NonZeroOpIdEEPKdlEEPiiNS8_6detail34convert_binary_result_type_wrapperINS8_3SumESH_iEEEE10hipError_tPvRmT1_T2_T3_mT4_P12ihipStream_tbEUlT_E0_NS1_11comp_targetILNS1_3genE9ELNS1_11target_archE1100ELNS1_3gpuE3ELNS1_3repE0EEENS1_30default_config_static_selectorELNS0_4arch9wavefront6targetE0EEEvSQ_, .Lfunc_end379-_ZN7rocprim17ROCPRIM_400000_NS6detail17trampoline_kernelINS0_14default_configENS1_22reduce_config_selectorIbEEZNS1_11reduce_implILb1ES3_N6hipcub16HIPCUB_304000_NS22TransformInputIteratorIbN2at6native12_GLOBAL__N_19NonZeroOpIdEEPKdlEEPiiNS8_6detail34convert_binary_result_type_wrapperINS8_3SumESH_iEEEE10hipError_tPvRmT1_T2_T3_mT4_P12ihipStream_tbEUlT_E0_NS1_11comp_targetILNS1_3genE9ELNS1_11target_archE1100ELNS1_3gpuE3ELNS1_3repE0EEENS1_30default_config_static_selectorELNS0_4arch9wavefront6targetE0EEEvSQ_
                                        ; -- End function
	.section	.AMDGPU.csdata,"",@progbits
; Kernel info:
; codeLenInByte = 2692
; NumSgprs: 32
; NumVgprs: 35
; ScratchSize: 0
; MemoryBound: 0
; FloatMode: 240
; IeeeMode: 1
; LDSByteSize: 32 bytes/workgroup (compile time only)
; SGPRBlocks: 3
; VGPRBlocks: 4
; NumSGPRsForWavesPerEU: 32
; NumVGPRsForWavesPerEU: 35
; Occupancy: 16
; WaveLimiterHint : 1
; COMPUTE_PGM_RSRC2:SCRATCH_EN: 0
; COMPUTE_PGM_RSRC2:USER_SGPR: 15
; COMPUTE_PGM_RSRC2:TRAP_HANDLER: 0
; COMPUTE_PGM_RSRC2:TGID_X_EN: 1
; COMPUTE_PGM_RSRC2:TGID_Y_EN: 0
; COMPUTE_PGM_RSRC2:TGID_Z_EN: 0
; COMPUTE_PGM_RSRC2:TIDIG_COMP_CNT: 0
	.section	.text._ZN7rocprim17ROCPRIM_400000_NS6detail17trampoline_kernelINS0_14default_configENS1_22reduce_config_selectorIbEEZNS1_11reduce_implILb1ES3_N6hipcub16HIPCUB_304000_NS22TransformInputIteratorIbN2at6native12_GLOBAL__N_19NonZeroOpIdEEPKdlEEPiiNS8_6detail34convert_binary_result_type_wrapperINS8_3SumESH_iEEEE10hipError_tPvRmT1_T2_T3_mT4_P12ihipStream_tbEUlT_E0_NS1_11comp_targetILNS1_3genE8ELNS1_11target_archE1030ELNS1_3gpuE2ELNS1_3repE0EEENS1_30default_config_static_selectorELNS0_4arch9wavefront6targetE0EEEvSQ_,"axG",@progbits,_ZN7rocprim17ROCPRIM_400000_NS6detail17trampoline_kernelINS0_14default_configENS1_22reduce_config_selectorIbEEZNS1_11reduce_implILb1ES3_N6hipcub16HIPCUB_304000_NS22TransformInputIteratorIbN2at6native12_GLOBAL__N_19NonZeroOpIdEEPKdlEEPiiNS8_6detail34convert_binary_result_type_wrapperINS8_3SumESH_iEEEE10hipError_tPvRmT1_T2_T3_mT4_P12ihipStream_tbEUlT_E0_NS1_11comp_targetILNS1_3genE8ELNS1_11target_archE1030ELNS1_3gpuE2ELNS1_3repE0EEENS1_30default_config_static_selectorELNS0_4arch9wavefront6targetE0EEEvSQ_,comdat
	.globl	_ZN7rocprim17ROCPRIM_400000_NS6detail17trampoline_kernelINS0_14default_configENS1_22reduce_config_selectorIbEEZNS1_11reduce_implILb1ES3_N6hipcub16HIPCUB_304000_NS22TransformInputIteratorIbN2at6native12_GLOBAL__N_19NonZeroOpIdEEPKdlEEPiiNS8_6detail34convert_binary_result_type_wrapperINS8_3SumESH_iEEEE10hipError_tPvRmT1_T2_T3_mT4_P12ihipStream_tbEUlT_E0_NS1_11comp_targetILNS1_3genE8ELNS1_11target_archE1030ELNS1_3gpuE2ELNS1_3repE0EEENS1_30default_config_static_selectorELNS0_4arch9wavefront6targetE0EEEvSQ_ ; -- Begin function _ZN7rocprim17ROCPRIM_400000_NS6detail17trampoline_kernelINS0_14default_configENS1_22reduce_config_selectorIbEEZNS1_11reduce_implILb1ES3_N6hipcub16HIPCUB_304000_NS22TransformInputIteratorIbN2at6native12_GLOBAL__N_19NonZeroOpIdEEPKdlEEPiiNS8_6detail34convert_binary_result_type_wrapperINS8_3SumESH_iEEEE10hipError_tPvRmT1_T2_T3_mT4_P12ihipStream_tbEUlT_E0_NS1_11comp_targetILNS1_3genE8ELNS1_11target_archE1030ELNS1_3gpuE2ELNS1_3repE0EEENS1_30default_config_static_selectorELNS0_4arch9wavefront6targetE0EEEvSQ_
	.p2align	8
	.type	_ZN7rocprim17ROCPRIM_400000_NS6detail17trampoline_kernelINS0_14default_configENS1_22reduce_config_selectorIbEEZNS1_11reduce_implILb1ES3_N6hipcub16HIPCUB_304000_NS22TransformInputIteratorIbN2at6native12_GLOBAL__N_19NonZeroOpIdEEPKdlEEPiiNS8_6detail34convert_binary_result_type_wrapperINS8_3SumESH_iEEEE10hipError_tPvRmT1_T2_T3_mT4_P12ihipStream_tbEUlT_E0_NS1_11comp_targetILNS1_3genE8ELNS1_11target_archE1030ELNS1_3gpuE2ELNS1_3repE0EEENS1_30default_config_static_selectorELNS0_4arch9wavefront6targetE0EEEvSQ_,@function
_ZN7rocprim17ROCPRIM_400000_NS6detail17trampoline_kernelINS0_14default_configENS1_22reduce_config_selectorIbEEZNS1_11reduce_implILb1ES3_N6hipcub16HIPCUB_304000_NS22TransformInputIteratorIbN2at6native12_GLOBAL__N_19NonZeroOpIdEEPKdlEEPiiNS8_6detail34convert_binary_result_type_wrapperINS8_3SumESH_iEEEE10hipError_tPvRmT1_T2_T3_mT4_P12ihipStream_tbEUlT_E0_NS1_11comp_targetILNS1_3genE8ELNS1_11target_archE1030ELNS1_3gpuE2ELNS1_3repE0EEENS1_30default_config_static_selectorELNS0_4arch9wavefront6targetE0EEEvSQ_: ; @_ZN7rocprim17ROCPRIM_400000_NS6detail17trampoline_kernelINS0_14default_configENS1_22reduce_config_selectorIbEEZNS1_11reduce_implILb1ES3_N6hipcub16HIPCUB_304000_NS22TransformInputIteratorIbN2at6native12_GLOBAL__N_19NonZeroOpIdEEPKdlEEPiiNS8_6detail34convert_binary_result_type_wrapperINS8_3SumESH_iEEEE10hipError_tPvRmT1_T2_T3_mT4_P12ihipStream_tbEUlT_E0_NS1_11comp_targetILNS1_3genE8ELNS1_11target_archE1030ELNS1_3gpuE2ELNS1_3repE0EEENS1_30default_config_static_selectorELNS0_4arch9wavefront6targetE0EEEvSQ_
; %bb.0:
	.section	.rodata,"a",@progbits
	.p2align	6, 0x0
	.amdhsa_kernel _ZN7rocprim17ROCPRIM_400000_NS6detail17trampoline_kernelINS0_14default_configENS1_22reduce_config_selectorIbEEZNS1_11reduce_implILb1ES3_N6hipcub16HIPCUB_304000_NS22TransformInputIteratorIbN2at6native12_GLOBAL__N_19NonZeroOpIdEEPKdlEEPiiNS8_6detail34convert_binary_result_type_wrapperINS8_3SumESH_iEEEE10hipError_tPvRmT1_T2_T3_mT4_P12ihipStream_tbEUlT_E0_NS1_11comp_targetILNS1_3genE8ELNS1_11target_archE1030ELNS1_3gpuE2ELNS1_3repE0EEENS1_30default_config_static_selectorELNS0_4arch9wavefront6targetE0EEEvSQ_
		.amdhsa_group_segment_fixed_size 0
		.amdhsa_private_segment_fixed_size 0
		.amdhsa_kernarg_size 64
		.amdhsa_user_sgpr_count 15
		.amdhsa_user_sgpr_dispatch_ptr 0
		.amdhsa_user_sgpr_queue_ptr 0
		.amdhsa_user_sgpr_kernarg_segment_ptr 1
		.amdhsa_user_sgpr_dispatch_id 0
		.amdhsa_user_sgpr_private_segment_size 0
		.amdhsa_wavefront_size32 1
		.amdhsa_uses_dynamic_stack 0
		.amdhsa_enable_private_segment 0
		.amdhsa_system_sgpr_workgroup_id_x 1
		.amdhsa_system_sgpr_workgroup_id_y 0
		.amdhsa_system_sgpr_workgroup_id_z 0
		.amdhsa_system_sgpr_workgroup_info 0
		.amdhsa_system_vgpr_workitem_id 0
		.amdhsa_next_free_vgpr 1
		.amdhsa_next_free_sgpr 1
		.amdhsa_reserve_vcc 0
		.amdhsa_float_round_mode_32 0
		.amdhsa_float_round_mode_16_64 0
		.amdhsa_float_denorm_mode_32 3
		.amdhsa_float_denorm_mode_16_64 3
		.amdhsa_dx10_clamp 1
		.amdhsa_ieee_mode 1
		.amdhsa_fp16_overflow 0
		.amdhsa_workgroup_processor_mode 1
		.amdhsa_memory_ordered 1
		.amdhsa_forward_progress 0
		.amdhsa_shared_vgpr_count 0
		.amdhsa_exception_fp_ieee_invalid_op 0
		.amdhsa_exception_fp_denorm_src 0
		.amdhsa_exception_fp_ieee_div_zero 0
		.amdhsa_exception_fp_ieee_overflow 0
		.amdhsa_exception_fp_ieee_underflow 0
		.amdhsa_exception_fp_ieee_inexact 0
		.amdhsa_exception_int_div_zero 0
	.end_amdhsa_kernel
	.section	.text._ZN7rocprim17ROCPRIM_400000_NS6detail17trampoline_kernelINS0_14default_configENS1_22reduce_config_selectorIbEEZNS1_11reduce_implILb1ES3_N6hipcub16HIPCUB_304000_NS22TransformInputIteratorIbN2at6native12_GLOBAL__N_19NonZeroOpIdEEPKdlEEPiiNS8_6detail34convert_binary_result_type_wrapperINS8_3SumESH_iEEEE10hipError_tPvRmT1_T2_T3_mT4_P12ihipStream_tbEUlT_E0_NS1_11comp_targetILNS1_3genE8ELNS1_11target_archE1030ELNS1_3gpuE2ELNS1_3repE0EEENS1_30default_config_static_selectorELNS0_4arch9wavefront6targetE0EEEvSQ_,"axG",@progbits,_ZN7rocprim17ROCPRIM_400000_NS6detail17trampoline_kernelINS0_14default_configENS1_22reduce_config_selectorIbEEZNS1_11reduce_implILb1ES3_N6hipcub16HIPCUB_304000_NS22TransformInputIteratorIbN2at6native12_GLOBAL__N_19NonZeroOpIdEEPKdlEEPiiNS8_6detail34convert_binary_result_type_wrapperINS8_3SumESH_iEEEE10hipError_tPvRmT1_T2_T3_mT4_P12ihipStream_tbEUlT_E0_NS1_11comp_targetILNS1_3genE8ELNS1_11target_archE1030ELNS1_3gpuE2ELNS1_3repE0EEENS1_30default_config_static_selectorELNS0_4arch9wavefront6targetE0EEEvSQ_,comdat
.Lfunc_end380:
	.size	_ZN7rocprim17ROCPRIM_400000_NS6detail17trampoline_kernelINS0_14default_configENS1_22reduce_config_selectorIbEEZNS1_11reduce_implILb1ES3_N6hipcub16HIPCUB_304000_NS22TransformInputIteratorIbN2at6native12_GLOBAL__N_19NonZeroOpIdEEPKdlEEPiiNS8_6detail34convert_binary_result_type_wrapperINS8_3SumESH_iEEEE10hipError_tPvRmT1_T2_T3_mT4_P12ihipStream_tbEUlT_E0_NS1_11comp_targetILNS1_3genE8ELNS1_11target_archE1030ELNS1_3gpuE2ELNS1_3repE0EEENS1_30default_config_static_selectorELNS0_4arch9wavefront6targetE0EEEvSQ_, .Lfunc_end380-_ZN7rocprim17ROCPRIM_400000_NS6detail17trampoline_kernelINS0_14default_configENS1_22reduce_config_selectorIbEEZNS1_11reduce_implILb1ES3_N6hipcub16HIPCUB_304000_NS22TransformInputIteratorIbN2at6native12_GLOBAL__N_19NonZeroOpIdEEPKdlEEPiiNS8_6detail34convert_binary_result_type_wrapperINS8_3SumESH_iEEEE10hipError_tPvRmT1_T2_T3_mT4_P12ihipStream_tbEUlT_E0_NS1_11comp_targetILNS1_3genE8ELNS1_11target_archE1030ELNS1_3gpuE2ELNS1_3repE0EEENS1_30default_config_static_selectorELNS0_4arch9wavefront6targetE0EEEvSQ_
                                        ; -- End function
	.section	.AMDGPU.csdata,"",@progbits
; Kernel info:
; codeLenInByte = 0
; NumSgprs: 0
; NumVgprs: 0
; ScratchSize: 0
; MemoryBound: 0
; FloatMode: 240
; IeeeMode: 1
; LDSByteSize: 0 bytes/workgroup (compile time only)
; SGPRBlocks: 0
; VGPRBlocks: 0
; NumSGPRsForWavesPerEU: 1
; NumVGPRsForWavesPerEU: 1
; Occupancy: 16
; WaveLimiterHint : 0
; COMPUTE_PGM_RSRC2:SCRATCH_EN: 0
; COMPUTE_PGM_RSRC2:USER_SGPR: 15
; COMPUTE_PGM_RSRC2:TRAP_HANDLER: 0
; COMPUTE_PGM_RSRC2:TGID_X_EN: 1
; COMPUTE_PGM_RSRC2:TGID_Y_EN: 0
; COMPUTE_PGM_RSRC2:TGID_Z_EN: 0
; COMPUTE_PGM_RSRC2:TIDIG_COMP_CNT: 0
	.section	.text._ZN7rocprim17ROCPRIM_400000_NS6detail17trampoline_kernelINS0_14default_configENS1_22reduce_config_selectorIbEEZNS1_11reduce_implILb1ES3_N6hipcub16HIPCUB_304000_NS22TransformInputIteratorIbN2at6native12_GLOBAL__N_19NonZeroOpIdEEPKdlEEPiiNS8_6detail34convert_binary_result_type_wrapperINS8_3SumESH_iEEEE10hipError_tPvRmT1_T2_T3_mT4_P12ihipStream_tbEUlT_E1_NS1_11comp_targetILNS1_3genE0ELNS1_11target_archE4294967295ELNS1_3gpuE0ELNS1_3repE0EEENS1_30default_config_static_selectorELNS0_4arch9wavefront6targetE0EEEvSQ_,"axG",@progbits,_ZN7rocprim17ROCPRIM_400000_NS6detail17trampoline_kernelINS0_14default_configENS1_22reduce_config_selectorIbEEZNS1_11reduce_implILb1ES3_N6hipcub16HIPCUB_304000_NS22TransformInputIteratorIbN2at6native12_GLOBAL__N_19NonZeroOpIdEEPKdlEEPiiNS8_6detail34convert_binary_result_type_wrapperINS8_3SumESH_iEEEE10hipError_tPvRmT1_T2_T3_mT4_P12ihipStream_tbEUlT_E1_NS1_11comp_targetILNS1_3genE0ELNS1_11target_archE4294967295ELNS1_3gpuE0ELNS1_3repE0EEENS1_30default_config_static_selectorELNS0_4arch9wavefront6targetE0EEEvSQ_,comdat
	.globl	_ZN7rocprim17ROCPRIM_400000_NS6detail17trampoline_kernelINS0_14default_configENS1_22reduce_config_selectorIbEEZNS1_11reduce_implILb1ES3_N6hipcub16HIPCUB_304000_NS22TransformInputIteratorIbN2at6native12_GLOBAL__N_19NonZeroOpIdEEPKdlEEPiiNS8_6detail34convert_binary_result_type_wrapperINS8_3SumESH_iEEEE10hipError_tPvRmT1_T2_T3_mT4_P12ihipStream_tbEUlT_E1_NS1_11comp_targetILNS1_3genE0ELNS1_11target_archE4294967295ELNS1_3gpuE0ELNS1_3repE0EEENS1_30default_config_static_selectorELNS0_4arch9wavefront6targetE0EEEvSQ_ ; -- Begin function _ZN7rocprim17ROCPRIM_400000_NS6detail17trampoline_kernelINS0_14default_configENS1_22reduce_config_selectorIbEEZNS1_11reduce_implILb1ES3_N6hipcub16HIPCUB_304000_NS22TransformInputIteratorIbN2at6native12_GLOBAL__N_19NonZeroOpIdEEPKdlEEPiiNS8_6detail34convert_binary_result_type_wrapperINS8_3SumESH_iEEEE10hipError_tPvRmT1_T2_T3_mT4_P12ihipStream_tbEUlT_E1_NS1_11comp_targetILNS1_3genE0ELNS1_11target_archE4294967295ELNS1_3gpuE0ELNS1_3repE0EEENS1_30default_config_static_selectorELNS0_4arch9wavefront6targetE0EEEvSQ_
	.p2align	8
	.type	_ZN7rocprim17ROCPRIM_400000_NS6detail17trampoline_kernelINS0_14default_configENS1_22reduce_config_selectorIbEEZNS1_11reduce_implILb1ES3_N6hipcub16HIPCUB_304000_NS22TransformInputIteratorIbN2at6native12_GLOBAL__N_19NonZeroOpIdEEPKdlEEPiiNS8_6detail34convert_binary_result_type_wrapperINS8_3SumESH_iEEEE10hipError_tPvRmT1_T2_T3_mT4_P12ihipStream_tbEUlT_E1_NS1_11comp_targetILNS1_3genE0ELNS1_11target_archE4294967295ELNS1_3gpuE0ELNS1_3repE0EEENS1_30default_config_static_selectorELNS0_4arch9wavefront6targetE0EEEvSQ_,@function
_ZN7rocprim17ROCPRIM_400000_NS6detail17trampoline_kernelINS0_14default_configENS1_22reduce_config_selectorIbEEZNS1_11reduce_implILb1ES3_N6hipcub16HIPCUB_304000_NS22TransformInputIteratorIbN2at6native12_GLOBAL__N_19NonZeroOpIdEEPKdlEEPiiNS8_6detail34convert_binary_result_type_wrapperINS8_3SumESH_iEEEE10hipError_tPvRmT1_T2_T3_mT4_P12ihipStream_tbEUlT_E1_NS1_11comp_targetILNS1_3genE0ELNS1_11target_archE4294967295ELNS1_3gpuE0ELNS1_3repE0EEENS1_30default_config_static_selectorELNS0_4arch9wavefront6targetE0EEEvSQ_: ; @_ZN7rocprim17ROCPRIM_400000_NS6detail17trampoline_kernelINS0_14default_configENS1_22reduce_config_selectorIbEEZNS1_11reduce_implILb1ES3_N6hipcub16HIPCUB_304000_NS22TransformInputIteratorIbN2at6native12_GLOBAL__N_19NonZeroOpIdEEPKdlEEPiiNS8_6detail34convert_binary_result_type_wrapperINS8_3SumESH_iEEEE10hipError_tPvRmT1_T2_T3_mT4_P12ihipStream_tbEUlT_E1_NS1_11comp_targetILNS1_3genE0ELNS1_11target_archE4294967295ELNS1_3gpuE0ELNS1_3repE0EEENS1_30default_config_static_selectorELNS0_4arch9wavefront6targetE0EEEvSQ_
; %bb.0:
	.section	.rodata,"a",@progbits
	.p2align	6, 0x0
	.amdhsa_kernel _ZN7rocprim17ROCPRIM_400000_NS6detail17trampoline_kernelINS0_14default_configENS1_22reduce_config_selectorIbEEZNS1_11reduce_implILb1ES3_N6hipcub16HIPCUB_304000_NS22TransformInputIteratorIbN2at6native12_GLOBAL__N_19NonZeroOpIdEEPKdlEEPiiNS8_6detail34convert_binary_result_type_wrapperINS8_3SumESH_iEEEE10hipError_tPvRmT1_T2_T3_mT4_P12ihipStream_tbEUlT_E1_NS1_11comp_targetILNS1_3genE0ELNS1_11target_archE4294967295ELNS1_3gpuE0ELNS1_3repE0EEENS1_30default_config_static_selectorELNS0_4arch9wavefront6targetE0EEEvSQ_
		.amdhsa_group_segment_fixed_size 0
		.amdhsa_private_segment_fixed_size 0
		.amdhsa_kernarg_size 48
		.amdhsa_user_sgpr_count 15
		.amdhsa_user_sgpr_dispatch_ptr 0
		.amdhsa_user_sgpr_queue_ptr 0
		.amdhsa_user_sgpr_kernarg_segment_ptr 1
		.amdhsa_user_sgpr_dispatch_id 0
		.amdhsa_user_sgpr_private_segment_size 0
		.amdhsa_wavefront_size32 1
		.amdhsa_uses_dynamic_stack 0
		.amdhsa_enable_private_segment 0
		.amdhsa_system_sgpr_workgroup_id_x 1
		.amdhsa_system_sgpr_workgroup_id_y 0
		.amdhsa_system_sgpr_workgroup_id_z 0
		.amdhsa_system_sgpr_workgroup_info 0
		.amdhsa_system_vgpr_workitem_id 0
		.amdhsa_next_free_vgpr 1
		.amdhsa_next_free_sgpr 1
		.amdhsa_reserve_vcc 0
		.amdhsa_float_round_mode_32 0
		.amdhsa_float_round_mode_16_64 0
		.amdhsa_float_denorm_mode_32 3
		.amdhsa_float_denorm_mode_16_64 3
		.amdhsa_dx10_clamp 1
		.amdhsa_ieee_mode 1
		.amdhsa_fp16_overflow 0
		.amdhsa_workgroup_processor_mode 1
		.amdhsa_memory_ordered 1
		.amdhsa_forward_progress 0
		.amdhsa_shared_vgpr_count 0
		.amdhsa_exception_fp_ieee_invalid_op 0
		.amdhsa_exception_fp_denorm_src 0
		.amdhsa_exception_fp_ieee_div_zero 0
		.amdhsa_exception_fp_ieee_overflow 0
		.amdhsa_exception_fp_ieee_underflow 0
		.amdhsa_exception_fp_ieee_inexact 0
		.amdhsa_exception_int_div_zero 0
	.end_amdhsa_kernel
	.section	.text._ZN7rocprim17ROCPRIM_400000_NS6detail17trampoline_kernelINS0_14default_configENS1_22reduce_config_selectorIbEEZNS1_11reduce_implILb1ES3_N6hipcub16HIPCUB_304000_NS22TransformInputIteratorIbN2at6native12_GLOBAL__N_19NonZeroOpIdEEPKdlEEPiiNS8_6detail34convert_binary_result_type_wrapperINS8_3SumESH_iEEEE10hipError_tPvRmT1_T2_T3_mT4_P12ihipStream_tbEUlT_E1_NS1_11comp_targetILNS1_3genE0ELNS1_11target_archE4294967295ELNS1_3gpuE0ELNS1_3repE0EEENS1_30default_config_static_selectorELNS0_4arch9wavefront6targetE0EEEvSQ_,"axG",@progbits,_ZN7rocprim17ROCPRIM_400000_NS6detail17trampoline_kernelINS0_14default_configENS1_22reduce_config_selectorIbEEZNS1_11reduce_implILb1ES3_N6hipcub16HIPCUB_304000_NS22TransformInputIteratorIbN2at6native12_GLOBAL__N_19NonZeroOpIdEEPKdlEEPiiNS8_6detail34convert_binary_result_type_wrapperINS8_3SumESH_iEEEE10hipError_tPvRmT1_T2_T3_mT4_P12ihipStream_tbEUlT_E1_NS1_11comp_targetILNS1_3genE0ELNS1_11target_archE4294967295ELNS1_3gpuE0ELNS1_3repE0EEENS1_30default_config_static_selectorELNS0_4arch9wavefront6targetE0EEEvSQ_,comdat
.Lfunc_end381:
	.size	_ZN7rocprim17ROCPRIM_400000_NS6detail17trampoline_kernelINS0_14default_configENS1_22reduce_config_selectorIbEEZNS1_11reduce_implILb1ES3_N6hipcub16HIPCUB_304000_NS22TransformInputIteratorIbN2at6native12_GLOBAL__N_19NonZeroOpIdEEPKdlEEPiiNS8_6detail34convert_binary_result_type_wrapperINS8_3SumESH_iEEEE10hipError_tPvRmT1_T2_T3_mT4_P12ihipStream_tbEUlT_E1_NS1_11comp_targetILNS1_3genE0ELNS1_11target_archE4294967295ELNS1_3gpuE0ELNS1_3repE0EEENS1_30default_config_static_selectorELNS0_4arch9wavefront6targetE0EEEvSQ_, .Lfunc_end381-_ZN7rocprim17ROCPRIM_400000_NS6detail17trampoline_kernelINS0_14default_configENS1_22reduce_config_selectorIbEEZNS1_11reduce_implILb1ES3_N6hipcub16HIPCUB_304000_NS22TransformInputIteratorIbN2at6native12_GLOBAL__N_19NonZeroOpIdEEPKdlEEPiiNS8_6detail34convert_binary_result_type_wrapperINS8_3SumESH_iEEEE10hipError_tPvRmT1_T2_T3_mT4_P12ihipStream_tbEUlT_E1_NS1_11comp_targetILNS1_3genE0ELNS1_11target_archE4294967295ELNS1_3gpuE0ELNS1_3repE0EEENS1_30default_config_static_selectorELNS0_4arch9wavefront6targetE0EEEvSQ_
                                        ; -- End function
	.section	.AMDGPU.csdata,"",@progbits
; Kernel info:
; codeLenInByte = 0
; NumSgprs: 0
; NumVgprs: 0
; ScratchSize: 0
; MemoryBound: 0
; FloatMode: 240
; IeeeMode: 1
; LDSByteSize: 0 bytes/workgroup (compile time only)
; SGPRBlocks: 0
; VGPRBlocks: 0
; NumSGPRsForWavesPerEU: 1
; NumVGPRsForWavesPerEU: 1
; Occupancy: 16
; WaveLimiterHint : 0
; COMPUTE_PGM_RSRC2:SCRATCH_EN: 0
; COMPUTE_PGM_RSRC2:USER_SGPR: 15
; COMPUTE_PGM_RSRC2:TRAP_HANDLER: 0
; COMPUTE_PGM_RSRC2:TGID_X_EN: 1
; COMPUTE_PGM_RSRC2:TGID_Y_EN: 0
; COMPUTE_PGM_RSRC2:TGID_Z_EN: 0
; COMPUTE_PGM_RSRC2:TIDIG_COMP_CNT: 0
	.section	.text._ZN7rocprim17ROCPRIM_400000_NS6detail17trampoline_kernelINS0_14default_configENS1_22reduce_config_selectorIbEEZNS1_11reduce_implILb1ES3_N6hipcub16HIPCUB_304000_NS22TransformInputIteratorIbN2at6native12_GLOBAL__N_19NonZeroOpIdEEPKdlEEPiiNS8_6detail34convert_binary_result_type_wrapperINS8_3SumESH_iEEEE10hipError_tPvRmT1_T2_T3_mT4_P12ihipStream_tbEUlT_E1_NS1_11comp_targetILNS1_3genE5ELNS1_11target_archE942ELNS1_3gpuE9ELNS1_3repE0EEENS1_30default_config_static_selectorELNS0_4arch9wavefront6targetE0EEEvSQ_,"axG",@progbits,_ZN7rocprim17ROCPRIM_400000_NS6detail17trampoline_kernelINS0_14default_configENS1_22reduce_config_selectorIbEEZNS1_11reduce_implILb1ES3_N6hipcub16HIPCUB_304000_NS22TransformInputIteratorIbN2at6native12_GLOBAL__N_19NonZeroOpIdEEPKdlEEPiiNS8_6detail34convert_binary_result_type_wrapperINS8_3SumESH_iEEEE10hipError_tPvRmT1_T2_T3_mT4_P12ihipStream_tbEUlT_E1_NS1_11comp_targetILNS1_3genE5ELNS1_11target_archE942ELNS1_3gpuE9ELNS1_3repE0EEENS1_30default_config_static_selectorELNS0_4arch9wavefront6targetE0EEEvSQ_,comdat
	.globl	_ZN7rocprim17ROCPRIM_400000_NS6detail17trampoline_kernelINS0_14default_configENS1_22reduce_config_selectorIbEEZNS1_11reduce_implILb1ES3_N6hipcub16HIPCUB_304000_NS22TransformInputIteratorIbN2at6native12_GLOBAL__N_19NonZeroOpIdEEPKdlEEPiiNS8_6detail34convert_binary_result_type_wrapperINS8_3SumESH_iEEEE10hipError_tPvRmT1_T2_T3_mT4_P12ihipStream_tbEUlT_E1_NS1_11comp_targetILNS1_3genE5ELNS1_11target_archE942ELNS1_3gpuE9ELNS1_3repE0EEENS1_30default_config_static_selectorELNS0_4arch9wavefront6targetE0EEEvSQ_ ; -- Begin function _ZN7rocprim17ROCPRIM_400000_NS6detail17trampoline_kernelINS0_14default_configENS1_22reduce_config_selectorIbEEZNS1_11reduce_implILb1ES3_N6hipcub16HIPCUB_304000_NS22TransformInputIteratorIbN2at6native12_GLOBAL__N_19NonZeroOpIdEEPKdlEEPiiNS8_6detail34convert_binary_result_type_wrapperINS8_3SumESH_iEEEE10hipError_tPvRmT1_T2_T3_mT4_P12ihipStream_tbEUlT_E1_NS1_11comp_targetILNS1_3genE5ELNS1_11target_archE942ELNS1_3gpuE9ELNS1_3repE0EEENS1_30default_config_static_selectorELNS0_4arch9wavefront6targetE0EEEvSQ_
	.p2align	8
	.type	_ZN7rocprim17ROCPRIM_400000_NS6detail17trampoline_kernelINS0_14default_configENS1_22reduce_config_selectorIbEEZNS1_11reduce_implILb1ES3_N6hipcub16HIPCUB_304000_NS22TransformInputIteratorIbN2at6native12_GLOBAL__N_19NonZeroOpIdEEPKdlEEPiiNS8_6detail34convert_binary_result_type_wrapperINS8_3SumESH_iEEEE10hipError_tPvRmT1_T2_T3_mT4_P12ihipStream_tbEUlT_E1_NS1_11comp_targetILNS1_3genE5ELNS1_11target_archE942ELNS1_3gpuE9ELNS1_3repE0EEENS1_30default_config_static_selectorELNS0_4arch9wavefront6targetE0EEEvSQ_,@function
_ZN7rocprim17ROCPRIM_400000_NS6detail17trampoline_kernelINS0_14default_configENS1_22reduce_config_selectorIbEEZNS1_11reduce_implILb1ES3_N6hipcub16HIPCUB_304000_NS22TransformInputIteratorIbN2at6native12_GLOBAL__N_19NonZeroOpIdEEPKdlEEPiiNS8_6detail34convert_binary_result_type_wrapperINS8_3SumESH_iEEEE10hipError_tPvRmT1_T2_T3_mT4_P12ihipStream_tbEUlT_E1_NS1_11comp_targetILNS1_3genE5ELNS1_11target_archE942ELNS1_3gpuE9ELNS1_3repE0EEENS1_30default_config_static_selectorELNS0_4arch9wavefront6targetE0EEEvSQ_: ; @_ZN7rocprim17ROCPRIM_400000_NS6detail17trampoline_kernelINS0_14default_configENS1_22reduce_config_selectorIbEEZNS1_11reduce_implILb1ES3_N6hipcub16HIPCUB_304000_NS22TransformInputIteratorIbN2at6native12_GLOBAL__N_19NonZeroOpIdEEPKdlEEPiiNS8_6detail34convert_binary_result_type_wrapperINS8_3SumESH_iEEEE10hipError_tPvRmT1_T2_T3_mT4_P12ihipStream_tbEUlT_E1_NS1_11comp_targetILNS1_3genE5ELNS1_11target_archE942ELNS1_3gpuE9ELNS1_3repE0EEENS1_30default_config_static_selectorELNS0_4arch9wavefront6targetE0EEEvSQ_
; %bb.0:
	.section	.rodata,"a",@progbits
	.p2align	6, 0x0
	.amdhsa_kernel _ZN7rocprim17ROCPRIM_400000_NS6detail17trampoline_kernelINS0_14default_configENS1_22reduce_config_selectorIbEEZNS1_11reduce_implILb1ES3_N6hipcub16HIPCUB_304000_NS22TransformInputIteratorIbN2at6native12_GLOBAL__N_19NonZeroOpIdEEPKdlEEPiiNS8_6detail34convert_binary_result_type_wrapperINS8_3SumESH_iEEEE10hipError_tPvRmT1_T2_T3_mT4_P12ihipStream_tbEUlT_E1_NS1_11comp_targetILNS1_3genE5ELNS1_11target_archE942ELNS1_3gpuE9ELNS1_3repE0EEENS1_30default_config_static_selectorELNS0_4arch9wavefront6targetE0EEEvSQ_
		.amdhsa_group_segment_fixed_size 0
		.amdhsa_private_segment_fixed_size 0
		.amdhsa_kernarg_size 48
		.amdhsa_user_sgpr_count 15
		.amdhsa_user_sgpr_dispatch_ptr 0
		.amdhsa_user_sgpr_queue_ptr 0
		.amdhsa_user_sgpr_kernarg_segment_ptr 1
		.amdhsa_user_sgpr_dispatch_id 0
		.amdhsa_user_sgpr_private_segment_size 0
		.amdhsa_wavefront_size32 1
		.amdhsa_uses_dynamic_stack 0
		.amdhsa_enable_private_segment 0
		.amdhsa_system_sgpr_workgroup_id_x 1
		.amdhsa_system_sgpr_workgroup_id_y 0
		.amdhsa_system_sgpr_workgroup_id_z 0
		.amdhsa_system_sgpr_workgroup_info 0
		.amdhsa_system_vgpr_workitem_id 0
		.amdhsa_next_free_vgpr 1
		.amdhsa_next_free_sgpr 1
		.amdhsa_reserve_vcc 0
		.amdhsa_float_round_mode_32 0
		.amdhsa_float_round_mode_16_64 0
		.amdhsa_float_denorm_mode_32 3
		.amdhsa_float_denorm_mode_16_64 3
		.amdhsa_dx10_clamp 1
		.amdhsa_ieee_mode 1
		.amdhsa_fp16_overflow 0
		.amdhsa_workgroup_processor_mode 1
		.amdhsa_memory_ordered 1
		.amdhsa_forward_progress 0
		.amdhsa_shared_vgpr_count 0
		.amdhsa_exception_fp_ieee_invalid_op 0
		.amdhsa_exception_fp_denorm_src 0
		.amdhsa_exception_fp_ieee_div_zero 0
		.amdhsa_exception_fp_ieee_overflow 0
		.amdhsa_exception_fp_ieee_underflow 0
		.amdhsa_exception_fp_ieee_inexact 0
		.amdhsa_exception_int_div_zero 0
	.end_amdhsa_kernel
	.section	.text._ZN7rocprim17ROCPRIM_400000_NS6detail17trampoline_kernelINS0_14default_configENS1_22reduce_config_selectorIbEEZNS1_11reduce_implILb1ES3_N6hipcub16HIPCUB_304000_NS22TransformInputIteratorIbN2at6native12_GLOBAL__N_19NonZeroOpIdEEPKdlEEPiiNS8_6detail34convert_binary_result_type_wrapperINS8_3SumESH_iEEEE10hipError_tPvRmT1_T2_T3_mT4_P12ihipStream_tbEUlT_E1_NS1_11comp_targetILNS1_3genE5ELNS1_11target_archE942ELNS1_3gpuE9ELNS1_3repE0EEENS1_30default_config_static_selectorELNS0_4arch9wavefront6targetE0EEEvSQ_,"axG",@progbits,_ZN7rocprim17ROCPRIM_400000_NS6detail17trampoline_kernelINS0_14default_configENS1_22reduce_config_selectorIbEEZNS1_11reduce_implILb1ES3_N6hipcub16HIPCUB_304000_NS22TransformInputIteratorIbN2at6native12_GLOBAL__N_19NonZeroOpIdEEPKdlEEPiiNS8_6detail34convert_binary_result_type_wrapperINS8_3SumESH_iEEEE10hipError_tPvRmT1_T2_T3_mT4_P12ihipStream_tbEUlT_E1_NS1_11comp_targetILNS1_3genE5ELNS1_11target_archE942ELNS1_3gpuE9ELNS1_3repE0EEENS1_30default_config_static_selectorELNS0_4arch9wavefront6targetE0EEEvSQ_,comdat
.Lfunc_end382:
	.size	_ZN7rocprim17ROCPRIM_400000_NS6detail17trampoline_kernelINS0_14default_configENS1_22reduce_config_selectorIbEEZNS1_11reduce_implILb1ES3_N6hipcub16HIPCUB_304000_NS22TransformInputIteratorIbN2at6native12_GLOBAL__N_19NonZeroOpIdEEPKdlEEPiiNS8_6detail34convert_binary_result_type_wrapperINS8_3SumESH_iEEEE10hipError_tPvRmT1_T2_T3_mT4_P12ihipStream_tbEUlT_E1_NS1_11comp_targetILNS1_3genE5ELNS1_11target_archE942ELNS1_3gpuE9ELNS1_3repE0EEENS1_30default_config_static_selectorELNS0_4arch9wavefront6targetE0EEEvSQ_, .Lfunc_end382-_ZN7rocprim17ROCPRIM_400000_NS6detail17trampoline_kernelINS0_14default_configENS1_22reduce_config_selectorIbEEZNS1_11reduce_implILb1ES3_N6hipcub16HIPCUB_304000_NS22TransformInputIteratorIbN2at6native12_GLOBAL__N_19NonZeroOpIdEEPKdlEEPiiNS8_6detail34convert_binary_result_type_wrapperINS8_3SumESH_iEEEE10hipError_tPvRmT1_T2_T3_mT4_P12ihipStream_tbEUlT_E1_NS1_11comp_targetILNS1_3genE5ELNS1_11target_archE942ELNS1_3gpuE9ELNS1_3repE0EEENS1_30default_config_static_selectorELNS0_4arch9wavefront6targetE0EEEvSQ_
                                        ; -- End function
	.section	.AMDGPU.csdata,"",@progbits
; Kernel info:
; codeLenInByte = 0
; NumSgprs: 0
; NumVgprs: 0
; ScratchSize: 0
; MemoryBound: 0
; FloatMode: 240
; IeeeMode: 1
; LDSByteSize: 0 bytes/workgroup (compile time only)
; SGPRBlocks: 0
; VGPRBlocks: 0
; NumSGPRsForWavesPerEU: 1
; NumVGPRsForWavesPerEU: 1
; Occupancy: 16
; WaveLimiterHint : 0
; COMPUTE_PGM_RSRC2:SCRATCH_EN: 0
; COMPUTE_PGM_RSRC2:USER_SGPR: 15
; COMPUTE_PGM_RSRC2:TRAP_HANDLER: 0
; COMPUTE_PGM_RSRC2:TGID_X_EN: 1
; COMPUTE_PGM_RSRC2:TGID_Y_EN: 0
; COMPUTE_PGM_RSRC2:TGID_Z_EN: 0
; COMPUTE_PGM_RSRC2:TIDIG_COMP_CNT: 0
	.section	.text._ZN7rocprim17ROCPRIM_400000_NS6detail17trampoline_kernelINS0_14default_configENS1_22reduce_config_selectorIbEEZNS1_11reduce_implILb1ES3_N6hipcub16HIPCUB_304000_NS22TransformInputIteratorIbN2at6native12_GLOBAL__N_19NonZeroOpIdEEPKdlEEPiiNS8_6detail34convert_binary_result_type_wrapperINS8_3SumESH_iEEEE10hipError_tPvRmT1_T2_T3_mT4_P12ihipStream_tbEUlT_E1_NS1_11comp_targetILNS1_3genE4ELNS1_11target_archE910ELNS1_3gpuE8ELNS1_3repE0EEENS1_30default_config_static_selectorELNS0_4arch9wavefront6targetE0EEEvSQ_,"axG",@progbits,_ZN7rocprim17ROCPRIM_400000_NS6detail17trampoline_kernelINS0_14default_configENS1_22reduce_config_selectorIbEEZNS1_11reduce_implILb1ES3_N6hipcub16HIPCUB_304000_NS22TransformInputIteratorIbN2at6native12_GLOBAL__N_19NonZeroOpIdEEPKdlEEPiiNS8_6detail34convert_binary_result_type_wrapperINS8_3SumESH_iEEEE10hipError_tPvRmT1_T2_T3_mT4_P12ihipStream_tbEUlT_E1_NS1_11comp_targetILNS1_3genE4ELNS1_11target_archE910ELNS1_3gpuE8ELNS1_3repE0EEENS1_30default_config_static_selectorELNS0_4arch9wavefront6targetE0EEEvSQ_,comdat
	.globl	_ZN7rocprim17ROCPRIM_400000_NS6detail17trampoline_kernelINS0_14default_configENS1_22reduce_config_selectorIbEEZNS1_11reduce_implILb1ES3_N6hipcub16HIPCUB_304000_NS22TransformInputIteratorIbN2at6native12_GLOBAL__N_19NonZeroOpIdEEPKdlEEPiiNS8_6detail34convert_binary_result_type_wrapperINS8_3SumESH_iEEEE10hipError_tPvRmT1_T2_T3_mT4_P12ihipStream_tbEUlT_E1_NS1_11comp_targetILNS1_3genE4ELNS1_11target_archE910ELNS1_3gpuE8ELNS1_3repE0EEENS1_30default_config_static_selectorELNS0_4arch9wavefront6targetE0EEEvSQ_ ; -- Begin function _ZN7rocprim17ROCPRIM_400000_NS6detail17trampoline_kernelINS0_14default_configENS1_22reduce_config_selectorIbEEZNS1_11reduce_implILb1ES3_N6hipcub16HIPCUB_304000_NS22TransformInputIteratorIbN2at6native12_GLOBAL__N_19NonZeroOpIdEEPKdlEEPiiNS8_6detail34convert_binary_result_type_wrapperINS8_3SumESH_iEEEE10hipError_tPvRmT1_T2_T3_mT4_P12ihipStream_tbEUlT_E1_NS1_11comp_targetILNS1_3genE4ELNS1_11target_archE910ELNS1_3gpuE8ELNS1_3repE0EEENS1_30default_config_static_selectorELNS0_4arch9wavefront6targetE0EEEvSQ_
	.p2align	8
	.type	_ZN7rocprim17ROCPRIM_400000_NS6detail17trampoline_kernelINS0_14default_configENS1_22reduce_config_selectorIbEEZNS1_11reduce_implILb1ES3_N6hipcub16HIPCUB_304000_NS22TransformInputIteratorIbN2at6native12_GLOBAL__N_19NonZeroOpIdEEPKdlEEPiiNS8_6detail34convert_binary_result_type_wrapperINS8_3SumESH_iEEEE10hipError_tPvRmT1_T2_T3_mT4_P12ihipStream_tbEUlT_E1_NS1_11comp_targetILNS1_3genE4ELNS1_11target_archE910ELNS1_3gpuE8ELNS1_3repE0EEENS1_30default_config_static_selectorELNS0_4arch9wavefront6targetE0EEEvSQ_,@function
_ZN7rocprim17ROCPRIM_400000_NS6detail17trampoline_kernelINS0_14default_configENS1_22reduce_config_selectorIbEEZNS1_11reduce_implILb1ES3_N6hipcub16HIPCUB_304000_NS22TransformInputIteratorIbN2at6native12_GLOBAL__N_19NonZeroOpIdEEPKdlEEPiiNS8_6detail34convert_binary_result_type_wrapperINS8_3SumESH_iEEEE10hipError_tPvRmT1_T2_T3_mT4_P12ihipStream_tbEUlT_E1_NS1_11comp_targetILNS1_3genE4ELNS1_11target_archE910ELNS1_3gpuE8ELNS1_3repE0EEENS1_30default_config_static_selectorELNS0_4arch9wavefront6targetE0EEEvSQ_: ; @_ZN7rocprim17ROCPRIM_400000_NS6detail17trampoline_kernelINS0_14default_configENS1_22reduce_config_selectorIbEEZNS1_11reduce_implILb1ES3_N6hipcub16HIPCUB_304000_NS22TransformInputIteratorIbN2at6native12_GLOBAL__N_19NonZeroOpIdEEPKdlEEPiiNS8_6detail34convert_binary_result_type_wrapperINS8_3SumESH_iEEEE10hipError_tPvRmT1_T2_T3_mT4_P12ihipStream_tbEUlT_E1_NS1_11comp_targetILNS1_3genE4ELNS1_11target_archE910ELNS1_3gpuE8ELNS1_3repE0EEENS1_30default_config_static_selectorELNS0_4arch9wavefront6targetE0EEEvSQ_
; %bb.0:
	.section	.rodata,"a",@progbits
	.p2align	6, 0x0
	.amdhsa_kernel _ZN7rocprim17ROCPRIM_400000_NS6detail17trampoline_kernelINS0_14default_configENS1_22reduce_config_selectorIbEEZNS1_11reduce_implILb1ES3_N6hipcub16HIPCUB_304000_NS22TransformInputIteratorIbN2at6native12_GLOBAL__N_19NonZeroOpIdEEPKdlEEPiiNS8_6detail34convert_binary_result_type_wrapperINS8_3SumESH_iEEEE10hipError_tPvRmT1_T2_T3_mT4_P12ihipStream_tbEUlT_E1_NS1_11comp_targetILNS1_3genE4ELNS1_11target_archE910ELNS1_3gpuE8ELNS1_3repE0EEENS1_30default_config_static_selectorELNS0_4arch9wavefront6targetE0EEEvSQ_
		.amdhsa_group_segment_fixed_size 0
		.amdhsa_private_segment_fixed_size 0
		.amdhsa_kernarg_size 48
		.amdhsa_user_sgpr_count 15
		.amdhsa_user_sgpr_dispatch_ptr 0
		.amdhsa_user_sgpr_queue_ptr 0
		.amdhsa_user_sgpr_kernarg_segment_ptr 1
		.amdhsa_user_sgpr_dispatch_id 0
		.amdhsa_user_sgpr_private_segment_size 0
		.amdhsa_wavefront_size32 1
		.amdhsa_uses_dynamic_stack 0
		.amdhsa_enable_private_segment 0
		.amdhsa_system_sgpr_workgroup_id_x 1
		.amdhsa_system_sgpr_workgroup_id_y 0
		.amdhsa_system_sgpr_workgroup_id_z 0
		.amdhsa_system_sgpr_workgroup_info 0
		.amdhsa_system_vgpr_workitem_id 0
		.amdhsa_next_free_vgpr 1
		.amdhsa_next_free_sgpr 1
		.amdhsa_reserve_vcc 0
		.amdhsa_float_round_mode_32 0
		.amdhsa_float_round_mode_16_64 0
		.amdhsa_float_denorm_mode_32 3
		.amdhsa_float_denorm_mode_16_64 3
		.amdhsa_dx10_clamp 1
		.amdhsa_ieee_mode 1
		.amdhsa_fp16_overflow 0
		.amdhsa_workgroup_processor_mode 1
		.amdhsa_memory_ordered 1
		.amdhsa_forward_progress 0
		.amdhsa_shared_vgpr_count 0
		.amdhsa_exception_fp_ieee_invalid_op 0
		.amdhsa_exception_fp_denorm_src 0
		.amdhsa_exception_fp_ieee_div_zero 0
		.amdhsa_exception_fp_ieee_overflow 0
		.amdhsa_exception_fp_ieee_underflow 0
		.amdhsa_exception_fp_ieee_inexact 0
		.amdhsa_exception_int_div_zero 0
	.end_amdhsa_kernel
	.section	.text._ZN7rocprim17ROCPRIM_400000_NS6detail17trampoline_kernelINS0_14default_configENS1_22reduce_config_selectorIbEEZNS1_11reduce_implILb1ES3_N6hipcub16HIPCUB_304000_NS22TransformInputIteratorIbN2at6native12_GLOBAL__N_19NonZeroOpIdEEPKdlEEPiiNS8_6detail34convert_binary_result_type_wrapperINS8_3SumESH_iEEEE10hipError_tPvRmT1_T2_T3_mT4_P12ihipStream_tbEUlT_E1_NS1_11comp_targetILNS1_3genE4ELNS1_11target_archE910ELNS1_3gpuE8ELNS1_3repE0EEENS1_30default_config_static_selectorELNS0_4arch9wavefront6targetE0EEEvSQ_,"axG",@progbits,_ZN7rocprim17ROCPRIM_400000_NS6detail17trampoline_kernelINS0_14default_configENS1_22reduce_config_selectorIbEEZNS1_11reduce_implILb1ES3_N6hipcub16HIPCUB_304000_NS22TransformInputIteratorIbN2at6native12_GLOBAL__N_19NonZeroOpIdEEPKdlEEPiiNS8_6detail34convert_binary_result_type_wrapperINS8_3SumESH_iEEEE10hipError_tPvRmT1_T2_T3_mT4_P12ihipStream_tbEUlT_E1_NS1_11comp_targetILNS1_3genE4ELNS1_11target_archE910ELNS1_3gpuE8ELNS1_3repE0EEENS1_30default_config_static_selectorELNS0_4arch9wavefront6targetE0EEEvSQ_,comdat
.Lfunc_end383:
	.size	_ZN7rocprim17ROCPRIM_400000_NS6detail17trampoline_kernelINS0_14default_configENS1_22reduce_config_selectorIbEEZNS1_11reduce_implILb1ES3_N6hipcub16HIPCUB_304000_NS22TransformInputIteratorIbN2at6native12_GLOBAL__N_19NonZeroOpIdEEPKdlEEPiiNS8_6detail34convert_binary_result_type_wrapperINS8_3SumESH_iEEEE10hipError_tPvRmT1_T2_T3_mT4_P12ihipStream_tbEUlT_E1_NS1_11comp_targetILNS1_3genE4ELNS1_11target_archE910ELNS1_3gpuE8ELNS1_3repE0EEENS1_30default_config_static_selectorELNS0_4arch9wavefront6targetE0EEEvSQ_, .Lfunc_end383-_ZN7rocprim17ROCPRIM_400000_NS6detail17trampoline_kernelINS0_14default_configENS1_22reduce_config_selectorIbEEZNS1_11reduce_implILb1ES3_N6hipcub16HIPCUB_304000_NS22TransformInputIteratorIbN2at6native12_GLOBAL__N_19NonZeroOpIdEEPKdlEEPiiNS8_6detail34convert_binary_result_type_wrapperINS8_3SumESH_iEEEE10hipError_tPvRmT1_T2_T3_mT4_P12ihipStream_tbEUlT_E1_NS1_11comp_targetILNS1_3genE4ELNS1_11target_archE910ELNS1_3gpuE8ELNS1_3repE0EEENS1_30default_config_static_selectorELNS0_4arch9wavefront6targetE0EEEvSQ_
                                        ; -- End function
	.section	.AMDGPU.csdata,"",@progbits
; Kernel info:
; codeLenInByte = 0
; NumSgprs: 0
; NumVgprs: 0
; ScratchSize: 0
; MemoryBound: 0
; FloatMode: 240
; IeeeMode: 1
; LDSByteSize: 0 bytes/workgroup (compile time only)
; SGPRBlocks: 0
; VGPRBlocks: 0
; NumSGPRsForWavesPerEU: 1
; NumVGPRsForWavesPerEU: 1
; Occupancy: 16
; WaveLimiterHint : 0
; COMPUTE_PGM_RSRC2:SCRATCH_EN: 0
; COMPUTE_PGM_RSRC2:USER_SGPR: 15
; COMPUTE_PGM_RSRC2:TRAP_HANDLER: 0
; COMPUTE_PGM_RSRC2:TGID_X_EN: 1
; COMPUTE_PGM_RSRC2:TGID_Y_EN: 0
; COMPUTE_PGM_RSRC2:TGID_Z_EN: 0
; COMPUTE_PGM_RSRC2:TIDIG_COMP_CNT: 0
	.section	.text._ZN7rocprim17ROCPRIM_400000_NS6detail17trampoline_kernelINS0_14default_configENS1_22reduce_config_selectorIbEEZNS1_11reduce_implILb1ES3_N6hipcub16HIPCUB_304000_NS22TransformInputIteratorIbN2at6native12_GLOBAL__N_19NonZeroOpIdEEPKdlEEPiiNS8_6detail34convert_binary_result_type_wrapperINS8_3SumESH_iEEEE10hipError_tPvRmT1_T2_T3_mT4_P12ihipStream_tbEUlT_E1_NS1_11comp_targetILNS1_3genE3ELNS1_11target_archE908ELNS1_3gpuE7ELNS1_3repE0EEENS1_30default_config_static_selectorELNS0_4arch9wavefront6targetE0EEEvSQ_,"axG",@progbits,_ZN7rocprim17ROCPRIM_400000_NS6detail17trampoline_kernelINS0_14default_configENS1_22reduce_config_selectorIbEEZNS1_11reduce_implILb1ES3_N6hipcub16HIPCUB_304000_NS22TransformInputIteratorIbN2at6native12_GLOBAL__N_19NonZeroOpIdEEPKdlEEPiiNS8_6detail34convert_binary_result_type_wrapperINS8_3SumESH_iEEEE10hipError_tPvRmT1_T2_T3_mT4_P12ihipStream_tbEUlT_E1_NS1_11comp_targetILNS1_3genE3ELNS1_11target_archE908ELNS1_3gpuE7ELNS1_3repE0EEENS1_30default_config_static_selectorELNS0_4arch9wavefront6targetE0EEEvSQ_,comdat
	.globl	_ZN7rocprim17ROCPRIM_400000_NS6detail17trampoline_kernelINS0_14default_configENS1_22reduce_config_selectorIbEEZNS1_11reduce_implILb1ES3_N6hipcub16HIPCUB_304000_NS22TransformInputIteratorIbN2at6native12_GLOBAL__N_19NonZeroOpIdEEPKdlEEPiiNS8_6detail34convert_binary_result_type_wrapperINS8_3SumESH_iEEEE10hipError_tPvRmT1_T2_T3_mT4_P12ihipStream_tbEUlT_E1_NS1_11comp_targetILNS1_3genE3ELNS1_11target_archE908ELNS1_3gpuE7ELNS1_3repE0EEENS1_30default_config_static_selectorELNS0_4arch9wavefront6targetE0EEEvSQ_ ; -- Begin function _ZN7rocprim17ROCPRIM_400000_NS6detail17trampoline_kernelINS0_14default_configENS1_22reduce_config_selectorIbEEZNS1_11reduce_implILb1ES3_N6hipcub16HIPCUB_304000_NS22TransformInputIteratorIbN2at6native12_GLOBAL__N_19NonZeroOpIdEEPKdlEEPiiNS8_6detail34convert_binary_result_type_wrapperINS8_3SumESH_iEEEE10hipError_tPvRmT1_T2_T3_mT4_P12ihipStream_tbEUlT_E1_NS1_11comp_targetILNS1_3genE3ELNS1_11target_archE908ELNS1_3gpuE7ELNS1_3repE0EEENS1_30default_config_static_selectorELNS0_4arch9wavefront6targetE0EEEvSQ_
	.p2align	8
	.type	_ZN7rocprim17ROCPRIM_400000_NS6detail17trampoline_kernelINS0_14default_configENS1_22reduce_config_selectorIbEEZNS1_11reduce_implILb1ES3_N6hipcub16HIPCUB_304000_NS22TransformInputIteratorIbN2at6native12_GLOBAL__N_19NonZeroOpIdEEPKdlEEPiiNS8_6detail34convert_binary_result_type_wrapperINS8_3SumESH_iEEEE10hipError_tPvRmT1_T2_T3_mT4_P12ihipStream_tbEUlT_E1_NS1_11comp_targetILNS1_3genE3ELNS1_11target_archE908ELNS1_3gpuE7ELNS1_3repE0EEENS1_30default_config_static_selectorELNS0_4arch9wavefront6targetE0EEEvSQ_,@function
_ZN7rocprim17ROCPRIM_400000_NS6detail17trampoline_kernelINS0_14default_configENS1_22reduce_config_selectorIbEEZNS1_11reduce_implILb1ES3_N6hipcub16HIPCUB_304000_NS22TransformInputIteratorIbN2at6native12_GLOBAL__N_19NonZeroOpIdEEPKdlEEPiiNS8_6detail34convert_binary_result_type_wrapperINS8_3SumESH_iEEEE10hipError_tPvRmT1_T2_T3_mT4_P12ihipStream_tbEUlT_E1_NS1_11comp_targetILNS1_3genE3ELNS1_11target_archE908ELNS1_3gpuE7ELNS1_3repE0EEENS1_30default_config_static_selectorELNS0_4arch9wavefront6targetE0EEEvSQ_: ; @_ZN7rocprim17ROCPRIM_400000_NS6detail17trampoline_kernelINS0_14default_configENS1_22reduce_config_selectorIbEEZNS1_11reduce_implILb1ES3_N6hipcub16HIPCUB_304000_NS22TransformInputIteratorIbN2at6native12_GLOBAL__N_19NonZeroOpIdEEPKdlEEPiiNS8_6detail34convert_binary_result_type_wrapperINS8_3SumESH_iEEEE10hipError_tPvRmT1_T2_T3_mT4_P12ihipStream_tbEUlT_E1_NS1_11comp_targetILNS1_3genE3ELNS1_11target_archE908ELNS1_3gpuE7ELNS1_3repE0EEENS1_30default_config_static_selectorELNS0_4arch9wavefront6targetE0EEEvSQ_
; %bb.0:
	.section	.rodata,"a",@progbits
	.p2align	6, 0x0
	.amdhsa_kernel _ZN7rocprim17ROCPRIM_400000_NS6detail17trampoline_kernelINS0_14default_configENS1_22reduce_config_selectorIbEEZNS1_11reduce_implILb1ES3_N6hipcub16HIPCUB_304000_NS22TransformInputIteratorIbN2at6native12_GLOBAL__N_19NonZeroOpIdEEPKdlEEPiiNS8_6detail34convert_binary_result_type_wrapperINS8_3SumESH_iEEEE10hipError_tPvRmT1_T2_T3_mT4_P12ihipStream_tbEUlT_E1_NS1_11comp_targetILNS1_3genE3ELNS1_11target_archE908ELNS1_3gpuE7ELNS1_3repE0EEENS1_30default_config_static_selectorELNS0_4arch9wavefront6targetE0EEEvSQ_
		.amdhsa_group_segment_fixed_size 0
		.amdhsa_private_segment_fixed_size 0
		.amdhsa_kernarg_size 48
		.amdhsa_user_sgpr_count 15
		.amdhsa_user_sgpr_dispatch_ptr 0
		.amdhsa_user_sgpr_queue_ptr 0
		.amdhsa_user_sgpr_kernarg_segment_ptr 1
		.amdhsa_user_sgpr_dispatch_id 0
		.amdhsa_user_sgpr_private_segment_size 0
		.amdhsa_wavefront_size32 1
		.amdhsa_uses_dynamic_stack 0
		.amdhsa_enable_private_segment 0
		.amdhsa_system_sgpr_workgroup_id_x 1
		.amdhsa_system_sgpr_workgroup_id_y 0
		.amdhsa_system_sgpr_workgroup_id_z 0
		.amdhsa_system_sgpr_workgroup_info 0
		.amdhsa_system_vgpr_workitem_id 0
		.amdhsa_next_free_vgpr 1
		.amdhsa_next_free_sgpr 1
		.amdhsa_reserve_vcc 0
		.amdhsa_float_round_mode_32 0
		.amdhsa_float_round_mode_16_64 0
		.amdhsa_float_denorm_mode_32 3
		.amdhsa_float_denorm_mode_16_64 3
		.amdhsa_dx10_clamp 1
		.amdhsa_ieee_mode 1
		.amdhsa_fp16_overflow 0
		.amdhsa_workgroup_processor_mode 1
		.amdhsa_memory_ordered 1
		.amdhsa_forward_progress 0
		.amdhsa_shared_vgpr_count 0
		.amdhsa_exception_fp_ieee_invalid_op 0
		.amdhsa_exception_fp_denorm_src 0
		.amdhsa_exception_fp_ieee_div_zero 0
		.amdhsa_exception_fp_ieee_overflow 0
		.amdhsa_exception_fp_ieee_underflow 0
		.amdhsa_exception_fp_ieee_inexact 0
		.amdhsa_exception_int_div_zero 0
	.end_amdhsa_kernel
	.section	.text._ZN7rocprim17ROCPRIM_400000_NS6detail17trampoline_kernelINS0_14default_configENS1_22reduce_config_selectorIbEEZNS1_11reduce_implILb1ES3_N6hipcub16HIPCUB_304000_NS22TransformInputIteratorIbN2at6native12_GLOBAL__N_19NonZeroOpIdEEPKdlEEPiiNS8_6detail34convert_binary_result_type_wrapperINS8_3SumESH_iEEEE10hipError_tPvRmT1_T2_T3_mT4_P12ihipStream_tbEUlT_E1_NS1_11comp_targetILNS1_3genE3ELNS1_11target_archE908ELNS1_3gpuE7ELNS1_3repE0EEENS1_30default_config_static_selectorELNS0_4arch9wavefront6targetE0EEEvSQ_,"axG",@progbits,_ZN7rocprim17ROCPRIM_400000_NS6detail17trampoline_kernelINS0_14default_configENS1_22reduce_config_selectorIbEEZNS1_11reduce_implILb1ES3_N6hipcub16HIPCUB_304000_NS22TransformInputIteratorIbN2at6native12_GLOBAL__N_19NonZeroOpIdEEPKdlEEPiiNS8_6detail34convert_binary_result_type_wrapperINS8_3SumESH_iEEEE10hipError_tPvRmT1_T2_T3_mT4_P12ihipStream_tbEUlT_E1_NS1_11comp_targetILNS1_3genE3ELNS1_11target_archE908ELNS1_3gpuE7ELNS1_3repE0EEENS1_30default_config_static_selectorELNS0_4arch9wavefront6targetE0EEEvSQ_,comdat
.Lfunc_end384:
	.size	_ZN7rocprim17ROCPRIM_400000_NS6detail17trampoline_kernelINS0_14default_configENS1_22reduce_config_selectorIbEEZNS1_11reduce_implILb1ES3_N6hipcub16HIPCUB_304000_NS22TransformInputIteratorIbN2at6native12_GLOBAL__N_19NonZeroOpIdEEPKdlEEPiiNS8_6detail34convert_binary_result_type_wrapperINS8_3SumESH_iEEEE10hipError_tPvRmT1_T2_T3_mT4_P12ihipStream_tbEUlT_E1_NS1_11comp_targetILNS1_3genE3ELNS1_11target_archE908ELNS1_3gpuE7ELNS1_3repE0EEENS1_30default_config_static_selectorELNS0_4arch9wavefront6targetE0EEEvSQ_, .Lfunc_end384-_ZN7rocprim17ROCPRIM_400000_NS6detail17trampoline_kernelINS0_14default_configENS1_22reduce_config_selectorIbEEZNS1_11reduce_implILb1ES3_N6hipcub16HIPCUB_304000_NS22TransformInputIteratorIbN2at6native12_GLOBAL__N_19NonZeroOpIdEEPKdlEEPiiNS8_6detail34convert_binary_result_type_wrapperINS8_3SumESH_iEEEE10hipError_tPvRmT1_T2_T3_mT4_P12ihipStream_tbEUlT_E1_NS1_11comp_targetILNS1_3genE3ELNS1_11target_archE908ELNS1_3gpuE7ELNS1_3repE0EEENS1_30default_config_static_selectorELNS0_4arch9wavefront6targetE0EEEvSQ_
                                        ; -- End function
	.section	.AMDGPU.csdata,"",@progbits
; Kernel info:
; codeLenInByte = 0
; NumSgprs: 0
; NumVgprs: 0
; ScratchSize: 0
; MemoryBound: 0
; FloatMode: 240
; IeeeMode: 1
; LDSByteSize: 0 bytes/workgroup (compile time only)
; SGPRBlocks: 0
; VGPRBlocks: 0
; NumSGPRsForWavesPerEU: 1
; NumVGPRsForWavesPerEU: 1
; Occupancy: 16
; WaveLimiterHint : 0
; COMPUTE_PGM_RSRC2:SCRATCH_EN: 0
; COMPUTE_PGM_RSRC2:USER_SGPR: 15
; COMPUTE_PGM_RSRC2:TRAP_HANDLER: 0
; COMPUTE_PGM_RSRC2:TGID_X_EN: 1
; COMPUTE_PGM_RSRC2:TGID_Y_EN: 0
; COMPUTE_PGM_RSRC2:TGID_Z_EN: 0
; COMPUTE_PGM_RSRC2:TIDIG_COMP_CNT: 0
	.section	.text._ZN7rocprim17ROCPRIM_400000_NS6detail17trampoline_kernelINS0_14default_configENS1_22reduce_config_selectorIbEEZNS1_11reduce_implILb1ES3_N6hipcub16HIPCUB_304000_NS22TransformInputIteratorIbN2at6native12_GLOBAL__N_19NonZeroOpIdEEPKdlEEPiiNS8_6detail34convert_binary_result_type_wrapperINS8_3SumESH_iEEEE10hipError_tPvRmT1_T2_T3_mT4_P12ihipStream_tbEUlT_E1_NS1_11comp_targetILNS1_3genE2ELNS1_11target_archE906ELNS1_3gpuE6ELNS1_3repE0EEENS1_30default_config_static_selectorELNS0_4arch9wavefront6targetE0EEEvSQ_,"axG",@progbits,_ZN7rocprim17ROCPRIM_400000_NS6detail17trampoline_kernelINS0_14default_configENS1_22reduce_config_selectorIbEEZNS1_11reduce_implILb1ES3_N6hipcub16HIPCUB_304000_NS22TransformInputIteratorIbN2at6native12_GLOBAL__N_19NonZeroOpIdEEPKdlEEPiiNS8_6detail34convert_binary_result_type_wrapperINS8_3SumESH_iEEEE10hipError_tPvRmT1_T2_T3_mT4_P12ihipStream_tbEUlT_E1_NS1_11comp_targetILNS1_3genE2ELNS1_11target_archE906ELNS1_3gpuE6ELNS1_3repE0EEENS1_30default_config_static_selectorELNS0_4arch9wavefront6targetE0EEEvSQ_,comdat
	.globl	_ZN7rocprim17ROCPRIM_400000_NS6detail17trampoline_kernelINS0_14default_configENS1_22reduce_config_selectorIbEEZNS1_11reduce_implILb1ES3_N6hipcub16HIPCUB_304000_NS22TransformInputIteratorIbN2at6native12_GLOBAL__N_19NonZeroOpIdEEPKdlEEPiiNS8_6detail34convert_binary_result_type_wrapperINS8_3SumESH_iEEEE10hipError_tPvRmT1_T2_T3_mT4_P12ihipStream_tbEUlT_E1_NS1_11comp_targetILNS1_3genE2ELNS1_11target_archE906ELNS1_3gpuE6ELNS1_3repE0EEENS1_30default_config_static_selectorELNS0_4arch9wavefront6targetE0EEEvSQ_ ; -- Begin function _ZN7rocprim17ROCPRIM_400000_NS6detail17trampoline_kernelINS0_14default_configENS1_22reduce_config_selectorIbEEZNS1_11reduce_implILb1ES3_N6hipcub16HIPCUB_304000_NS22TransformInputIteratorIbN2at6native12_GLOBAL__N_19NonZeroOpIdEEPKdlEEPiiNS8_6detail34convert_binary_result_type_wrapperINS8_3SumESH_iEEEE10hipError_tPvRmT1_T2_T3_mT4_P12ihipStream_tbEUlT_E1_NS1_11comp_targetILNS1_3genE2ELNS1_11target_archE906ELNS1_3gpuE6ELNS1_3repE0EEENS1_30default_config_static_selectorELNS0_4arch9wavefront6targetE0EEEvSQ_
	.p2align	8
	.type	_ZN7rocprim17ROCPRIM_400000_NS6detail17trampoline_kernelINS0_14default_configENS1_22reduce_config_selectorIbEEZNS1_11reduce_implILb1ES3_N6hipcub16HIPCUB_304000_NS22TransformInputIteratorIbN2at6native12_GLOBAL__N_19NonZeroOpIdEEPKdlEEPiiNS8_6detail34convert_binary_result_type_wrapperINS8_3SumESH_iEEEE10hipError_tPvRmT1_T2_T3_mT4_P12ihipStream_tbEUlT_E1_NS1_11comp_targetILNS1_3genE2ELNS1_11target_archE906ELNS1_3gpuE6ELNS1_3repE0EEENS1_30default_config_static_selectorELNS0_4arch9wavefront6targetE0EEEvSQ_,@function
_ZN7rocprim17ROCPRIM_400000_NS6detail17trampoline_kernelINS0_14default_configENS1_22reduce_config_selectorIbEEZNS1_11reduce_implILb1ES3_N6hipcub16HIPCUB_304000_NS22TransformInputIteratorIbN2at6native12_GLOBAL__N_19NonZeroOpIdEEPKdlEEPiiNS8_6detail34convert_binary_result_type_wrapperINS8_3SumESH_iEEEE10hipError_tPvRmT1_T2_T3_mT4_P12ihipStream_tbEUlT_E1_NS1_11comp_targetILNS1_3genE2ELNS1_11target_archE906ELNS1_3gpuE6ELNS1_3repE0EEENS1_30default_config_static_selectorELNS0_4arch9wavefront6targetE0EEEvSQ_: ; @_ZN7rocprim17ROCPRIM_400000_NS6detail17trampoline_kernelINS0_14default_configENS1_22reduce_config_selectorIbEEZNS1_11reduce_implILb1ES3_N6hipcub16HIPCUB_304000_NS22TransformInputIteratorIbN2at6native12_GLOBAL__N_19NonZeroOpIdEEPKdlEEPiiNS8_6detail34convert_binary_result_type_wrapperINS8_3SumESH_iEEEE10hipError_tPvRmT1_T2_T3_mT4_P12ihipStream_tbEUlT_E1_NS1_11comp_targetILNS1_3genE2ELNS1_11target_archE906ELNS1_3gpuE6ELNS1_3repE0EEENS1_30default_config_static_selectorELNS0_4arch9wavefront6targetE0EEEvSQ_
; %bb.0:
	.section	.rodata,"a",@progbits
	.p2align	6, 0x0
	.amdhsa_kernel _ZN7rocprim17ROCPRIM_400000_NS6detail17trampoline_kernelINS0_14default_configENS1_22reduce_config_selectorIbEEZNS1_11reduce_implILb1ES3_N6hipcub16HIPCUB_304000_NS22TransformInputIteratorIbN2at6native12_GLOBAL__N_19NonZeroOpIdEEPKdlEEPiiNS8_6detail34convert_binary_result_type_wrapperINS8_3SumESH_iEEEE10hipError_tPvRmT1_T2_T3_mT4_P12ihipStream_tbEUlT_E1_NS1_11comp_targetILNS1_3genE2ELNS1_11target_archE906ELNS1_3gpuE6ELNS1_3repE0EEENS1_30default_config_static_selectorELNS0_4arch9wavefront6targetE0EEEvSQ_
		.amdhsa_group_segment_fixed_size 0
		.amdhsa_private_segment_fixed_size 0
		.amdhsa_kernarg_size 48
		.amdhsa_user_sgpr_count 15
		.amdhsa_user_sgpr_dispatch_ptr 0
		.amdhsa_user_sgpr_queue_ptr 0
		.amdhsa_user_sgpr_kernarg_segment_ptr 1
		.amdhsa_user_sgpr_dispatch_id 0
		.amdhsa_user_sgpr_private_segment_size 0
		.amdhsa_wavefront_size32 1
		.amdhsa_uses_dynamic_stack 0
		.amdhsa_enable_private_segment 0
		.amdhsa_system_sgpr_workgroup_id_x 1
		.amdhsa_system_sgpr_workgroup_id_y 0
		.amdhsa_system_sgpr_workgroup_id_z 0
		.amdhsa_system_sgpr_workgroup_info 0
		.amdhsa_system_vgpr_workitem_id 0
		.amdhsa_next_free_vgpr 1
		.amdhsa_next_free_sgpr 1
		.amdhsa_reserve_vcc 0
		.amdhsa_float_round_mode_32 0
		.amdhsa_float_round_mode_16_64 0
		.amdhsa_float_denorm_mode_32 3
		.amdhsa_float_denorm_mode_16_64 3
		.amdhsa_dx10_clamp 1
		.amdhsa_ieee_mode 1
		.amdhsa_fp16_overflow 0
		.amdhsa_workgroup_processor_mode 1
		.amdhsa_memory_ordered 1
		.amdhsa_forward_progress 0
		.amdhsa_shared_vgpr_count 0
		.amdhsa_exception_fp_ieee_invalid_op 0
		.amdhsa_exception_fp_denorm_src 0
		.amdhsa_exception_fp_ieee_div_zero 0
		.amdhsa_exception_fp_ieee_overflow 0
		.amdhsa_exception_fp_ieee_underflow 0
		.amdhsa_exception_fp_ieee_inexact 0
		.amdhsa_exception_int_div_zero 0
	.end_amdhsa_kernel
	.section	.text._ZN7rocprim17ROCPRIM_400000_NS6detail17trampoline_kernelINS0_14default_configENS1_22reduce_config_selectorIbEEZNS1_11reduce_implILb1ES3_N6hipcub16HIPCUB_304000_NS22TransformInputIteratorIbN2at6native12_GLOBAL__N_19NonZeroOpIdEEPKdlEEPiiNS8_6detail34convert_binary_result_type_wrapperINS8_3SumESH_iEEEE10hipError_tPvRmT1_T2_T3_mT4_P12ihipStream_tbEUlT_E1_NS1_11comp_targetILNS1_3genE2ELNS1_11target_archE906ELNS1_3gpuE6ELNS1_3repE0EEENS1_30default_config_static_selectorELNS0_4arch9wavefront6targetE0EEEvSQ_,"axG",@progbits,_ZN7rocprim17ROCPRIM_400000_NS6detail17trampoline_kernelINS0_14default_configENS1_22reduce_config_selectorIbEEZNS1_11reduce_implILb1ES3_N6hipcub16HIPCUB_304000_NS22TransformInputIteratorIbN2at6native12_GLOBAL__N_19NonZeroOpIdEEPKdlEEPiiNS8_6detail34convert_binary_result_type_wrapperINS8_3SumESH_iEEEE10hipError_tPvRmT1_T2_T3_mT4_P12ihipStream_tbEUlT_E1_NS1_11comp_targetILNS1_3genE2ELNS1_11target_archE906ELNS1_3gpuE6ELNS1_3repE0EEENS1_30default_config_static_selectorELNS0_4arch9wavefront6targetE0EEEvSQ_,comdat
.Lfunc_end385:
	.size	_ZN7rocprim17ROCPRIM_400000_NS6detail17trampoline_kernelINS0_14default_configENS1_22reduce_config_selectorIbEEZNS1_11reduce_implILb1ES3_N6hipcub16HIPCUB_304000_NS22TransformInputIteratorIbN2at6native12_GLOBAL__N_19NonZeroOpIdEEPKdlEEPiiNS8_6detail34convert_binary_result_type_wrapperINS8_3SumESH_iEEEE10hipError_tPvRmT1_T2_T3_mT4_P12ihipStream_tbEUlT_E1_NS1_11comp_targetILNS1_3genE2ELNS1_11target_archE906ELNS1_3gpuE6ELNS1_3repE0EEENS1_30default_config_static_selectorELNS0_4arch9wavefront6targetE0EEEvSQ_, .Lfunc_end385-_ZN7rocprim17ROCPRIM_400000_NS6detail17trampoline_kernelINS0_14default_configENS1_22reduce_config_selectorIbEEZNS1_11reduce_implILb1ES3_N6hipcub16HIPCUB_304000_NS22TransformInputIteratorIbN2at6native12_GLOBAL__N_19NonZeroOpIdEEPKdlEEPiiNS8_6detail34convert_binary_result_type_wrapperINS8_3SumESH_iEEEE10hipError_tPvRmT1_T2_T3_mT4_P12ihipStream_tbEUlT_E1_NS1_11comp_targetILNS1_3genE2ELNS1_11target_archE906ELNS1_3gpuE6ELNS1_3repE0EEENS1_30default_config_static_selectorELNS0_4arch9wavefront6targetE0EEEvSQ_
                                        ; -- End function
	.section	.AMDGPU.csdata,"",@progbits
; Kernel info:
; codeLenInByte = 0
; NumSgprs: 0
; NumVgprs: 0
; ScratchSize: 0
; MemoryBound: 0
; FloatMode: 240
; IeeeMode: 1
; LDSByteSize: 0 bytes/workgroup (compile time only)
; SGPRBlocks: 0
; VGPRBlocks: 0
; NumSGPRsForWavesPerEU: 1
; NumVGPRsForWavesPerEU: 1
; Occupancy: 16
; WaveLimiterHint : 0
; COMPUTE_PGM_RSRC2:SCRATCH_EN: 0
; COMPUTE_PGM_RSRC2:USER_SGPR: 15
; COMPUTE_PGM_RSRC2:TRAP_HANDLER: 0
; COMPUTE_PGM_RSRC2:TGID_X_EN: 1
; COMPUTE_PGM_RSRC2:TGID_Y_EN: 0
; COMPUTE_PGM_RSRC2:TGID_Z_EN: 0
; COMPUTE_PGM_RSRC2:TIDIG_COMP_CNT: 0
	.section	.text._ZN7rocprim17ROCPRIM_400000_NS6detail17trampoline_kernelINS0_14default_configENS1_22reduce_config_selectorIbEEZNS1_11reduce_implILb1ES3_N6hipcub16HIPCUB_304000_NS22TransformInputIteratorIbN2at6native12_GLOBAL__N_19NonZeroOpIdEEPKdlEEPiiNS8_6detail34convert_binary_result_type_wrapperINS8_3SumESH_iEEEE10hipError_tPvRmT1_T2_T3_mT4_P12ihipStream_tbEUlT_E1_NS1_11comp_targetILNS1_3genE10ELNS1_11target_archE1201ELNS1_3gpuE5ELNS1_3repE0EEENS1_30default_config_static_selectorELNS0_4arch9wavefront6targetE0EEEvSQ_,"axG",@progbits,_ZN7rocprim17ROCPRIM_400000_NS6detail17trampoline_kernelINS0_14default_configENS1_22reduce_config_selectorIbEEZNS1_11reduce_implILb1ES3_N6hipcub16HIPCUB_304000_NS22TransformInputIteratorIbN2at6native12_GLOBAL__N_19NonZeroOpIdEEPKdlEEPiiNS8_6detail34convert_binary_result_type_wrapperINS8_3SumESH_iEEEE10hipError_tPvRmT1_T2_T3_mT4_P12ihipStream_tbEUlT_E1_NS1_11comp_targetILNS1_3genE10ELNS1_11target_archE1201ELNS1_3gpuE5ELNS1_3repE0EEENS1_30default_config_static_selectorELNS0_4arch9wavefront6targetE0EEEvSQ_,comdat
	.globl	_ZN7rocprim17ROCPRIM_400000_NS6detail17trampoline_kernelINS0_14default_configENS1_22reduce_config_selectorIbEEZNS1_11reduce_implILb1ES3_N6hipcub16HIPCUB_304000_NS22TransformInputIteratorIbN2at6native12_GLOBAL__N_19NonZeroOpIdEEPKdlEEPiiNS8_6detail34convert_binary_result_type_wrapperINS8_3SumESH_iEEEE10hipError_tPvRmT1_T2_T3_mT4_P12ihipStream_tbEUlT_E1_NS1_11comp_targetILNS1_3genE10ELNS1_11target_archE1201ELNS1_3gpuE5ELNS1_3repE0EEENS1_30default_config_static_selectorELNS0_4arch9wavefront6targetE0EEEvSQ_ ; -- Begin function _ZN7rocprim17ROCPRIM_400000_NS6detail17trampoline_kernelINS0_14default_configENS1_22reduce_config_selectorIbEEZNS1_11reduce_implILb1ES3_N6hipcub16HIPCUB_304000_NS22TransformInputIteratorIbN2at6native12_GLOBAL__N_19NonZeroOpIdEEPKdlEEPiiNS8_6detail34convert_binary_result_type_wrapperINS8_3SumESH_iEEEE10hipError_tPvRmT1_T2_T3_mT4_P12ihipStream_tbEUlT_E1_NS1_11comp_targetILNS1_3genE10ELNS1_11target_archE1201ELNS1_3gpuE5ELNS1_3repE0EEENS1_30default_config_static_selectorELNS0_4arch9wavefront6targetE0EEEvSQ_
	.p2align	8
	.type	_ZN7rocprim17ROCPRIM_400000_NS6detail17trampoline_kernelINS0_14default_configENS1_22reduce_config_selectorIbEEZNS1_11reduce_implILb1ES3_N6hipcub16HIPCUB_304000_NS22TransformInputIteratorIbN2at6native12_GLOBAL__N_19NonZeroOpIdEEPKdlEEPiiNS8_6detail34convert_binary_result_type_wrapperINS8_3SumESH_iEEEE10hipError_tPvRmT1_T2_T3_mT4_P12ihipStream_tbEUlT_E1_NS1_11comp_targetILNS1_3genE10ELNS1_11target_archE1201ELNS1_3gpuE5ELNS1_3repE0EEENS1_30default_config_static_selectorELNS0_4arch9wavefront6targetE0EEEvSQ_,@function
_ZN7rocprim17ROCPRIM_400000_NS6detail17trampoline_kernelINS0_14default_configENS1_22reduce_config_selectorIbEEZNS1_11reduce_implILb1ES3_N6hipcub16HIPCUB_304000_NS22TransformInputIteratorIbN2at6native12_GLOBAL__N_19NonZeroOpIdEEPKdlEEPiiNS8_6detail34convert_binary_result_type_wrapperINS8_3SumESH_iEEEE10hipError_tPvRmT1_T2_T3_mT4_P12ihipStream_tbEUlT_E1_NS1_11comp_targetILNS1_3genE10ELNS1_11target_archE1201ELNS1_3gpuE5ELNS1_3repE0EEENS1_30default_config_static_selectorELNS0_4arch9wavefront6targetE0EEEvSQ_: ; @_ZN7rocprim17ROCPRIM_400000_NS6detail17trampoline_kernelINS0_14default_configENS1_22reduce_config_selectorIbEEZNS1_11reduce_implILb1ES3_N6hipcub16HIPCUB_304000_NS22TransformInputIteratorIbN2at6native12_GLOBAL__N_19NonZeroOpIdEEPKdlEEPiiNS8_6detail34convert_binary_result_type_wrapperINS8_3SumESH_iEEEE10hipError_tPvRmT1_T2_T3_mT4_P12ihipStream_tbEUlT_E1_NS1_11comp_targetILNS1_3genE10ELNS1_11target_archE1201ELNS1_3gpuE5ELNS1_3repE0EEENS1_30default_config_static_selectorELNS0_4arch9wavefront6targetE0EEEvSQ_
; %bb.0:
	.section	.rodata,"a",@progbits
	.p2align	6, 0x0
	.amdhsa_kernel _ZN7rocprim17ROCPRIM_400000_NS6detail17trampoline_kernelINS0_14default_configENS1_22reduce_config_selectorIbEEZNS1_11reduce_implILb1ES3_N6hipcub16HIPCUB_304000_NS22TransformInputIteratorIbN2at6native12_GLOBAL__N_19NonZeroOpIdEEPKdlEEPiiNS8_6detail34convert_binary_result_type_wrapperINS8_3SumESH_iEEEE10hipError_tPvRmT1_T2_T3_mT4_P12ihipStream_tbEUlT_E1_NS1_11comp_targetILNS1_3genE10ELNS1_11target_archE1201ELNS1_3gpuE5ELNS1_3repE0EEENS1_30default_config_static_selectorELNS0_4arch9wavefront6targetE0EEEvSQ_
		.amdhsa_group_segment_fixed_size 0
		.amdhsa_private_segment_fixed_size 0
		.amdhsa_kernarg_size 48
		.amdhsa_user_sgpr_count 15
		.amdhsa_user_sgpr_dispatch_ptr 0
		.amdhsa_user_sgpr_queue_ptr 0
		.amdhsa_user_sgpr_kernarg_segment_ptr 1
		.amdhsa_user_sgpr_dispatch_id 0
		.amdhsa_user_sgpr_private_segment_size 0
		.amdhsa_wavefront_size32 1
		.amdhsa_uses_dynamic_stack 0
		.amdhsa_enable_private_segment 0
		.amdhsa_system_sgpr_workgroup_id_x 1
		.amdhsa_system_sgpr_workgroup_id_y 0
		.amdhsa_system_sgpr_workgroup_id_z 0
		.amdhsa_system_sgpr_workgroup_info 0
		.amdhsa_system_vgpr_workitem_id 0
		.amdhsa_next_free_vgpr 1
		.amdhsa_next_free_sgpr 1
		.amdhsa_reserve_vcc 0
		.amdhsa_float_round_mode_32 0
		.amdhsa_float_round_mode_16_64 0
		.amdhsa_float_denorm_mode_32 3
		.amdhsa_float_denorm_mode_16_64 3
		.amdhsa_dx10_clamp 1
		.amdhsa_ieee_mode 1
		.amdhsa_fp16_overflow 0
		.amdhsa_workgroup_processor_mode 1
		.amdhsa_memory_ordered 1
		.amdhsa_forward_progress 0
		.amdhsa_shared_vgpr_count 0
		.amdhsa_exception_fp_ieee_invalid_op 0
		.amdhsa_exception_fp_denorm_src 0
		.amdhsa_exception_fp_ieee_div_zero 0
		.amdhsa_exception_fp_ieee_overflow 0
		.amdhsa_exception_fp_ieee_underflow 0
		.amdhsa_exception_fp_ieee_inexact 0
		.amdhsa_exception_int_div_zero 0
	.end_amdhsa_kernel
	.section	.text._ZN7rocprim17ROCPRIM_400000_NS6detail17trampoline_kernelINS0_14default_configENS1_22reduce_config_selectorIbEEZNS1_11reduce_implILb1ES3_N6hipcub16HIPCUB_304000_NS22TransformInputIteratorIbN2at6native12_GLOBAL__N_19NonZeroOpIdEEPKdlEEPiiNS8_6detail34convert_binary_result_type_wrapperINS8_3SumESH_iEEEE10hipError_tPvRmT1_T2_T3_mT4_P12ihipStream_tbEUlT_E1_NS1_11comp_targetILNS1_3genE10ELNS1_11target_archE1201ELNS1_3gpuE5ELNS1_3repE0EEENS1_30default_config_static_selectorELNS0_4arch9wavefront6targetE0EEEvSQ_,"axG",@progbits,_ZN7rocprim17ROCPRIM_400000_NS6detail17trampoline_kernelINS0_14default_configENS1_22reduce_config_selectorIbEEZNS1_11reduce_implILb1ES3_N6hipcub16HIPCUB_304000_NS22TransformInputIteratorIbN2at6native12_GLOBAL__N_19NonZeroOpIdEEPKdlEEPiiNS8_6detail34convert_binary_result_type_wrapperINS8_3SumESH_iEEEE10hipError_tPvRmT1_T2_T3_mT4_P12ihipStream_tbEUlT_E1_NS1_11comp_targetILNS1_3genE10ELNS1_11target_archE1201ELNS1_3gpuE5ELNS1_3repE0EEENS1_30default_config_static_selectorELNS0_4arch9wavefront6targetE0EEEvSQ_,comdat
.Lfunc_end386:
	.size	_ZN7rocprim17ROCPRIM_400000_NS6detail17trampoline_kernelINS0_14default_configENS1_22reduce_config_selectorIbEEZNS1_11reduce_implILb1ES3_N6hipcub16HIPCUB_304000_NS22TransformInputIteratorIbN2at6native12_GLOBAL__N_19NonZeroOpIdEEPKdlEEPiiNS8_6detail34convert_binary_result_type_wrapperINS8_3SumESH_iEEEE10hipError_tPvRmT1_T2_T3_mT4_P12ihipStream_tbEUlT_E1_NS1_11comp_targetILNS1_3genE10ELNS1_11target_archE1201ELNS1_3gpuE5ELNS1_3repE0EEENS1_30default_config_static_selectorELNS0_4arch9wavefront6targetE0EEEvSQ_, .Lfunc_end386-_ZN7rocprim17ROCPRIM_400000_NS6detail17trampoline_kernelINS0_14default_configENS1_22reduce_config_selectorIbEEZNS1_11reduce_implILb1ES3_N6hipcub16HIPCUB_304000_NS22TransformInputIteratorIbN2at6native12_GLOBAL__N_19NonZeroOpIdEEPKdlEEPiiNS8_6detail34convert_binary_result_type_wrapperINS8_3SumESH_iEEEE10hipError_tPvRmT1_T2_T3_mT4_P12ihipStream_tbEUlT_E1_NS1_11comp_targetILNS1_3genE10ELNS1_11target_archE1201ELNS1_3gpuE5ELNS1_3repE0EEENS1_30default_config_static_selectorELNS0_4arch9wavefront6targetE0EEEvSQ_
                                        ; -- End function
	.section	.AMDGPU.csdata,"",@progbits
; Kernel info:
; codeLenInByte = 0
; NumSgprs: 0
; NumVgprs: 0
; ScratchSize: 0
; MemoryBound: 0
; FloatMode: 240
; IeeeMode: 1
; LDSByteSize: 0 bytes/workgroup (compile time only)
; SGPRBlocks: 0
; VGPRBlocks: 0
; NumSGPRsForWavesPerEU: 1
; NumVGPRsForWavesPerEU: 1
; Occupancy: 16
; WaveLimiterHint : 0
; COMPUTE_PGM_RSRC2:SCRATCH_EN: 0
; COMPUTE_PGM_RSRC2:USER_SGPR: 15
; COMPUTE_PGM_RSRC2:TRAP_HANDLER: 0
; COMPUTE_PGM_RSRC2:TGID_X_EN: 1
; COMPUTE_PGM_RSRC2:TGID_Y_EN: 0
; COMPUTE_PGM_RSRC2:TGID_Z_EN: 0
; COMPUTE_PGM_RSRC2:TIDIG_COMP_CNT: 0
	.section	.text._ZN7rocprim17ROCPRIM_400000_NS6detail17trampoline_kernelINS0_14default_configENS1_22reduce_config_selectorIbEEZNS1_11reduce_implILb1ES3_N6hipcub16HIPCUB_304000_NS22TransformInputIteratorIbN2at6native12_GLOBAL__N_19NonZeroOpIdEEPKdlEEPiiNS8_6detail34convert_binary_result_type_wrapperINS8_3SumESH_iEEEE10hipError_tPvRmT1_T2_T3_mT4_P12ihipStream_tbEUlT_E1_NS1_11comp_targetILNS1_3genE10ELNS1_11target_archE1200ELNS1_3gpuE4ELNS1_3repE0EEENS1_30default_config_static_selectorELNS0_4arch9wavefront6targetE0EEEvSQ_,"axG",@progbits,_ZN7rocprim17ROCPRIM_400000_NS6detail17trampoline_kernelINS0_14default_configENS1_22reduce_config_selectorIbEEZNS1_11reduce_implILb1ES3_N6hipcub16HIPCUB_304000_NS22TransformInputIteratorIbN2at6native12_GLOBAL__N_19NonZeroOpIdEEPKdlEEPiiNS8_6detail34convert_binary_result_type_wrapperINS8_3SumESH_iEEEE10hipError_tPvRmT1_T2_T3_mT4_P12ihipStream_tbEUlT_E1_NS1_11comp_targetILNS1_3genE10ELNS1_11target_archE1200ELNS1_3gpuE4ELNS1_3repE0EEENS1_30default_config_static_selectorELNS0_4arch9wavefront6targetE0EEEvSQ_,comdat
	.globl	_ZN7rocprim17ROCPRIM_400000_NS6detail17trampoline_kernelINS0_14default_configENS1_22reduce_config_selectorIbEEZNS1_11reduce_implILb1ES3_N6hipcub16HIPCUB_304000_NS22TransformInputIteratorIbN2at6native12_GLOBAL__N_19NonZeroOpIdEEPKdlEEPiiNS8_6detail34convert_binary_result_type_wrapperINS8_3SumESH_iEEEE10hipError_tPvRmT1_T2_T3_mT4_P12ihipStream_tbEUlT_E1_NS1_11comp_targetILNS1_3genE10ELNS1_11target_archE1200ELNS1_3gpuE4ELNS1_3repE0EEENS1_30default_config_static_selectorELNS0_4arch9wavefront6targetE0EEEvSQ_ ; -- Begin function _ZN7rocprim17ROCPRIM_400000_NS6detail17trampoline_kernelINS0_14default_configENS1_22reduce_config_selectorIbEEZNS1_11reduce_implILb1ES3_N6hipcub16HIPCUB_304000_NS22TransformInputIteratorIbN2at6native12_GLOBAL__N_19NonZeroOpIdEEPKdlEEPiiNS8_6detail34convert_binary_result_type_wrapperINS8_3SumESH_iEEEE10hipError_tPvRmT1_T2_T3_mT4_P12ihipStream_tbEUlT_E1_NS1_11comp_targetILNS1_3genE10ELNS1_11target_archE1200ELNS1_3gpuE4ELNS1_3repE0EEENS1_30default_config_static_selectorELNS0_4arch9wavefront6targetE0EEEvSQ_
	.p2align	8
	.type	_ZN7rocprim17ROCPRIM_400000_NS6detail17trampoline_kernelINS0_14default_configENS1_22reduce_config_selectorIbEEZNS1_11reduce_implILb1ES3_N6hipcub16HIPCUB_304000_NS22TransformInputIteratorIbN2at6native12_GLOBAL__N_19NonZeroOpIdEEPKdlEEPiiNS8_6detail34convert_binary_result_type_wrapperINS8_3SumESH_iEEEE10hipError_tPvRmT1_T2_T3_mT4_P12ihipStream_tbEUlT_E1_NS1_11comp_targetILNS1_3genE10ELNS1_11target_archE1200ELNS1_3gpuE4ELNS1_3repE0EEENS1_30default_config_static_selectorELNS0_4arch9wavefront6targetE0EEEvSQ_,@function
_ZN7rocprim17ROCPRIM_400000_NS6detail17trampoline_kernelINS0_14default_configENS1_22reduce_config_selectorIbEEZNS1_11reduce_implILb1ES3_N6hipcub16HIPCUB_304000_NS22TransformInputIteratorIbN2at6native12_GLOBAL__N_19NonZeroOpIdEEPKdlEEPiiNS8_6detail34convert_binary_result_type_wrapperINS8_3SumESH_iEEEE10hipError_tPvRmT1_T2_T3_mT4_P12ihipStream_tbEUlT_E1_NS1_11comp_targetILNS1_3genE10ELNS1_11target_archE1200ELNS1_3gpuE4ELNS1_3repE0EEENS1_30default_config_static_selectorELNS0_4arch9wavefront6targetE0EEEvSQ_: ; @_ZN7rocprim17ROCPRIM_400000_NS6detail17trampoline_kernelINS0_14default_configENS1_22reduce_config_selectorIbEEZNS1_11reduce_implILb1ES3_N6hipcub16HIPCUB_304000_NS22TransformInputIteratorIbN2at6native12_GLOBAL__N_19NonZeroOpIdEEPKdlEEPiiNS8_6detail34convert_binary_result_type_wrapperINS8_3SumESH_iEEEE10hipError_tPvRmT1_T2_T3_mT4_P12ihipStream_tbEUlT_E1_NS1_11comp_targetILNS1_3genE10ELNS1_11target_archE1200ELNS1_3gpuE4ELNS1_3repE0EEENS1_30default_config_static_selectorELNS0_4arch9wavefront6targetE0EEEvSQ_
; %bb.0:
	.section	.rodata,"a",@progbits
	.p2align	6, 0x0
	.amdhsa_kernel _ZN7rocprim17ROCPRIM_400000_NS6detail17trampoline_kernelINS0_14default_configENS1_22reduce_config_selectorIbEEZNS1_11reduce_implILb1ES3_N6hipcub16HIPCUB_304000_NS22TransformInputIteratorIbN2at6native12_GLOBAL__N_19NonZeroOpIdEEPKdlEEPiiNS8_6detail34convert_binary_result_type_wrapperINS8_3SumESH_iEEEE10hipError_tPvRmT1_T2_T3_mT4_P12ihipStream_tbEUlT_E1_NS1_11comp_targetILNS1_3genE10ELNS1_11target_archE1200ELNS1_3gpuE4ELNS1_3repE0EEENS1_30default_config_static_selectorELNS0_4arch9wavefront6targetE0EEEvSQ_
		.amdhsa_group_segment_fixed_size 0
		.amdhsa_private_segment_fixed_size 0
		.amdhsa_kernarg_size 48
		.amdhsa_user_sgpr_count 15
		.amdhsa_user_sgpr_dispatch_ptr 0
		.amdhsa_user_sgpr_queue_ptr 0
		.amdhsa_user_sgpr_kernarg_segment_ptr 1
		.amdhsa_user_sgpr_dispatch_id 0
		.amdhsa_user_sgpr_private_segment_size 0
		.amdhsa_wavefront_size32 1
		.amdhsa_uses_dynamic_stack 0
		.amdhsa_enable_private_segment 0
		.amdhsa_system_sgpr_workgroup_id_x 1
		.amdhsa_system_sgpr_workgroup_id_y 0
		.amdhsa_system_sgpr_workgroup_id_z 0
		.amdhsa_system_sgpr_workgroup_info 0
		.amdhsa_system_vgpr_workitem_id 0
		.amdhsa_next_free_vgpr 1
		.amdhsa_next_free_sgpr 1
		.amdhsa_reserve_vcc 0
		.amdhsa_float_round_mode_32 0
		.amdhsa_float_round_mode_16_64 0
		.amdhsa_float_denorm_mode_32 3
		.amdhsa_float_denorm_mode_16_64 3
		.amdhsa_dx10_clamp 1
		.amdhsa_ieee_mode 1
		.amdhsa_fp16_overflow 0
		.amdhsa_workgroup_processor_mode 1
		.amdhsa_memory_ordered 1
		.amdhsa_forward_progress 0
		.amdhsa_shared_vgpr_count 0
		.amdhsa_exception_fp_ieee_invalid_op 0
		.amdhsa_exception_fp_denorm_src 0
		.amdhsa_exception_fp_ieee_div_zero 0
		.amdhsa_exception_fp_ieee_overflow 0
		.amdhsa_exception_fp_ieee_underflow 0
		.amdhsa_exception_fp_ieee_inexact 0
		.amdhsa_exception_int_div_zero 0
	.end_amdhsa_kernel
	.section	.text._ZN7rocprim17ROCPRIM_400000_NS6detail17trampoline_kernelINS0_14default_configENS1_22reduce_config_selectorIbEEZNS1_11reduce_implILb1ES3_N6hipcub16HIPCUB_304000_NS22TransformInputIteratorIbN2at6native12_GLOBAL__N_19NonZeroOpIdEEPKdlEEPiiNS8_6detail34convert_binary_result_type_wrapperINS8_3SumESH_iEEEE10hipError_tPvRmT1_T2_T3_mT4_P12ihipStream_tbEUlT_E1_NS1_11comp_targetILNS1_3genE10ELNS1_11target_archE1200ELNS1_3gpuE4ELNS1_3repE0EEENS1_30default_config_static_selectorELNS0_4arch9wavefront6targetE0EEEvSQ_,"axG",@progbits,_ZN7rocprim17ROCPRIM_400000_NS6detail17trampoline_kernelINS0_14default_configENS1_22reduce_config_selectorIbEEZNS1_11reduce_implILb1ES3_N6hipcub16HIPCUB_304000_NS22TransformInputIteratorIbN2at6native12_GLOBAL__N_19NonZeroOpIdEEPKdlEEPiiNS8_6detail34convert_binary_result_type_wrapperINS8_3SumESH_iEEEE10hipError_tPvRmT1_T2_T3_mT4_P12ihipStream_tbEUlT_E1_NS1_11comp_targetILNS1_3genE10ELNS1_11target_archE1200ELNS1_3gpuE4ELNS1_3repE0EEENS1_30default_config_static_selectorELNS0_4arch9wavefront6targetE0EEEvSQ_,comdat
.Lfunc_end387:
	.size	_ZN7rocprim17ROCPRIM_400000_NS6detail17trampoline_kernelINS0_14default_configENS1_22reduce_config_selectorIbEEZNS1_11reduce_implILb1ES3_N6hipcub16HIPCUB_304000_NS22TransformInputIteratorIbN2at6native12_GLOBAL__N_19NonZeroOpIdEEPKdlEEPiiNS8_6detail34convert_binary_result_type_wrapperINS8_3SumESH_iEEEE10hipError_tPvRmT1_T2_T3_mT4_P12ihipStream_tbEUlT_E1_NS1_11comp_targetILNS1_3genE10ELNS1_11target_archE1200ELNS1_3gpuE4ELNS1_3repE0EEENS1_30default_config_static_selectorELNS0_4arch9wavefront6targetE0EEEvSQ_, .Lfunc_end387-_ZN7rocprim17ROCPRIM_400000_NS6detail17trampoline_kernelINS0_14default_configENS1_22reduce_config_selectorIbEEZNS1_11reduce_implILb1ES3_N6hipcub16HIPCUB_304000_NS22TransformInputIteratorIbN2at6native12_GLOBAL__N_19NonZeroOpIdEEPKdlEEPiiNS8_6detail34convert_binary_result_type_wrapperINS8_3SumESH_iEEEE10hipError_tPvRmT1_T2_T3_mT4_P12ihipStream_tbEUlT_E1_NS1_11comp_targetILNS1_3genE10ELNS1_11target_archE1200ELNS1_3gpuE4ELNS1_3repE0EEENS1_30default_config_static_selectorELNS0_4arch9wavefront6targetE0EEEvSQ_
                                        ; -- End function
	.section	.AMDGPU.csdata,"",@progbits
; Kernel info:
; codeLenInByte = 0
; NumSgprs: 0
; NumVgprs: 0
; ScratchSize: 0
; MemoryBound: 0
; FloatMode: 240
; IeeeMode: 1
; LDSByteSize: 0 bytes/workgroup (compile time only)
; SGPRBlocks: 0
; VGPRBlocks: 0
; NumSGPRsForWavesPerEU: 1
; NumVGPRsForWavesPerEU: 1
; Occupancy: 16
; WaveLimiterHint : 0
; COMPUTE_PGM_RSRC2:SCRATCH_EN: 0
; COMPUTE_PGM_RSRC2:USER_SGPR: 15
; COMPUTE_PGM_RSRC2:TRAP_HANDLER: 0
; COMPUTE_PGM_RSRC2:TGID_X_EN: 1
; COMPUTE_PGM_RSRC2:TGID_Y_EN: 0
; COMPUTE_PGM_RSRC2:TGID_Z_EN: 0
; COMPUTE_PGM_RSRC2:TIDIG_COMP_CNT: 0
	.section	.text._ZN7rocprim17ROCPRIM_400000_NS6detail17trampoline_kernelINS0_14default_configENS1_22reduce_config_selectorIbEEZNS1_11reduce_implILb1ES3_N6hipcub16HIPCUB_304000_NS22TransformInputIteratorIbN2at6native12_GLOBAL__N_19NonZeroOpIdEEPKdlEEPiiNS8_6detail34convert_binary_result_type_wrapperINS8_3SumESH_iEEEE10hipError_tPvRmT1_T2_T3_mT4_P12ihipStream_tbEUlT_E1_NS1_11comp_targetILNS1_3genE9ELNS1_11target_archE1100ELNS1_3gpuE3ELNS1_3repE0EEENS1_30default_config_static_selectorELNS0_4arch9wavefront6targetE0EEEvSQ_,"axG",@progbits,_ZN7rocprim17ROCPRIM_400000_NS6detail17trampoline_kernelINS0_14default_configENS1_22reduce_config_selectorIbEEZNS1_11reduce_implILb1ES3_N6hipcub16HIPCUB_304000_NS22TransformInputIteratorIbN2at6native12_GLOBAL__N_19NonZeroOpIdEEPKdlEEPiiNS8_6detail34convert_binary_result_type_wrapperINS8_3SumESH_iEEEE10hipError_tPvRmT1_T2_T3_mT4_P12ihipStream_tbEUlT_E1_NS1_11comp_targetILNS1_3genE9ELNS1_11target_archE1100ELNS1_3gpuE3ELNS1_3repE0EEENS1_30default_config_static_selectorELNS0_4arch9wavefront6targetE0EEEvSQ_,comdat
	.globl	_ZN7rocprim17ROCPRIM_400000_NS6detail17trampoline_kernelINS0_14default_configENS1_22reduce_config_selectorIbEEZNS1_11reduce_implILb1ES3_N6hipcub16HIPCUB_304000_NS22TransformInputIteratorIbN2at6native12_GLOBAL__N_19NonZeroOpIdEEPKdlEEPiiNS8_6detail34convert_binary_result_type_wrapperINS8_3SumESH_iEEEE10hipError_tPvRmT1_T2_T3_mT4_P12ihipStream_tbEUlT_E1_NS1_11comp_targetILNS1_3genE9ELNS1_11target_archE1100ELNS1_3gpuE3ELNS1_3repE0EEENS1_30default_config_static_selectorELNS0_4arch9wavefront6targetE0EEEvSQ_ ; -- Begin function _ZN7rocprim17ROCPRIM_400000_NS6detail17trampoline_kernelINS0_14default_configENS1_22reduce_config_selectorIbEEZNS1_11reduce_implILb1ES3_N6hipcub16HIPCUB_304000_NS22TransformInputIteratorIbN2at6native12_GLOBAL__N_19NonZeroOpIdEEPKdlEEPiiNS8_6detail34convert_binary_result_type_wrapperINS8_3SumESH_iEEEE10hipError_tPvRmT1_T2_T3_mT4_P12ihipStream_tbEUlT_E1_NS1_11comp_targetILNS1_3genE9ELNS1_11target_archE1100ELNS1_3gpuE3ELNS1_3repE0EEENS1_30default_config_static_selectorELNS0_4arch9wavefront6targetE0EEEvSQ_
	.p2align	8
	.type	_ZN7rocprim17ROCPRIM_400000_NS6detail17trampoline_kernelINS0_14default_configENS1_22reduce_config_selectorIbEEZNS1_11reduce_implILb1ES3_N6hipcub16HIPCUB_304000_NS22TransformInputIteratorIbN2at6native12_GLOBAL__N_19NonZeroOpIdEEPKdlEEPiiNS8_6detail34convert_binary_result_type_wrapperINS8_3SumESH_iEEEE10hipError_tPvRmT1_T2_T3_mT4_P12ihipStream_tbEUlT_E1_NS1_11comp_targetILNS1_3genE9ELNS1_11target_archE1100ELNS1_3gpuE3ELNS1_3repE0EEENS1_30default_config_static_selectorELNS0_4arch9wavefront6targetE0EEEvSQ_,@function
_ZN7rocprim17ROCPRIM_400000_NS6detail17trampoline_kernelINS0_14default_configENS1_22reduce_config_selectorIbEEZNS1_11reduce_implILb1ES3_N6hipcub16HIPCUB_304000_NS22TransformInputIteratorIbN2at6native12_GLOBAL__N_19NonZeroOpIdEEPKdlEEPiiNS8_6detail34convert_binary_result_type_wrapperINS8_3SumESH_iEEEE10hipError_tPvRmT1_T2_T3_mT4_P12ihipStream_tbEUlT_E1_NS1_11comp_targetILNS1_3genE9ELNS1_11target_archE1100ELNS1_3gpuE3ELNS1_3repE0EEENS1_30default_config_static_selectorELNS0_4arch9wavefront6targetE0EEEvSQ_: ; @_ZN7rocprim17ROCPRIM_400000_NS6detail17trampoline_kernelINS0_14default_configENS1_22reduce_config_selectorIbEEZNS1_11reduce_implILb1ES3_N6hipcub16HIPCUB_304000_NS22TransformInputIteratorIbN2at6native12_GLOBAL__N_19NonZeroOpIdEEPKdlEEPiiNS8_6detail34convert_binary_result_type_wrapperINS8_3SumESH_iEEEE10hipError_tPvRmT1_T2_T3_mT4_P12ihipStream_tbEUlT_E1_NS1_11comp_targetILNS1_3genE9ELNS1_11target_archE1100ELNS1_3gpuE3ELNS1_3repE0EEENS1_30default_config_static_selectorELNS0_4arch9wavefront6targetE0EEEvSQ_
; %bb.0:
	s_clause 0x2
	s_load_b32 s19, s[0:1], 0x4
	s_load_b64 s[26:27], s[0:1], 0x8
	s_load_b128 s[20:23], s[0:1], 0x18
	s_mov_b32 s24, s15
	s_waitcnt lgkmcnt(0)
	s_cmp_lt_i32 s19, 16
	s_cbranch_scc1 .LBB388_12
; %bb.1:
	s_cmp_gt_i32 s19, 63
	s_cbranch_scc0 .LBB388_13
; %bb.2:
	s_cmpk_gt_i32 s19, 0x7f
	s_cbranch_scc0 .LBB388_22
; %bb.3:
	s_cmpk_eq_i32 s19, 0x80
	s_mov_b32 s33, 0
	s_cbranch_scc0 .LBB388_23
; %bb.4:
	s_mov_b32 s25, 0
	s_lshl_b32 s30, s24, 14
	s_mov_b32 s31, s25
	s_lshr_b64 s[4:5], s[20:21], 14
	s_lshl_b64 s[2:3], s[30:31], 3
	s_delay_alu instid0(SALU_CYCLE_1)
	s_add_u32 s28, s26, s2
	s_addc_u32 s29, s27, s3
	s_cmp_lg_u64 s[4:5], s[24:25]
	s_cbranch_scc0 .LBB388_34
; %bb.5:
	v_lshlrev_b32_e32 v57, 3, v0
	global_load_b64 v[1:2], v57, s[28:29]
	v_add_co_u32 v15, s2, s28, v57
	s_delay_alu instid0(VALU_DEP_1) | instskip(NEXT) | instid1(VALU_DEP_2)
	v_add_co_ci_u32_e64 v16, null, s29, 0, s2
	v_add_co_u32 v7, vcc_lo, v15, 0x2000
	s_delay_alu instid0(VALU_DEP_2)
	v_add_co_ci_u32_e32 v8, vcc_lo, 0, v16, vcc_lo
	v_add_co_u32 v17, vcc_lo, 0x1000, v15
	v_add_co_ci_u32_e32 v18, vcc_lo, 0, v16, vcc_lo
	v_add_co_u32 v19, vcc_lo, 0x2000, v15
	s_clause 0x2
	global_load_b64 v[9:10], v57, s[28:29] offset:1024
	global_load_b64 v[3:4], v[7:8], off offset:-4096
	global_load_b64 v[5:6], v[17:18], off offset:2048
	v_add_co_ci_u32_e32 v20, vcc_lo, 0, v16, vcc_lo
	v_add_co_u32 v21, vcc_lo, v15, 0x4000
	v_add_co_ci_u32_e32 v22, vcc_lo, 0, v16, vcc_lo
	v_add_co_u32 v23, vcc_lo, 0x4000, v15
	;; [unrolled: 2-line block ×9, first 2 shown]
	v_add_co_ci_u32_e32 v52, vcc_lo, 0, v16, vcc_lo
	s_clause 0x13
	global_load_b64 v[7:8], v[7:8], off
	global_load_b64 v[11:12], v[19:20], off offset:2048
	global_load_b64 v[13:14], v[21:22], off offset:-4096
	global_load_b64 v[21:22], v[21:22], off
	global_load_b64 v[25:26], v[23:24], off offset:2048
	global_load_b64 v[31:32], v[27:28], off offset:-4096
	global_load_b64 v[33:34], v[29:30], off offset:2048
	global_load_b64 v[27:28], v[27:28], off
	global_load_b64 v[39:40], v[35:36], off offset:-4096
	global_load_b64 v[41:42], v[37:38], off offset:2048
	global_load_b64 v[35:36], v[35:36], off
	global_load_b64 v[47:48], v[43:44], off offset:2048
	global_load_b64 v[49:50], v[45:46], off offset:-4096
	global_load_b64 v[53:54], v[51:52], off offset:2048
	global_load_b64 v[55:56], v57, s[28:29] offset:2048
	global_load_b64 v[57:58], v57, s[28:29] offset:3072
	global_load_b64 v[45:46], v[45:46], off
	global_load_b64 v[107:108], v[17:18], off offset:3072
	global_load_b64 v[109:110], v[19:20], off offset:1024
	;; [unrolled: 1-line block ×3, first 2 shown]
	v_add_co_u32 v59, vcc_lo, 0x3000, v15
	v_add_co_ci_u32_e32 v60, vcc_lo, 0, v16, vcc_lo
	v_add_co_u32 v61, vcc_lo, 0x6000, v15
	v_add_co_ci_u32_e32 v62, vcc_lo, 0, v16, vcc_lo
	;; [unrolled: 2-line block ×6, first 2 shown]
	s_clause 0x2
	global_load_b64 v[121:122], v[63:64], off offset:2048
	global_load_b64 v[19:20], v[19:20], off offset:3072
	;; [unrolled: 1-line block ×3, first 2 shown]
	v_add_co_u32 v71, vcc_lo, 0xd000, v15
	v_add_co_ci_u32_e32 v72, vcc_lo, 0, v16, vcc_lo
	v_add_co_u32 v73, vcc_lo, v15, 0xe000
	v_add_co_ci_u32_e32 v74, vcc_lo, 0, v16, vcc_lo
	;; [unrolled: 2-line block ×12, first 2 shown]
	v_add_co_u32 v95, vcc_lo, 0x15000, v15
	global_load_b64 v[127:128], v[59:60], off offset:2048
	v_add_co_ci_u32_e32 v96, vcc_lo, 0, v16, vcc_lo
	v_add_co_u32 v97, vcc_lo, v15, 0x16000
	v_add_co_ci_u32_e32 v98, vcc_lo, 0, v16, vcc_lo
	v_add_co_u32 v99, vcc_lo, 0x16000, v15
	s_clause 0x2
	global_load_b64 v[133:134], v[67:68], off offset:-4096
	global_load_b64 v[135:136], v[65:66], off offset:2048
	global_load_b64 v[59:60], v[59:60], off offset:3072
	v_add_co_ci_u32_e32 v100, vcc_lo, 0, v16, vcc_lo
	v_add_co_u32 v101, vcc_lo, 0x17000, v15
	v_add_co_ci_u32_e32 v102, vcc_lo, 0, v16, vcc_lo
	v_add_co_u32 v103, vcc_lo, v15, 0x18000
	;; [unrolled: 2-line block ×12, first 2 shown]
	v_add_co_ci_u32_e32 v138, vcc_lo, 0, v16, vcc_lo
	v_add_co_u32 v15, s2, 0x1e000, v15
	s_delay_alu instid0(VALU_DEP_1)
	v_add_co_ci_u32_e64 v16, s2, 0, v16, s2
	s_waitcnt vmcnt(30)
	v_cmp_neq_f64_e32 vcc_lo, 0, v[1:2]
	s_clause 0x1
	global_load_b64 v[1:2], v[23:24], off offset:3072
	global_load_b64 v[23:24], v[23:24], off offset:1024
	s_waitcnt vmcnt(30)
	v_cmp_neq_f64_e64 s2, 0, v[3:4]
	s_waitcnt vmcnt(29)
	v_cmp_neq_f64_e64 s3, 0, v[5:6]
	v_cndmask_b32_e64 v139, 0, 1, vcc_lo
	v_cmp_neq_f64_e32 vcc_lo, 0, v[9:10]
	s_clause 0x4
	global_load_b64 v[9:10], v[137:138], off offset:3072
	global_load_b64 v[3:4], v[29:30], off offset:3072
	;; [unrolled: 1-line block ×4, first 2 shown]
	global_load_b64 v[67:68], v[67:68], off
	s_waitcnt vmcnt(32)
	v_cmp_neq_f64_e64 s5, 0, v[11:12]
	v_cmp_neq_f64_e64 s4, 0, v[7:8]
	s_clause 0x1
	global_load_b64 v[7:8], v[61:62], off offset:2048
	global_load_b64 v[11:12], v[69:70], off offset:2048
	s_waitcnt vmcnt(33)
	v_cmp_neq_f64_e64 s6, 0, v[13:14]
	s_clause 0x1
	global_load_b64 v[13:14], v[73:74], off offset:-4096
	global_load_b64 v[61:62], v[61:62], off offset:3072
	s_waitcnt vmcnt(23)
	v_cmp_neq_f64_e64 s18, 0, v[55:56]
	v_cmp_neq_f64_e64 s7, 0, v[21:22]
	s_clause 0x1
	global_load_b64 v[21:22], v[37:38], off offset:1024
	global_load_b64 v[37:38], v[37:38], off offset:3072
	v_cndmask_b32_e64 v141, 0, 1, s3
	v_cmp_neq_f64_e64 s8, 0, v[25:26]
	s_clause 0x2
	global_load_b64 v[25:26], v[43:44], off offset:3072
	global_load_b64 v[43:44], v[43:44], off offset:1024
	global_load_b64 v[73:74], v[73:74], off
	v_cmp_neq_f64_e64 s9, 0, v[31:32]
	v_cmp_neq_f64_e64 s10, 0, v[33:34]
	s_clause 0x2
	global_load_b64 v[31:32], v[51:52], off offset:3072
	global_load_b64 v[33:34], v[63:64], off offset:1024
	global_load_b64 v[51:52], v[51:52], off offset:1024
	v_cmp_neq_f64_e64 s11, 0, v[27:28]
	s_clause 0x1
	global_load_b64 v[27:28], v[75:76], off offset:2048
	global_load_b64 v[63:64], v[63:64], off offset:3072
	v_cmp_neq_f64_e64 s12, 0, v[39:40]
	global_load_b64 v[39:40], v[79:80], off offset:-4096
	v_cmp_neq_f64_e64 s13, 0, v[41:42]
	s_clause 0x1
	global_load_b64 v[41:42], v[65:66], off offset:1024
	global_load_b64 v[65:66], v[65:66], off offset:3072
	v_cmp_neq_f64_e64 s14, 0, v[35:36]
	s_clause 0x1
	global_load_b64 v[35:36], v[69:70], off offset:3072
	global_load_b64 v[69:70], v[69:70], off offset:1024
	v_add_co_ci_u32_e32 v56, vcc_lo, 0, v139, vcc_lo
	v_cndmask_b32_e64 v139, 0, 1, s2
	s_waitcnt vmcnt(37)
	v_cmp_neq_f64_e64 s2, 0, v[57:58]
	v_cmp_neq_f64_e64 s15, 0, v[47:48]
	global_load_b64 v[47:48], v[71:72], off offset:1024
	v_cmp_neq_f64_e64 s16, 0, v[49:50]
	s_clause 0x1
	global_load_b64 v[49:50], v[71:72], off offset:2048
	global_load_b64 v[71:72], v[71:72], off offset:3072
	v_cmp_neq_f64_e64 s17, 0, v[53:54]
	global_load_b64 v[53:54], v[75:76], off offset:1024
	s_waitcnt vmcnt(35)
	v_cmp_neq_f64_e64 s3, 0, v[19:20]
	v_cmp_neq_f64_e32 vcc_lo, 0, v[45:46]
	v_cndmask_b32_e64 v55, 0, 1, s18
	s_delay_alu instid0(VALU_DEP_1)
	v_add_co_ci_u32_e64 v140, s2, v56, v55, s2
	v_cmp_neq_f64_e64 s2, 0, v[17:18]
	s_clause 0x6
	global_load_b64 v[45:46], v[75:76], off offset:3072
	global_load_b64 v[55:56], v[77:78], off offset:1024
	;; [unrolled: 1-line block ×7, first 2 shown]
	v_add_co_ci_u32_e64 v139, s2, v140, v139, s2
	v_cmp_neq_f64_e64 s2, 0, v[107:108]
	v_cndmask_b32_e64 v140, 0, 1, s4
	s_waitcnt vmcnt(40)
	v_cmp_neq_f64_e64 s4, 0, v[127:128]
	s_clause 0x2
	global_load_b64 v[79:80], v[79:80], off
	global_load_b64 v[107:108], v[85:86], off offset:-4096
	global_load_b64 v[85:86], v[85:86], off
	v_add_co_ci_u32_e64 v139, s2, v139, v141, s2
	v_cmp_neq_f64_e64 s2, 0, v[109:110]
	v_cndmask_b32_e64 v109, 0, 1, s5
	s_waitcnt vmcnt(40)
	v_cmp_neq_f64_e64 s5, 0, v[59:60]
	v_cndmask_b32_e64 v127, 0, 1, s4
	v_cmp_neq_f64_e64 s4, 0, v[135:136]
	v_cndmask_b32_e64 v136, 0, 1, s8
	v_add_co_ci_u32_e64 v110, s2, v139, v140, s2
	v_cndmask_b32_e64 v139, 0, 1, s6
	v_cmp_neq_f64_e64 s2, 0, v[121:122]
	s_delay_alu instid0(VALU_DEP_3)
	v_add_co_ci_u32_e64 v140, s3, v110, v109, s3
	v_cmp_neq_f64_e64 s3, 0, v[123:124]
	s_clause 0x4
	global_load_b64 v[19:20], v[83:84], off offset:1024
	global_load_b64 v[109:110], v[83:84], off offset:2048
	;; [unrolled: 1-line block ×4, first 2 shown]
	global_load_b64 v[123:124], v[91:92], off offset:-4096
	v_add_co_ci_u32_e64 v128, s3, v140, v139, s3
	v_cndmask_b32_e64 v139, 0, 1, s7
	v_cmp_neq_f64_e64 s3, 0, v[133:134]
	s_delay_alu instid0(VALU_DEP_3)
	v_add_co_ci_u32_e64 v135, s5, v128, v127, s5
	s_clause 0x3
	global_load_b64 v[59:60], v[87:88], off offset:2048
	global_load_b64 v[87:88], v[87:88], off offset:3072
	;; [unrolled: 1-line block ×4, first 2 shown]
	s_waitcnt vmcnt(47)
	v_cmp_neq_f64_e64 s5, 0, v[23:24]
	s_waitcnt vmcnt(45)
	v_cmp_neq_f64_e64 s6, 0, v[3:4]
	s_delay_alu instid0(VALU_DEP_2)
	v_add_co_ci_u32_e64 v135, s5, v135, v139, s5
	v_cmp_neq_f64_e64 s5, 0, v[1:2]
	v_cndmask_b32_e64 v139, 0, 1, s9
	s_clause 0x3
	global_load_b64 v[1:2], v[89:90], off offset:3072
	global_load_b64 v[23:24], v[93:94], off offset:1024
	;; [unrolled: 1-line block ×4, first 2 shown]
	s_waitcnt vmcnt(45)
	v_cmp_neq_f64_e64 s7, 0, v[7:8]
	s_waitcnt vmcnt(42)
	v_cmp_neq_f64_e64 s8, 0, v[61:62]
	;; [unrolled: 2-line block ×3, first 2 shown]
	v_add_co_ci_u32_e64 v135, s5, v135, v136, s5
	v_cmp_neq_f64_e64 s5, 0, v[29:30]
	v_cndmask_b32_e64 v136, 0, 1, s10
	s_clause 0x2
	global_load_b64 v[29:30], v[91:92], off
	global_load_b64 v[91:92], v[97:98], off offset:-4096
	global_load_b64 v[97:98], v[97:98], off
	v_add_co_ci_u32_e64 v135, s5, v135, v139, s5
	v_cndmask_b32_e64 v139, 0, 1, s11
	v_cmp_neq_f64_e64 s5, 0, v[67:68]
	s_delay_alu instid0(VALU_DEP_3)
	v_add_co_ci_u32_e64 v135, s6, v135, v136, s6
	v_cmp_neq_f64_e64 s6, 0, v[5:6]
	v_cndmask_b32_e64 v136, 0, 1, s7
	v_cmp_neq_f64_e64 s7, 0, v[13:14]
	s_clause 0x4
	global_load_b64 v[3:4], v[95:96], off offset:1024
	global_load_b64 v[5:6], v[95:96], off offset:2048
	;; [unrolled: 1-line block ×4, first 2 shown]
	global_load_b64 v[7:8], v[103:104], off offset:-4096
	v_add_co_ci_u32_e64 v135, s6, v135, v139, s6
	v_cndmask_b32_e64 v139, 0, 1, s12
	v_cmp_neq_f64_e64 s6, 0, v[11:12]
	s_clause 0x3
	global_load_b64 v[11:12], v[99:100], off offset:2048
	global_load_b64 v[13:14], v[99:100], off offset:3072
	global_load_b64 v[61:62], v[101:102], off offset:1024
	global_load_b64 v[99:100], v[101:102], off offset:2048
	v_add_co_ci_u32_e64 v135, s8, v135, v136, s8
	v_cmp_neq_f64_e64 s8, 0, v[21:22]
	v_cndmask_b32_e64 v136, 0, 1, s13
	s_delay_alu instid0(VALU_DEP_2)
	v_add_co_ci_u32_e64 v135, s8, v135, v139, s8
	v_cmp_neq_f64_e64 s8, 0, v[37:38]
	v_cndmask_b32_e64 v139, 0, 1, s14
	s_clause 0x3
	global_load_b64 v[21:22], v[101:102], off offset:3072
	global_load_b64 v[37:38], v[105:106], off offset:1024
	;; [unrolled: 1-line block ×4, first 2 shown]
	v_add_co_ci_u32_e64 v135, s8, v135, v136, s8
	s_waitcnt vmcnt(54)
	v_cmp_neq_f64_e64 s8, 0, v[43:44]
	v_cndmask_b32_e64 v136, 0, 1, s15
	s_clause 0x2
	global_load_b64 v[43:44], v[103:104], off
	global_load_b64 v[103:104], v[113:114], off offset:-4096
	global_load_b64 v[113:114], v[113:114], off
	v_add_co_ci_u32_e64 v135, s8, v135, v139, s8
	v_cndmask_b32_e64 v139, 0, 1, s16
	s_waitcnt vmcnt(56)
	v_cmp_neq_f64_e64 s8, 0, v[73:74]
	s_delay_alu instid0(VALU_DEP_3)
	v_add_co_ci_u32_e64 v135, s9, v135, v136, s9
	s_waitcnt vmcnt(53)
	v_cmp_neq_f64_e64 s9, 0, v[51:52]
	v_cndmask_b32_e64 v136, 0, 1, s17
	s_clause 0x3
	global_load_b64 v[25:26], v[111:112], off offset:1024
	global_load_b64 v[51:52], v[111:112], off offset:2048
	;; [unrolled: 1-line block ×4, first 2 shown]
	v_add_co_ci_u32_e64 v135, s9, v135, v139, s9
	v_cmp_neq_f64_e64 s9, 0, v[31:32]
	v_cndmask_b32_e64 v139, 0, 1, vcc_lo
	s_waitcnt vmcnt(56)
	v_cmp_neq_f64_e32 vcc_lo, 0, v[27:28]
	s_delay_alu instid0(VALU_DEP_3)
	v_add_co_ci_u32_e64 v135, s9, v135, v136, s9
	v_cmp_neq_f64_e64 s9, 0, v[33:34]
	v_cndmask_b32_e64 v136, 0, 1, s2
	s_clause 0x3
	global_load_b64 v[27:28], v[115:116], off offset:2048
	global_load_b64 v[31:32], v[115:116], off offset:3072
	;; [unrolled: 1-line block ×4, first 2 shown]
	v_add_co_ci_u32_e64 v135, s2, v135, v139, s9
	s_waitcnt vmcnt(59)
	v_cmp_neq_f64_e64 s2, 0, v[63:64]
	v_cndmask_b32_e64 v139, 0, 1, s3
	s_waitcnt vmcnt(57)
	v_cmp_neq_f64_e64 s3, 0, v[41:42]
	s_clause 0x1
	global_load_b64 v[63:64], v[119:120], off offset:-4096
	global_load_b64 v[119:120], v[119:120], off
	v_add_co_ci_u32_e64 v135, s2, v135, v136, s2
	v_cndmask_b32_e64 v136, 0, 1, s4
	s_waitcnt vmcnt(54)
	v_cmp_neq_f64_e64 s4, 0, v[49:50]
	v_cmp_neq_f64_e64 s2, 0, v[39:40]
	v_add_co_ci_u32_e64 v135, s3, v135, v139, s3
	v_cmp_neq_f64_e64 s3, 0, v[65:66]
	v_cndmask_b32_e64 v139, 0, 1, s5
	s_clause 0x4
	global_load_b64 v[39:40], v[117:118], off offset:3072
	global_load_b64 v[41:42], v[125:126], off offset:1024
	;; [unrolled: 1-line block ×4, first 2 shown]
	global_load_b64 v[65:66], v[131:132], off offset:-4096
	v_add_co_ci_u32_e64 v135, s3, v135, v136, s3
	v_cmp_neq_f64_e64 s3, 0, v[69:70]
	v_cndmask_b32_e64 v136, 0, 1, s6
	s_delay_alu instid0(VALU_DEP_2)
	v_add_co_ci_u32_e64 v135, s3, v135, v139, s3
	v_cmp_neq_f64_e64 s3, 0, v[35:36]
	v_cndmask_b32_e64 v139, 0, 1, s7
	s_clause 0x2
	global_load_b64 v[35:36], v[129:130], off offset:1024
	global_load_b64 v[69:70], v[129:130], off offset:2048
	global_load_b64 v[131:132], v[131:132], off
	v_add_co_ci_u32_e64 v135, s3, v135, v136, s3
	v_cmp_neq_f64_e64 s3, 0, v[47:48]
	v_cndmask_b32_e64 v136, 0, 1, s4
	s_clause 0x2
	global_load_b64 v[47:48], v[129:130], off offset:3072
	global_load_b64 v[129:130], v[15:16], off offset:1024
	global_load_b64 v[49:50], v[15:16], off offset:2048
	v_add_co_ci_u32_e64 v135, s3, v135, v139, s3
	s_waitcnt vmcnt(62)
	v_cmp_neq_f64_e64 s3, 0, v[71:72]
	v_cndmask_b32_e64 v139, 0, 1, s8
	s_clause 0x1
	global_load_b64 v[15:16], v[15:16], off offset:3072
	global_load_b64 v[71:72], v[137:138], off
	v_add_co_ci_u32_e64 v140, s3, v135, v136, s3
	v_cmp_neq_f64_e64 s3, 0, v[53:54]
	s_clause 0x1
	global_load_b64 v[53:54], v[137:138], off offset:2048
	global_load_b64 v[135:136], v[137:138], off offset:1024
	v_cndmask_b32_e64 v137, 0, 1, vcc_lo
	v_add_co_ci_u32_e64 v138, vcc_lo, v140, v139, s3
	v_cmp_neq_f64_e32 vcc_lo, 0, v[45:46]
	v_cndmask_b32_e64 v139, 0, 1, s2
	s_mov_b32 s2, exec_lo
	s_delay_alu instid0(VALU_DEP_3)
	v_add_co_ci_u32_e32 v45, vcc_lo, v138, v137, vcc_lo
	s_waitcnt vmcnt(62)
	v_cmp_neq_f64_e32 vcc_lo, 0, v[57:58]
	v_cndmask_b32_e64 v46, 0, 1, vcc_lo
	v_cmp_neq_f64_e32 vcc_lo, 0, v[55:56]
	v_add_co_ci_u32_e32 v45, vcc_lo, v45, v139, vcc_lo
	s_waitcnt vmcnt(59)
	v_cmp_neq_f64_e32 vcc_lo, 0, v[79:80]
	v_cndmask_b32_e64 v55, 0, 1, vcc_lo
	v_cmp_neq_f64_e32 vcc_lo, 0, v[17:18]
	v_add_co_ci_u32_e32 v17, vcc_lo, v45, v46, vcc_lo
	v_cmp_neq_f64_e32 vcc_lo, 0, v[77:78]
	v_cndmask_b32_e64 v18, 0, 1, vcc_lo
	v_cmp_neq_f64_e32 vcc_lo, 0, v[75:76]
	s_delay_alu instid0(VALU_DEP_4)
	v_add_co_ci_u32_e32 v17, vcc_lo, v17, v55, vcc_lo
	s_waitcnt vmcnt(58)
	v_cmp_neq_f64_e32 vcc_lo, 0, v[107:108]
	v_cndmask_b32_e64 v45, 0, 1, vcc_lo
	v_cmp_neq_f64_e32 vcc_lo, 0, v[81:82]
	v_add_co_ci_u32_e32 v17, vcc_lo, v17, v18, vcc_lo
	s_waitcnt vmcnt(55)
	v_cmp_neq_f64_e32 vcc_lo, 0, v[109:110]
	v_cndmask_b32_e64 v18, 0, 1, vcc_lo
	v_cmp_neq_f64_e32 vcc_lo, 0, v[19:20]
	v_add_co_ci_u32_e32 v17, vcc_lo, v17, v45, vcc_lo
	v_cmp_neq_f64_e32 vcc_lo, 0, v[85:86]
	v_cndmask_b32_e64 v19, 0, 1, vcc_lo
	s_waitcnt vmcnt(54)
	v_cmp_neq_f64_e32 vcc_lo, 0, v[83:84]
	v_add_co_ci_u32_e32 v17, vcc_lo, v17, v18, vcc_lo
	s_waitcnt vmcnt(51)
	v_cmp_neq_f64_e32 vcc_lo, 0, v[59:60]
	v_cndmask_b32_e64 v18, 0, 1, vcc_lo
	v_cmp_neq_f64_e32 vcc_lo, 0, v[121:122]
	v_add_co_ci_u32_e32 v17, vcc_lo, v17, v19, vcc_lo
	v_cmp_neq_f64_e32 vcc_lo, 0, v[123:124]
	v_cndmask_b32_e64 v19, 0, 1, vcc_lo
	s_waitcnt vmcnt(50)
	v_cmp_neq_f64_e32 vcc_lo, 0, v[87:88]
	v_add_co_ci_u32_e32 v17, vcc_lo, v17, v18, vcc_lo
	s_waitcnt vmcnt(48)
	v_cmp_neq_f64_e32 vcc_lo, 0, v[133:134]
	v_cndmask_b32_e64 v18, 0, 1, vcc_lo
	v_cmp_neq_f64_e32 vcc_lo, 0, v[127:128]
	v_add_co_ci_u32_e32 v17, vcc_lo, v17, v19, vcc_lo
	s_waitcnt vmcnt(43)
	v_cmp_neq_f64_e32 vcc_lo, 0, v[29:30]
	v_cndmask_b32_e64 v19, 0, 1, vcc_lo
	v_cmp_neq_f64_e32 vcc_lo, 0, v[1:2]
	v_add_co_ci_u32_e32 v1, vcc_lo, v17, v18, vcc_lo
	v_cmp_neq_f64_e32 vcc_lo, 0, v[89:90]
	v_cndmask_b32_e64 v2, 0, 1, vcc_lo
	v_cmp_neq_f64_e32 vcc_lo, 0, v[23:24]
	s_delay_alu instid0(VALU_DEP_4)
	v_add_co_ci_u32_e32 v1, vcc_lo, v1, v19, vcc_lo
	s_waitcnt vmcnt(42)
	v_cmp_neq_f64_e32 vcc_lo, 0, v[91:92]
	v_cndmask_b32_e64 v17, 0, 1, vcc_lo
	v_cmp_neq_f64_e32 vcc_lo, 0, v[93:94]
	v_add_co_ci_u32_e32 v1, vcc_lo, v1, v2, vcc_lo
	s_waitcnt vmcnt(39)
	v_cmp_neq_f64_e32 vcc_lo, 0, v[5:6]
	v_cndmask_b32_e64 v2, 0, 1, vcc_lo
	v_cmp_neq_f64_e32 vcc_lo, 0, v[3:4]
	v_add_co_ci_u32_e32 v1, vcc_lo, v1, v17, vcc_lo
	v_cmp_neq_f64_e32 vcc_lo, 0, v[97:98]
	v_cndmask_b32_e64 v3, 0, 1, vcc_lo
	s_waitcnt vmcnt(38)
	v_cmp_neq_f64_e32 vcc_lo, 0, v[67:68]
	v_add_co_ci_u32_e32 v1, vcc_lo, v1, v2, vcc_lo
	s_waitcnt vmcnt(35)
	v_cmp_neq_f64_e32 vcc_lo, 0, v[11:12]
	v_cndmask_b32_e64 v2, 0, 1, vcc_lo
	v_cmp_neq_f64_e32 vcc_lo, 0, v[95:96]
	v_add_co_ci_u32_e32 v1, vcc_lo, v1, v3, vcc_lo
	v_cmp_neq_f64_e32 vcc_lo, 0, v[7:8]
	v_cndmask_b32_e64 v3, 0, 1, vcc_lo
	s_waitcnt vmcnt(34)
	v_cmp_neq_f64_e32 vcc_lo, 0, v[13:14]
	v_add_co_ci_u32_e32 v1, vcc_lo, v1, v2, vcc_lo
	s_waitcnt vmcnt(32)
	v_cmp_neq_f64_e32 vcc_lo, 0, v[99:100]
	v_cndmask_b32_e64 v2, 0, 1, vcc_lo
	v_cmp_neq_f64_e32 vcc_lo, 0, v[61:62]
	v_add_co_ci_u32_e32 v1, vcc_lo, v1, v3, vcc_lo
	s_waitcnt vmcnt(27)
	v_cmp_neq_f64_e32 vcc_lo, 0, v[43:44]
	v_cndmask_b32_e64 v3, 0, 1, vcc_lo
	v_cmp_neq_f64_e32 vcc_lo, 0, v[21:22]
	v_add_co_ci_u32_e32 v1, vcc_lo, v1, v2, vcc_lo
	v_cmp_neq_f64_e32 vcc_lo, 0, v[101:102]
	v_cndmask_b32_e64 v2, 0, 1, vcc_lo
	v_cmp_neq_f64_e32 vcc_lo, 0, v[37:38]
	s_delay_alu instid0(VALU_DEP_4)
	v_add_co_ci_u32_e32 v1, vcc_lo, v1, v3, vcc_lo
	s_waitcnt vmcnt(26)
	v_cmp_neq_f64_e32 vcc_lo, 0, v[103:104]
	v_cndmask_b32_e64 v3, 0, 1, vcc_lo
	v_cmp_neq_f64_e32 vcc_lo, 0, v[105:106]
	v_add_co_ci_u32_e32 v1, vcc_lo, v1, v2, vcc_lo
	s_waitcnt vmcnt(23)
	v_cmp_neq_f64_e32 vcc_lo, 0, v[51:52]
	v_cndmask_b32_e64 v2, 0, 1, vcc_lo
	v_cmp_neq_f64_e32 vcc_lo, 0, v[25:26]
	v_add_co_ci_u32_e32 v1, vcc_lo, v1, v3, vcc_lo
	v_cmp_neq_f64_e32 vcc_lo, 0, v[113:114]
	v_cndmask_b32_e64 v3, 0, 1, vcc_lo
	s_waitcnt vmcnt(22)
	v_cmp_neq_f64_e32 vcc_lo, 0, v[73:74]
	v_add_co_ci_u32_e32 v1, vcc_lo, v1, v2, vcc_lo
	s_waitcnt vmcnt(20)
	v_cmp_neq_f64_e32 vcc_lo, 0, v[27:28]
	v_cndmask_b32_e64 v2, 0, 1, vcc_lo
	v_cmp_neq_f64_e32 vcc_lo, 0, v[111:112]
	v_add_co_ci_u32_e32 v1, vcc_lo, v1, v3, vcc_lo
	s_waitcnt vmcnt(16)
	v_cmp_neq_f64_e32 vcc_lo, 0, v[63:64]
	v_cndmask_b32_e64 v3, 0, 1, vcc_lo
	v_cmp_neq_f64_e32 vcc_lo, 0, v[31:32]
	v_add_co_ci_u32_e32 v1, vcc_lo, v1, v2, vcc_lo
	v_cmp_neq_f64_e32 vcc_lo, 0, v[115:116]
	v_cndmask_b32_e64 v2, 0, 1, vcc_lo
	v_cmp_neq_f64_e32 vcc_lo, 0, v[33:34]
	s_delay_alu instid0(VALU_DEP_4)
	v_add_co_ci_u32_e32 v1, vcc_lo, v1, v3, vcc_lo
	s_waitcnt vmcnt(15)
	v_cmp_neq_f64_e32 vcc_lo, 0, v[119:120]
	v_cndmask_b32_e64 v3, 0, 1, vcc_lo
	s_waitcnt vmcnt(14)
	v_cmp_neq_f64_e32 vcc_lo, 0, v[39:40]
	v_add_co_ci_u32_e32 v1, vcc_lo, v1, v2, vcc_lo
	s_waitcnt vmcnt(12)
	v_cmp_neq_f64_e32 vcc_lo, 0, v[117:118]
	v_cndmask_b32_e64 v2, 0, 1, vcc_lo
	v_cmp_neq_f64_e32 vcc_lo, 0, v[41:42]
	v_add_co_ci_u32_e32 v1, vcc_lo, v1, v3, vcc_lo
	s_waitcnt vmcnt(10)
	v_cmp_neq_f64_e32 vcc_lo, 0, v[65:66]
	v_cndmask_b32_e64 v3, 0, 1, vcc_lo
	;; [unrolled: 5-line block ×4, first 2 shown]
	s_waitcnt vmcnt(6)
	v_cmp_neq_f64_e32 vcc_lo, 0, v[47:48]
	v_add_co_ci_u32_e32 v1, vcc_lo, v1, v2, vcc_lo
	s_waitcnt vmcnt(4)
	v_cmp_neq_f64_e32 vcc_lo, 0, v[49:50]
	v_cndmask_b32_e64 v2, 0, 1, vcc_lo
	v_cmp_neq_f64_e32 vcc_lo, 0, v[129:130]
	v_add_co_ci_u32_e32 v1, vcc_lo, v1, v3, vcc_lo
	s_waitcnt vmcnt(2)
	v_cmp_neq_f64_e32 vcc_lo, 0, v[71:72]
	v_cndmask_b32_e64 v3, 0, 1, vcc_lo
	;; [unrolled: 5-line block ×3, first 2 shown]
	s_waitcnt vmcnt(0)
	v_cmp_neq_f64_e32 vcc_lo, 0, v[135:136]
	v_add_co_ci_u32_e32 v1, vcc_lo, v1, v3, vcc_lo
	v_cmp_neq_f64_e32 vcc_lo, 0, v[9:10]
	v_mov_b32_e32 v3, 0
	s_delay_alu instid0(VALU_DEP_3) | instskip(NEXT) | instid1(VALU_DEP_1)
	v_add_co_ci_u32_e32 v1, vcc_lo, v1, v2, vcc_lo
	v_mov_b32_dpp v2, v1 quad_perm:[1,0,3,2] row_mask:0xf bank_mask:0xf
	s_delay_alu instid0(VALU_DEP_1) | instskip(NEXT) | instid1(VALU_DEP_1)
	v_add_nc_u32_e32 v1, v1, v2
	v_mov_b32_dpp v2, v1 quad_perm:[2,3,0,1] row_mask:0xf bank_mask:0xf
	s_delay_alu instid0(VALU_DEP_1) | instskip(NEXT) | instid1(VALU_DEP_1)
	v_add_nc_u32_e32 v1, v1, v2
	v_mov_b32_dpp v2, v1 row_ror:4 row_mask:0xf bank_mask:0xf
	s_delay_alu instid0(VALU_DEP_1) | instskip(NEXT) | instid1(VALU_DEP_1)
	v_add_nc_u32_e32 v1, v1, v2
	v_mov_b32_dpp v2, v1 row_ror:8 row_mask:0xf bank_mask:0xf
	s_delay_alu instid0(VALU_DEP_1)
	v_add_nc_u32_e32 v1, v1, v2
	ds_swizzle_b32 v2, v1 offset:swizzle(BROADCAST,32,15)
	s_waitcnt lgkmcnt(0)
	v_add_nc_u32_e32 v1, v1, v2
	v_mbcnt_lo_u32_b32 v2, -1, 0
	ds_bpermute_b32 v1, v3, v1 offset:124
	v_cmpx_eq_u32_e32 0, v2
	s_cbranch_execz .LBB388_7
; %bb.6:
	v_lshrrev_b32_e32 v3, 3, v0
	s_delay_alu instid0(VALU_DEP_1)
	v_and_b32_e32 v3, 12, v3
	s_waitcnt lgkmcnt(0)
	ds_store_b32 v3, v1
.LBB388_7:
	s_or_b32 exec_lo, exec_lo, s2
	s_delay_alu instid0(SALU_CYCLE_1)
	s_mov_b32 s2, exec_lo
	s_waitcnt lgkmcnt(0)
	s_barrier
	buffer_gl0_inv
	v_cmpx_gt_u32_e32 32, v0
	s_cbranch_execz .LBB388_9
; %bb.8:
	v_and_b32_e32 v1, 3, v2
	s_delay_alu instid0(VALU_DEP_1) | instskip(SKIP_4) | instid1(VALU_DEP_2)
	v_lshlrev_b32_e32 v3, 2, v1
	v_cmp_ne_u32_e32 vcc_lo, 3, v1
	ds_load_b32 v3, v3
	v_add_co_ci_u32_e32 v4, vcc_lo, 0, v2, vcc_lo
	v_cmp_gt_u32_e32 vcc_lo, 2, v1
	v_lshlrev_b32_e32 v4, 2, v4
	v_cndmask_b32_e64 v1, 0, 1, vcc_lo
	s_delay_alu instid0(VALU_DEP_1) | instskip(NEXT) | instid1(VALU_DEP_1)
	v_lshlrev_b32_e32 v1, 1, v1
	v_add_lshl_u32 v1, v1, v2, 2
	s_waitcnt lgkmcnt(0)
	ds_bpermute_b32 v4, v4, v3
	s_waitcnt lgkmcnt(0)
	v_add_nc_u32_e32 v3, v4, v3
	ds_bpermute_b32 v1, v1, v3
	s_waitcnt lgkmcnt(0)
	v_add_nc_u32_e32 v1, v1, v3
.LBB388_9:
	s_or_b32 exec_lo, exec_lo, s2
.LBB388_10:
	v_cmp_eq_u32_e64 s2, 0, v0
	s_and_b32 vcc_lo, exec_lo, s33
	s_cbranch_vccnz .LBB388_24
.LBB388_11:
	s_branch .LBB388_512
.LBB388_12:
	s_mov_b32 s2, 0
                                        ; implicit-def: $vgpr1
	s_cbranch_execz .LBB388_623
	s_branch .LBB388_513
.LBB388_13:
	s_mov_b32 s2, 0
                                        ; implicit-def: $vgpr1
	s_cbranch_execz .LBB388_512
; %bb.14:
	s_cmp_gt_i32 s19, 31
	s_cbranch_scc0 .LBB388_31
; %bb.15:
	s_cmp_eq_u32 s19, 32
	s_cbranch_scc0 .LBB388_32
; %bb.16:
	s_mov_b32 s25, 0
	s_lshl_b32 s4, s24, 12
	s_mov_b32 s5, s25
	s_lshr_b64 s[6:7], s[20:21], 12
	s_lshl_b64 s[2:3], s[4:5], 3
	s_delay_alu instid0(SALU_CYCLE_1)
	s_add_u32 s2, s26, s2
	s_addc_u32 s3, s27, s3
	s_cmp_lg_u64 s[6:7], s[24:25]
	s_cbranch_scc0 .LBB388_296
; %bb.17:
	v_lshlrev_b32_e32 v7, 3, v0
	s_delay_alu instid0(VALU_DEP_1)
	v_add_co_u32 v53, s5, s2, v7
	s_clause 0x3
	global_load_b64 v[1:2], v7, s[2:3]
	global_load_b64 v[3:4], v7, s[2:3] offset:1024
	global_load_b64 v[5:6], v7, s[2:3] offset:2048
	;; [unrolled: 1-line block ×3, first 2 shown]
	v_add_co_ci_u32_e64 v54, null, s3, 0, s5
	v_add_co_u32 v9, vcc_lo, v53, 0x2000
	s_mov_b32 s5, exec_lo
	s_delay_alu instid0(VALU_DEP_2)
	v_add_co_ci_u32_e32 v10, vcc_lo, 0, v54, vcc_lo
	v_add_co_u32 v11, vcc_lo, 0x1000, v53
	v_add_co_ci_u32_e32 v12, vcc_lo, 0, v54, vcc_lo
	global_load_b64 v[13:14], v[9:10], off offset:-4096
	v_add_co_u32 v15, vcc_lo, 0x2000, v53
	v_add_co_ci_u32_e32 v16, vcc_lo, 0, v54, vcc_lo
	s_clause 0x6
	global_load_b64 v[17:18], v[11:12], off offset:2048
	global_load_b64 v[19:20], v[11:12], off offset:1024
	global_load_b64 v[9:10], v[9:10], off
	global_load_b64 v[11:12], v[11:12], off offset:3072
	global_load_b64 v[21:22], v[15:16], off offset:1024
	;; [unrolled: 1-line block ×4, first 2 shown]
	v_add_co_u32 v25, vcc_lo, v53, 0x4000
	v_add_co_ci_u32_e32 v26, vcc_lo, 0, v54, vcc_lo
	v_add_co_u32 v27, vcc_lo, 0x3000, v53
	v_add_co_ci_u32_e32 v28, vcc_lo, 0, v54, vcc_lo
	;; [unrolled: 2-line block ×7, first 2 shown]
	s_clause 0x13
	global_load_b64 v[29:30], v[25:26], off offset:-4096
	global_load_b64 v[33:34], v[27:28], off offset:2048
	global_load_b64 v[35:36], v[27:28], off offset:1024
	global_load_b64 v[25:26], v[25:26], off
	global_load_b64 v[27:28], v[27:28], off offset:3072
	global_load_b64 v[37:38], v[31:32], off offset:1024
	global_load_b64 v[39:40], v[31:32], off offset:2048
	global_load_b64 v[45:46], v[41:42], off offset:-4096
	global_load_b64 v[31:32], v[31:32], off offset:3072
	global_load_b64 v[47:48], v[43:44], off offset:1024
	;; [unrolled: 1-line block ×4, first 2 shown]
	global_load_b64 v[41:42], v[41:42], off
	global_load_b64 v[55:56], v[51:52], off offset:2048
	global_load_b64 v[57:58], v[51:52], off offset:1024
	global_load_b64 v[59:60], v[53:54], off
	global_load_b64 v[51:52], v[51:52], off offset:3072
	global_load_b64 v[61:62], v[53:54], off offset:2048
	;; [unrolled: 1-line block ×4, first 2 shown]
	s_waitcnt vmcnt(31)
	v_cmp_neq_f64_e32 vcc_lo, 0, v[1:2]
	v_cndmask_b32_e64 v1, 0, 1, vcc_lo
	s_waitcnt vmcnt(29)
	v_cmp_neq_f64_e32 vcc_lo, 0, v[5:6]
	v_cndmask_b32_e64 v2, 0, 1, vcc_lo
	v_cmp_neq_f64_e32 vcc_lo, 0, v[3:4]
	v_add_co_ci_u32_e32 v1, vcc_lo, 0, v1, vcc_lo
	s_waitcnt vmcnt(27)
	v_cmp_neq_f64_e32 vcc_lo, 0, v[13:14]
	v_cndmask_b32_e64 v3, 0, 1, vcc_lo
	v_cmp_neq_f64_e32 vcc_lo, 0, v[7:8]
	v_add_co_ci_u32_e32 v1, vcc_lo, v1, v2, vcc_lo
	s_waitcnt vmcnt(26)
	v_cmp_neq_f64_e32 vcc_lo, 0, v[17:18]
	v_cndmask_b32_e64 v2, 0, 1, vcc_lo
	s_waitcnt vmcnt(25)
	v_cmp_neq_f64_e32 vcc_lo, 0, v[19:20]
	v_add_co_ci_u32_e32 v1, vcc_lo, v1, v3, vcc_lo
	s_waitcnt vmcnt(24)
	v_cmp_neq_f64_e32 vcc_lo, 0, v[9:10]
	v_cndmask_b32_e64 v3, 0, 1, vcc_lo
	s_waitcnt vmcnt(23)
	v_cmp_neq_f64_e32 vcc_lo, 0, v[11:12]
	v_add_co_ci_u32_e32 v1, vcc_lo, v1, v2, vcc_lo
	s_waitcnt vmcnt(21)
	v_cmp_neq_f64_e32 vcc_lo, 0, v[23:24]
	v_cndmask_b32_e64 v2, 0, 1, vcc_lo
	v_cmp_neq_f64_e32 vcc_lo, 0, v[21:22]
	v_add_co_ci_u32_e32 v1, vcc_lo, v1, v3, vcc_lo
	s_waitcnt vmcnt(19)
	v_cmp_neq_f64_e32 vcc_lo, 0, v[29:30]
	v_cndmask_b32_e64 v3, 0, 1, vcc_lo
	;; [unrolled: 5-line block ×3, first 2 shown]
	s_waitcnt vmcnt(17)
	v_cmp_neq_f64_e32 vcc_lo, 0, v[35:36]
	v_add_co_ci_u32_e32 v1, vcc_lo, v1, v3, vcc_lo
	s_waitcnt vmcnt(16)
	v_cmp_neq_f64_e32 vcc_lo, 0, v[25:26]
	v_cndmask_b32_e64 v3, 0, 1, vcc_lo
	s_waitcnt vmcnt(15)
	v_cmp_neq_f64_e32 vcc_lo, 0, v[27:28]
	v_add_co_ci_u32_e32 v1, vcc_lo, v1, v2, vcc_lo
	s_waitcnt vmcnt(13)
	v_cmp_neq_f64_e32 vcc_lo, 0, v[39:40]
	v_cndmask_b32_e64 v2, 0, 1, vcc_lo
	v_cmp_neq_f64_e32 vcc_lo, 0, v[37:38]
	v_add_co_ci_u32_e32 v1, vcc_lo, v1, v3, vcc_lo
	s_waitcnt vmcnt(12)
	v_cmp_neq_f64_e32 vcc_lo, 0, v[45:46]
	v_cndmask_b32_e64 v3, 0, 1, vcc_lo
	s_waitcnt vmcnt(11)
	v_cmp_neq_f64_e32 vcc_lo, 0, v[31:32]
	v_add_co_ci_u32_e32 v1, vcc_lo, v1, v2, vcc_lo
	s_waitcnt vmcnt(9)
	v_cmp_neq_f64_e32 vcc_lo, 0, v[49:50]
	v_cndmask_b32_e64 v2, 0, 1, vcc_lo
	v_cmp_neq_f64_e32 vcc_lo, 0, v[47:48]
	v_add_co_ci_u32_e32 v1, vcc_lo, v1, v3, vcc_lo
	s_waitcnt vmcnt(7)
	v_cmp_neq_f64_e32 vcc_lo, 0, v[41:42]
	v_cndmask_b32_e64 v3, 0, 1, vcc_lo
	;; [unrolled: 5-line block ×3, first 2 shown]
	s_waitcnt vmcnt(5)
	v_cmp_neq_f64_e32 vcc_lo, 0, v[57:58]
	v_add_co_ci_u32_e32 v1, vcc_lo, v1, v3, vcc_lo
	s_waitcnt vmcnt(4)
	v_cmp_neq_f64_e32 vcc_lo, 0, v[59:60]
	v_cndmask_b32_e64 v3, 0, 1, vcc_lo
	s_waitcnt vmcnt(3)
	v_cmp_neq_f64_e32 vcc_lo, 0, v[51:52]
	v_add_co_ci_u32_e32 v1, vcc_lo, v1, v2, vcc_lo
	s_waitcnt vmcnt(2)
	v_cmp_neq_f64_e32 vcc_lo, 0, v[61:62]
	v_cndmask_b32_e64 v2, 0, 1, vcc_lo
	s_waitcnt vmcnt(1)
	v_cmp_neq_f64_e32 vcc_lo, 0, v[63:64]
	v_add_co_ci_u32_e32 v1, vcc_lo, v1, v3, vcc_lo
	s_waitcnt vmcnt(0)
	v_cmp_neq_f64_e32 vcc_lo, 0, v[53:54]
	v_mov_b32_e32 v3, 0
	s_delay_alu instid0(VALU_DEP_3) | instskip(NEXT) | instid1(VALU_DEP_1)
	v_add_co_ci_u32_e32 v1, vcc_lo, v1, v2, vcc_lo
	v_mov_b32_dpp v2, v1 quad_perm:[1,0,3,2] row_mask:0xf bank_mask:0xf
	s_delay_alu instid0(VALU_DEP_1) | instskip(NEXT) | instid1(VALU_DEP_1)
	v_add_nc_u32_e32 v1, v1, v2
	v_mov_b32_dpp v2, v1 quad_perm:[2,3,0,1] row_mask:0xf bank_mask:0xf
	s_delay_alu instid0(VALU_DEP_1) | instskip(NEXT) | instid1(VALU_DEP_1)
	v_add_nc_u32_e32 v1, v1, v2
	v_mov_b32_dpp v2, v1 row_ror:4 row_mask:0xf bank_mask:0xf
	s_delay_alu instid0(VALU_DEP_1) | instskip(NEXT) | instid1(VALU_DEP_1)
	v_add_nc_u32_e32 v1, v1, v2
	v_mov_b32_dpp v2, v1 row_ror:8 row_mask:0xf bank_mask:0xf
	s_delay_alu instid0(VALU_DEP_1)
	v_add_nc_u32_e32 v1, v1, v2
	ds_swizzle_b32 v2, v1 offset:swizzle(BROADCAST,32,15)
	s_waitcnt lgkmcnt(0)
	v_add_nc_u32_e32 v1, v1, v2
	v_mbcnt_lo_u32_b32 v2, -1, 0
	ds_bpermute_b32 v1, v3, v1 offset:124
	v_cmpx_eq_u32_e32 0, v2
	s_cbranch_execz .LBB388_19
; %bb.18:
	v_lshrrev_b32_e32 v3, 3, v0
	s_delay_alu instid0(VALU_DEP_1)
	v_and_b32_e32 v3, 12, v3
	s_waitcnt lgkmcnt(0)
	ds_store_b32 v3, v1 offset:64
.LBB388_19:
	s_or_b32 exec_lo, exec_lo, s5
	s_delay_alu instid0(SALU_CYCLE_1)
	s_mov_b32 s5, exec_lo
	s_waitcnt lgkmcnt(0)
	s_barrier
	buffer_gl0_inv
	v_cmpx_gt_u32_e32 32, v0
	s_cbranch_execz .LBB388_21
; %bb.20:
	v_and_b32_e32 v1, 3, v2
	s_delay_alu instid0(VALU_DEP_1) | instskip(SKIP_4) | instid1(VALU_DEP_2)
	v_lshlrev_b32_e32 v3, 2, v1
	v_cmp_ne_u32_e32 vcc_lo, 3, v1
	ds_load_b32 v3, v3 offset:64
	v_add_co_ci_u32_e32 v4, vcc_lo, 0, v2, vcc_lo
	v_cmp_gt_u32_e32 vcc_lo, 2, v1
	v_lshlrev_b32_e32 v4, 2, v4
	v_cndmask_b32_e64 v1, 0, 1, vcc_lo
	s_delay_alu instid0(VALU_DEP_1) | instskip(NEXT) | instid1(VALU_DEP_1)
	v_lshlrev_b32_e32 v1, 1, v1
	v_add_lshl_u32 v1, v1, v2, 2
	s_waitcnt lgkmcnt(0)
	ds_bpermute_b32 v4, v4, v3
	s_waitcnt lgkmcnt(0)
	v_add_nc_u32_e32 v3, v4, v3
	ds_bpermute_b32 v1, v1, v3
	s_waitcnt lgkmcnt(0)
	v_add_nc_u32_e32 v1, v1, v3
.LBB388_21:
	s_or_b32 exec_lo, exec_lo, s5
	s_mov_b32 s5, 0
	s_branch .LBB388_297
.LBB388_22:
	s_mov_b32 s33, -1
.LBB388_23:
	s_mov_b32 s2, 0
                                        ; implicit-def: $vgpr1
	s_and_b32 vcc_lo, exec_lo, s33
	s_cbranch_vccz .LBB388_11
.LBB388_24:
	s_cmp_eq_u32 s19, 64
	s_cbranch_scc0 .LBB388_33
; %bb.25:
	s_mov_b32 s25, 0
	s_lshl_b32 s4, s24, 13
	s_mov_b32 s5, s25
	s_lshr_b64 s[6:7], s[20:21], 13
	s_lshl_b64 s[2:3], s[4:5], 3
	s_delay_alu instid0(SALU_CYCLE_1)
	s_add_u32 s2, s26, s2
	s_addc_u32 s3, s27, s3
	s_cmp_lg_u64 s[6:7], s[24:25]
	s_cbranch_scc0 .LBB388_376
; %bb.26:
	v_lshlrev_b32_e32 v13, 3, v0
	s_clause 0x2
	global_load_b64 v[1:2], v13, s[2:3]
	global_load_b64 v[3:4], v13, s[2:3] offset:1024
	global_load_b64 v[5:6], v13, s[2:3] offset:2048
	v_add_co_u32 v117, s5, s2, v13
	s_delay_alu instid0(VALU_DEP_1) | instskip(SKIP_1) | instid1(VALU_DEP_2)
	v_add_co_ci_u32_e64 v118, null, s3, 0, s5
	s_mov_b32 s5, exec_lo
	v_add_co_u32 v7, vcc_lo, 0x1000, v117
	s_delay_alu instid0(VALU_DEP_2)
	v_add_co_ci_u32_e32 v8, vcc_lo, 0, v118, vcc_lo
	v_add_co_u32 v9, vcc_lo, v117, 0x2000
	v_add_co_ci_u32_e32 v10, vcc_lo, 0, v118, vcc_lo
	v_add_co_u32 v11, vcc_lo, 0x2000, v117
	v_add_co_ci_u32_e32 v12, vcc_lo, 0, v118, vcc_lo
	s_clause 0x5
	global_load_b64 v[13:14], v13, s[2:3] offset:3072
	global_load_b64 v[15:16], v[9:10], off offset:-4096
	global_load_b64 v[17:18], v[7:8], off offset:3072
	global_load_b64 v[19:20], v[11:12], off offset:1024
	;; [unrolled: 1-line block ×4, first 2 shown]
	v_add_co_u32 v23, vcc_lo, v117, 0x4000
	v_add_co_ci_u32_e32 v24, vcc_lo, 0, v118, vcc_lo
	v_add_co_u32 v29, vcc_lo, 0x3000, v117
	v_add_co_ci_u32_e32 v30, vcc_lo, 0, v118, vcc_lo
	v_add_co_u32 v31, vcc_lo, v117, 0x6000
	s_clause 0x2
	global_load_b64 v[9:10], v[9:10], off
	global_load_b64 v[25:26], v[11:12], off offset:2048
	global_load_b64 v[27:28], v[23:24], off offset:-4096
	v_add_co_ci_u32_e32 v32, vcc_lo, 0, v118, vcc_lo
	v_add_co_u32 v37, vcc_lo, 0x4000, v117
	v_add_co_ci_u32_e32 v38, vcc_lo, 0, v118, vcc_lo
	v_add_co_u32 v45, vcc_lo, 0x5000, v117
	;; [unrolled: 2-line block ×16, first 2 shown]
	v_add_co_ci_u32_e32 v118, vcc_lo, 0, v118, vcc_lo
	s_clause 0x1f
	global_load_b64 v[11:12], v[11:12], off offset:3072
	global_load_b64 v[33:34], v[29:30], off offset:1024
	;; [unrolled: 1-line block ×3, first 2 shown]
	global_load_b64 v[23:24], v[23:24], off
	global_load_b64 v[39:40], v[31:32], off offset:-4096
	global_load_b64 v[29:30], v[29:30], off offset:3072
	global_load_b64 v[41:42], v[37:38], off offset:3072
	;; [unrolled: 1-line block ×6, first 2 shown]
	global_load_b64 v[31:32], v[31:32], off
	global_load_b64 v[45:46], v[45:46], off offset:3072
	global_load_b64 v[55:56], v[47:48], off offset:2048
	;; [unrolled: 1-line block ×3, first 2 shown]
	global_load_b64 v[61:62], v[53:54], off offset:-4096
	global_load_b64 v[47:48], v[47:48], off offset:3072
	global_load_b64 v[65:66], v[57:58], off offset:1024
	;; [unrolled: 1-line block ×3, first 2 shown]
	global_load_b64 v[53:54], v[53:54], off
	global_load_b64 v[57:58], v[57:58], off offset:3072
	global_load_b64 v[71:72], v[63:64], off offset:1024
	;; [unrolled: 1-line block ×4, first 2 shown]
	global_load_b64 v[77:78], v[69:70], off offset:-4096
	global_load_b64 v[81:82], v[75:76], off offset:1024
	global_load_b64 v[83:84], v[75:76], off offset:2048
	global_load_b64 v[69:70], v[69:70], off
	global_load_b64 v[75:76], v[75:76], off offset:3072
	global_load_b64 v[87:88], v[79:80], off offset:2048
	;; [unrolled: 1-line block ×3, first 2 shown]
	global_load_b64 v[93:94], v[85:86], off offset:-4096
	s_clause 0x13
	global_load_b64 v[79:80], v[79:80], off offset:3072
	global_load_b64 v[95:96], v[89:90], off offset:1024
	;; [unrolled: 1-line block ×3, first 2 shown]
	global_load_b64 v[85:86], v[85:86], off
	global_load_b64 v[89:90], v[89:90], off offset:3072
	global_load_b64 v[103:104], v[99:100], off offset:1024
	;; [unrolled: 1-line block ×3, first 2 shown]
	global_load_b64 v[109:110], v[101:102], off offset:-4096
	global_load_b64 v[99:100], v[99:100], off offset:3072
	global_load_b64 v[111:112], v[107:108], off offset:1024
	;; [unrolled: 1-line block ×3, first 2 shown]
	global_load_b64 v[101:102], v[101:102], off
	global_load_b64 v[107:108], v[107:108], off offset:3072
	global_load_b64 v[119:120], v[115:116], off offset:2048
	;; [unrolled: 1-line block ×3, first 2 shown]
	global_load_b64 v[123:124], v[117:118], off
	global_load_b64 v[115:116], v[115:116], off offset:3072
	global_load_b64 v[125:126], v[117:118], off offset:2048
	;; [unrolled: 1-line block ×4, first 2 shown]
	s_waitcnt vmcnt(62)
	v_cmp_neq_f64_e32 vcc_lo, 0, v[1:2]
	v_cndmask_b32_e64 v1, 0, 1, vcc_lo
	s_waitcnt vmcnt(61)
	v_cmp_neq_f64_e32 vcc_lo, 0, v[5:6]
	v_cndmask_b32_e64 v2, 0, 1, vcc_lo
	v_cmp_neq_f64_e32 vcc_lo, 0, v[3:4]
	v_add_co_ci_u32_e32 v1, vcc_lo, 0, v1, vcc_lo
	s_waitcnt vmcnt(59)
	v_cmp_neq_f64_e32 vcc_lo, 0, v[15:16]
	v_cndmask_b32_e64 v3, 0, 1, vcc_lo
	v_cmp_neq_f64_e32 vcc_lo, 0, v[13:14]
	v_add_co_ci_u32_e32 v1, vcc_lo, v1, v2, vcc_lo
	s_waitcnt vmcnt(56)
	v_cmp_neq_f64_e32 vcc_lo, 0, v[21:22]
	v_cndmask_b32_e64 v2, 0, 1, vcc_lo
	s_waitcnt vmcnt(55)
	v_cmp_neq_f64_e32 vcc_lo, 0, v[7:8]
	v_add_co_ci_u32_e32 v1, vcc_lo, v1, v3, vcc_lo
	s_waitcnt vmcnt(54)
	v_cmp_neq_f64_e32 vcc_lo, 0, v[9:10]
	v_cndmask_b32_e64 v3, 0, 1, vcc_lo
	v_cmp_neq_f64_e32 vcc_lo, 0, v[17:18]
	v_add_co_ci_u32_e32 v1, vcc_lo, v1, v2, vcc_lo
	s_waitcnt vmcnt(53)
	v_cmp_neq_f64_e32 vcc_lo, 0, v[25:26]
	v_cndmask_b32_e64 v2, 0, 1, vcc_lo
	;; [unrolled: 5-line block ×3, first 2 shown]
	s_waitcnt vmcnt(51)
	v_cmp_neq_f64_e32 vcc_lo, 0, v[11:12]
	v_add_co_ci_u32_e32 v1, vcc_lo, v1, v2, vcc_lo
	s_waitcnt vmcnt(49)
	v_cmp_neq_f64_e32 vcc_lo, 0, v[35:36]
	v_cndmask_b32_e64 v2, 0, 1, vcc_lo
	v_cmp_neq_f64_e32 vcc_lo, 0, v[33:34]
	v_add_co_ci_u32_e32 v1, vcc_lo, v1, v3, vcc_lo
	s_waitcnt vmcnt(48)
	v_cmp_neq_f64_e32 vcc_lo, 0, v[23:24]
	v_cndmask_b32_e64 v3, 0, 1, vcc_lo
	s_waitcnt vmcnt(46)
	v_cmp_neq_f64_e32 vcc_lo, 0, v[29:30]
	v_add_co_ci_u32_e32 v1, vcc_lo, v1, v2, vcc_lo
	s_waitcnt vmcnt(44)
	v_cmp_neq_f64_e32 vcc_lo, 0, v[43:44]
	v_cndmask_b32_e64 v2, 0, 1, vcc_lo
	s_waitcnt vmcnt(43)
	v_cmp_neq_f64_e32 vcc_lo, 0, v[37:38]
	v_add_co_ci_u32_e32 v1, vcc_lo, v1, v3, vcc_lo
	v_cmp_neq_f64_e32 vcc_lo, 0, v[39:40]
	v_cndmask_b32_e64 v3, 0, 1, vcc_lo
	v_cmp_neq_f64_e32 vcc_lo, 0, v[41:42]
	s_delay_alu instid0(VALU_DEP_4)
	v_add_co_ci_u32_e32 v1, vcc_lo, v1, v2, vcc_lo
	s_waitcnt vmcnt(41)
	v_cmp_neq_f64_e32 vcc_lo, 0, v[51:52]
	v_cndmask_b32_e64 v2, 0, 1, vcc_lo
	v_cmp_neq_f64_e32 vcc_lo, 0, v[49:50]
	v_add_co_ci_u32_e32 v1, vcc_lo, v1, v3, vcc_lo
	s_waitcnt vmcnt(40)
	v_cmp_neq_f64_e32 vcc_lo, 0, v[31:32]
	v_cndmask_b32_e64 v3, 0, 1, vcc_lo
	s_waitcnt vmcnt(39)
	v_cmp_neq_f64_e32 vcc_lo, 0, v[45:46]
	v_add_co_ci_u32_e32 v1, vcc_lo, v1, v2, vcc_lo
	s_waitcnt vmcnt(38)
	v_cmp_neq_f64_e32 vcc_lo, 0, v[55:56]
	v_cndmask_b32_e64 v2, 0, 1, vcc_lo
	s_waitcnt vmcnt(37)
	;; [unrolled: 6-line block ×3, first 2 shown]
	v_cmp_neq_f64_e32 vcc_lo, 0, v[47:48]
	v_add_co_ci_u32_e32 v1, vcc_lo, v1, v2, vcc_lo
	s_waitcnt vmcnt(33)
	v_cmp_neq_f64_e32 vcc_lo, 0, v[67:68]
	v_cndmask_b32_e64 v2, 0, 1, vcc_lo
	v_cmp_neq_f64_e32 vcc_lo, 0, v[65:66]
	v_add_co_ci_u32_e32 v1, vcc_lo, v1, v3, vcc_lo
	s_waitcnt vmcnt(32)
	v_cmp_neq_f64_e32 vcc_lo, 0, v[53:54]
	v_cndmask_b32_e64 v3, 0, 1, vcc_lo
	s_waitcnt vmcnt(31)
	v_cmp_neq_f64_e32 vcc_lo, 0, v[57:58]
	v_add_co_ci_u32_e32 v1, vcc_lo, v1, v2, vcc_lo
	s_waitcnt vmcnt(29)
	v_cmp_neq_f64_e32 vcc_lo, 0, v[73:74]
	v_cndmask_b32_e64 v2, 0, 1, vcc_lo
	v_cmp_neq_f64_e32 vcc_lo, 0, v[71:72]
	v_add_co_ci_u32_e32 v1, vcc_lo, v1, v3, vcc_lo
	s_waitcnt vmcnt(27)
	v_cmp_neq_f64_e32 vcc_lo, 0, v[77:78]
	v_cndmask_b32_e64 v3, 0, 1, vcc_lo
	;; [unrolled: 5-line block ×4, first 2 shown]
	s_waitcnt vmcnt(23)
	v_cmp_neq_f64_e32 vcc_lo, 0, v[75:76]
	v_add_co_ci_u32_e32 v1, vcc_lo, v1, v2, vcc_lo
	s_waitcnt vmcnt(22)
	v_cmp_neq_f64_e32 vcc_lo, 0, v[87:88]
	v_cndmask_b32_e64 v2, 0, 1, vcc_lo
	s_waitcnt vmcnt(21)
	v_cmp_neq_f64_e32 vcc_lo, 0, v[91:92]
	v_add_co_ci_u32_e32 v1, vcc_lo, v1, v3, vcc_lo
	s_waitcnt vmcnt(20)
	v_cmp_neq_f64_e32 vcc_lo, 0, v[93:94]
	v_cndmask_b32_e64 v3, 0, 1, vcc_lo
	;; [unrolled: 6-line block ×3, first 2 shown]
	v_cmp_neq_f64_e32 vcc_lo, 0, v[95:96]
	v_add_co_ci_u32_e32 v1, vcc_lo, v1, v3, vcc_lo
	s_waitcnt vmcnt(16)
	v_cmp_neq_f64_e32 vcc_lo, 0, v[85:86]
	v_cndmask_b32_e64 v3, 0, 1, vcc_lo
	s_waitcnt vmcnt(15)
	v_cmp_neq_f64_e32 vcc_lo, 0, v[89:90]
	v_add_co_ci_u32_e32 v1, vcc_lo, v1, v2, vcc_lo
	s_waitcnt vmcnt(13)
	v_cmp_neq_f64_e32 vcc_lo, 0, v[105:106]
	v_cndmask_b32_e64 v2, 0, 1, vcc_lo
	v_cmp_neq_f64_e32 vcc_lo, 0, v[103:104]
	v_add_co_ci_u32_e32 v1, vcc_lo, v1, v3, vcc_lo
	s_waitcnt vmcnt(12)
	v_cmp_neq_f64_e32 vcc_lo, 0, v[109:110]
	v_cndmask_b32_e64 v3, 0, 1, vcc_lo
	s_waitcnt vmcnt(11)
	v_cmp_neq_f64_e32 vcc_lo, 0, v[99:100]
	v_add_co_ci_u32_e32 v1, vcc_lo, v1, v2, vcc_lo
	s_waitcnt vmcnt(9)
	v_cmp_neq_f64_e32 vcc_lo, 0, v[113:114]
	v_cndmask_b32_e64 v2, 0, 1, vcc_lo
	;; [unrolled: 11-line block ×3, first 2 shown]
	s_waitcnt vmcnt(5)
	v_cmp_neq_f64_e32 vcc_lo, 0, v[121:122]
	v_add_co_ci_u32_e32 v1, vcc_lo, v1, v3, vcc_lo
	s_waitcnt vmcnt(4)
	v_cmp_neq_f64_e32 vcc_lo, 0, v[123:124]
	v_cndmask_b32_e64 v3, 0, 1, vcc_lo
	s_waitcnt vmcnt(3)
	v_cmp_neq_f64_e32 vcc_lo, 0, v[115:116]
	v_add_co_ci_u32_e32 v1, vcc_lo, v1, v2, vcc_lo
	s_waitcnt vmcnt(2)
	v_cmp_neq_f64_e32 vcc_lo, 0, v[125:126]
	v_cndmask_b32_e64 v2, 0, 1, vcc_lo
	s_waitcnt vmcnt(1)
	v_cmp_neq_f64_e32 vcc_lo, 0, v[127:128]
	v_add_co_ci_u32_e32 v1, vcc_lo, v1, v3, vcc_lo
	s_waitcnt vmcnt(0)
	v_cmp_neq_f64_e32 vcc_lo, 0, v[117:118]
	v_mov_b32_e32 v3, 0
	s_delay_alu instid0(VALU_DEP_3) | instskip(NEXT) | instid1(VALU_DEP_1)
	v_add_co_ci_u32_e32 v1, vcc_lo, v1, v2, vcc_lo
	v_mov_b32_dpp v2, v1 quad_perm:[1,0,3,2] row_mask:0xf bank_mask:0xf
	s_delay_alu instid0(VALU_DEP_1) | instskip(NEXT) | instid1(VALU_DEP_1)
	v_add_nc_u32_e32 v1, v1, v2
	v_mov_b32_dpp v2, v1 quad_perm:[2,3,0,1] row_mask:0xf bank_mask:0xf
	s_delay_alu instid0(VALU_DEP_1) | instskip(NEXT) | instid1(VALU_DEP_1)
	v_add_nc_u32_e32 v1, v1, v2
	v_mov_b32_dpp v2, v1 row_ror:4 row_mask:0xf bank_mask:0xf
	s_delay_alu instid0(VALU_DEP_1) | instskip(NEXT) | instid1(VALU_DEP_1)
	v_add_nc_u32_e32 v1, v1, v2
	v_mov_b32_dpp v2, v1 row_ror:8 row_mask:0xf bank_mask:0xf
	s_delay_alu instid0(VALU_DEP_1)
	v_add_nc_u32_e32 v1, v1, v2
	ds_swizzle_b32 v2, v1 offset:swizzle(BROADCAST,32,15)
	s_waitcnt lgkmcnt(0)
	v_add_nc_u32_e32 v1, v1, v2
	v_mbcnt_lo_u32_b32 v2, -1, 0
	ds_bpermute_b32 v1, v3, v1 offset:124
	v_cmpx_eq_u32_e32 0, v2
	s_cbranch_execz .LBB388_28
; %bb.27:
	v_lshrrev_b32_e32 v3, 3, v0
	s_delay_alu instid0(VALU_DEP_1)
	v_and_b32_e32 v3, 12, v3
	s_waitcnt lgkmcnt(0)
	ds_store_b32 v3, v1 offset:96
.LBB388_28:
	s_or_b32 exec_lo, exec_lo, s5
	s_delay_alu instid0(SALU_CYCLE_1)
	s_mov_b32 s5, exec_lo
	s_waitcnt lgkmcnt(0)
	s_barrier
	buffer_gl0_inv
	v_cmpx_gt_u32_e32 32, v0
	s_cbranch_execz .LBB388_30
; %bb.29:
	v_and_b32_e32 v1, 3, v2
	s_delay_alu instid0(VALU_DEP_1) | instskip(SKIP_4) | instid1(VALU_DEP_2)
	v_lshlrev_b32_e32 v3, 2, v1
	v_cmp_ne_u32_e32 vcc_lo, 3, v1
	ds_load_b32 v3, v3 offset:96
	v_add_co_ci_u32_e32 v4, vcc_lo, 0, v2, vcc_lo
	v_cmp_gt_u32_e32 vcc_lo, 2, v1
	v_lshlrev_b32_e32 v4, 2, v4
	v_cndmask_b32_e64 v1, 0, 1, vcc_lo
	s_delay_alu instid0(VALU_DEP_1) | instskip(NEXT) | instid1(VALU_DEP_1)
	v_lshlrev_b32_e32 v1, 1, v1
	v_add_lshl_u32 v1, v1, v2, 2
	s_waitcnt lgkmcnt(0)
	ds_bpermute_b32 v4, v4, v3
	s_waitcnt lgkmcnt(0)
	v_add_nc_u32_e32 v3, v4, v3
	ds_bpermute_b32 v1, v1, v3
	s_waitcnt lgkmcnt(0)
	v_add_nc_u32_e32 v1, v1, v3
.LBB388_30:
	s_or_b32 exec_lo, exec_lo, s5
	s_mov_b32 s5, 0
	s_branch .LBB388_377
.LBB388_31:
                                        ; implicit-def: $vgpr1
	s_cbranch_execz .LBB388_512
	s_branch .LBB388_368
.LBB388_32:
                                        ; implicit-def: $vgpr1
	s_branch .LBB388_512
.LBB388_33:
                                        ; implicit-def: $vgpr1
	s_branch .LBB388_512
.LBB388_34:
                                        ; implicit-def: $vgpr1
	s_cbranch_execz .LBB388_10
; %bb.35:
	s_sub_i32 s2, s20, s30
	s_mov_b32 s3, exec_lo
                                        ; implicit-def: $vgpr1
	v_cmpx_gt_u32_e64 s2, v0
	s_cbranch_execz .LBB388_37
; %bb.36:
	v_lshlrev_b32_e32 v1, 3, v0
	global_load_b64 v[1:2], v1, s[28:29]
	s_waitcnt vmcnt(0)
	v_cmp_neq_f64_e32 vcc_lo, 0, v[1:2]
	v_cndmask_b32_e64 v1, 0, 1, vcc_lo
.LBB388_37:
	s_or_b32 exec_lo, exec_lo, s3
	v_or_b32_e32 v3, 0x80, v0
	v_mov_b32_e32 v2, 0
	s_delay_alu instid0(VALU_DEP_2)
	v_cmp_gt_u32_e32 vcc_lo, s2, v3
	v_mov_b32_e32 v3, 0
	s_and_saveexec_b32 s3, vcc_lo
	s_cbranch_execz .LBB388_39
; %bb.38:
	v_lshlrev_b32_e32 v3, 3, v0
	global_load_b64 v[3:4], v3, s[28:29] offset:1024
	s_waitcnt vmcnt(0)
	v_cmp_neq_f64_e32 vcc_lo, 0, v[3:4]
	v_cndmask_b32_e64 v3, 0, 1, vcc_lo
.LBB388_39:
	s_or_b32 exec_lo, exec_lo, s3
	v_or_b32_e32 v4, 0x100, v0
	s_mov_b32 s3, exec_lo
	s_delay_alu instid0(VALU_DEP_1)
	v_cmpx_gt_u32_e64 s2, v4
	s_cbranch_execz .LBB388_41
; %bb.40:
	v_lshlrev_b32_e32 v2, 3, v0
	global_load_b64 v[4:5], v2, s[28:29] offset:2048
	s_waitcnt vmcnt(0)
	v_cmp_neq_f64_e32 vcc_lo, 0, v[4:5]
	v_cndmask_b32_e64 v2, 0, 1, vcc_lo
.LBB388_41:
	s_or_b32 exec_lo, exec_lo, s3
	v_or_b32_e32 v5, 0x180, v0
	v_mov_b32_e32 v4, 0
	s_delay_alu instid0(VALU_DEP_2)
	v_cmp_gt_u32_e32 vcc_lo, s2, v5
	v_mov_b32_e32 v5, 0
	s_and_saveexec_b32 s3, vcc_lo
	s_cbranch_execz .LBB388_43
; %bb.42:
	v_lshlrev_b32_e32 v5, 3, v0
	global_load_b64 v[5:6], v5, s[28:29] offset:3072
	s_waitcnt vmcnt(0)
	v_cmp_neq_f64_e32 vcc_lo, 0, v[5:6]
	v_cndmask_b32_e64 v5, 0, 1, vcc_lo
.LBB388_43:
	s_or_b32 exec_lo, exec_lo, s3
	v_or_b32_e32 v6, 0x200, v0
	s_mov_b32 s3, exec_lo
	s_delay_alu instid0(VALU_DEP_1)
	v_cmpx_gt_u32_e64 s2, v6
	s_cbranch_execz .LBB388_45
; %bb.44:
	v_lshlrev_b32_e32 v4, 3, v6
	global_load_b64 v[6:7], v4, s[28:29]
	s_waitcnt vmcnt(0)
	v_cmp_neq_f64_e32 vcc_lo, 0, v[6:7]
	v_cndmask_b32_e64 v4, 0, 1, vcc_lo
.LBB388_45:
	s_or_b32 exec_lo, exec_lo, s3
	v_or_b32_e32 v8, 0x280, v0
	v_dual_mov_b32 v6, 0 :: v_dual_mov_b32 v7, 0
	s_mov_b32 s3, exec_lo
	s_delay_alu instid0(VALU_DEP_2)
	v_cmpx_gt_u32_e64 s2, v8
	s_cbranch_execz .LBB388_47
; %bb.46:
	v_lshlrev_b32_e32 v7, 3, v8
	global_load_b64 v[7:8], v7, s[28:29]
	s_waitcnt vmcnt(0)
	v_cmp_neq_f64_e32 vcc_lo, 0, v[7:8]
	v_cndmask_b32_e64 v7, 0, 1, vcc_lo
.LBB388_47:
	s_or_b32 exec_lo, exec_lo, s3
	v_or_b32_e32 v8, 0x300, v0
	s_mov_b32 s3, exec_lo
	s_delay_alu instid0(VALU_DEP_1)
	v_cmpx_gt_u32_e64 s2, v8
	s_cbranch_execz .LBB388_49
; %bb.48:
	v_lshlrev_b32_e32 v6, 3, v8
	global_load_b64 v[8:9], v6, s[28:29]
	s_waitcnt vmcnt(0)
	v_cmp_neq_f64_e32 vcc_lo, 0, v[8:9]
	v_cndmask_b32_e64 v6, 0, 1, vcc_lo
.LBB388_49:
	s_or_b32 exec_lo, exec_lo, s3
	v_or_b32_e32 v10, 0x380, v0
	v_dual_mov_b32 v8, 0 :: v_dual_mov_b32 v9, 0
	s_mov_b32 s3, exec_lo
	s_delay_alu instid0(VALU_DEP_2)
	v_cmpx_gt_u32_e64 s2, v10
	s_cbranch_execz .LBB388_51
; %bb.50:
	v_lshlrev_b32_e32 v9, 3, v10
	global_load_b64 v[9:10], v9, s[28:29]
	s_waitcnt vmcnt(0)
	v_cmp_neq_f64_e32 vcc_lo, 0, v[9:10]
	v_cndmask_b32_e64 v9, 0, 1, vcc_lo
.LBB388_51:
	s_or_b32 exec_lo, exec_lo, s3
	v_or_b32_e32 v10, 0x400, v0
	s_mov_b32 s3, exec_lo
	s_delay_alu instid0(VALU_DEP_1)
	v_cmpx_gt_u32_e64 s2, v10
	s_cbranch_execz .LBB388_53
; %bb.52:
	v_lshlrev_b32_e32 v8, 3, v10
	global_load_b64 v[10:11], v8, s[28:29]
	s_waitcnt vmcnt(0)
	v_cmp_neq_f64_e32 vcc_lo, 0, v[10:11]
	v_cndmask_b32_e64 v8, 0, 1, vcc_lo
.LBB388_53:
	s_or_b32 exec_lo, exec_lo, s3
	v_or_b32_e32 v12, 0x480, v0
	v_dual_mov_b32 v10, 0 :: v_dual_mov_b32 v11, 0
	s_mov_b32 s3, exec_lo
	s_delay_alu instid0(VALU_DEP_2)
	v_cmpx_gt_u32_e64 s2, v12
	s_cbranch_execz .LBB388_55
; %bb.54:
	v_lshlrev_b32_e32 v11, 3, v12
	global_load_b64 v[11:12], v11, s[28:29]
	s_waitcnt vmcnt(0)
	v_cmp_neq_f64_e32 vcc_lo, 0, v[11:12]
	v_cndmask_b32_e64 v11, 0, 1, vcc_lo
.LBB388_55:
	s_or_b32 exec_lo, exec_lo, s3
	v_or_b32_e32 v12, 0x500, v0
	s_mov_b32 s3, exec_lo
	s_delay_alu instid0(VALU_DEP_1)
	v_cmpx_gt_u32_e64 s2, v12
	s_cbranch_execz .LBB388_57
; %bb.56:
	v_lshlrev_b32_e32 v10, 3, v12
	global_load_b64 v[12:13], v10, s[28:29]
	s_waitcnt vmcnt(0)
	v_cmp_neq_f64_e32 vcc_lo, 0, v[12:13]
	v_cndmask_b32_e64 v10, 0, 1, vcc_lo
.LBB388_57:
	s_or_b32 exec_lo, exec_lo, s3
	v_or_b32_e32 v14, 0x580, v0
	v_dual_mov_b32 v12, 0 :: v_dual_mov_b32 v13, 0
	s_mov_b32 s3, exec_lo
	s_delay_alu instid0(VALU_DEP_2)
	v_cmpx_gt_u32_e64 s2, v14
	s_cbranch_execz .LBB388_59
; %bb.58:
	v_lshlrev_b32_e32 v13, 3, v14
	global_load_b64 v[13:14], v13, s[28:29]
	s_waitcnt vmcnt(0)
	v_cmp_neq_f64_e32 vcc_lo, 0, v[13:14]
	v_cndmask_b32_e64 v13, 0, 1, vcc_lo
.LBB388_59:
	s_or_b32 exec_lo, exec_lo, s3
	v_or_b32_e32 v14, 0x600, v0
	s_mov_b32 s3, exec_lo
	s_delay_alu instid0(VALU_DEP_1)
	v_cmpx_gt_u32_e64 s2, v14
	s_cbranch_execz .LBB388_61
; %bb.60:
	v_lshlrev_b32_e32 v12, 3, v14
	global_load_b64 v[14:15], v12, s[28:29]
	s_waitcnt vmcnt(0)
	v_cmp_neq_f64_e32 vcc_lo, 0, v[14:15]
	v_cndmask_b32_e64 v12, 0, 1, vcc_lo
.LBB388_61:
	s_or_b32 exec_lo, exec_lo, s3
	v_or_b32_e32 v16, 0x680, v0
	v_dual_mov_b32 v14, 0 :: v_dual_mov_b32 v15, 0
	s_mov_b32 s3, exec_lo
	s_delay_alu instid0(VALU_DEP_2)
	v_cmpx_gt_u32_e64 s2, v16
	s_cbranch_execz .LBB388_63
; %bb.62:
	v_lshlrev_b32_e32 v15, 3, v16
	global_load_b64 v[15:16], v15, s[28:29]
	s_waitcnt vmcnt(0)
	v_cmp_neq_f64_e32 vcc_lo, 0, v[15:16]
	v_cndmask_b32_e64 v15, 0, 1, vcc_lo
.LBB388_63:
	s_or_b32 exec_lo, exec_lo, s3
	v_or_b32_e32 v16, 0x700, v0
	s_mov_b32 s3, exec_lo
	s_delay_alu instid0(VALU_DEP_1)
	v_cmpx_gt_u32_e64 s2, v16
	s_cbranch_execz .LBB388_65
; %bb.64:
	v_lshlrev_b32_e32 v14, 3, v16
	global_load_b64 v[16:17], v14, s[28:29]
	s_waitcnt vmcnt(0)
	v_cmp_neq_f64_e32 vcc_lo, 0, v[16:17]
	v_cndmask_b32_e64 v14, 0, 1, vcc_lo
.LBB388_65:
	s_or_b32 exec_lo, exec_lo, s3
	v_or_b32_e32 v18, 0x780, v0
	v_dual_mov_b32 v16, 0 :: v_dual_mov_b32 v17, 0
	s_mov_b32 s3, exec_lo
	s_delay_alu instid0(VALU_DEP_2)
	v_cmpx_gt_u32_e64 s2, v18
	s_cbranch_execz .LBB388_67
; %bb.66:
	v_lshlrev_b32_e32 v17, 3, v18
	global_load_b64 v[17:18], v17, s[28:29]
	s_waitcnt vmcnt(0)
	v_cmp_neq_f64_e32 vcc_lo, 0, v[17:18]
	v_cndmask_b32_e64 v17, 0, 1, vcc_lo
.LBB388_67:
	s_or_b32 exec_lo, exec_lo, s3
	v_or_b32_e32 v18, 0x800, v0
	s_mov_b32 s3, exec_lo
	s_delay_alu instid0(VALU_DEP_1)
	v_cmpx_gt_u32_e64 s2, v18
	s_cbranch_execz .LBB388_69
; %bb.68:
	v_lshlrev_b32_e32 v16, 3, v18
	global_load_b64 v[18:19], v16, s[28:29]
	s_waitcnt vmcnt(0)
	v_cmp_neq_f64_e32 vcc_lo, 0, v[18:19]
	v_cndmask_b32_e64 v16, 0, 1, vcc_lo
.LBB388_69:
	s_or_b32 exec_lo, exec_lo, s3
	v_or_b32_e32 v20, 0x880, v0
	v_dual_mov_b32 v18, 0 :: v_dual_mov_b32 v19, 0
	s_mov_b32 s3, exec_lo
	s_delay_alu instid0(VALU_DEP_2)
	v_cmpx_gt_u32_e64 s2, v20
	s_cbranch_execz .LBB388_71
; %bb.70:
	v_lshlrev_b32_e32 v19, 3, v20
	global_load_b64 v[19:20], v19, s[28:29]
	s_waitcnt vmcnt(0)
	v_cmp_neq_f64_e32 vcc_lo, 0, v[19:20]
	v_cndmask_b32_e64 v19, 0, 1, vcc_lo
.LBB388_71:
	s_or_b32 exec_lo, exec_lo, s3
	v_or_b32_e32 v20, 0x900, v0
	s_mov_b32 s3, exec_lo
	s_delay_alu instid0(VALU_DEP_1)
	v_cmpx_gt_u32_e64 s2, v20
	s_cbranch_execz .LBB388_73
; %bb.72:
	v_lshlrev_b32_e32 v18, 3, v20
	global_load_b64 v[20:21], v18, s[28:29]
	s_waitcnt vmcnt(0)
	v_cmp_neq_f64_e32 vcc_lo, 0, v[20:21]
	v_cndmask_b32_e64 v18, 0, 1, vcc_lo
.LBB388_73:
	s_or_b32 exec_lo, exec_lo, s3
	v_or_b32_e32 v22, 0x980, v0
	v_dual_mov_b32 v20, 0 :: v_dual_mov_b32 v21, 0
	s_mov_b32 s3, exec_lo
	s_delay_alu instid0(VALU_DEP_2)
	v_cmpx_gt_u32_e64 s2, v22
	s_cbranch_execz .LBB388_75
; %bb.74:
	v_lshlrev_b32_e32 v21, 3, v22
	global_load_b64 v[21:22], v21, s[28:29]
	s_waitcnt vmcnt(0)
	v_cmp_neq_f64_e32 vcc_lo, 0, v[21:22]
	v_cndmask_b32_e64 v21, 0, 1, vcc_lo
.LBB388_75:
	s_or_b32 exec_lo, exec_lo, s3
	v_or_b32_e32 v22, 0xa00, v0
	s_mov_b32 s3, exec_lo
	s_delay_alu instid0(VALU_DEP_1)
	v_cmpx_gt_u32_e64 s2, v22
	s_cbranch_execz .LBB388_77
; %bb.76:
	v_lshlrev_b32_e32 v20, 3, v22
	global_load_b64 v[22:23], v20, s[28:29]
	s_waitcnt vmcnt(0)
	v_cmp_neq_f64_e32 vcc_lo, 0, v[22:23]
	v_cndmask_b32_e64 v20, 0, 1, vcc_lo
.LBB388_77:
	s_or_b32 exec_lo, exec_lo, s3
	v_or_b32_e32 v24, 0xa80, v0
	v_dual_mov_b32 v22, 0 :: v_dual_mov_b32 v23, 0
	s_mov_b32 s3, exec_lo
	s_delay_alu instid0(VALU_DEP_2)
	v_cmpx_gt_u32_e64 s2, v24
	s_cbranch_execz .LBB388_79
; %bb.78:
	v_lshlrev_b32_e32 v23, 3, v24
	global_load_b64 v[23:24], v23, s[28:29]
	s_waitcnt vmcnt(0)
	v_cmp_neq_f64_e32 vcc_lo, 0, v[23:24]
	v_cndmask_b32_e64 v23, 0, 1, vcc_lo
.LBB388_79:
	s_or_b32 exec_lo, exec_lo, s3
	v_or_b32_e32 v24, 0xb00, v0
	s_mov_b32 s3, exec_lo
	s_delay_alu instid0(VALU_DEP_1)
	v_cmpx_gt_u32_e64 s2, v24
	s_cbranch_execz .LBB388_81
; %bb.80:
	v_lshlrev_b32_e32 v22, 3, v24
	global_load_b64 v[24:25], v22, s[28:29]
	s_waitcnt vmcnt(0)
	v_cmp_neq_f64_e32 vcc_lo, 0, v[24:25]
	v_cndmask_b32_e64 v22, 0, 1, vcc_lo
.LBB388_81:
	s_or_b32 exec_lo, exec_lo, s3
	v_or_b32_e32 v26, 0xb80, v0
	v_dual_mov_b32 v24, 0 :: v_dual_mov_b32 v25, 0
	s_mov_b32 s3, exec_lo
	s_delay_alu instid0(VALU_DEP_2)
	v_cmpx_gt_u32_e64 s2, v26
	s_cbranch_execz .LBB388_83
; %bb.82:
	v_lshlrev_b32_e32 v25, 3, v26
	global_load_b64 v[25:26], v25, s[28:29]
	s_waitcnt vmcnt(0)
	v_cmp_neq_f64_e32 vcc_lo, 0, v[25:26]
	v_cndmask_b32_e64 v25, 0, 1, vcc_lo
.LBB388_83:
	s_or_b32 exec_lo, exec_lo, s3
	v_or_b32_e32 v26, 0xc00, v0
	s_mov_b32 s3, exec_lo
	s_delay_alu instid0(VALU_DEP_1)
	v_cmpx_gt_u32_e64 s2, v26
	s_cbranch_execz .LBB388_85
; %bb.84:
	v_lshlrev_b32_e32 v24, 3, v26
	global_load_b64 v[26:27], v24, s[28:29]
	s_waitcnt vmcnt(0)
	v_cmp_neq_f64_e32 vcc_lo, 0, v[26:27]
	v_cndmask_b32_e64 v24, 0, 1, vcc_lo
.LBB388_85:
	s_or_b32 exec_lo, exec_lo, s3
	v_or_b32_e32 v28, 0xc80, v0
	v_dual_mov_b32 v26, 0 :: v_dual_mov_b32 v27, 0
	s_mov_b32 s3, exec_lo
	s_delay_alu instid0(VALU_DEP_2)
	v_cmpx_gt_u32_e64 s2, v28
	s_cbranch_execz .LBB388_87
; %bb.86:
	v_lshlrev_b32_e32 v27, 3, v28
	global_load_b64 v[27:28], v27, s[28:29]
	s_waitcnt vmcnt(0)
	v_cmp_neq_f64_e32 vcc_lo, 0, v[27:28]
	v_cndmask_b32_e64 v27, 0, 1, vcc_lo
.LBB388_87:
	s_or_b32 exec_lo, exec_lo, s3
	v_or_b32_e32 v28, 0xd00, v0
	s_mov_b32 s3, exec_lo
	s_delay_alu instid0(VALU_DEP_1)
	v_cmpx_gt_u32_e64 s2, v28
	s_cbranch_execz .LBB388_89
; %bb.88:
	v_lshlrev_b32_e32 v26, 3, v28
	global_load_b64 v[28:29], v26, s[28:29]
	s_waitcnt vmcnt(0)
	v_cmp_neq_f64_e32 vcc_lo, 0, v[28:29]
	v_cndmask_b32_e64 v26, 0, 1, vcc_lo
.LBB388_89:
	s_or_b32 exec_lo, exec_lo, s3
	v_or_b32_e32 v30, 0xd80, v0
	v_dual_mov_b32 v28, 0 :: v_dual_mov_b32 v29, 0
	s_mov_b32 s3, exec_lo
	s_delay_alu instid0(VALU_DEP_2)
	v_cmpx_gt_u32_e64 s2, v30
	s_cbranch_execz .LBB388_91
; %bb.90:
	v_lshlrev_b32_e32 v29, 3, v30
	global_load_b64 v[29:30], v29, s[28:29]
	s_waitcnt vmcnt(0)
	v_cmp_neq_f64_e32 vcc_lo, 0, v[29:30]
	v_cndmask_b32_e64 v29, 0, 1, vcc_lo
.LBB388_91:
	s_or_b32 exec_lo, exec_lo, s3
	v_or_b32_e32 v30, 0xe00, v0
	s_mov_b32 s3, exec_lo
	s_delay_alu instid0(VALU_DEP_1)
	v_cmpx_gt_u32_e64 s2, v30
	s_cbranch_execz .LBB388_93
; %bb.92:
	v_lshlrev_b32_e32 v28, 3, v30
	global_load_b64 v[30:31], v28, s[28:29]
	s_waitcnt vmcnt(0)
	v_cmp_neq_f64_e32 vcc_lo, 0, v[30:31]
	v_cndmask_b32_e64 v28, 0, 1, vcc_lo
.LBB388_93:
	s_or_b32 exec_lo, exec_lo, s3
	v_or_b32_e32 v32, 0xe80, v0
	v_dual_mov_b32 v30, 0 :: v_dual_mov_b32 v31, 0
	s_mov_b32 s3, exec_lo
	s_delay_alu instid0(VALU_DEP_2)
	v_cmpx_gt_u32_e64 s2, v32
	s_cbranch_execz .LBB388_95
; %bb.94:
	v_lshlrev_b32_e32 v31, 3, v32
	global_load_b64 v[31:32], v31, s[28:29]
	s_waitcnt vmcnt(0)
	v_cmp_neq_f64_e32 vcc_lo, 0, v[31:32]
	v_cndmask_b32_e64 v31, 0, 1, vcc_lo
.LBB388_95:
	s_or_b32 exec_lo, exec_lo, s3
	v_or_b32_e32 v32, 0xf00, v0
	s_mov_b32 s3, exec_lo
	s_delay_alu instid0(VALU_DEP_1)
	v_cmpx_gt_u32_e64 s2, v32
	s_cbranch_execz .LBB388_97
; %bb.96:
	v_lshlrev_b32_e32 v30, 3, v32
	global_load_b64 v[32:33], v30, s[28:29]
	s_waitcnt vmcnt(0)
	v_cmp_neq_f64_e32 vcc_lo, 0, v[32:33]
	v_cndmask_b32_e64 v30, 0, 1, vcc_lo
.LBB388_97:
	s_or_b32 exec_lo, exec_lo, s3
	v_or_b32_e32 v34, 0xf80, v0
	v_dual_mov_b32 v32, 0 :: v_dual_mov_b32 v33, 0
	s_mov_b32 s3, exec_lo
	s_delay_alu instid0(VALU_DEP_2)
	v_cmpx_gt_u32_e64 s2, v34
	s_cbranch_execz .LBB388_99
; %bb.98:
	v_lshlrev_b32_e32 v33, 3, v34
	global_load_b64 v[33:34], v33, s[28:29]
	s_waitcnt vmcnt(0)
	v_cmp_neq_f64_e32 vcc_lo, 0, v[33:34]
	v_cndmask_b32_e64 v33, 0, 1, vcc_lo
.LBB388_99:
	s_or_b32 exec_lo, exec_lo, s3
	v_or_b32_e32 v34, 0x1000, v0
	s_mov_b32 s3, exec_lo
	s_delay_alu instid0(VALU_DEP_1)
	v_cmpx_gt_u32_e64 s2, v34
	s_cbranch_execz .LBB388_101
; %bb.100:
	v_lshlrev_b32_e32 v32, 3, v34
	global_load_b64 v[34:35], v32, s[28:29]
	s_waitcnt vmcnt(0)
	v_cmp_neq_f64_e32 vcc_lo, 0, v[34:35]
	v_cndmask_b32_e64 v32, 0, 1, vcc_lo
.LBB388_101:
	s_or_b32 exec_lo, exec_lo, s3
	v_or_b32_e32 v36, 0x1080, v0
	v_dual_mov_b32 v34, 0 :: v_dual_mov_b32 v35, 0
	s_mov_b32 s3, exec_lo
	s_delay_alu instid0(VALU_DEP_2)
	v_cmpx_gt_u32_e64 s2, v36
	s_cbranch_execz .LBB388_103
; %bb.102:
	v_lshlrev_b32_e32 v35, 3, v36
	global_load_b64 v[35:36], v35, s[28:29]
	s_waitcnt vmcnt(0)
	v_cmp_neq_f64_e32 vcc_lo, 0, v[35:36]
	v_cndmask_b32_e64 v35, 0, 1, vcc_lo
.LBB388_103:
	s_or_b32 exec_lo, exec_lo, s3
	v_or_b32_e32 v36, 0x1100, v0
	s_mov_b32 s3, exec_lo
	s_delay_alu instid0(VALU_DEP_1)
	v_cmpx_gt_u32_e64 s2, v36
	s_cbranch_execz .LBB388_105
; %bb.104:
	v_lshlrev_b32_e32 v34, 3, v36
	global_load_b64 v[36:37], v34, s[28:29]
	s_waitcnt vmcnt(0)
	v_cmp_neq_f64_e32 vcc_lo, 0, v[36:37]
	v_cndmask_b32_e64 v34, 0, 1, vcc_lo
.LBB388_105:
	s_or_b32 exec_lo, exec_lo, s3
	v_or_b32_e32 v38, 0x1180, v0
	v_dual_mov_b32 v36, 0 :: v_dual_mov_b32 v37, 0
	s_mov_b32 s3, exec_lo
	s_delay_alu instid0(VALU_DEP_2)
	v_cmpx_gt_u32_e64 s2, v38
	s_cbranch_execz .LBB388_107
; %bb.106:
	v_lshlrev_b32_e32 v37, 3, v38
	global_load_b64 v[37:38], v37, s[28:29]
	s_waitcnt vmcnt(0)
	v_cmp_neq_f64_e32 vcc_lo, 0, v[37:38]
	v_cndmask_b32_e64 v37, 0, 1, vcc_lo
.LBB388_107:
	s_or_b32 exec_lo, exec_lo, s3
	v_or_b32_e32 v38, 0x1200, v0
	s_mov_b32 s3, exec_lo
	s_delay_alu instid0(VALU_DEP_1)
	v_cmpx_gt_u32_e64 s2, v38
	s_cbranch_execz .LBB388_109
; %bb.108:
	v_lshlrev_b32_e32 v36, 3, v38
	global_load_b64 v[38:39], v36, s[28:29]
	s_waitcnt vmcnt(0)
	v_cmp_neq_f64_e32 vcc_lo, 0, v[38:39]
	v_cndmask_b32_e64 v36, 0, 1, vcc_lo
.LBB388_109:
	s_or_b32 exec_lo, exec_lo, s3
	v_or_b32_e32 v40, 0x1280, v0
	v_dual_mov_b32 v38, 0 :: v_dual_mov_b32 v39, 0
	s_mov_b32 s3, exec_lo
	s_delay_alu instid0(VALU_DEP_2)
	v_cmpx_gt_u32_e64 s2, v40
	s_cbranch_execz .LBB388_111
; %bb.110:
	v_lshlrev_b32_e32 v39, 3, v40
	global_load_b64 v[39:40], v39, s[28:29]
	s_waitcnt vmcnt(0)
	v_cmp_neq_f64_e32 vcc_lo, 0, v[39:40]
	v_cndmask_b32_e64 v39, 0, 1, vcc_lo
.LBB388_111:
	s_or_b32 exec_lo, exec_lo, s3
	v_or_b32_e32 v40, 0x1300, v0
	s_mov_b32 s3, exec_lo
	s_delay_alu instid0(VALU_DEP_1)
	v_cmpx_gt_u32_e64 s2, v40
	s_cbranch_execz .LBB388_113
; %bb.112:
	v_lshlrev_b32_e32 v38, 3, v40
	global_load_b64 v[40:41], v38, s[28:29]
	s_waitcnt vmcnt(0)
	v_cmp_neq_f64_e32 vcc_lo, 0, v[40:41]
	v_cndmask_b32_e64 v38, 0, 1, vcc_lo
.LBB388_113:
	s_or_b32 exec_lo, exec_lo, s3
	v_or_b32_e32 v42, 0x1380, v0
	v_dual_mov_b32 v40, 0 :: v_dual_mov_b32 v41, 0
	s_mov_b32 s3, exec_lo
	s_delay_alu instid0(VALU_DEP_2)
	v_cmpx_gt_u32_e64 s2, v42
	s_cbranch_execz .LBB388_115
; %bb.114:
	v_lshlrev_b32_e32 v41, 3, v42
	global_load_b64 v[41:42], v41, s[28:29]
	s_waitcnt vmcnt(0)
	v_cmp_neq_f64_e32 vcc_lo, 0, v[41:42]
	v_cndmask_b32_e64 v41, 0, 1, vcc_lo
.LBB388_115:
	s_or_b32 exec_lo, exec_lo, s3
	v_or_b32_e32 v42, 0x1400, v0
	s_mov_b32 s3, exec_lo
	s_delay_alu instid0(VALU_DEP_1)
	v_cmpx_gt_u32_e64 s2, v42
	s_cbranch_execz .LBB388_117
; %bb.116:
	v_lshlrev_b32_e32 v40, 3, v42
	global_load_b64 v[42:43], v40, s[28:29]
	s_waitcnt vmcnt(0)
	v_cmp_neq_f64_e32 vcc_lo, 0, v[42:43]
	v_cndmask_b32_e64 v40, 0, 1, vcc_lo
.LBB388_117:
	s_or_b32 exec_lo, exec_lo, s3
	v_or_b32_e32 v44, 0x1480, v0
	v_dual_mov_b32 v42, 0 :: v_dual_mov_b32 v43, 0
	s_mov_b32 s3, exec_lo
	s_delay_alu instid0(VALU_DEP_2)
	v_cmpx_gt_u32_e64 s2, v44
	s_cbranch_execz .LBB388_119
; %bb.118:
	v_lshlrev_b32_e32 v43, 3, v44
	global_load_b64 v[43:44], v43, s[28:29]
	s_waitcnt vmcnt(0)
	v_cmp_neq_f64_e32 vcc_lo, 0, v[43:44]
	v_cndmask_b32_e64 v43, 0, 1, vcc_lo
.LBB388_119:
	s_or_b32 exec_lo, exec_lo, s3
	v_or_b32_e32 v44, 0x1500, v0
	s_mov_b32 s3, exec_lo
	s_delay_alu instid0(VALU_DEP_1)
	v_cmpx_gt_u32_e64 s2, v44
	s_cbranch_execz .LBB388_121
; %bb.120:
	v_lshlrev_b32_e32 v42, 3, v44
	global_load_b64 v[44:45], v42, s[28:29]
	s_waitcnt vmcnt(0)
	v_cmp_neq_f64_e32 vcc_lo, 0, v[44:45]
	v_cndmask_b32_e64 v42, 0, 1, vcc_lo
.LBB388_121:
	s_or_b32 exec_lo, exec_lo, s3
	v_or_b32_e32 v46, 0x1580, v0
	v_dual_mov_b32 v44, 0 :: v_dual_mov_b32 v45, 0
	s_mov_b32 s3, exec_lo
	s_delay_alu instid0(VALU_DEP_2)
	v_cmpx_gt_u32_e64 s2, v46
	s_cbranch_execz .LBB388_123
; %bb.122:
	v_lshlrev_b32_e32 v45, 3, v46
	global_load_b64 v[45:46], v45, s[28:29]
	s_waitcnt vmcnt(0)
	v_cmp_neq_f64_e32 vcc_lo, 0, v[45:46]
	v_cndmask_b32_e64 v45, 0, 1, vcc_lo
.LBB388_123:
	s_or_b32 exec_lo, exec_lo, s3
	v_or_b32_e32 v46, 0x1600, v0
	s_mov_b32 s3, exec_lo
	s_delay_alu instid0(VALU_DEP_1)
	v_cmpx_gt_u32_e64 s2, v46
	s_cbranch_execz .LBB388_125
; %bb.124:
	v_lshlrev_b32_e32 v44, 3, v46
	global_load_b64 v[46:47], v44, s[28:29]
	s_waitcnt vmcnt(0)
	v_cmp_neq_f64_e32 vcc_lo, 0, v[46:47]
	v_cndmask_b32_e64 v44, 0, 1, vcc_lo
.LBB388_125:
	s_or_b32 exec_lo, exec_lo, s3
	v_or_b32_e32 v48, 0x1680, v0
	v_dual_mov_b32 v46, 0 :: v_dual_mov_b32 v47, 0
	s_mov_b32 s3, exec_lo
	s_delay_alu instid0(VALU_DEP_2)
	v_cmpx_gt_u32_e64 s2, v48
	s_cbranch_execz .LBB388_127
; %bb.126:
	v_lshlrev_b32_e32 v47, 3, v48
	global_load_b64 v[47:48], v47, s[28:29]
	s_waitcnt vmcnt(0)
	v_cmp_neq_f64_e32 vcc_lo, 0, v[47:48]
	v_cndmask_b32_e64 v47, 0, 1, vcc_lo
.LBB388_127:
	s_or_b32 exec_lo, exec_lo, s3
	v_or_b32_e32 v48, 0x1700, v0
	s_mov_b32 s3, exec_lo
	s_delay_alu instid0(VALU_DEP_1)
	v_cmpx_gt_u32_e64 s2, v48
	s_cbranch_execz .LBB388_129
; %bb.128:
	v_lshlrev_b32_e32 v46, 3, v48
	global_load_b64 v[48:49], v46, s[28:29]
	s_waitcnt vmcnt(0)
	v_cmp_neq_f64_e32 vcc_lo, 0, v[48:49]
	v_cndmask_b32_e64 v46, 0, 1, vcc_lo
.LBB388_129:
	s_or_b32 exec_lo, exec_lo, s3
	v_or_b32_e32 v50, 0x1780, v0
	v_dual_mov_b32 v48, 0 :: v_dual_mov_b32 v49, 0
	s_mov_b32 s3, exec_lo
	s_delay_alu instid0(VALU_DEP_2)
	v_cmpx_gt_u32_e64 s2, v50
	s_cbranch_execz .LBB388_131
; %bb.130:
	v_lshlrev_b32_e32 v49, 3, v50
	global_load_b64 v[49:50], v49, s[28:29]
	s_waitcnt vmcnt(0)
	v_cmp_neq_f64_e32 vcc_lo, 0, v[49:50]
	v_cndmask_b32_e64 v49, 0, 1, vcc_lo
.LBB388_131:
	s_or_b32 exec_lo, exec_lo, s3
	v_or_b32_e32 v50, 0x1800, v0
	s_mov_b32 s3, exec_lo
	s_delay_alu instid0(VALU_DEP_1)
	v_cmpx_gt_u32_e64 s2, v50
	s_cbranch_execz .LBB388_133
; %bb.132:
	v_lshlrev_b32_e32 v48, 3, v50
	global_load_b64 v[50:51], v48, s[28:29]
	s_waitcnt vmcnt(0)
	v_cmp_neq_f64_e32 vcc_lo, 0, v[50:51]
	v_cndmask_b32_e64 v48, 0, 1, vcc_lo
.LBB388_133:
	s_or_b32 exec_lo, exec_lo, s3
	v_or_b32_e32 v52, 0x1880, v0
	v_dual_mov_b32 v50, 0 :: v_dual_mov_b32 v51, 0
	s_mov_b32 s3, exec_lo
	s_delay_alu instid0(VALU_DEP_2)
	v_cmpx_gt_u32_e64 s2, v52
	s_cbranch_execz .LBB388_135
; %bb.134:
	v_lshlrev_b32_e32 v51, 3, v52
	global_load_b64 v[51:52], v51, s[28:29]
	s_waitcnt vmcnt(0)
	v_cmp_neq_f64_e32 vcc_lo, 0, v[51:52]
	v_cndmask_b32_e64 v51, 0, 1, vcc_lo
.LBB388_135:
	s_or_b32 exec_lo, exec_lo, s3
	v_or_b32_e32 v52, 0x1900, v0
	s_mov_b32 s3, exec_lo
	s_delay_alu instid0(VALU_DEP_1)
	v_cmpx_gt_u32_e64 s2, v52
	s_cbranch_execz .LBB388_137
; %bb.136:
	v_lshlrev_b32_e32 v50, 3, v52
	global_load_b64 v[52:53], v50, s[28:29]
	s_waitcnt vmcnt(0)
	v_cmp_neq_f64_e32 vcc_lo, 0, v[52:53]
	v_cndmask_b32_e64 v50, 0, 1, vcc_lo
.LBB388_137:
	s_or_b32 exec_lo, exec_lo, s3
	v_or_b32_e32 v54, 0x1980, v0
	v_dual_mov_b32 v52, 0 :: v_dual_mov_b32 v53, 0
	s_mov_b32 s3, exec_lo
	s_delay_alu instid0(VALU_DEP_2)
	v_cmpx_gt_u32_e64 s2, v54
	s_cbranch_execz .LBB388_139
; %bb.138:
	v_lshlrev_b32_e32 v53, 3, v54
	global_load_b64 v[53:54], v53, s[28:29]
	s_waitcnt vmcnt(0)
	v_cmp_neq_f64_e32 vcc_lo, 0, v[53:54]
	v_cndmask_b32_e64 v53, 0, 1, vcc_lo
.LBB388_139:
	s_or_b32 exec_lo, exec_lo, s3
	v_or_b32_e32 v54, 0x1a00, v0
	s_mov_b32 s3, exec_lo
	s_delay_alu instid0(VALU_DEP_1)
	v_cmpx_gt_u32_e64 s2, v54
	s_cbranch_execz .LBB388_141
; %bb.140:
	v_lshlrev_b32_e32 v52, 3, v54
	global_load_b64 v[54:55], v52, s[28:29]
	s_waitcnt vmcnt(0)
	v_cmp_neq_f64_e32 vcc_lo, 0, v[54:55]
	v_cndmask_b32_e64 v52, 0, 1, vcc_lo
.LBB388_141:
	s_or_b32 exec_lo, exec_lo, s3
	v_or_b32_e32 v56, 0x1a80, v0
	v_dual_mov_b32 v54, 0 :: v_dual_mov_b32 v55, 0
	s_mov_b32 s3, exec_lo
	s_delay_alu instid0(VALU_DEP_2)
	v_cmpx_gt_u32_e64 s2, v56
	s_cbranch_execz .LBB388_143
; %bb.142:
	v_lshlrev_b32_e32 v55, 3, v56
	global_load_b64 v[55:56], v55, s[28:29]
	s_waitcnt vmcnt(0)
	v_cmp_neq_f64_e32 vcc_lo, 0, v[55:56]
	v_cndmask_b32_e64 v55, 0, 1, vcc_lo
.LBB388_143:
	s_or_b32 exec_lo, exec_lo, s3
	v_or_b32_e32 v56, 0x1b00, v0
	s_mov_b32 s3, exec_lo
	s_delay_alu instid0(VALU_DEP_1)
	v_cmpx_gt_u32_e64 s2, v56
	s_cbranch_execz .LBB388_145
; %bb.144:
	v_lshlrev_b32_e32 v54, 3, v56
	global_load_b64 v[56:57], v54, s[28:29]
	s_waitcnt vmcnt(0)
	v_cmp_neq_f64_e32 vcc_lo, 0, v[56:57]
	v_cndmask_b32_e64 v54, 0, 1, vcc_lo
.LBB388_145:
	s_or_b32 exec_lo, exec_lo, s3
	v_or_b32_e32 v58, 0x1b80, v0
	v_dual_mov_b32 v56, 0 :: v_dual_mov_b32 v57, 0
	s_mov_b32 s3, exec_lo
	s_delay_alu instid0(VALU_DEP_2)
	v_cmpx_gt_u32_e64 s2, v58
	s_cbranch_execz .LBB388_147
; %bb.146:
	v_lshlrev_b32_e32 v57, 3, v58
	global_load_b64 v[57:58], v57, s[28:29]
	s_waitcnt vmcnt(0)
	v_cmp_neq_f64_e32 vcc_lo, 0, v[57:58]
	v_cndmask_b32_e64 v57, 0, 1, vcc_lo
.LBB388_147:
	s_or_b32 exec_lo, exec_lo, s3
	v_or_b32_e32 v58, 0x1c00, v0
	s_mov_b32 s3, exec_lo
	s_delay_alu instid0(VALU_DEP_1)
	v_cmpx_gt_u32_e64 s2, v58
	s_cbranch_execz .LBB388_149
; %bb.148:
	v_lshlrev_b32_e32 v56, 3, v58
	global_load_b64 v[58:59], v56, s[28:29]
	s_waitcnt vmcnt(0)
	v_cmp_neq_f64_e32 vcc_lo, 0, v[58:59]
	v_cndmask_b32_e64 v56, 0, 1, vcc_lo
.LBB388_149:
	s_or_b32 exec_lo, exec_lo, s3
	v_or_b32_e32 v60, 0x1c80, v0
	v_dual_mov_b32 v58, 0 :: v_dual_mov_b32 v59, 0
	s_mov_b32 s3, exec_lo
	s_delay_alu instid0(VALU_DEP_2)
	v_cmpx_gt_u32_e64 s2, v60
	s_cbranch_execz .LBB388_151
; %bb.150:
	v_lshlrev_b32_e32 v59, 3, v60
	global_load_b64 v[59:60], v59, s[28:29]
	s_waitcnt vmcnt(0)
	v_cmp_neq_f64_e32 vcc_lo, 0, v[59:60]
	v_cndmask_b32_e64 v59, 0, 1, vcc_lo
.LBB388_151:
	s_or_b32 exec_lo, exec_lo, s3
	v_or_b32_e32 v60, 0x1d00, v0
	s_mov_b32 s3, exec_lo
	s_delay_alu instid0(VALU_DEP_1)
	v_cmpx_gt_u32_e64 s2, v60
	s_cbranch_execz .LBB388_153
; %bb.152:
	v_lshlrev_b32_e32 v58, 3, v60
	global_load_b64 v[60:61], v58, s[28:29]
	s_waitcnt vmcnt(0)
	v_cmp_neq_f64_e32 vcc_lo, 0, v[60:61]
	v_cndmask_b32_e64 v58, 0, 1, vcc_lo
.LBB388_153:
	s_or_b32 exec_lo, exec_lo, s3
	v_or_b32_e32 v62, 0x1d80, v0
	v_dual_mov_b32 v60, 0 :: v_dual_mov_b32 v61, 0
	s_mov_b32 s3, exec_lo
	s_delay_alu instid0(VALU_DEP_2)
	v_cmpx_gt_u32_e64 s2, v62
	s_cbranch_execz .LBB388_155
; %bb.154:
	v_lshlrev_b32_e32 v61, 3, v62
	global_load_b64 v[61:62], v61, s[28:29]
	s_waitcnt vmcnt(0)
	v_cmp_neq_f64_e32 vcc_lo, 0, v[61:62]
	v_cndmask_b32_e64 v61, 0, 1, vcc_lo
.LBB388_155:
	s_or_b32 exec_lo, exec_lo, s3
	v_or_b32_e32 v62, 0x1e00, v0
	s_mov_b32 s3, exec_lo
	s_delay_alu instid0(VALU_DEP_1)
	v_cmpx_gt_u32_e64 s2, v62
	s_cbranch_execz .LBB388_157
; %bb.156:
	v_lshlrev_b32_e32 v60, 3, v62
	global_load_b64 v[62:63], v60, s[28:29]
	s_waitcnt vmcnt(0)
	v_cmp_neq_f64_e32 vcc_lo, 0, v[62:63]
	v_cndmask_b32_e64 v60, 0, 1, vcc_lo
.LBB388_157:
	s_or_b32 exec_lo, exec_lo, s3
	v_or_b32_e32 v64, 0x1e80, v0
	v_dual_mov_b32 v62, 0 :: v_dual_mov_b32 v63, 0
	s_mov_b32 s3, exec_lo
	s_delay_alu instid0(VALU_DEP_2)
	v_cmpx_gt_u32_e64 s2, v64
	s_cbranch_execz .LBB388_159
; %bb.158:
	v_lshlrev_b32_e32 v63, 3, v64
	global_load_b64 v[63:64], v63, s[28:29]
	s_waitcnt vmcnt(0)
	v_cmp_neq_f64_e32 vcc_lo, 0, v[63:64]
	v_cndmask_b32_e64 v63, 0, 1, vcc_lo
.LBB388_159:
	s_or_b32 exec_lo, exec_lo, s3
	v_or_b32_e32 v64, 0x1f00, v0
	s_mov_b32 s3, exec_lo
	s_delay_alu instid0(VALU_DEP_1)
	v_cmpx_gt_u32_e64 s2, v64
	s_cbranch_execz .LBB388_161
; %bb.160:
	v_lshlrev_b32_e32 v62, 3, v64
	global_load_b64 v[64:65], v62, s[28:29]
	s_waitcnt vmcnt(0)
	v_cmp_neq_f64_e32 vcc_lo, 0, v[64:65]
	v_cndmask_b32_e64 v62, 0, 1, vcc_lo
.LBB388_161:
	s_or_b32 exec_lo, exec_lo, s3
	v_or_b32_e32 v66, 0x1f80, v0
	v_dual_mov_b32 v64, 0 :: v_dual_mov_b32 v65, 0
	s_mov_b32 s3, exec_lo
	s_delay_alu instid0(VALU_DEP_2)
	v_cmpx_gt_u32_e64 s2, v66
	s_cbranch_execz .LBB388_163
; %bb.162:
	v_lshlrev_b32_e32 v65, 3, v66
	global_load_b64 v[65:66], v65, s[28:29]
	s_waitcnt vmcnt(0)
	v_cmp_neq_f64_e32 vcc_lo, 0, v[65:66]
	v_cndmask_b32_e64 v65, 0, 1, vcc_lo
.LBB388_163:
	s_or_b32 exec_lo, exec_lo, s3
	v_or_b32_e32 v66, 0x2000, v0
	s_mov_b32 s3, exec_lo
	s_delay_alu instid0(VALU_DEP_1)
	v_cmpx_gt_u32_e64 s2, v66
	s_cbranch_execz .LBB388_165
; %bb.164:
	v_lshlrev_b32_e32 v64, 3, v66
	global_load_b64 v[66:67], v64, s[28:29]
	s_waitcnt vmcnt(0)
	v_cmp_neq_f64_e32 vcc_lo, 0, v[66:67]
	v_cndmask_b32_e64 v64, 0, 1, vcc_lo
.LBB388_165:
	s_or_b32 exec_lo, exec_lo, s3
	v_or_b32_e32 v68, 0x2080, v0
	v_dual_mov_b32 v66, 0 :: v_dual_mov_b32 v67, 0
	s_mov_b32 s3, exec_lo
	s_delay_alu instid0(VALU_DEP_2)
	v_cmpx_gt_u32_e64 s2, v68
	s_cbranch_execz .LBB388_167
; %bb.166:
	v_lshlrev_b32_e32 v67, 3, v68
	global_load_b64 v[67:68], v67, s[28:29]
	s_waitcnt vmcnt(0)
	v_cmp_neq_f64_e32 vcc_lo, 0, v[67:68]
	v_cndmask_b32_e64 v67, 0, 1, vcc_lo
.LBB388_167:
	s_or_b32 exec_lo, exec_lo, s3
	v_or_b32_e32 v68, 0x2100, v0
	s_mov_b32 s3, exec_lo
	s_delay_alu instid0(VALU_DEP_1)
	v_cmpx_gt_u32_e64 s2, v68
	s_cbranch_execz .LBB388_169
; %bb.168:
	v_lshlrev_b32_e32 v66, 3, v68
	global_load_b64 v[68:69], v66, s[28:29]
	s_waitcnt vmcnt(0)
	v_cmp_neq_f64_e32 vcc_lo, 0, v[68:69]
	v_cndmask_b32_e64 v66, 0, 1, vcc_lo
.LBB388_169:
	s_or_b32 exec_lo, exec_lo, s3
	v_or_b32_e32 v70, 0x2180, v0
	v_dual_mov_b32 v68, 0 :: v_dual_mov_b32 v69, 0
	s_mov_b32 s3, exec_lo
	s_delay_alu instid0(VALU_DEP_2)
	v_cmpx_gt_u32_e64 s2, v70
	s_cbranch_execz .LBB388_171
; %bb.170:
	v_lshlrev_b32_e32 v69, 3, v70
	global_load_b64 v[69:70], v69, s[28:29]
	s_waitcnt vmcnt(0)
	v_cmp_neq_f64_e32 vcc_lo, 0, v[69:70]
	v_cndmask_b32_e64 v69, 0, 1, vcc_lo
.LBB388_171:
	s_or_b32 exec_lo, exec_lo, s3
	v_or_b32_e32 v70, 0x2200, v0
	s_mov_b32 s3, exec_lo
	s_delay_alu instid0(VALU_DEP_1)
	v_cmpx_gt_u32_e64 s2, v70
	s_cbranch_execz .LBB388_173
; %bb.172:
	v_lshlrev_b32_e32 v68, 3, v70
	global_load_b64 v[70:71], v68, s[28:29]
	s_waitcnt vmcnt(0)
	v_cmp_neq_f64_e32 vcc_lo, 0, v[70:71]
	v_cndmask_b32_e64 v68, 0, 1, vcc_lo
.LBB388_173:
	s_or_b32 exec_lo, exec_lo, s3
	v_or_b32_e32 v72, 0x2280, v0
	v_dual_mov_b32 v70, 0 :: v_dual_mov_b32 v71, 0
	s_mov_b32 s3, exec_lo
	s_delay_alu instid0(VALU_DEP_2)
	v_cmpx_gt_u32_e64 s2, v72
	s_cbranch_execz .LBB388_175
; %bb.174:
	v_lshlrev_b32_e32 v71, 3, v72
	global_load_b64 v[71:72], v71, s[28:29]
	s_waitcnt vmcnt(0)
	v_cmp_neq_f64_e32 vcc_lo, 0, v[71:72]
	v_cndmask_b32_e64 v71, 0, 1, vcc_lo
.LBB388_175:
	s_or_b32 exec_lo, exec_lo, s3
	v_or_b32_e32 v72, 0x2300, v0
	s_mov_b32 s3, exec_lo
	s_delay_alu instid0(VALU_DEP_1)
	v_cmpx_gt_u32_e64 s2, v72
	s_cbranch_execz .LBB388_177
; %bb.176:
	v_lshlrev_b32_e32 v70, 3, v72
	global_load_b64 v[72:73], v70, s[28:29]
	s_waitcnt vmcnt(0)
	v_cmp_neq_f64_e32 vcc_lo, 0, v[72:73]
	v_cndmask_b32_e64 v70, 0, 1, vcc_lo
.LBB388_177:
	s_or_b32 exec_lo, exec_lo, s3
	v_or_b32_e32 v74, 0x2380, v0
	v_dual_mov_b32 v72, 0 :: v_dual_mov_b32 v73, 0
	s_mov_b32 s3, exec_lo
	s_delay_alu instid0(VALU_DEP_2)
	v_cmpx_gt_u32_e64 s2, v74
	s_cbranch_execz .LBB388_179
; %bb.178:
	v_lshlrev_b32_e32 v73, 3, v74
	global_load_b64 v[73:74], v73, s[28:29]
	s_waitcnt vmcnt(0)
	v_cmp_neq_f64_e32 vcc_lo, 0, v[73:74]
	v_cndmask_b32_e64 v73, 0, 1, vcc_lo
.LBB388_179:
	s_or_b32 exec_lo, exec_lo, s3
	v_or_b32_e32 v74, 0x2400, v0
	s_mov_b32 s3, exec_lo
	s_delay_alu instid0(VALU_DEP_1)
	v_cmpx_gt_u32_e64 s2, v74
	s_cbranch_execz .LBB388_181
; %bb.180:
	v_lshlrev_b32_e32 v72, 3, v74
	global_load_b64 v[74:75], v72, s[28:29]
	s_waitcnt vmcnt(0)
	v_cmp_neq_f64_e32 vcc_lo, 0, v[74:75]
	v_cndmask_b32_e64 v72, 0, 1, vcc_lo
.LBB388_181:
	s_or_b32 exec_lo, exec_lo, s3
	v_or_b32_e32 v76, 0x2480, v0
	v_dual_mov_b32 v74, 0 :: v_dual_mov_b32 v75, 0
	s_mov_b32 s3, exec_lo
	s_delay_alu instid0(VALU_DEP_2)
	v_cmpx_gt_u32_e64 s2, v76
	s_cbranch_execz .LBB388_183
; %bb.182:
	v_lshlrev_b32_e32 v75, 3, v76
	global_load_b64 v[75:76], v75, s[28:29]
	s_waitcnt vmcnt(0)
	v_cmp_neq_f64_e32 vcc_lo, 0, v[75:76]
	v_cndmask_b32_e64 v75, 0, 1, vcc_lo
.LBB388_183:
	s_or_b32 exec_lo, exec_lo, s3
	v_or_b32_e32 v76, 0x2500, v0
	s_mov_b32 s3, exec_lo
	s_delay_alu instid0(VALU_DEP_1)
	v_cmpx_gt_u32_e64 s2, v76
	s_cbranch_execz .LBB388_185
; %bb.184:
	v_lshlrev_b32_e32 v74, 3, v76
	global_load_b64 v[76:77], v74, s[28:29]
	s_waitcnt vmcnt(0)
	v_cmp_neq_f64_e32 vcc_lo, 0, v[76:77]
	v_cndmask_b32_e64 v74, 0, 1, vcc_lo
.LBB388_185:
	s_or_b32 exec_lo, exec_lo, s3
	v_or_b32_e32 v78, 0x2580, v0
	v_dual_mov_b32 v76, 0 :: v_dual_mov_b32 v77, 0
	s_mov_b32 s3, exec_lo
	s_delay_alu instid0(VALU_DEP_2)
	v_cmpx_gt_u32_e64 s2, v78
	s_cbranch_execz .LBB388_187
; %bb.186:
	v_lshlrev_b32_e32 v77, 3, v78
	global_load_b64 v[77:78], v77, s[28:29]
	s_waitcnt vmcnt(0)
	v_cmp_neq_f64_e32 vcc_lo, 0, v[77:78]
	v_cndmask_b32_e64 v77, 0, 1, vcc_lo
.LBB388_187:
	s_or_b32 exec_lo, exec_lo, s3
	v_or_b32_e32 v78, 0x2600, v0
	s_mov_b32 s3, exec_lo
	s_delay_alu instid0(VALU_DEP_1)
	v_cmpx_gt_u32_e64 s2, v78
	s_cbranch_execz .LBB388_189
; %bb.188:
	v_lshlrev_b32_e32 v76, 3, v78
	global_load_b64 v[78:79], v76, s[28:29]
	s_waitcnt vmcnt(0)
	v_cmp_neq_f64_e32 vcc_lo, 0, v[78:79]
	v_cndmask_b32_e64 v76, 0, 1, vcc_lo
.LBB388_189:
	s_or_b32 exec_lo, exec_lo, s3
	v_or_b32_e32 v80, 0x2680, v0
	v_dual_mov_b32 v78, 0 :: v_dual_mov_b32 v79, 0
	s_mov_b32 s3, exec_lo
	s_delay_alu instid0(VALU_DEP_2)
	v_cmpx_gt_u32_e64 s2, v80
	s_cbranch_execz .LBB388_191
; %bb.190:
	v_lshlrev_b32_e32 v79, 3, v80
	global_load_b64 v[79:80], v79, s[28:29]
	s_waitcnt vmcnt(0)
	v_cmp_neq_f64_e32 vcc_lo, 0, v[79:80]
	v_cndmask_b32_e64 v79, 0, 1, vcc_lo
.LBB388_191:
	s_or_b32 exec_lo, exec_lo, s3
	v_or_b32_e32 v80, 0x2700, v0
	s_mov_b32 s3, exec_lo
	s_delay_alu instid0(VALU_DEP_1)
	v_cmpx_gt_u32_e64 s2, v80
	s_cbranch_execz .LBB388_193
; %bb.192:
	v_lshlrev_b32_e32 v78, 3, v80
	global_load_b64 v[80:81], v78, s[28:29]
	s_waitcnt vmcnt(0)
	v_cmp_neq_f64_e32 vcc_lo, 0, v[80:81]
	v_cndmask_b32_e64 v78, 0, 1, vcc_lo
.LBB388_193:
	s_or_b32 exec_lo, exec_lo, s3
	v_or_b32_e32 v82, 0x2780, v0
	v_dual_mov_b32 v80, 0 :: v_dual_mov_b32 v81, 0
	s_mov_b32 s3, exec_lo
	s_delay_alu instid0(VALU_DEP_2)
	v_cmpx_gt_u32_e64 s2, v82
	s_cbranch_execz .LBB388_195
; %bb.194:
	v_lshlrev_b32_e32 v81, 3, v82
	global_load_b64 v[81:82], v81, s[28:29]
	s_waitcnt vmcnt(0)
	v_cmp_neq_f64_e32 vcc_lo, 0, v[81:82]
	v_cndmask_b32_e64 v81, 0, 1, vcc_lo
.LBB388_195:
	s_or_b32 exec_lo, exec_lo, s3
	v_or_b32_e32 v82, 0x2800, v0
	s_mov_b32 s3, exec_lo
	s_delay_alu instid0(VALU_DEP_1)
	v_cmpx_gt_u32_e64 s2, v82
	s_cbranch_execz .LBB388_197
; %bb.196:
	v_lshlrev_b32_e32 v80, 3, v82
	global_load_b64 v[82:83], v80, s[28:29]
	s_waitcnt vmcnt(0)
	v_cmp_neq_f64_e32 vcc_lo, 0, v[82:83]
	v_cndmask_b32_e64 v80, 0, 1, vcc_lo
.LBB388_197:
	s_or_b32 exec_lo, exec_lo, s3
	v_or_b32_e32 v84, 0x2880, v0
	v_dual_mov_b32 v82, 0 :: v_dual_mov_b32 v83, 0
	s_mov_b32 s3, exec_lo
	s_delay_alu instid0(VALU_DEP_2)
	v_cmpx_gt_u32_e64 s2, v84
	s_cbranch_execz .LBB388_199
; %bb.198:
	v_lshlrev_b32_e32 v83, 3, v84
	global_load_b64 v[83:84], v83, s[28:29]
	s_waitcnt vmcnt(0)
	v_cmp_neq_f64_e32 vcc_lo, 0, v[83:84]
	v_cndmask_b32_e64 v83, 0, 1, vcc_lo
.LBB388_199:
	s_or_b32 exec_lo, exec_lo, s3
	v_or_b32_e32 v84, 0x2900, v0
	s_mov_b32 s3, exec_lo
	s_delay_alu instid0(VALU_DEP_1)
	v_cmpx_gt_u32_e64 s2, v84
	s_cbranch_execz .LBB388_201
; %bb.200:
	v_lshlrev_b32_e32 v82, 3, v84
	global_load_b64 v[84:85], v82, s[28:29]
	s_waitcnt vmcnt(0)
	v_cmp_neq_f64_e32 vcc_lo, 0, v[84:85]
	v_cndmask_b32_e64 v82, 0, 1, vcc_lo
.LBB388_201:
	s_or_b32 exec_lo, exec_lo, s3
	v_or_b32_e32 v86, 0x2980, v0
	v_dual_mov_b32 v84, 0 :: v_dual_mov_b32 v85, 0
	s_mov_b32 s3, exec_lo
	s_delay_alu instid0(VALU_DEP_2)
	v_cmpx_gt_u32_e64 s2, v86
	s_cbranch_execz .LBB388_203
; %bb.202:
	v_lshlrev_b32_e32 v85, 3, v86
	global_load_b64 v[85:86], v85, s[28:29]
	s_waitcnt vmcnt(0)
	v_cmp_neq_f64_e32 vcc_lo, 0, v[85:86]
	v_cndmask_b32_e64 v85, 0, 1, vcc_lo
.LBB388_203:
	s_or_b32 exec_lo, exec_lo, s3
	v_or_b32_e32 v86, 0x2a00, v0
	s_mov_b32 s3, exec_lo
	s_delay_alu instid0(VALU_DEP_1)
	v_cmpx_gt_u32_e64 s2, v86
	s_cbranch_execz .LBB388_205
; %bb.204:
	v_lshlrev_b32_e32 v84, 3, v86
	global_load_b64 v[86:87], v84, s[28:29]
	s_waitcnt vmcnt(0)
	v_cmp_neq_f64_e32 vcc_lo, 0, v[86:87]
	v_cndmask_b32_e64 v84, 0, 1, vcc_lo
.LBB388_205:
	s_or_b32 exec_lo, exec_lo, s3
	v_or_b32_e32 v88, 0x2a80, v0
	v_dual_mov_b32 v86, 0 :: v_dual_mov_b32 v87, 0
	s_mov_b32 s3, exec_lo
	s_delay_alu instid0(VALU_DEP_2)
	v_cmpx_gt_u32_e64 s2, v88
	s_cbranch_execz .LBB388_207
; %bb.206:
	v_lshlrev_b32_e32 v87, 3, v88
	global_load_b64 v[87:88], v87, s[28:29]
	s_waitcnt vmcnt(0)
	v_cmp_neq_f64_e32 vcc_lo, 0, v[87:88]
	v_cndmask_b32_e64 v87, 0, 1, vcc_lo
.LBB388_207:
	s_or_b32 exec_lo, exec_lo, s3
	v_or_b32_e32 v88, 0x2b00, v0
	s_mov_b32 s3, exec_lo
	s_delay_alu instid0(VALU_DEP_1)
	v_cmpx_gt_u32_e64 s2, v88
	s_cbranch_execz .LBB388_209
; %bb.208:
	v_lshlrev_b32_e32 v86, 3, v88
	global_load_b64 v[88:89], v86, s[28:29]
	s_waitcnt vmcnt(0)
	v_cmp_neq_f64_e32 vcc_lo, 0, v[88:89]
	v_cndmask_b32_e64 v86, 0, 1, vcc_lo
.LBB388_209:
	s_or_b32 exec_lo, exec_lo, s3
	v_or_b32_e32 v90, 0x2b80, v0
	v_dual_mov_b32 v88, 0 :: v_dual_mov_b32 v89, 0
	s_mov_b32 s3, exec_lo
	s_delay_alu instid0(VALU_DEP_2)
	v_cmpx_gt_u32_e64 s2, v90
	s_cbranch_execz .LBB388_211
; %bb.210:
	v_lshlrev_b32_e32 v89, 3, v90
	global_load_b64 v[89:90], v89, s[28:29]
	s_waitcnt vmcnt(0)
	v_cmp_neq_f64_e32 vcc_lo, 0, v[89:90]
	v_cndmask_b32_e64 v89, 0, 1, vcc_lo
.LBB388_211:
	s_or_b32 exec_lo, exec_lo, s3
	v_or_b32_e32 v90, 0x2c00, v0
	s_mov_b32 s3, exec_lo
	s_delay_alu instid0(VALU_DEP_1)
	v_cmpx_gt_u32_e64 s2, v90
	s_cbranch_execz .LBB388_213
; %bb.212:
	v_lshlrev_b32_e32 v88, 3, v90
	global_load_b64 v[90:91], v88, s[28:29]
	s_waitcnt vmcnt(0)
	v_cmp_neq_f64_e32 vcc_lo, 0, v[90:91]
	v_cndmask_b32_e64 v88, 0, 1, vcc_lo
.LBB388_213:
	s_or_b32 exec_lo, exec_lo, s3
	v_or_b32_e32 v92, 0x2c80, v0
	v_dual_mov_b32 v90, 0 :: v_dual_mov_b32 v91, 0
	s_mov_b32 s3, exec_lo
	s_delay_alu instid0(VALU_DEP_2)
	v_cmpx_gt_u32_e64 s2, v92
	s_cbranch_execz .LBB388_215
; %bb.214:
	v_lshlrev_b32_e32 v91, 3, v92
	global_load_b64 v[91:92], v91, s[28:29]
	s_waitcnt vmcnt(0)
	v_cmp_neq_f64_e32 vcc_lo, 0, v[91:92]
	v_cndmask_b32_e64 v91, 0, 1, vcc_lo
.LBB388_215:
	s_or_b32 exec_lo, exec_lo, s3
	v_or_b32_e32 v92, 0x2d00, v0
	s_mov_b32 s3, exec_lo
	s_delay_alu instid0(VALU_DEP_1)
	v_cmpx_gt_u32_e64 s2, v92
	s_cbranch_execz .LBB388_217
; %bb.216:
	v_lshlrev_b32_e32 v90, 3, v92
	global_load_b64 v[92:93], v90, s[28:29]
	s_waitcnt vmcnt(0)
	v_cmp_neq_f64_e32 vcc_lo, 0, v[92:93]
	v_cndmask_b32_e64 v90, 0, 1, vcc_lo
.LBB388_217:
	s_or_b32 exec_lo, exec_lo, s3
	v_or_b32_e32 v94, 0x2d80, v0
	v_dual_mov_b32 v92, 0 :: v_dual_mov_b32 v93, 0
	s_mov_b32 s3, exec_lo
	s_delay_alu instid0(VALU_DEP_2)
	v_cmpx_gt_u32_e64 s2, v94
	s_cbranch_execz .LBB388_219
; %bb.218:
	v_lshlrev_b32_e32 v93, 3, v94
	global_load_b64 v[93:94], v93, s[28:29]
	s_waitcnt vmcnt(0)
	v_cmp_neq_f64_e32 vcc_lo, 0, v[93:94]
	v_cndmask_b32_e64 v93, 0, 1, vcc_lo
.LBB388_219:
	s_or_b32 exec_lo, exec_lo, s3
	v_or_b32_e32 v94, 0x2e00, v0
	s_mov_b32 s3, exec_lo
	s_delay_alu instid0(VALU_DEP_1)
	v_cmpx_gt_u32_e64 s2, v94
	s_cbranch_execz .LBB388_221
; %bb.220:
	v_lshlrev_b32_e32 v92, 3, v94
	global_load_b64 v[94:95], v92, s[28:29]
	s_waitcnt vmcnt(0)
	v_cmp_neq_f64_e32 vcc_lo, 0, v[94:95]
	v_cndmask_b32_e64 v92, 0, 1, vcc_lo
.LBB388_221:
	s_or_b32 exec_lo, exec_lo, s3
	v_or_b32_e32 v96, 0x2e80, v0
	v_dual_mov_b32 v94, 0 :: v_dual_mov_b32 v95, 0
	s_mov_b32 s3, exec_lo
	s_delay_alu instid0(VALU_DEP_2)
	v_cmpx_gt_u32_e64 s2, v96
	s_cbranch_execz .LBB388_223
; %bb.222:
	v_lshlrev_b32_e32 v95, 3, v96
	global_load_b64 v[95:96], v95, s[28:29]
	s_waitcnt vmcnt(0)
	v_cmp_neq_f64_e32 vcc_lo, 0, v[95:96]
	v_cndmask_b32_e64 v95, 0, 1, vcc_lo
.LBB388_223:
	s_or_b32 exec_lo, exec_lo, s3
	v_or_b32_e32 v96, 0x2f00, v0
	s_mov_b32 s3, exec_lo
	s_delay_alu instid0(VALU_DEP_1)
	v_cmpx_gt_u32_e64 s2, v96
	s_cbranch_execz .LBB388_225
; %bb.224:
	v_lshlrev_b32_e32 v94, 3, v96
	global_load_b64 v[96:97], v94, s[28:29]
	s_waitcnt vmcnt(0)
	v_cmp_neq_f64_e32 vcc_lo, 0, v[96:97]
	v_cndmask_b32_e64 v94, 0, 1, vcc_lo
.LBB388_225:
	s_or_b32 exec_lo, exec_lo, s3
	v_or_b32_e32 v98, 0x2f80, v0
	v_dual_mov_b32 v96, 0 :: v_dual_mov_b32 v97, 0
	s_mov_b32 s3, exec_lo
	s_delay_alu instid0(VALU_DEP_2)
	v_cmpx_gt_u32_e64 s2, v98
	s_cbranch_execz .LBB388_227
; %bb.226:
	v_lshlrev_b32_e32 v97, 3, v98
	global_load_b64 v[97:98], v97, s[28:29]
	s_waitcnt vmcnt(0)
	v_cmp_neq_f64_e32 vcc_lo, 0, v[97:98]
	v_cndmask_b32_e64 v97, 0, 1, vcc_lo
.LBB388_227:
	s_or_b32 exec_lo, exec_lo, s3
	v_or_b32_e32 v98, 0x3000, v0
	s_mov_b32 s3, exec_lo
	s_delay_alu instid0(VALU_DEP_1)
	v_cmpx_gt_u32_e64 s2, v98
	s_cbranch_execz .LBB388_229
; %bb.228:
	v_lshlrev_b32_e32 v96, 3, v98
	global_load_b64 v[98:99], v96, s[28:29]
	s_waitcnt vmcnt(0)
	v_cmp_neq_f64_e32 vcc_lo, 0, v[98:99]
	v_cndmask_b32_e64 v96, 0, 1, vcc_lo
.LBB388_229:
	s_or_b32 exec_lo, exec_lo, s3
	v_or_b32_e32 v100, 0x3080, v0
	v_dual_mov_b32 v98, 0 :: v_dual_mov_b32 v99, 0
	s_mov_b32 s3, exec_lo
	s_delay_alu instid0(VALU_DEP_2)
	v_cmpx_gt_u32_e64 s2, v100
	s_cbranch_execz .LBB388_231
; %bb.230:
	v_lshlrev_b32_e32 v99, 3, v100
	global_load_b64 v[99:100], v99, s[28:29]
	s_waitcnt vmcnt(0)
	v_cmp_neq_f64_e32 vcc_lo, 0, v[99:100]
	v_cndmask_b32_e64 v99, 0, 1, vcc_lo
.LBB388_231:
	s_or_b32 exec_lo, exec_lo, s3
	v_or_b32_e32 v100, 0x3100, v0
	s_mov_b32 s3, exec_lo
	s_delay_alu instid0(VALU_DEP_1)
	v_cmpx_gt_u32_e64 s2, v100
	s_cbranch_execz .LBB388_233
; %bb.232:
	v_lshlrev_b32_e32 v98, 3, v100
	global_load_b64 v[100:101], v98, s[28:29]
	s_waitcnt vmcnt(0)
	v_cmp_neq_f64_e32 vcc_lo, 0, v[100:101]
	v_cndmask_b32_e64 v98, 0, 1, vcc_lo
.LBB388_233:
	s_or_b32 exec_lo, exec_lo, s3
	v_or_b32_e32 v102, 0x3180, v0
	v_dual_mov_b32 v100, 0 :: v_dual_mov_b32 v101, 0
	s_mov_b32 s3, exec_lo
	s_delay_alu instid0(VALU_DEP_2)
	v_cmpx_gt_u32_e64 s2, v102
	s_cbranch_execz .LBB388_235
; %bb.234:
	v_lshlrev_b32_e32 v101, 3, v102
	global_load_b64 v[101:102], v101, s[28:29]
	s_waitcnt vmcnt(0)
	v_cmp_neq_f64_e32 vcc_lo, 0, v[101:102]
	v_cndmask_b32_e64 v101, 0, 1, vcc_lo
.LBB388_235:
	s_or_b32 exec_lo, exec_lo, s3
	v_or_b32_e32 v102, 0x3200, v0
	s_mov_b32 s3, exec_lo
	s_delay_alu instid0(VALU_DEP_1)
	v_cmpx_gt_u32_e64 s2, v102
	s_cbranch_execz .LBB388_237
; %bb.236:
	v_lshlrev_b32_e32 v100, 3, v102
	global_load_b64 v[102:103], v100, s[28:29]
	s_waitcnt vmcnt(0)
	v_cmp_neq_f64_e32 vcc_lo, 0, v[102:103]
	v_cndmask_b32_e64 v100, 0, 1, vcc_lo
.LBB388_237:
	s_or_b32 exec_lo, exec_lo, s3
	v_or_b32_e32 v104, 0x3280, v0
	v_dual_mov_b32 v102, 0 :: v_dual_mov_b32 v103, 0
	s_mov_b32 s3, exec_lo
	s_delay_alu instid0(VALU_DEP_2)
	v_cmpx_gt_u32_e64 s2, v104
	s_cbranch_execz .LBB388_239
; %bb.238:
	v_lshlrev_b32_e32 v103, 3, v104
	global_load_b64 v[103:104], v103, s[28:29]
	s_waitcnt vmcnt(0)
	v_cmp_neq_f64_e32 vcc_lo, 0, v[103:104]
	v_cndmask_b32_e64 v103, 0, 1, vcc_lo
.LBB388_239:
	s_or_b32 exec_lo, exec_lo, s3
	v_or_b32_e32 v104, 0x3300, v0
	s_mov_b32 s3, exec_lo
	s_delay_alu instid0(VALU_DEP_1)
	v_cmpx_gt_u32_e64 s2, v104
	s_cbranch_execz .LBB388_241
; %bb.240:
	v_lshlrev_b32_e32 v102, 3, v104
	global_load_b64 v[104:105], v102, s[28:29]
	s_waitcnt vmcnt(0)
	v_cmp_neq_f64_e32 vcc_lo, 0, v[104:105]
	v_cndmask_b32_e64 v102, 0, 1, vcc_lo
.LBB388_241:
	s_or_b32 exec_lo, exec_lo, s3
	v_or_b32_e32 v106, 0x3380, v0
	v_dual_mov_b32 v104, 0 :: v_dual_mov_b32 v105, 0
	s_mov_b32 s3, exec_lo
	s_delay_alu instid0(VALU_DEP_2)
	v_cmpx_gt_u32_e64 s2, v106
	s_cbranch_execz .LBB388_243
; %bb.242:
	v_lshlrev_b32_e32 v105, 3, v106
	global_load_b64 v[105:106], v105, s[28:29]
	s_waitcnt vmcnt(0)
	v_cmp_neq_f64_e32 vcc_lo, 0, v[105:106]
	v_cndmask_b32_e64 v105, 0, 1, vcc_lo
.LBB388_243:
	s_or_b32 exec_lo, exec_lo, s3
	v_or_b32_e32 v106, 0x3400, v0
	s_mov_b32 s3, exec_lo
	s_delay_alu instid0(VALU_DEP_1)
	v_cmpx_gt_u32_e64 s2, v106
	s_cbranch_execz .LBB388_245
; %bb.244:
	v_lshlrev_b32_e32 v104, 3, v106
	global_load_b64 v[106:107], v104, s[28:29]
	s_waitcnt vmcnt(0)
	v_cmp_neq_f64_e32 vcc_lo, 0, v[106:107]
	v_cndmask_b32_e64 v104, 0, 1, vcc_lo
.LBB388_245:
	s_or_b32 exec_lo, exec_lo, s3
	v_or_b32_e32 v108, 0x3480, v0
	v_dual_mov_b32 v106, 0 :: v_dual_mov_b32 v107, 0
	s_mov_b32 s3, exec_lo
	s_delay_alu instid0(VALU_DEP_2)
	v_cmpx_gt_u32_e64 s2, v108
	s_cbranch_execz .LBB388_247
; %bb.246:
	v_lshlrev_b32_e32 v107, 3, v108
	global_load_b64 v[107:108], v107, s[28:29]
	s_waitcnt vmcnt(0)
	v_cmp_neq_f64_e32 vcc_lo, 0, v[107:108]
	v_cndmask_b32_e64 v107, 0, 1, vcc_lo
.LBB388_247:
	s_or_b32 exec_lo, exec_lo, s3
	v_or_b32_e32 v108, 0x3500, v0
	s_mov_b32 s3, exec_lo
	s_delay_alu instid0(VALU_DEP_1)
	v_cmpx_gt_u32_e64 s2, v108
	s_cbranch_execz .LBB388_249
; %bb.248:
	v_lshlrev_b32_e32 v106, 3, v108
	global_load_b64 v[108:109], v106, s[28:29]
	s_waitcnt vmcnt(0)
	v_cmp_neq_f64_e32 vcc_lo, 0, v[108:109]
	v_cndmask_b32_e64 v106, 0, 1, vcc_lo
.LBB388_249:
	s_or_b32 exec_lo, exec_lo, s3
	v_or_b32_e32 v110, 0x3580, v0
	v_dual_mov_b32 v108, 0 :: v_dual_mov_b32 v109, 0
	s_mov_b32 s3, exec_lo
	s_delay_alu instid0(VALU_DEP_2)
	v_cmpx_gt_u32_e64 s2, v110
	s_cbranch_execz .LBB388_251
; %bb.250:
	v_lshlrev_b32_e32 v109, 3, v110
	global_load_b64 v[109:110], v109, s[28:29]
	s_waitcnt vmcnt(0)
	v_cmp_neq_f64_e32 vcc_lo, 0, v[109:110]
	v_cndmask_b32_e64 v109, 0, 1, vcc_lo
.LBB388_251:
	s_or_b32 exec_lo, exec_lo, s3
	v_or_b32_e32 v110, 0x3600, v0
	s_mov_b32 s3, exec_lo
	s_delay_alu instid0(VALU_DEP_1)
	v_cmpx_gt_u32_e64 s2, v110
	s_cbranch_execz .LBB388_253
; %bb.252:
	v_lshlrev_b32_e32 v108, 3, v110
	global_load_b64 v[110:111], v108, s[28:29]
	s_waitcnt vmcnt(0)
	v_cmp_neq_f64_e32 vcc_lo, 0, v[110:111]
	v_cndmask_b32_e64 v108, 0, 1, vcc_lo
.LBB388_253:
	s_or_b32 exec_lo, exec_lo, s3
	v_or_b32_e32 v112, 0x3680, v0
	v_dual_mov_b32 v110, 0 :: v_dual_mov_b32 v111, 0
	s_mov_b32 s3, exec_lo
	s_delay_alu instid0(VALU_DEP_2)
	v_cmpx_gt_u32_e64 s2, v112
	s_cbranch_execz .LBB388_255
; %bb.254:
	v_lshlrev_b32_e32 v111, 3, v112
	global_load_b64 v[111:112], v111, s[28:29]
	s_waitcnt vmcnt(0)
	v_cmp_neq_f64_e32 vcc_lo, 0, v[111:112]
	v_cndmask_b32_e64 v111, 0, 1, vcc_lo
.LBB388_255:
	s_or_b32 exec_lo, exec_lo, s3
	v_or_b32_e32 v112, 0x3700, v0
	s_mov_b32 s3, exec_lo
	s_delay_alu instid0(VALU_DEP_1)
	v_cmpx_gt_u32_e64 s2, v112
	s_cbranch_execz .LBB388_257
; %bb.256:
	v_lshlrev_b32_e32 v110, 3, v112
	global_load_b64 v[112:113], v110, s[28:29]
	s_waitcnt vmcnt(0)
	v_cmp_neq_f64_e32 vcc_lo, 0, v[112:113]
	v_cndmask_b32_e64 v110, 0, 1, vcc_lo
.LBB388_257:
	s_or_b32 exec_lo, exec_lo, s3
	v_or_b32_e32 v114, 0x3780, v0
	v_dual_mov_b32 v112, 0 :: v_dual_mov_b32 v113, 0
	s_mov_b32 s3, exec_lo
	s_delay_alu instid0(VALU_DEP_2)
	v_cmpx_gt_u32_e64 s2, v114
	s_cbranch_execz .LBB388_259
; %bb.258:
	v_lshlrev_b32_e32 v113, 3, v114
	global_load_b64 v[113:114], v113, s[28:29]
	s_waitcnt vmcnt(0)
	v_cmp_neq_f64_e32 vcc_lo, 0, v[113:114]
	v_cndmask_b32_e64 v113, 0, 1, vcc_lo
.LBB388_259:
	s_or_b32 exec_lo, exec_lo, s3
	v_or_b32_e32 v114, 0x3800, v0
	s_mov_b32 s3, exec_lo
	s_delay_alu instid0(VALU_DEP_1)
	v_cmpx_gt_u32_e64 s2, v114
	s_cbranch_execz .LBB388_261
; %bb.260:
	v_lshlrev_b32_e32 v112, 3, v114
	global_load_b64 v[114:115], v112, s[28:29]
	s_waitcnt vmcnt(0)
	v_cmp_neq_f64_e32 vcc_lo, 0, v[114:115]
	v_cndmask_b32_e64 v112, 0, 1, vcc_lo
.LBB388_261:
	s_or_b32 exec_lo, exec_lo, s3
	v_or_b32_e32 v116, 0x3880, v0
	v_dual_mov_b32 v114, 0 :: v_dual_mov_b32 v115, 0
	s_mov_b32 s3, exec_lo
	s_delay_alu instid0(VALU_DEP_2)
	v_cmpx_gt_u32_e64 s2, v116
	s_cbranch_execz .LBB388_263
; %bb.262:
	v_lshlrev_b32_e32 v115, 3, v116
	global_load_b64 v[115:116], v115, s[28:29]
	s_waitcnt vmcnt(0)
	v_cmp_neq_f64_e32 vcc_lo, 0, v[115:116]
	v_cndmask_b32_e64 v115, 0, 1, vcc_lo
.LBB388_263:
	s_or_b32 exec_lo, exec_lo, s3
	v_or_b32_e32 v116, 0x3900, v0
	s_mov_b32 s3, exec_lo
	s_delay_alu instid0(VALU_DEP_1)
	v_cmpx_gt_u32_e64 s2, v116
	s_cbranch_execz .LBB388_265
; %bb.264:
	v_lshlrev_b32_e32 v114, 3, v116
	global_load_b64 v[116:117], v114, s[28:29]
	s_waitcnt vmcnt(0)
	v_cmp_neq_f64_e32 vcc_lo, 0, v[116:117]
	v_cndmask_b32_e64 v114, 0, 1, vcc_lo
.LBB388_265:
	s_or_b32 exec_lo, exec_lo, s3
	v_or_b32_e32 v118, 0x3980, v0
	v_dual_mov_b32 v116, 0 :: v_dual_mov_b32 v117, 0
	s_mov_b32 s3, exec_lo
	s_delay_alu instid0(VALU_DEP_2)
	v_cmpx_gt_u32_e64 s2, v118
	s_cbranch_execz .LBB388_267
; %bb.266:
	v_lshlrev_b32_e32 v117, 3, v118
	global_load_b64 v[117:118], v117, s[28:29]
	s_waitcnt vmcnt(0)
	v_cmp_neq_f64_e32 vcc_lo, 0, v[117:118]
	v_cndmask_b32_e64 v117, 0, 1, vcc_lo
.LBB388_267:
	s_or_b32 exec_lo, exec_lo, s3
	v_or_b32_e32 v118, 0x3a00, v0
	s_mov_b32 s3, exec_lo
	s_delay_alu instid0(VALU_DEP_1)
	v_cmpx_gt_u32_e64 s2, v118
	s_cbranch_execz .LBB388_269
; %bb.268:
	v_lshlrev_b32_e32 v116, 3, v118
	global_load_b64 v[118:119], v116, s[28:29]
	s_waitcnt vmcnt(0)
	v_cmp_neq_f64_e32 vcc_lo, 0, v[118:119]
	v_cndmask_b32_e64 v116, 0, 1, vcc_lo
.LBB388_269:
	s_or_b32 exec_lo, exec_lo, s3
	v_or_b32_e32 v120, 0x3a80, v0
	v_dual_mov_b32 v118, 0 :: v_dual_mov_b32 v119, 0
	s_mov_b32 s3, exec_lo
	s_delay_alu instid0(VALU_DEP_2)
	v_cmpx_gt_u32_e64 s2, v120
	s_cbranch_execz .LBB388_271
; %bb.270:
	v_lshlrev_b32_e32 v119, 3, v120
	global_load_b64 v[119:120], v119, s[28:29]
	s_waitcnt vmcnt(0)
	v_cmp_neq_f64_e32 vcc_lo, 0, v[119:120]
	v_cndmask_b32_e64 v119, 0, 1, vcc_lo
.LBB388_271:
	s_or_b32 exec_lo, exec_lo, s3
	v_or_b32_e32 v120, 0x3b00, v0
	s_mov_b32 s3, exec_lo
	s_delay_alu instid0(VALU_DEP_1)
	v_cmpx_gt_u32_e64 s2, v120
	s_cbranch_execz .LBB388_273
; %bb.272:
	v_lshlrev_b32_e32 v118, 3, v120
	global_load_b64 v[120:121], v118, s[28:29]
	s_waitcnt vmcnt(0)
	v_cmp_neq_f64_e32 vcc_lo, 0, v[120:121]
	v_cndmask_b32_e64 v118, 0, 1, vcc_lo
.LBB388_273:
	s_or_b32 exec_lo, exec_lo, s3
	v_or_b32_e32 v122, 0x3b80, v0
	v_dual_mov_b32 v120, 0 :: v_dual_mov_b32 v121, 0
	s_mov_b32 s3, exec_lo
	s_delay_alu instid0(VALU_DEP_2)
	v_cmpx_gt_u32_e64 s2, v122
	s_cbranch_execz .LBB388_275
; %bb.274:
	v_lshlrev_b32_e32 v121, 3, v122
	global_load_b64 v[121:122], v121, s[28:29]
	s_waitcnt vmcnt(0)
	v_cmp_neq_f64_e32 vcc_lo, 0, v[121:122]
	v_cndmask_b32_e64 v121, 0, 1, vcc_lo
.LBB388_275:
	s_or_b32 exec_lo, exec_lo, s3
	v_or_b32_e32 v122, 0x3c00, v0
	s_mov_b32 s3, exec_lo
	s_delay_alu instid0(VALU_DEP_1)
	v_cmpx_gt_u32_e64 s2, v122
	s_cbranch_execz .LBB388_277
; %bb.276:
	v_lshlrev_b32_e32 v120, 3, v122
	global_load_b64 v[122:123], v120, s[28:29]
	s_waitcnt vmcnt(0)
	v_cmp_neq_f64_e32 vcc_lo, 0, v[122:123]
	v_cndmask_b32_e64 v120, 0, 1, vcc_lo
.LBB388_277:
	s_or_b32 exec_lo, exec_lo, s3
	v_or_b32_e32 v124, 0x3c80, v0
	v_dual_mov_b32 v122, 0 :: v_dual_mov_b32 v123, 0
	s_mov_b32 s3, exec_lo
	s_delay_alu instid0(VALU_DEP_2)
	v_cmpx_gt_u32_e64 s2, v124
	s_cbranch_execz .LBB388_279
; %bb.278:
	v_lshlrev_b32_e32 v123, 3, v124
	global_load_b64 v[123:124], v123, s[28:29]
	s_waitcnt vmcnt(0)
	v_cmp_neq_f64_e32 vcc_lo, 0, v[123:124]
	v_cndmask_b32_e64 v123, 0, 1, vcc_lo
.LBB388_279:
	s_or_b32 exec_lo, exec_lo, s3
	v_or_b32_e32 v124, 0x3d00, v0
	s_mov_b32 s3, exec_lo
	s_delay_alu instid0(VALU_DEP_1)
	v_cmpx_gt_u32_e64 s2, v124
	s_cbranch_execz .LBB388_281
; %bb.280:
	v_lshlrev_b32_e32 v122, 3, v124
	global_load_b64 v[124:125], v122, s[28:29]
	s_waitcnt vmcnt(0)
	v_cmp_neq_f64_e32 vcc_lo, 0, v[124:125]
	v_cndmask_b32_e64 v122, 0, 1, vcc_lo
.LBB388_281:
	s_or_b32 exec_lo, exec_lo, s3
	v_or_b32_e32 v126, 0x3d80, v0
	v_dual_mov_b32 v124, 0 :: v_dual_mov_b32 v125, 0
	s_mov_b32 s3, exec_lo
	s_delay_alu instid0(VALU_DEP_2)
	v_cmpx_gt_u32_e64 s2, v126
	s_cbranch_execz .LBB388_283
; %bb.282:
	v_lshlrev_b32_e32 v125, 3, v126
	global_load_b64 v[125:126], v125, s[28:29]
	s_waitcnt vmcnt(0)
	v_cmp_neq_f64_e32 vcc_lo, 0, v[125:126]
	v_cndmask_b32_e64 v125, 0, 1, vcc_lo
.LBB388_283:
	s_or_b32 exec_lo, exec_lo, s3
	v_or_b32_e32 v126, 0x3e00, v0
	s_mov_b32 s3, exec_lo
	s_delay_alu instid0(VALU_DEP_1)
	v_cmpx_gt_u32_e64 s2, v126
	s_cbranch_execz .LBB388_285
; %bb.284:
	v_lshlrev_b32_e32 v124, 3, v126
	global_load_b64 v[126:127], v124, s[28:29]
	s_waitcnt vmcnt(0)
	v_cmp_neq_f64_e32 vcc_lo, 0, v[126:127]
	v_cndmask_b32_e64 v124, 0, 1, vcc_lo
.LBB388_285:
	s_or_b32 exec_lo, exec_lo, s3
	v_or_b32_e32 v128, 0x3e80, v0
	v_dual_mov_b32 v126, 0 :: v_dual_mov_b32 v127, 0
	s_mov_b32 s3, exec_lo
	s_delay_alu instid0(VALU_DEP_2)
	v_cmpx_gt_u32_e64 s2, v128
	s_cbranch_execz .LBB388_287
; %bb.286:
	v_lshlrev_b32_e32 v127, 3, v128
	global_load_b64 v[127:128], v127, s[28:29]
	s_waitcnt vmcnt(0)
	v_cmp_neq_f64_e32 vcc_lo, 0, v[127:128]
	v_cndmask_b32_e64 v127, 0, 1, vcc_lo
.LBB388_287:
	s_or_b32 exec_lo, exec_lo, s3
	v_or_b32_e32 v128, 0x3f00, v0
	s_mov_b32 s3, exec_lo
	s_delay_alu instid0(VALU_DEP_1)
	v_cmpx_gt_u32_e64 s2, v128
	s_cbranch_execz .LBB388_289
; %bb.288:
	v_lshlrev_b32_e32 v126, 3, v128
	global_load_b64 v[128:129], v126, s[28:29]
	s_waitcnt vmcnt(0)
	v_cmp_neq_f64_e32 vcc_lo, 0, v[128:129]
	v_cndmask_b32_e64 v126, 0, 1, vcc_lo
.LBB388_289:
	s_or_b32 exec_lo, exec_lo, s3
	v_or_b32_e32 v129, 0x3f80, v0
	v_mov_b32_e32 v128, 0
	s_mov_b32 s3, exec_lo
	s_delay_alu instid0(VALU_DEP_2)
	v_cmpx_gt_u32_e64 s2, v129
	s_cbranch_execz .LBB388_291
; %bb.290:
	v_lshlrev_b32_e32 v128, 3, v129
	global_load_b64 v[128:129], v128, s[28:29]
	s_waitcnt vmcnt(0)
	v_cmp_neq_f64_e32 vcc_lo, 0, v[128:129]
	v_cndmask_b32_e64 v128, 0, 1, vcc_lo
.LBB388_291:
	s_or_b32 exec_lo, exec_lo, s3
	v_add_nc_u32_e32 v1, v3, v1
	s_min_u32 s2, s2, 0x80
	s_mov_b32 s3, exec_lo
	s_delay_alu instid0(VALU_DEP_1) | instskip(SKIP_1) | instid1(VALU_DEP_2)
	v_add3_u32 v1, v1, v2, v5
	v_mbcnt_lo_u32_b32 v2, -1, 0
	v_add3_u32 v1, v1, v4, v7
	s_delay_alu instid0(VALU_DEP_2) | instskip(NEXT) | instid1(VALU_DEP_2)
	v_cmp_ne_u32_e32 vcc_lo, 31, v2
	v_add3_u32 v1, v1, v6, v9
	v_add_co_ci_u32_e32 v3, vcc_lo, 0, v2, vcc_lo
	v_cmp_gt_u32_e32 vcc_lo, 30, v2
	v_add_nc_u32_e32 v6, 1, v2
	s_delay_alu instid0(VALU_DEP_4) | instskip(NEXT) | instid1(VALU_DEP_4)
	v_add3_u32 v1, v1, v8, v11
	v_lshlrev_b32_e32 v3, 2, v3
	v_cndmask_b32_e64 v5, 0, 1, vcc_lo
	s_delay_alu instid0(VALU_DEP_3) | instskip(NEXT) | instid1(VALU_DEP_2)
	v_add3_u32 v1, v1, v10, v13
	v_lshlrev_b32_e32 v5, 1, v5
	s_delay_alu instid0(VALU_DEP_2) | instskip(NEXT) | instid1(VALU_DEP_2)
	v_add3_u32 v1, v1, v12, v15
	v_add_lshl_u32 v5, v5, v2, 2
	s_delay_alu instid0(VALU_DEP_2) | instskip(NEXT) | instid1(VALU_DEP_1)
	v_add3_u32 v1, v1, v14, v17
	v_add3_u32 v1, v1, v16, v19
	s_delay_alu instid0(VALU_DEP_1) | instskip(NEXT) | instid1(VALU_DEP_1)
	v_add3_u32 v1, v1, v18, v21
	v_add3_u32 v1, v1, v20, v23
	s_delay_alu instid0(VALU_DEP_1) | instskip(NEXT) | instid1(VALU_DEP_1)
	;; [unrolled: 3-line block ×27, first 2 shown]
	v_add3_u32 v1, v1, v122, v125
	v_add3_u32 v1, v1, v124, v127
	s_delay_alu instid0(VALU_DEP_1) | instskip(SKIP_2) | instid1(VALU_DEP_1)
	v_add3_u32 v1, v1, v126, v128
	ds_bpermute_b32 v3, v3, v1
	v_and_b32_e32 v4, 0x60, v0
	v_sub_nc_u32_e64 v4, s2, v4 clamp
	s_delay_alu instid0(VALU_DEP_1) | instskip(SKIP_3) | instid1(VALU_DEP_2)
	v_cmp_lt_u32_e32 vcc_lo, v6, v4
	s_waitcnt lgkmcnt(0)
	v_dual_cndmask_b32 v3, 0, v3 :: v_dual_add_nc_u32 v6, 2, v2
	v_cmp_gt_u32_e32 vcc_lo, 28, v2
	v_add_nc_u32_e32 v1, v3, v1
	ds_bpermute_b32 v3, v5, v1
	v_cndmask_b32_e64 v5, 0, 1, vcc_lo
	v_cmp_lt_u32_e32 vcc_lo, v6, v4
	v_add_nc_u32_e32 v6, 4, v2
	s_delay_alu instid0(VALU_DEP_3) | instskip(NEXT) | instid1(VALU_DEP_1)
	v_lshlrev_b32_e32 v5, 2, v5
	v_add_lshl_u32 v5, v5, v2, 2
	s_waitcnt lgkmcnt(0)
	v_cndmask_b32_e32 v3, 0, v3, vcc_lo
	v_cmp_gt_u32_e32 vcc_lo, 24, v2
	s_delay_alu instid0(VALU_DEP_2) | instskip(SKIP_4) | instid1(VALU_DEP_3)
	v_add_nc_u32_e32 v1, v1, v3
	ds_bpermute_b32 v3, v5, v1
	v_cndmask_b32_e64 v5, 0, 1, vcc_lo
	v_cmp_lt_u32_e32 vcc_lo, v6, v4
	v_add_nc_u32_e32 v6, 8, v2
	v_lshlrev_b32_e32 v5, 3, v5
	s_delay_alu instid0(VALU_DEP_1) | instskip(SKIP_3) | instid1(VALU_DEP_2)
	v_add_lshl_u32 v5, v5, v2, 2
	s_waitcnt lgkmcnt(0)
	v_cndmask_b32_e32 v3, 0, v3, vcc_lo
	v_cmp_gt_u32_e32 vcc_lo, 16, v2
	v_add_nc_u32_e32 v1, v1, v3
	ds_bpermute_b32 v3, v5, v1
	v_cndmask_b32_e64 v5, 0, 1, vcc_lo
	v_cmp_lt_u32_e32 vcc_lo, v6, v4
	s_delay_alu instid0(VALU_DEP_2) | instskip(NEXT) | instid1(VALU_DEP_1)
	v_lshlrev_b32_e32 v5, 4, v5
	v_add_lshl_u32 v5, v5, v2, 2
	s_waitcnt lgkmcnt(0)
	v_cndmask_b32_e32 v3, 0, v3, vcc_lo
	s_delay_alu instid0(VALU_DEP_1) | instskip(SKIP_2) | instid1(VALU_DEP_1)
	v_add_nc_u32_e32 v1, v1, v3
	ds_bpermute_b32 v3, v5, v1
	v_add_nc_u32_e32 v5, 16, v2
	v_cmp_lt_u32_e32 vcc_lo, v5, v4
	s_waitcnt lgkmcnt(0)
	v_cndmask_b32_e32 v3, 0, v3, vcc_lo
	s_delay_alu instid0(VALU_DEP_1)
	v_add_nc_u32_e32 v1, v1, v3
	v_cmpx_eq_u32_e32 0, v2
	s_cbranch_execz .LBB388_293
; %bb.292:
	v_lshrrev_b32_e32 v3, 3, v0
	s_delay_alu instid0(VALU_DEP_1)
	v_and_b32_e32 v3, 12, v3
	ds_store_b32 v3, v1 offset:128
.LBB388_293:
	s_or_b32 exec_lo, exec_lo, s3
	s_delay_alu instid0(SALU_CYCLE_1)
	s_mov_b32 s3, exec_lo
	s_waitcnt lgkmcnt(0)
	s_barrier
	buffer_gl0_inv
	v_cmpx_gt_u32_e32 4, v0
	s_cbranch_execz .LBB388_295
; %bb.294:
	v_and_b32_e32 v3, 3, v2
	s_add_i32 s2, s2, 31
	s_delay_alu instid0(SALU_CYCLE_1) | instskip(NEXT) | instid1(VALU_DEP_1)
	s_lshr_b32 s2, s2, 5
	v_cmp_ne_u32_e32 vcc_lo, 3, v3
	v_add_nc_u32_e32 v5, 1, v3
	v_add_co_ci_u32_e32 v4, vcc_lo, 0, v2, vcc_lo
	v_cmp_gt_u32_e32 vcc_lo, 2, v3
	v_add_nc_u32_e32 v3, 2, v3
	s_delay_alu instid0(VALU_DEP_3) | instskip(SKIP_3) | instid1(VALU_DEP_3)
	v_lshlrev_b32_e32 v4, 2, v4
	v_cndmask_b32_e64 v6, 0, 1, vcc_lo
	v_cmp_gt_u32_e32 vcc_lo, s2, v5
	v_lshlrev_b32_e32 v1, 2, v2
	v_lshlrev_b32_e32 v5, 1, v6
	ds_load_b32 v1, v1 offset:128
	v_add_lshl_u32 v2, v5, v2, 2
	s_waitcnt lgkmcnt(0)
	ds_bpermute_b32 v4, v4, v1
	s_waitcnt lgkmcnt(0)
	v_cndmask_b32_e32 v4, 0, v4, vcc_lo
	v_cmp_gt_u32_e32 vcc_lo, s2, v3
	s_delay_alu instid0(VALU_DEP_2) | instskip(SKIP_3) | instid1(VALU_DEP_1)
	v_add_nc_u32_e32 v1, v4, v1
	ds_bpermute_b32 v2, v2, v1
	s_waitcnt lgkmcnt(0)
	v_cndmask_b32_e32 v2, 0, v2, vcc_lo
	v_add_nc_u32_e32 v1, v1, v2
.LBB388_295:
	s_or_b32 exec_lo, exec_lo, s3
	v_cmp_eq_u32_e64 s2, 0, v0
	s_and_b32 vcc_lo, exec_lo, s33
	s_cbranch_vccnz .LBB388_24
	s_branch .LBB388_11
.LBB388_296:
	s_mov_b32 s5, -1
                                        ; implicit-def: $vgpr1
.LBB388_297:
	s_delay_alu instid0(SALU_CYCLE_1)
	s_and_b32 vcc_lo, exec_lo, s5
	s_cbranch_vccz .LBB388_367
; %bb.298:
	s_sub_i32 s4, s20, s4
	s_mov_b32 s5, exec_lo
                                        ; implicit-def: $vgpr1
	v_cmpx_gt_u32_e64 s4, v0
	s_cbranch_execz .LBB388_300
; %bb.299:
	v_lshlrev_b32_e32 v1, 3, v0
	global_load_b64 v[1:2], v1, s[2:3]
	s_waitcnt vmcnt(0)
	v_cmp_neq_f64_e32 vcc_lo, 0, v[1:2]
	v_cndmask_b32_e64 v1, 0, 1, vcc_lo
.LBB388_300:
	s_or_b32 exec_lo, exec_lo, s5
	v_or_b32_e32 v3, 0x80, v0
	v_mov_b32_e32 v2, 0
	s_delay_alu instid0(VALU_DEP_2)
	v_cmp_gt_u32_e32 vcc_lo, s4, v3
	v_mov_b32_e32 v3, 0
	s_and_saveexec_b32 s5, vcc_lo
	s_cbranch_execz .LBB388_302
; %bb.301:
	v_lshlrev_b32_e32 v3, 3, v0
	global_load_b64 v[3:4], v3, s[2:3] offset:1024
	s_waitcnt vmcnt(0)
	v_cmp_neq_f64_e32 vcc_lo, 0, v[3:4]
	v_cndmask_b32_e64 v3, 0, 1, vcc_lo
.LBB388_302:
	s_or_b32 exec_lo, exec_lo, s5
	v_or_b32_e32 v4, 0x100, v0
	s_mov_b32 s5, exec_lo
	s_delay_alu instid0(VALU_DEP_1)
	v_cmpx_gt_u32_e64 s4, v4
	s_cbranch_execz .LBB388_304
; %bb.303:
	v_lshlrev_b32_e32 v2, 3, v0
	global_load_b64 v[4:5], v2, s[2:3] offset:2048
	s_waitcnt vmcnt(0)
	v_cmp_neq_f64_e32 vcc_lo, 0, v[4:5]
	v_cndmask_b32_e64 v2, 0, 1, vcc_lo
.LBB388_304:
	s_or_b32 exec_lo, exec_lo, s5
	v_or_b32_e32 v5, 0x180, v0
	v_mov_b32_e32 v4, 0
	s_delay_alu instid0(VALU_DEP_2)
	v_cmp_gt_u32_e32 vcc_lo, s4, v5
	v_mov_b32_e32 v5, 0
	s_and_saveexec_b32 s5, vcc_lo
	s_cbranch_execz .LBB388_306
; %bb.305:
	v_lshlrev_b32_e32 v5, 3, v0
	global_load_b64 v[5:6], v5, s[2:3] offset:3072
	s_waitcnt vmcnt(0)
	v_cmp_neq_f64_e32 vcc_lo, 0, v[5:6]
	v_cndmask_b32_e64 v5, 0, 1, vcc_lo
.LBB388_306:
	s_or_b32 exec_lo, exec_lo, s5
	v_or_b32_e32 v6, 0x200, v0
	s_mov_b32 s5, exec_lo
	s_delay_alu instid0(VALU_DEP_1)
	v_cmpx_gt_u32_e64 s4, v6
	s_cbranch_execz .LBB388_308
; %bb.307:
	v_lshlrev_b32_e32 v4, 3, v6
	global_load_b64 v[6:7], v4, s[2:3]
	s_waitcnt vmcnt(0)
	v_cmp_neq_f64_e32 vcc_lo, 0, v[6:7]
	v_cndmask_b32_e64 v4, 0, 1, vcc_lo
.LBB388_308:
	s_or_b32 exec_lo, exec_lo, s5
	v_or_b32_e32 v8, 0x280, v0
	v_dual_mov_b32 v6, 0 :: v_dual_mov_b32 v7, 0
	s_mov_b32 s5, exec_lo
	s_delay_alu instid0(VALU_DEP_2)
	v_cmpx_gt_u32_e64 s4, v8
	s_cbranch_execz .LBB388_310
; %bb.309:
	v_lshlrev_b32_e32 v7, 3, v8
	global_load_b64 v[7:8], v7, s[2:3]
	s_waitcnt vmcnt(0)
	v_cmp_neq_f64_e32 vcc_lo, 0, v[7:8]
	v_cndmask_b32_e64 v7, 0, 1, vcc_lo
.LBB388_310:
	s_or_b32 exec_lo, exec_lo, s5
	v_or_b32_e32 v8, 0x300, v0
	s_mov_b32 s5, exec_lo
	s_delay_alu instid0(VALU_DEP_1)
	v_cmpx_gt_u32_e64 s4, v8
	s_cbranch_execz .LBB388_312
; %bb.311:
	v_lshlrev_b32_e32 v6, 3, v8
	global_load_b64 v[8:9], v6, s[2:3]
	s_waitcnt vmcnt(0)
	v_cmp_neq_f64_e32 vcc_lo, 0, v[8:9]
	v_cndmask_b32_e64 v6, 0, 1, vcc_lo
.LBB388_312:
	s_or_b32 exec_lo, exec_lo, s5
	v_or_b32_e32 v10, 0x380, v0
	v_dual_mov_b32 v8, 0 :: v_dual_mov_b32 v9, 0
	s_mov_b32 s5, exec_lo
	s_delay_alu instid0(VALU_DEP_2)
	v_cmpx_gt_u32_e64 s4, v10
	s_cbranch_execz .LBB388_314
; %bb.313:
	v_lshlrev_b32_e32 v9, 3, v10
	global_load_b64 v[9:10], v9, s[2:3]
	s_waitcnt vmcnt(0)
	v_cmp_neq_f64_e32 vcc_lo, 0, v[9:10]
	v_cndmask_b32_e64 v9, 0, 1, vcc_lo
.LBB388_314:
	;; [unrolled: 27-line block ×13, first 2 shown]
	s_or_b32 exec_lo, exec_lo, s5
	v_or_b32_e32 v32, 0xf00, v0
	s_mov_b32 s5, exec_lo
	s_delay_alu instid0(VALU_DEP_1)
	v_cmpx_gt_u32_e64 s4, v32
	s_cbranch_execz .LBB388_360
; %bb.359:
	v_lshlrev_b32_e32 v30, 3, v32
	global_load_b64 v[32:33], v30, s[2:3]
	s_waitcnt vmcnt(0)
	v_cmp_neq_f64_e32 vcc_lo, 0, v[32:33]
	v_cndmask_b32_e64 v30, 0, 1, vcc_lo
.LBB388_360:
	s_or_b32 exec_lo, exec_lo, s5
	v_or_b32_e32 v33, 0xf80, v0
	v_mov_b32_e32 v32, 0
	s_mov_b32 s5, exec_lo
	s_delay_alu instid0(VALU_DEP_2)
	v_cmpx_gt_u32_e64 s4, v33
	s_cbranch_execz .LBB388_362
; %bb.361:
	v_lshlrev_b32_e32 v32, 3, v33
	global_load_b64 v[32:33], v32, s[2:3]
	s_waitcnt vmcnt(0)
	v_cmp_neq_f64_e32 vcc_lo, 0, v[32:33]
	v_cndmask_b32_e64 v32, 0, 1, vcc_lo
.LBB388_362:
	s_or_b32 exec_lo, exec_lo, s5
	v_add_nc_u32_e32 v1, v3, v1
	s_min_u32 s2, s4, 0x80
	s_mov_b32 s3, exec_lo
	s_delay_alu instid0(VALU_DEP_1) | instskip(SKIP_1) | instid1(VALU_DEP_2)
	v_add3_u32 v1, v1, v2, v5
	v_mbcnt_lo_u32_b32 v2, -1, 0
	v_add3_u32 v1, v1, v4, v7
	s_delay_alu instid0(VALU_DEP_2) | instskip(NEXT) | instid1(VALU_DEP_2)
	v_cmp_ne_u32_e32 vcc_lo, 31, v2
	v_add3_u32 v1, v1, v6, v9
	v_add_co_ci_u32_e32 v3, vcc_lo, 0, v2, vcc_lo
	v_cmp_gt_u32_e32 vcc_lo, 30, v2
	v_add_nc_u32_e32 v6, 1, v2
	s_delay_alu instid0(VALU_DEP_4) | instskip(NEXT) | instid1(VALU_DEP_4)
	v_add3_u32 v1, v1, v8, v11
	v_lshlrev_b32_e32 v3, 2, v3
	v_cndmask_b32_e64 v5, 0, 1, vcc_lo
	s_delay_alu instid0(VALU_DEP_3) | instskip(NEXT) | instid1(VALU_DEP_2)
	v_add3_u32 v1, v1, v10, v13
	v_lshlrev_b32_e32 v5, 1, v5
	s_delay_alu instid0(VALU_DEP_2) | instskip(NEXT) | instid1(VALU_DEP_2)
	v_add3_u32 v1, v1, v12, v15
	v_add_lshl_u32 v5, v5, v2, 2
	s_delay_alu instid0(VALU_DEP_2) | instskip(NEXT) | instid1(VALU_DEP_1)
	v_add3_u32 v1, v1, v14, v17
	v_add3_u32 v1, v1, v16, v19
	s_delay_alu instid0(VALU_DEP_1) | instskip(NEXT) | instid1(VALU_DEP_1)
	v_add3_u32 v1, v1, v18, v21
	v_add3_u32 v1, v1, v20, v23
	s_delay_alu instid0(VALU_DEP_1) | instskip(NEXT) | instid1(VALU_DEP_1)
	;; [unrolled: 3-line block ×3, first 2 shown]
	v_add3_u32 v1, v1, v26, v29
	v_add3_u32 v1, v1, v28, v31
	s_delay_alu instid0(VALU_DEP_1) | instskip(SKIP_2) | instid1(VALU_DEP_1)
	v_add3_u32 v1, v1, v30, v32
	ds_bpermute_b32 v3, v3, v1
	v_and_b32_e32 v4, 0x60, v0
	v_sub_nc_u32_e64 v4, s2, v4 clamp
	s_delay_alu instid0(VALU_DEP_1) | instskip(SKIP_3) | instid1(VALU_DEP_2)
	v_cmp_lt_u32_e32 vcc_lo, v6, v4
	s_waitcnt lgkmcnt(0)
	v_dual_cndmask_b32 v3, 0, v3 :: v_dual_add_nc_u32 v6, 2, v2
	v_cmp_gt_u32_e32 vcc_lo, 28, v2
	v_add_nc_u32_e32 v1, v3, v1
	ds_bpermute_b32 v3, v5, v1
	v_cndmask_b32_e64 v5, 0, 1, vcc_lo
	v_cmp_lt_u32_e32 vcc_lo, v6, v4
	v_add_nc_u32_e32 v6, 4, v2
	s_delay_alu instid0(VALU_DEP_3) | instskip(NEXT) | instid1(VALU_DEP_1)
	v_lshlrev_b32_e32 v5, 2, v5
	v_add_lshl_u32 v5, v5, v2, 2
	s_waitcnt lgkmcnt(0)
	v_cndmask_b32_e32 v3, 0, v3, vcc_lo
	v_cmp_gt_u32_e32 vcc_lo, 24, v2
	s_delay_alu instid0(VALU_DEP_2) | instskip(SKIP_4) | instid1(VALU_DEP_3)
	v_add_nc_u32_e32 v1, v1, v3
	ds_bpermute_b32 v3, v5, v1
	v_cndmask_b32_e64 v5, 0, 1, vcc_lo
	v_cmp_lt_u32_e32 vcc_lo, v6, v4
	v_add_nc_u32_e32 v6, 8, v2
	v_lshlrev_b32_e32 v5, 3, v5
	s_delay_alu instid0(VALU_DEP_1) | instskip(SKIP_3) | instid1(VALU_DEP_2)
	v_add_lshl_u32 v5, v5, v2, 2
	s_waitcnt lgkmcnt(0)
	v_cndmask_b32_e32 v3, 0, v3, vcc_lo
	v_cmp_gt_u32_e32 vcc_lo, 16, v2
	v_add_nc_u32_e32 v1, v1, v3
	ds_bpermute_b32 v3, v5, v1
	v_cndmask_b32_e64 v5, 0, 1, vcc_lo
	v_cmp_lt_u32_e32 vcc_lo, v6, v4
	s_delay_alu instid0(VALU_DEP_2) | instskip(NEXT) | instid1(VALU_DEP_1)
	v_lshlrev_b32_e32 v5, 4, v5
	v_add_lshl_u32 v5, v5, v2, 2
	s_waitcnt lgkmcnt(0)
	v_cndmask_b32_e32 v3, 0, v3, vcc_lo
	s_delay_alu instid0(VALU_DEP_1) | instskip(SKIP_2) | instid1(VALU_DEP_1)
	v_add_nc_u32_e32 v1, v1, v3
	ds_bpermute_b32 v3, v5, v1
	v_add_nc_u32_e32 v5, 16, v2
	v_cmp_lt_u32_e32 vcc_lo, v5, v4
	s_waitcnt lgkmcnt(0)
	v_cndmask_b32_e32 v3, 0, v3, vcc_lo
	s_delay_alu instid0(VALU_DEP_1)
	v_add_nc_u32_e32 v1, v1, v3
	v_cmpx_eq_u32_e32 0, v2
	s_cbranch_execz .LBB388_364
; %bb.363:
	v_lshrrev_b32_e32 v3, 3, v0
	s_delay_alu instid0(VALU_DEP_1)
	v_and_b32_e32 v3, 12, v3
	ds_store_b32 v3, v1 offset:128
.LBB388_364:
	s_or_b32 exec_lo, exec_lo, s3
	s_delay_alu instid0(SALU_CYCLE_1)
	s_mov_b32 s3, exec_lo
	s_waitcnt lgkmcnt(0)
	s_barrier
	buffer_gl0_inv
	v_cmpx_gt_u32_e32 4, v0
	s_cbranch_execz .LBB388_366
; %bb.365:
	v_and_b32_e32 v3, 3, v2
	s_add_i32 s2, s2, 31
	s_delay_alu instid0(SALU_CYCLE_1) | instskip(NEXT) | instid1(VALU_DEP_1)
	s_lshr_b32 s2, s2, 5
	v_cmp_ne_u32_e32 vcc_lo, 3, v3
	v_add_nc_u32_e32 v5, 1, v3
	v_add_co_ci_u32_e32 v4, vcc_lo, 0, v2, vcc_lo
	v_cmp_gt_u32_e32 vcc_lo, 2, v3
	v_add_nc_u32_e32 v3, 2, v3
	s_delay_alu instid0(VALU_DEP_3) | instskip(SKIP_3) | instid1(VALU_DEP_3)
	v_lshlrev_b32_e32 v4, 2, v4
	v_cndmask_b32_e64 v6, 0, 1, vcc_lo
	v_cmp_gt_u32_e32 vcc_lo, s2, v5
	v_lshlrev_b32_e32 v1, 2, v2
	v_lshlrev_b32_e32 v5, 1, v6
	ds_load_b32 v1, v1 offset:128
	v_add_lshl_u32 v2, v5, v2, 2
	s_waitcnt lgkmcnt(0)
	ds_bpermute_b32 v4, v4, v1
	s_waitcnt lgkmcnt(0)
	v_cndmask_b32_e32 v4, 0, v4, vcc_lo
	v_cmp_gt_u32_e32 vcc_lo, s2, v3
	s_delay_alu instid0(VALU_DEP_2) | instskip(SKIP_3) | instid1(VALU_DEP_1)
	v_add_nc_u32_e32 v1, v4, v1
	ds_bpermute_b32 v2, v2, v1
	s_waitcnt lgkmcnt(0)
	v_cndmask_b32_e32 v2, 0, v2, vcc_lo
	v_add_nc_u32_e32 v1, v1, v2
.LBB388_366:
	s_or_b32 exec_lo, exec_lo, s3
.LBB388_367:
	v_cmp_eq_u32_e64 s2, 0, v0
	s_branch .LBB388_512
.LBB388_368:
	s_cmp_eq_u32 s19, 16
	s_cbranch_scc0 .LBB388_375
; %bb.369:
	s_mov_b32 s25, 0
	s_lshl_b32 s2, s24, 11
	s_mov_b32 s3, s25
	s_lshr_b64 s[6:7], s[20:21], 11
	s_lshl_b64 s[4:5], s[2:3], 3
	s_delay_alu instid0(SALU_CYCLE_1)
	s_add_u32 s16, s26, s4
	s_addc_u32 s17, s27, s5
	s_cmp_lg_u64 s[6:7], s[24:25]
	s_cbranch_scc0 .LBB388_533
; %bb.370:
	v_lshlrev_b32_e32 v13, 3, v0
	s_clause 0x2
	global_load_b64 v[1:2], v13, s[16:17]
	global_load_b64 v[3:4], v13, s[16:17] offset:1024
	global_load_b64 v[5:6], v13, s[16:17] offset:2048
	v_add_co_u32 v21, s3, s16, v13
	s_delay_alu instid0(VALU_DEP_1) | instskip(SKIP_1) | instid1(VALU_DEP_2)
	v_add_co_ci_u32_e64 v22, null, s17, 0, s3
	s_mov_b32 s3, exec_lo
	v_add_co_u32 v7, vcc_lo, v21, 0x2000
	s_delay_alu instid0(VALU_DEP_2)
	v_add_co_ci_u32_e32 v8, vcc_lo, 0, v22, vcc_lo
	v_add_co_u32 v9, vcc_lo, 0x1000, v21
	v_add_co_ci_u32_e32 v10, vcc_lo, 0, v22, vcc_lo
	s_clause 0x5
	global_load_b64 v[11:12], v[7:8], off offset:-4096
	global_load_b64 v[13:14], v13, s[16:17] offset:3072
	global_load_b64 v[15:16], v[9:10], off offset:1024
	global_load_b64 v[17:18], v[9:10], off offset:2048
	;; [unrolled: 1-line block ×3, first 2 shown]
	global_load_b64 v[7:8], v[7:8], off
	v_add_co_u32 v19, vcc_lo, 0x2000, v21
	v_add_co_ci_u32_e32 v20, vcc_lo, 0, v22, vcc_lo
	v_add_co_u32 v21, vcc_lo, 0x3000, v21
	v_add_co_ci_u32_e32 v22, vcc_lo, 0, v22, vcc_lo
	s_clause 0x6
	global_load_b64 v[23:24], v[19:20], off offset:2048
	global_load_b64 v[25:26], v[19:20], off offset:1024
	global_load_b64 v[27:28], v[21:22], off
	global_load_b64 v[19:20], v[19:20], off offset:3072
	global_load_b64 v[29:30], v[21:22], off offset:2048
	;; [unrolled: 1-line block ×4, first 2 shown]
	s_waitcnt vmcnt(15)
	v_cmp_neq_f64_e32 vcc_lo, 0, v[1:2]
	v_cndmask_b32_e64 v1, 0, 1, vcc_lo
	s_waitcnt vmcnt(13)
	v_cmp_neq_f64_e32 vcc_lo, 0, v[5:6]
	v_cndmask_b32_e64 v2, 0, 1, vcc_lo
	v_cmp_neq_f64_e32 vcc_lo, 0, v[3:4]
	v_add_co_ci_u32_e32 v1, vcc_lo, 0, v1, vcc_lo
	s_waitcnt vmcnt(12)
	v_cmp_neq_f64_e32 vcc_lo, 0, v[11:12]
	v_cndmask_b32_e64 v3, 0, 1, vcc_lo
	s_waitcnt vmcnt(11)
	v_cmp_neq_f64_e32 vcc_lo, 0, v[13:14]
	v_add_co_ci_u32_e32 v1, vcc_lo, v1, v2, vcc_lo
	s_waitcnt vmcnt(9)
	v_cmp_neq_f64_e32 vcc_lo, 0, v[17:18]
	v_cndmask_b32_e64 v2, 0, 1, vcc_lo
	v_cmp_neq_f64_e32 vcc_lo, 0, v[15:16]
	v_add_co_ci_u32_e32 v1, vcc_lo, v1, v3, vcc_lo
	s_waitcnt vmcnt(7)
	v_cmp_neq_f64_e32 vcc_lo, 0, v[7:8]
	v_cndmask_b32_e64 v3, 0, 1, vcc_lo
	;; [unrolled: 5-line block ×3, first 2 shown]
	s_waitcnt vmcnt(5)
	v_cmp_neq_f64_e32 vcc_lo, 0, v[25:26]
	v_add_co_ci_u32_e32 v1, vcc_lo, v1, v3, vcc_lo
	s_waitcnt vmcnt(4)
	v_cmp_neq_f64_e32 vcc_lo, 0, v[27:28]
	v_cndmask_b32_e64 v3, 0, 1, vcc_lo
	s_waitcnt vmcnt(3)
	v_cmp_neq_f64_e32 vcc_lo, 0, v[19:20]
	v_add_co_ci_u32_e32 v1, vcc_lo, v1, v2, vcc_lo
	s_waitcnt vmcnt(2)
	v_cmp_neq_f64_e32 vcc_lo, 0, v[29:30]
	v_cndmask_b32_e64 v2, 0, 1, vcc_lo
	s_waitcnt vmcnt(1)
	v_cmp_neq_f64_e32 vcc_lo, 0, v[31:32]
	v_add_co_ci_u32_e32 v1, vcc_lo, v1, v3, vcc_lo
	s_waitcnt vmcnt(0)
	v_cmp_neq_f64_e32 vcc_lo, 0, v[21:22]
	v_mov_b32_e32 v3, 0
	s_delay_alu instid0(VALU_DEP_3) | instskip(NEXT) | instid1(VALU_DEP_1)
	v_add_co_ci_u32_e32 v1, vcc_lo, v1, v2, vcc_lo
	v_mov_b32_dpp v2, v1 quad_perm:[1,0,3,2] row_mask:0xf bank_mask:0xf
	s_delay_alu instid0(VALU_DEP_1) | instskip(NEXT) | instid1(VALU_DEP_1)
	v_add_nc_u32_e32 v1, v1, v2
	v_mov_b32_dpp v2, v1 quad_perm:[2,3,0,1] row_mask:0xf bank_mask:0xf
	s_delay_alu instid0(VALU_DEP_1) | instskip(NEXT) | instid1(VALU_DEP_1)
	v_add_nc_u32_e32 v1, v1, v2
	v_mov_b32_dpp v2, v1 row_ror:4 row_mask:0xf bank_mask:0xf
	s_delay_alu instid0(VALU_DEP_1) | instskip(NEXT) | instid1(VALU_DEP_1)
	v_add_nc_u32_e32 v1, v1, v2
	v_mov_b32_dpp v2, v1 row_ror:8 row_mask:0xf bank_mask:0xf
	s_delay_alu instid0(VALU_DEP_1)
	v_add_nc_u32_e32 v1, v1, v2
	ds_swizzle_b32 v2, v1 offset:swizzle(BROADCAST,32,15)
	s_waitcnt lgkmcnt(0)
	v_add_nc_u32_e32 v1, v1, v2
	v_mbcnt_lo_u32_b32 v2, -1, 0
	ds_bpermute_b32 v1, v3, v1 offset:124
	v_cmpx_eq_u32_e32 0, v2
	s_cbranch_execz .LBB388_372
; %bb.371:
	v_lshrrev_b32_e32 v3, 3, v0
	s_delay_alu instid0(VALU_DEP_1)
	v_and_b32_e32 v3, 12, v3
	s_waitcnt lgkmcnt(0)
	ds_store_b32 v3, v1 offset:16
.LBB388_372:
	s_or_b32 exec_lo, exec_lo, s3
	s_delay_alu instid0(SALU_CYCLE_1)
	s_mov_b32 s3, exec_lo
	s_waitcnt lgkmcnt(0)
	s_barrier
	buffer_gl0_inv
	v_cmpx_gt_u32_e32 32, v0
	s_cbranch_execz .LBB388_374
; %bb.373:
	v_and_b32_e32 v1, 3, v2
	s_delay_alu instid0(VALU_DEP_1) | instskip(SKIP_4) | instid1(VALU_DEP_2)
	v_lshlrev_b32_e32 v3, 2, v1
	v_cmp_ne_u32_e32 vcc_lo, 3, v1
	ds_load_b32 v3, v3 offset:16
	v_add_co_ci_u32_e32 v4, vcc_lo, 0, v2, vcc_lo
	v_cmp_gt_u32_e32 vcc_lo, 2, v1
	v_lshlrev_b32_e32 v4, 2, v4
	v_cndmask_b32_e64 v1, 0, 1, vcc_lo
	s_delay_alu instid0(VALU_DEP_1) | instskip(NEXT) | instid1(VALU_DEP_1)
	v_lshlrev_b32_e32 v1, 1, v1
	v_add_lshl_u32 v1, v1, v2, 2
	s_waitcnt lgkmcnt(0)
	ds_bpermute_b32 v4, v4, v3
	s_waitcnt lgkmcnt(0)
	v_add_nc_u32_e32 v3, v4, v3
	ds_bpermute_b32 v1, v1, v3
	s_waitcnt lgkmcnt(0)
	v_add_nc_u32_e32 v1, v1, v3
.LBB388_374:
	s_or_b32 exec_lo, exec_lo, s3
	s_mov_b32 s3, 0
	s_branch .LBB388_534
.LBB388_375:
                                        ; implicit-def: $vgpr1
	s_branch .LBB388_623
.LBB388_376:
	s_mov_b32 s5, -1
                                        ; implicit-def: $vgpr1
.LBB388_377:
	s_delay_alu instid0(SALU_CYCLE_1)
	s_and_b32 vcc_lo, exec_lo, s5
	s_cbranch_vccz .LBB388_511
; %bb.378:
	s_sub_i32 s4, s20, s4
	s_mov_b32 s5, exec_lo
                                        ; implicit-def: $vgpr1
	v_cmpx_gt_u32_e64 s4, v0
	s_cbranch_execz .LBB388_380
; %bb.379:
	v_lshlrev_b32_e32 v1, 3, v0
	global_load_b64 v[1:2], v1, s[2:3]
	s_waitcnt vmcnt(0)
	v_cmp_neq_f64_e32 vcc_lo, 0, v[1:2]
	v_cndmask_b32_e64 v1, 0, 1, vcc_lo
.LBB388_380:
	s_or_b32 exec_lo, exec_lo, s5
	v_or_b32_e32 v3, 0x80, v0
	v_mov_b32_e32 v2, 0
	s_delay_alu instid0(VALU_DEP_2)
	v_cmp_gt_u32_e32 vcc_lo, s4, v3
	v_mov_b32_e32 v3, 0
	s_and_saveexec_b32 s5, vcc_lo
	s_cbranch_execz .LBB388_382
; %bb.381:
	v_lshlrev_b32_e32 v3, 3, v0
	global_load_b64 v[3:4], v3, s[2:3] offset:1024
	s_waitcnt vmcnt(0)
	v_cmp_neq_f64_e32 vcc_lo, 0, v[3:4]
	v_cndmask_b32_e64 v3, 0, 1, vcc_lo
.LBB388_382:
	s_or_b32 exec_lo, exec_lo, s5
	v_or_b32_e32 v4, 0x100, v0
	s_mov_b32 s5, exec_lo
	s_delay_alu instid0(VALU_DEP_1)
	v_cmpx_gt_u32_e64 s4, v4
	s_cbranch_execz .LBB388_384
; %bb.383:
	v_lshlrev_b32_e32 v2, 3, v0
	global_load_b64 v[4:5], v2, s[2:3] offset:2048
	s_waitcnt vmcnt(0)
	v_cmp_neq_f64_e32 vcc_lo, 0, v[4:5]
	v_cndmask_b32_e64 v2, 0, 1, vcc_lo
.LBB388_384:
	s_or_b32 exec_lo, exec_lo, s5
	v_or_b32_e32 v5, 0x180, v0
	v_mov_b32_e32 v4, 0
	s_delay_alu instid0(VALU_DEP_2)
	v_cmp_gt_u32_e32 vcc_lo, s4, v5
	v_mov_b32_e32 v5, 0
	s_and_saveexec_b32 s5, vcc_lo
	s_cbranch_execz .LBB388_386
; %bb.385:
	v_lshlrev_b32_e32 v5, 3, v0
	global_load_b64 v[5:6], v5, s[2:3] offset:3072
	s_waitcnt vmcnt(0)
	v_cmp_neq_f64_e32 vcc_lo, 0, v[5:6]
	v_cndmask_b32_e64 v5, 0, 1, vcc_lo
.LBB388_386:
	s_or_b32 exec_lo, exec_lo, s5
	v_or_b32_e32 v6, 0x200, v0
	s_mov_b32 s5, exec_lo
	s_delay_alu instid0(VALU_DEP_1)
	v_cmpx_gt_u32_e64 s4, v6
	s_cbranch_execz .LBB388_388
; %bb.387:
	v_lshlrev_b32_e32 v4, 3, v6
	global_load_b64 v[6:7], v4, s[2:3]
	s_waitcnt vmcnt(0)
	v_cmp_neq_f64_e32 vcc_lo, 0, v[6:7]
	v_cndmask_b32_e64 v4, 0, 1, vcc_lo
.LBB388_388:
	s_or_b32 exec_lo, exec_lo, s5
	v_or_b32_e32 v8, 0x280, v0
	v_dual_mov_b32 v6, 0 :: v_dual_mov_b32 v7, 0
	s_mov_b32 s5, exec_lo
	s_delay_alu instid0(VALU_DEP_2)
	v_cmpx_gt_u32_e64 s4, v8
	s_cbranch_execz .LBB388_390
; %bb.389:
	v_lshlrev_b32_e32 v7, 3, v8
	global_load_b64 v[7:8], v7, s[2:3]
	s_waitcnt vmcnt(0)
	v_cmp_neq_f64_e32 vcc_lo, 0, v[7:8]
	v_cndmask_b32_e64 v7, 0, 1, vcc_lo
.LBB388_390:
	s_or_b32 exec_lo, exec_lo, s5
	v_or_b32_e32 v8, 0x300, v0
	s_mov_b32 s5, exec_lo
	s_delay_alu instid0(VALU_DEP_1)
	v_cmpx_gt_u32_e64 s4, v8
	s_cbranch_execz .LBB388_392
; %bb.391:
	v_lshlrev_b32_e32 v6, 3, v8
	global_load_b64 v[8:9], v6, s[2:3]
	s_waitcnt vmcnt(0)
	v_cmp_neq_f64_e32 vcc_lo, 0, v[8:9]
	v_cndmask_b32_e64 v6, 0, 1, vcc_lo
.LBB388_392:
	s_or_b32 exec_lo, exec_lo, s5
	v_or_b32_e32 v10, 0x380, v0
	v_dual_mov_b32 v8, 0 :: v_dual_mov_b32 v9, 0
	s_mov_b32 s5, exec_lo
	s_delay_alu instid0(VALU_DEP_2)
	v_cmpx_gt_u32_e64 s4, v10
	s_cbranch_execz .LBB388_394
; %bb.393:
	v_lshlrev_b32_e32 v9, 3, v10
	global_load_b64 v[9:10], v9, s[2:3]
	s_waitcnt vmcnt(0)
	v_cmp_neq_f64_e32 vcc_lo, 0, v[9:10]
	v_cndmask_b32_e64 v9, 0, 1, vcc_lo
.LBB388_394:
	;; [unrolled: 27-line block ×29, first 2 shown]
	s_or_b32 exec_lo, exec_lo, s5
	v_or_b32_e32 v64, 0x1f00, v0
	s_mov_b32 s5, exec_lo
	s_delay_alu instid0(VALU_DEP_1)
	v_cmpx_gt_u32_e64 s4, v64
	s_cbranch_execz .LBB388_504
; %bb.503:
	v_lshlrev_b32_e32 v62, 3, v64
	global_load_b64 v[64:65], v62, s[2:3]
	s_waitcnt vmcnt(0)
	v_cmp_neq_f64_e32 vcc_lo, 0, v[64:65]
	v_cndmask_b32_e64 v62, 0, 1, vcc_lo
.LBB388_504:
	s_or_b32 exec_lo, exec_lo, s5
	v_or_b32_e32 v65, 0x1f80, v0
	v_mov_b32_e32 v64, 0
	s_mov_b32 s5, exec_lo
	s_delay_alu instid0(VALU_DEP_2)
	v_cmpx_gt_u32_e64 s4, v65
	s_cbranch_execz .LBB388_506
; %bb.505:
	v_lshlrev_b32_e32 v64, 3, v65
	global_load_b64 v[64:65], v64, s[2:3]
	s_waitcnt vmcnt(0)
	v_cmp_neq_f64_e32 vcc_lo, 0, v[64:65]
	v_cndmask_b32_e64 v64, 0, 1, vcc_lo
.LBB388_506:
	s_or_b32 exec_lo, exec_lo, s5
	v_add_nc_u32_e32 v1, v3, v1
	s_min_u32 s2, s4, 0x80
	s_mov_b32 s3, exec_lo
	s_delay_alu instid0(VALU_DEP_1) | instskip(SKIP_1) | instid1(VALU_DEP_2)
	v_add3_u32 v1, v1, v2, v5
	v_mbcnt_lo_u32_b32 v2, -1, 0
	v_add3_u32 v1, v1, v4, v7
	s_delay_alu instid0(VALU_DEP_2) | instskip(NEXT) | instid1(VALU_DEP_2)
	v_cmp_ne_u32_e32 vcc_lo, 31, v2
	v_add3_u32 v1, v1, v6, v9
	v_add_co_ci_u32_e32 v3, vcc_lo, 0, v2, vcc_lo
	v_cmp_gt_u32_e32 vcc_lo, 30, v2
	v_add_nc_u32_e32 v6, 1, v2
	s_delay_alu instid0(VALU_DEP_4) | instskip(NEXT) | instid1(VALU_DEP_4)
	v_add3_u32 v1, v1, v8, v11
	v_lshlrev_b32_e32 v3, 2, v3
	v_cndmask_b32_e64 v5, 0, 1, vcc_lo
	s_delay_alu instid0(VALU_DEP_3) | instskip(NEXT) | instid1(VALU_DEP_2)
	v_add3_u32 v1, v1, v10, v13
	v_lshlrev_b32_e32 v5, 1, v5
	s_delay_alu instid0(VALU_DEP_2) | instskip(NEXT) | instid1(VALU_DEP_2)
	v_add3_u32 v1, v1, v12, v15
	v_add_lshl_u32 v5, v5, v2, 2
	s_delay_alu instid0(VALU_DEP_2) | instskip(NEXT) | instid1(VALU_DEP_1)
	v_add3_u32 v1, v1, v14, v17
	v_add3_u32 v1, v1, v16, v19
	s_delay_alu instid0(VALU_DEP_1) | instskip(NEXT) | instid1(VALU_DEP_1)
	v_add3_u32 v1, v1, v18, v21
	v_add3_u32 v1, v1, v20, v23
	s_delay_alu instid0(VALU_DEP_1) | instskip(NEXT) | instid1(VALU_DEP_1)
	;; [unrolled: 3-line block ×11, first 2 shown]
	v_add3_u32 v1, v1, v58, v61
	v_add3_u32 v1, v1, v60, v63
	s_delay_alu instid0(VALU_DEP_1) | instskip(SKIP_2) | instid1(VALU_DEP_1)
	v_add3_u32 v1, v1, v62, v64
	ds_bpermute_b32 v3, v3, v1
	v_and_b32_e32 v4, 0x60, v0
	v_sub_nc_u32_e64 v4, s2, v4 clamp
	s_delay_alu instid0(VALU_DEP_1) | instskip(SKIP_3) | instid1(VALU_DEP_2)
	v_cmp_lt_u32_e32 vcc_lo, v6, v4
	s_waitcnt lgkmcnt(0)
	v_dual_cndmask_b32 v3, 0, v3 :: v_dual_add_nc_u32 v6, 2, v2
	v_cmp_gt_u32_e32 vcc_lo, 28, v2
	v_add_nc_u32_e32 v1, v3, v1
	ds_bpermute_b32 v3, v5, v1
	v_cndmask_b32_e64 v5, 0, 1, vcc_lo
	v_cmp_lt_u32_e32 vcc_lo, v6, v4
	v_add_nc_u32_e32 v6, 4, v2
	s_delay_alu instid0(VALU_DEP_3) | instskip(NEXT) | instid1(VALU_DEP_1)
	v_lshlrev_b32_e32 v5, 2, v5
	v_add_lshl_u32 v5, v5, v2, 2
	s_waitcnt lgkmcnt(0)
	v_cndmask_b32_e32 v3, 0, v3, vcc_lo
	v_cmp_gt_u32_e32 vcc_lo, 24, v2
	s_delay_alu instid0(VALU_DEP_2) | instskip(SKIP_4) | instid1(VALU_DEP_3)
	v_add_nc_u32_e32 v1, v1, v3
	ds_bpermute_b32 v3, v5, v1
	v_cndmask_b32_e64 v5, 0, 1, vcc_lo
	v_cmp_lt_u32_e32 vcc_lo, v6, v4
	v_add_nc_u32_e32 v6, 8, v2
	v_lshlrev_b32_e32 v5, 3, v5
	s_delay_alu instid0(VALU_DEP_1) | instskip(SKIP_3) | instid1(VALU_DEP_2)
	v_add_lshl_u32 v5, v5, v2, 2
	s_waitcnt lgkmcnt(0)
	v_cndmask_b32_e32 v3, 0, v3, vcc_lo
	v_cmp_gt_u32_e32 vcc_lo, 16, v2
	v_add_nc_u32_e32 v1, v1, v3
	ds_bpermute_b32 v3, v5, v1
	v_cndmask_b32_e64 v5, 0, 1, vcc_lo
	v_cmp_lt_u32_e32 vcc_lo, v6, v4
	s_delay_alu instid0(VALU_DEP_2) | instskip(NEXT) | instid1(VALU_DEP_1)
	v_lshlrev_b32_e32 v5, 4, v5
	v_add_lshl_u32 v5, v5, v2, 2
	s_waitcnt lgkmcnt(0)
	v_cndmask_b32_e32 v3, 0, v3, vcc_lo
	s_delay_alu instid0(VALU_DEP_1) | instskip(SKIP_2) | instid1(VALU_DEP_1)
	v_add_nc_u32_e32 v1, v1, v3
	ds_bpermute_b32 v3, v5, v1
	v_add_nc_u32_e32 v5, 16, v2
	v_cmp_lt_u32_e32 vcc_lo, v5, v4
	s_waitcnt lgkmcnt(0)
	v_cndmask_b32_e32 v3, 0, v3, vcc_lo
	s_delay_alu instid0(VALU_DEP_1)
	v_add_nc_u32_e32 v1, v1, v3
	v_cmpx_eq_u32_e32 0, v2
	s_cbranch_execz .LBB388_508
; %bb.507:
	v_lshrrev_b32_e32 v3, 3, v0
	s_delay_alu instid0(VALU_DEP_1)
	v_and_b32_e32 v3, 12, v3
	ds_store_b32 v3, v1 offset:128
.LBB388_508:
	s_or_b32 exec_lo, exec_lo, s3
	s_delay_alu instid0(SALU_CYCLE_1)
	s_mov_b32 s3, exec_lo
	s_waitcnt lgkmcnt(0)
	s_barrier
	buffer_gl0_inv
	v_cmpx_gt_u32_e32 4, v0
	s_cbranch_execz .LBB388_510
; %bb.509:
	v_and_b32_e32 v3, 3, v2
	s_add_i32 s2, s2, 31
	s_delay_alu instid0(SALU_CYCLE_1) | instskip(NEXT) | instid1(VALU_DEP_1)
	s_lshr_b32 s2, s2, 5
	v_cmp_ne_u32_e32 vcc_lo, 3, v3
	v_add_nc_u32_e32 v5, 1, v3
	v_add_co_ci_u32_e32 v4, vcc_lo, 0, v2, vcc_lo
	v_cmp_gt_u32_e32 vcc_lo, 2, v3
	v_add_nc_u32_e32 v3, 2, v3
	s_delay_alu instid0(VALU_DEP_3) | instskip(SKIP_3) | instid1(VALU_DEP_3)
	v_lshlrev_b32_e32 v4, 2, v4
	v_cndmask_b32_e64 v6, 0, 1, vcc_lo
	v_cmp_gt_u32_e32 vcc_lo, s2, v5
	v_lshlrev_b32_e32 v1, 2, v2
	v_lshlrev_b32_e32 v5, 1, v6
	ds_load_b32 v1, v1 offset:128
	v_add_lshl_u32 v2, v5, v2, 2
	s_waitcnt lgkmcnt(0)
	ds_bpermute_b32 v4, v4, v1
	s_waitcnt lgkmcnt(0)
	v_cndmask_b32_e32 v4, 0, v4, vcc_lo
	v_cmp_gt_u32_e32 vcc_lo, s2, v3
	s_delay_alu instid0(VALU_DEP_2) | instskip(SKIP_3) | instid1(VALU_DEP_1)
	v_add_nc_u32_e32 v1, v4, v1
	ds_bpermute_b32 v2, v2, v1
	s_waitcnt lgkmcnt(0)
	v_cndmask_b32_e32 v2, 0, v2, vcc_lo
	v_add_nc_u32_e32 v1, v1, v2
.LBB388_510:
	s_or_b32 exec_lo, exec_lo, s3
.LBB388_511:
	v_cmp_eq_u32_e64 s2, 0, v0
.LBB388_512:
	s_branch .LBB388_623
.LBB388_513:
	s_cmp_gt_i32 s19, 3
	s_cbranch_scc0 .LBB388_522
; %bb.514:
	s_cmp_gt_i32 s19, 7
	s_cbranch_scc0 .LBB388_523
; %bb.515:
	s_cmp_eq_u32 s19, 8
	s_cbranch_scc0 .LBB388_531
; %bb.516:
	s_mov_b32 s25, 0
	s_lshl_b32 s2, s24, 10
	s_mov_b32 s3, s25
	s_lshr_b64 s[6:7], s[20:21], 10
	s_lshl_b64 s[4:5], s[2:3], 3
	s_delay_alu instid0(SALU_CYCLE_1)
	s_add_u32 s8, s26, s4
	s_addc_u32 s9, s27, s5
	s_cmp_lg_u64 s[6:7], s[24:25]
	s_cbranch_scc0 .LBB388_573
; %bb.517:
	v_lshlrev_b32_e32 v11, 3, v0
	s_clause 0x1
	global_load_b64 v[1:2], v11, s[8:9]
	global_load_b64 v[3:4], v11, s[8:9] offset:2048
	v_add_co_u32 v5, s3, s8, v11
	s_delay_alu instid0(VALU_DEP_1) | instskip(SKIP_1) | instid1(VALU_DEP_2)
	v_add_co_ci_u32_e64 v6, null, s9, 0, s3
	s_mov_b32 s3, exec_lo
	v_add_co_u32 v5, vcc_lo, 0x1000, v5
	s_delay_alu instid0(VALU_DEP_2)
	v_add_co_ci_u32_e32 v6, vcc_lo, 0, v6, vcc_lo
	s_clause 0x5
	global_load_b64 v[7:8], v11, s[8:9] offset:1024
	global_load_b64 v[9:10], v[5:6], off
	global_load_b64 v[11:12], v11, s[8:9] offset:3072
	global_load_b64 v[13:14], v[5:6], off offset:2048
	global_load_b64 v[15:16], v[5:6], off offset:1024
	global_load_b64 v[5:6], v[5:6], off offset:3072
	s_waitcnt vmcnt(7)
	v_cmp_neq_f64_e32 vcc_lo, 0, v[1:2]
	v_cndmask_b32_e64 v1, 0, 1, vcc_lo
	s_waitcnt vmcnt(6)
	v_cmp_neq_f64_e32 vcc_lo, 0, v[3:4]
	v_cndmask_b32_e64 v2, 0, 1, vcc_lo
	s_waitcnt vmcnt(5)
	v_cmp_neq_f64_e32 vcc_lo, 0, v[7:8]
	v_add_co_ci_u32_e32 v1, vcc_lo, 0, v1, vcc_lo
	s_waitcnt vmcnt(4)
	v_cmp_neq_f64_e32 vcc_lo, 0, v[9:10]
	v_cndmask_b32_e64 v3, 0, 1, vcc_lo
	s_waitcnt vmcnt(3)
	v_cmp_neq_f64_e32 vcc_lo, 0, v[11:12]
	v_add_co_ci_u32_e32 v1, vcc_lo, v1, v2, vcc_lo
	;; [unrolled: 6-line block ×3, first 2 shown]
	s_waitcnt vmcnt(0)
	v_cmp_neq_f64_e32 vcc_lo, 0, v[5:6]
	v_mov_b32_e32 v3, 0
	s_delay_alu instid0(VALU_DEP_3) | instskip(NEXT) | instid1(VALU_DEP_1)
	v_add_co_ci_u32_e32 v1, vcc_lo, v1, v2, vcc_lo
	v_mov_b32_dpp v2, v1 quad_perm:[1,0,3,2] row_mask:0xf bank_mask:0xf
	s_delay_alu instid0(VALU_DEP_1) | instskip(NEXT) | instid1(VALU_DEP_1)
	v_add_nc_u32_e32 v1, v1, v2
	v_mov_b32_dpp v2, v1 quad_perm:[2,3,0,1] row_mask:0xf bank_mask:0xf
	s_delay_alu instid0(VALU_DEP_1) | instskip(NEXT) | instid1(VALU_DEP_1)
	v_add_nc_u32_e32 v1, v1, v2
	v_mov_b32_dpp v2, v1 row_ror:4 row_mask:0xf bank_mask:0xf
	s_delay_alu instid0(VALU_DEP_1) | instskip(NEXT) | instid1(VALU_DEP_1)
	v_add_nc_u32_e32 v1, v1, v2
	v_mov_b32_dpp v2, v1 row_ror:8 row_mask:0xf bank_mask:0xf
	s_delay_alu instid0(VALU_DEP_1)
	v_add_nc_u32_e32 v1, v1, v2
	ds_swizzle_b32 v2, v1 offset:swizzle(BROADCAST,32,15)
	s_waitcnt lgkmcnt(0)
	v_add_nc_u32_e32 v1, v1, v2
	v_mbcnt_lo_u32_b32 v2, -1, 0
	ds_bpermute_b32 v1, v3, v1 offset:124
	v_cmpx_eq_u32_e32 0, v2
	s_cbranch_execz .LBB388_519
; %bb.518:
	v_lshrrev_b32_e32 v3, 3, v0
	s_delay_alu instid0(VALU_DEP_1)
	v_and_b32_e32 v3, 12, v3
	s_waitcnt lgkmcnt(0)
	ds_store_b32 v3, v1 offset:112
.LBB388_519:
	s_or_b32 exec_lo, exec_lo, s3
	s_delay_alu instid0(SALU_CYCLE_1)
	s_mov_b32 s3, exec_lo
	s_waitcnt lgkmcnt(0)
	s_barrier
	buffer_gl0_inv
	v_cmpx_gt_u32_e32 32, v0
	s_cbranch_execz .LBB388_521
; %bb.520:
	v_lshl_or_b32 v1, v2, 2, 0x70
	v_and_b32_e32 v3, 3, v2
	ds_load_b32 v1, v1
	v_cmp_ne_u32_e32 vcc_lo, 3, v3
	v_add_co_ci_u32_e32 v4, vcc_lo, 0, v2, vcc_lo
	v_cmp_gt_u32_e32 vcc_lo, 2, v3
	s_delay_alu instid0(VALU_DEP_2) | instskip(SKIP_1) | instid1(VALU_DEP_1)
	v_lshlrev_b32_e32 v4, 2, v4
	v_cndmask_b32_e64 v3, 0, 1, vcc_lo
	v_lshlrev_b32_e32 v3, 1, v3
	s_waitcnt lgkmcnt(0)
	ds_bpermute_b32 v4, v4, v1
	v_add_lshl_u32 v2, v3, v2, 2
	s_waitcnt lgkmcnt(0)
	v_add_nc_u32_e32 v1, v4, v1
	ds_bpermute_b32 v2, v2, v1
	s_waitcnt lgkmcnt(0)
	v_add_nc_u32_e32 v1, v2, v1
.LBB388_521:
	s_or_b32 exec_lo, exec_lo, s3
	s_mov_b32 s3, 0
	s_branch .LBB388_574
.LBB388_522:
                                        ; implicit-def: $vgpr1
	s_cbranch_execnz .LBB388_614
	s_branch .LBB388_623
.LBB388_523:
                                        ; implicit-def: $vgpr1
	s_cbranch_execz .LBB388_597
; %bb.524:
	s_cmp_eq_u32 s19, 4
	s_cbranch_scc0 .LBB388_532
; %bb.525:
	s_mov_b32 s25, 0
	s_lshl_b32 s2, s24, 9
	s_mov_b32 s3, s25
	s_lshr_b64 s[6:7], s[20:21], 9
	s_lshl_b64 s[4:5], s[2:3], 3
	s_delay_alu instid0(SALU_CYCLE_1)
	s_add_u32 s4, s26, s4
	s_addc_u32 s5, s27, s5
	s_cmp_lg_u64 s[6:7], s[24:25]
	s_cbranch_scc0 .LBB388_598
; %bb.526:
	v_lshlrev_b32_e32 v7, 3, v0
	s_mov_b32 s3, exec_lo
	s_clause 0x3
	global_load_b64 v[1:2], v7, s[4:5]
	global_load_b64 v[3:4], v7, s[4:5] offset:2048
	global_load_b64 v[5:6], v7, s[4:5] offset:1024
	;; [unrolled: 1-line block ×3, first 2 shown]
	s_waitcnt vmcnt(3)
	v_cmp_neq_f64_e32 vcc_lo, 0, v[1:2]
	v_cndmask_b32_e64 v1, 0, 1, vcc_lo
	s_waitcnt vmcnt(2)
	v_cmp_neq_f64_e32 vcc_lo, 0, v[3:4]
	v_cndmask_b32_e64 v2, 0, 1, vcc_lo
	s_waitcnt vmcnt(1)
	v_cmp_neq_f64_e32 vcc_lo, 0, v[5:6]
	v_add_co_ci_u32_e32 v1, vcc_lo, 0, v1, vcc_lo
	s_waitcnt vmcnt(0)
	v_cmp_neq_f64_e32 vcc_lo, 0, v[7:8]
	s_delay_alu instid0(VALU_DEP_2) | instskip(NEXT) | instid1(VALU_DEP_1)
	v_add_co_ci_u32_e32 v1, vcc_lo, v1, v2, vcc_lo
	v_mov_b32_dpp v2, v1 quad_perm:[1,0,3,2] row_mask:0xf bank_mask:0xf
	s_delay_alu instid0(VALU_DEP_1) | instskip(NEXT) | instid1(VALU_DEP_1)
	v_add_nc_u32_e32 v1, v1, v2
	v_mov_b32_dpp v2, v1 quad_perm:[2,3,0,1] row_mask:0xf bank_mask:0xf
	s_delay_alu instid0(VALU_DEP_1) | instskip(NEXT) | instid1(VALU_DEP_1)
	v_add_nc_u32_e32 v1, v1, v2
	v_mov_b32_dpp v2, v1 row_ror:4 row_mask:0xf bank_mask:0xf
	s_delay_alu instid0(VALU_DEP_1) | instskip(NEXT) | instid1(VALU_DEP_1)
	v_add_nc_u32_e32 v1, v1, v2
	v_mov_b32_dpp v2, v1 row_ror:8 row_mask:0xf bank_mask:0xf
	s_delay_alu instid0(VALU_DEP_1)
	v_add_nc_u32_e32 v1, v1, v2
	ds_swizzle_b32 v2, v1 offset:swizzle(BROADCAST,32,15)
	s_waitcnt lgkmcnt(0)
	v_dual_mov_b32 v2, 0 :: v_dual_add_nc_u32 v1, v1, v2
	ds_bpermute_b32 v1, v2, v1 offset:124
	v_mbcnt_lo_u32_b32 v2, -1, 0
	s_delay_alu instid0(VALU_DEP_1)
	v_cmpx_eq_u32_e32 0, v2
	s_cbranch_execz .LBB388_528
; %bb.527:
	v_lshrrev_b32_e32 v3, 3, v0
	s_delay_alu instid0(VALU_DEP_1)
	v_and_b32_e32 v3, 12, v3
	s_waitcnt lgkmcnt(0)
	ds_store_b32 v3, v1 offset:80
.LBB388_528:
	s_or_b32 exec_lo, exec_lo, s3
	s_delay_alu instid0(SALU_CYCLE_1)
	s_mov_b32 s3, exec_lo
	s_waitcnt lgkmcnt(0)
	s_barrier
	buffer_gl0_inv
	v_cmpx_gt_u32_e32 32, v0
	s_cbranch_execz .LBB388_530
; %bb.529:
	v_and_b32_e32 v1, 3, v2
	s_delay_alu instid0(VALU_DEP_1) | instskip(SKIP_4) | instid1(VALU_DEP_2)
	v_lshlrev_b32_e32 v3, 2, v1
	v_cmp_ne_u32_e32 vcc_lo, 3, v1
	ds_load_b32 v3, v3 offset:80
	v_add_co_ci_u32_e32 v4, vcc_lo, 0, v2, vcc_lo
	v_cmp_gt_u32_e32 vcc_lo, 2, v1
	v_lshlrev_b32_e32 v4, 2, v4
	v_cndmask_b32_e64 v1, 0, 1, vcc_lo
	s_delay_alu instid0(VALU_DEP_1) | instskip(NEXT) | instid1(VALU_DEP_1)
	v_lshlrev_b32_e32 v1, 1, v1
	v_add_lshl_u32 v1, v1, v2, 2
	s_waitcnt lgkmcnt(0)
	ds_bpermute_b32 v4, v4, v3
	s_waitcnt lgkmcnt(0)
	v_add_nc_u32_e32 v3, v4, v3
	ds_bpermute_b32 v1, v1, v3
	s_waitcnt lgkmcnt(0)
	v_add_nc_u32_e32 v1, v1, v3
.LBB388_530:
	s_or_b32 exec_lo, exec_lo, s3
	s_mov_b32 s3, 0
	s_branch .LBB388_599
.LBB388_531:
                                        ; implicit-def: $vgpr1
	s_branch .LBB388_597
.LBB388_532:
                                        ; implicit-def: $vgpr1
	s_branch .LBB388_623
.LBB388_533:
	s_mov_b32 s3, -1
                                        ; implicit-def: $vgpr1
.LBB388_534:
	s_delay_alu instid0(SALU_CYCLE_1)
	s_and_b32 vcc_lo, exec_lo, s3
	s_cbranch_vccz .LBB388_572
; %bb.535:
	s_sub_i32 s18, s20, s2
	s_mov_b32 s2, exec_lo
                                        ; implicit-def: $vgpr1_vgpr2_vgpr3_vgpr4_vgpr5_vgpr6_vgpr7_vgpr8_vgpr9_vgpr10_vgpr11_vgpr12_vgpr13_vgpr14_vgpr15_vgpr16
	v_cmpx_gt_u32_e64 s18, v0
	s_cbranch_execz .LBB388_537
; %bb.536:
	v_lshlrev_b32_e32 v1, 3, v0
	global_load_b64 v[1:2], v1, s[16:17]
	s_waitcnt vmcnt(0)
	v_cmp_neq_f64_e32 vcc_lo, 0, v[1:2]
	v_cndmask_b32_e64 v1, 0, 1, vcc_lo
.LBB388_537:
	s_or_b32 exec_lo, exec_lo, s2
	v_or_b32_e32 v17, 0x80, v0
	s_delay_alu instid0(VALU_DEP_1)
	v_cmp_gt_u32_e32 vcc_lo, s18, v17
	s_and_saveexec_b32 s3, vcc_lo
	s_cbranch_execz .LBB388_539
; %bb.538:
	v_lshlrev_b32_e32 v2, 3, v0
	global_load_b64 v[17:18], v2, s[16:17] offset:1024
	s_waitcnt vmcnt(0)
	v_cmp_neq_f64_e64 s2, 0, v[17:18]
	s_delay_alu instid0(VALU_DEP_1)
	v_cndmask_b32_e64 v2, 0, 1, s2
.LBB388_539:
	s_or_b32 exec_lo, exec_lo, s3
	v_or_b32_e32 v17, 0x100, v0
	s_delay_alu instid0(VALU_DEP_1) | instskip(NEXT) | instid1(VALU_DEP_1)
	v_cmp_gt_u32_e64 s2, s18, v17
	s_and_saveexec_b32 s4, s2
	s_cbranch_execz .LBB388_541
; %bb.540:
	v_lshlrev_b32_e32 v3, 3, v0
	global_load_b64 v[17:18], v3, s[16:17] offset:2048
	s_waitcnt vmcnt(0)
	v_cmp_neq_f64_e64 s3, 0, v[17:18]
	s_delay_alu instid0(VALU_DEP_1)
	v_cndmask_b32_e64 v3, 0, 1, s3
.LBB388_541:
	s_or_b32 exec_lo, exec_lo, s4
	v_or_b32_e32 v17, 0x180, v0
	s_delay_alu instid0(VALU_DEP_1) | instskip(NEXT) | instid1(VALU_DEP_1)
	v_cmp_gt_u32_e64 s3, s18, v17
	s_and_saveexec_b32 s5, s3
	;; [unrolled: 14-line block ×3, first 2 shown]
	s_cbranch_execz .LBB388_545
; %bb.544:
	v_lshlrev_b32_e32 v5, 3, v17
	global_load_b64 v[17:18], v5, s[16:17]
	s_waitcnt vmcnt(0)
	v_cmp_neq_f64_e64 s5, 0, v[17:18]
	s_delay_alu instid0(VALU_DEP_1)
	v_cndmask_b32_e64 v5, 0, 1, s5
.LBB388_545:
	s_or_b32 exec_lo, exec_lo, s6
	v_or_b32_e32 v17, 0x280, v0
	s_delay_alu instid0(VALU_DEP_1) | instskip(NEXT) | instid1(VALU_DEP_1)
	v_cmp_gt_u32_e64 s5, s18, v17
	s_and_saveexec_b32 s7, s5
	s_cbranch_execz .LBB388_547
; %bb.546:
	v_lshlrev_b32_e32 v6, 3, v17
	global_load_b64 v[17:18], v6, s[16:17]
	s_waitcnt vmcnt(0)
	v_cmp_neq_f64_e64 s6, 0, v[17:18]
	s_delay_alu instid0(VALU_DEP_1)
	v_cndmask_b32_e64 v6, 0, 1, s6
.LBB388_547:
	s_or_b32 exec_lo, exec_lo, s7
	v_or_b32_e32 v17, 0x300, v0
	s_delay_alu instid0(VALU_DEP_1) | instskip(NEXT) | instid1(VALU_DEP_1)
	v_cmp_gt_u32_e64 s6, s18, v17
	s_and_saveexec_b32 s8, s6
	;; [unrolled: 14-line block ×11, first 2 shown]
	s_cbranch_execz .LBB388_567
; %bb.566:
	v_lshlrev_b32_e32 v16, 3, v17
	global_load_b64 v[16:17], v16, s[16:17]
	s_waitcnt vmcnt(0)
	v_cmp_neq_f64_e64 s16, 0, v[16:17]
	s_delay_alu instid0(VALU_DEP_1)
	v_cndmask_b32_e64 v16, 0, 1, s16
.LBB388_567:
	s_or_b32 exec_lo, exec_lo, s28
	v_cndmask_b32_e32 v2, 0, v2, vcc_lo
	v_cndmask_b32_e64 v3, 0, v3, s2
	v_cndmask_b32_e64 v4, 0, v4, s3
	s_min_u32 s2, s18, 0x80
	s_mov_b32 s3, exec_lo
	v_add_nc_u32_e32 v1, v2, v1
	v_cndmask_b32_e64 v2, 0, v5, s4
	v_cndmask_b32_e64 v5, 0, v6, s5
	;; [unrolled: 1-line block ×3, first 2 shown]
	s_delay_alu instid0(VALU_DEP_4) | instskip(SKIP_3) | instid1(VALU_DEP_4)
	v_add3_u32 v1, v1, v3, v4
	v_cndmask_b32_e64 v3, 0, v7, s6
	v_cndmask_b32_e64 v4, 0, v8, s7
	;; [unrolled: 1-line block ×3, first 2 shown]
	v_add3_u32 v1, v1, v2, v5
	v_cndmask_b32_e64 v2, 0, v9, s8
	v_cndmask_b32_e64 v5, 0, v10, s9
	s_delay_alu instid0(VALU_DEP_3) | instskip(SKIP_2) | instid1(VALU_DEP_3)
	v_add3_u32 v1, v1, v3, v4
	v_cndmask_b32_e64 v3, 0, v11, s10
	v_cndmask_b32_e64 v4, 0, v12, s11
	v_add3_u32 v1, v1, v2, v5
	v_mbcnt_lo_u32_b32 v2, -1, 0
	v_cndmask_b32_e64 v5, 0, v13, s12
	s_delay_alu instid0(VALU_DEP_3) | instskip(NEXT) | instid1(VALU_DEP_3)
	v_add3_u32 v1, v1, v3, v4
	v_cmp_ne_u32_e32 vcc_lo, 31, v2
	v_cndmask_b32_e64 v3, 0, v16, s15
	s_delay_alu instid0(VALU_DEP_3) | instskip(SKIP_3) | instid1(VALU_DEP_4)
	v_add3_u32 v1, v1, v5, v6
	v_add_co_ci_u32_e32 v4, vcc_lo, 0, v2, vcc_lo
	v_cmp_gt_u32_e32 vcc_lo, 30, v2
	v_add_nc_u32_e32 v6, 1, v2
	v_add3_u32 v1, v1, v7, v3
	s_delay_alu instid0(VALU_DEP_4) | instskip(SKIP_4) | instid1(VALU_DEP_2)
	v_lshlrev_b32_e32 v4, 2, v4
	v_cndmask_b32_e64 v5, 0, 1, vcc_lo
	ds_bpermute_b32 v3, v4, v1
	v_and_b32_e32 v4, 0x60, v0
	v_lshlrev_b32_e32 v5, 1, v5
	v_sub_nc_u32_e64 v4, s2, v4 clamp
	s_delay_alu instid0(VALU_DEP_2) | instskip(NEXT) | instid1(VALU_DEP_2)
	v_add_lshl_u32 v5, v5, v2, 2
	v_cmp_lt_u32_e32 vcc_lo, v6, v4
	s_waitcnt lgkmcnt(0)
	v_dual_cndmask_b32 v3, 0, v3 :: v_dual_add_nc_u32 v6, 2, v2
	v_cmp_gt_u32_e32 vcc_lo, 28, v2
	s_delay_alu instid0(VALU_DEP_2) | instskip(SKIP_4) | instid1(VALU_DEP_3)
	v_add_nc_u32_e32 v1, v1, v3
	ds_bpermute_b32 v3, v5, v1
	v_cndmask_b32_e64 v5, 0, 1, vcc_lo
	v_cmp_lt_u32_e32 vcc_lo, v6, v4
	v_add_nc_u32_e32 v6, 4, v2
	v_lshlrev_b32_e32 v5, 2, v5
	s_delay_alu instid0(VALU_DEP_1) | instskip(SKIP_3) | instid1(VALU_DEP_2)
	v_add_lshl_u32 v5, v5, v2, 2
	s_waitcnt lgkmcnt(0)
	v_cndmask_b32_e32 v3, 0, v3, vcc_lo
	v_cmp_gt_u32_e32 vcc_lo, 24, v2
	v_add_nc_u32_e32 v1, v1, v3
	ds_bpermute_b32 v3, v5, v1
	v_cndmask_b32_e64 v5, 0, 1, vcc_lo
	v_cmp_lt_u32_e32 vcc_lo, v6, v4
	v_add_nc_u32_e32 v6, 8, v2
	s_delay_alu instid0(VALU_DEP_3) | instskip(NEXT) | instid1(VALU_DEP_1)
	v_lshlrev_b32_e32 v5, 3, v5
	v_add_lshl_u32 v5, v5, v2, 2
	s_waitcnt lgkmcnt(0)
	v_cndmask_b32_e32 v3, 0, v3, vcc_lo
	v_cmp_gt_u32_e32 vcc_lo, 16, v2
	s_delay_alu instid0(VALU_DEP_2) | instskip(SKIP_3) | instid1(VALU_DEP_2)
	v_add_nc_u32_e32 v1, v1, v3
	ds_bpermute_b32 v3, v5, v1
	v_cndmask_b32_e64 v5, 0, 1, vcc_lo
	v_cmp_lt_u32_e32 vcc_lo, v6, v4
	v_lshlrev_b32_e32 v5, 4, v5
	s_delay_alu instid0(VALU_DEP_1) | instskip(SKIP_2) | instid1(VALU_DEP_1)
	v_add_lshl_u32 v5, v5, v2, 2
	s_waitcnt lgkmcnt(0)
	v_cndmask_b32_e32 v3, 0, v3, vcc_lo
	v_add_nc_u32_e32 v1, v1, v3
	ds_bpermute_b32 v3, v5, v1
	v_add_nc_u32_e32 v5, 16, v2
	s_delay_alu instid0(VALU_DEP_1) | instskip(SKIP_2) | instid1(VALU_DEP_1)
	v_cmp_lt_u32_e32 vcc_lo, v5, v4
	s_waitcnt lgkmcnt(0)
	v_cndmask_b32_e32 v3, 0, v3, vcc_lo
	v_add_nc_u32_e32 v1, v1, v3
	v_cmpx_eq_u32_e32 0, v2
	s_cbranch_execz .LBB388_569
; %bb.568:
	v_lshrrev_b32_e32 v3, 3, v0
	s_delay_alu instid0(VALU_DEP_1)
	v_and_b32_e32 v3, 12, v3
	ds_store_b32 v3, v1 offset:128
.LBB388_569:
	s_or_b32 exec_lo, exec_lo, s3
	s_delay_alu instid0(SALU_CYCLE_1)
	s_mov_b32 s3, exec_lo
	s_waitcnt lgkmcnt(0)
	s_barrier
	buffer_gl0_inv
	v_cmpx_gt_u32_e32 4, v0
	s_cbranch_execz .LBB388_571
; %bb.570:
	v_and_b32_e32 v3, 3, v2
	s_add_i32 s2, s2, 31
	s_delay_alu instid0(SALU_CYCLE_1) | instskip(NEXT) | instid1(VALU_DEP_1)
	s_lshr_b32 s2, s2, 5
	v_cmp_ne_u32_e32 vcc_lo, 3, v3
	v_add_nc_u32_e32 v5, 1, v3
	v_add_co_ci_u32_e32 v4, vcc_lo, 0, v2, vcc_lo
	v_cmp_gt_u32_e32 vcc_lo, 2, v3
	v_add_nc_u32_e32 v3, 2, v3
	s_delay_alu instid0(VALU_DEP_3) | instskip(SKIP_3) | instid1(VALU_DEP_3)
	v_lshlrev_b32_e32 v4, 2, v4
	v_cndmask_b32_e64 v6, 0, 1, vcc_lo
	v_cmp_gt_u32_e32 vcc_lo, s2, v5
	v_lshlrev_b32_e32 v1, 2, v2
	v_lshlrev_b32_e32 v5, 1, v6
	ds_load_b32 v1, v1 offset:128
	v_add_lshl_u32 v2, v5, v2, 2
	s_waitcnt lgkmcnt(0)
	ds_bpermute_b32 v4, v4, v1
	s_waitcnt lgkmcnt(0)
	v_cndmask_b32_e32 v4, 0, v4, vcc_lo
	v_cmp_gt_u32_e32 vcc_lo, s2, v3
	s_delay_alu instid0(VALU_DEP_2) | instskip(SKIP_3) | instid1(VALU_DEP_1)
	v_add_nc_u32_e32 v1, v4, v1
	ds_bpermute_b32 v2, v2, v1
	s_waitcnt lgkmcnt(0)
	v_cndmask_b32_e32 v2, 0, v2, vcc_lo
	v_add_nc_u32_e32 v1, v1, v2
.LBB388_571:
	s_or_b32 exec_lo, exec_lo, s3
.LBB388_572:
	v_cmp_eq_u32_e64 s2, 0, v0
	s_branch .LBB388_623
.LBB388_573:
	s_mov_b32 s3, -1
                                        ; implicit-def: $vgpr1
.LBB388_574:
	s_delay_alu instid0(SALU_CYCLE_1)
	s_and_b32 vcc_lo, exec_lo, s3
	s_cbranch_vccz .LBB388_596
; %bb.575:
	s_sub_i32 s10, s20, s2
	s_mov_b32 s2, exec_lo
                                        ; implicit-def: $vgpr1_vgpr2_vgpr3_vgpr4_vgpr5_vgpr6_vgpr7_vgpr8
	v_cmpx_gt_u32_e64 s10, v0
	s_cbranch_execz .LBB388_577
; %bb.576:
	v_lshlrev_b32_e32 v1, 3, v0
	global_load_b64 v[1:2], v1, s[8:9]
	s_waitcnt vmcnt(0)
	v_cmp_neq_f64_e32 vcc_lo, 0, v[1:2]
	v_cndmask_b32_e64 v1, 0, 1, vcc_lo
.LBB388_577:
	s_or_b32 exec_lo, exec_lo, s2
	v_or_b32_e32 v9, 0x80, v0
	s_delay_alu instid0(VALU_DEP_1)
	v_cmp_gt_u32_e32 vcc_lo, s10, v9
	s_and_saveexec_b32 s3, vcc_lo
	s_cbranch_execz .LBB388_579
; %bb.578:
	v_lshlrev_b32_e32 v2, 3, v0
	global_load_b64 v[9:10], v2, s[8:9] offset:1024
	s_waitcnt vmcnt(0)
	v_cmp_neq_f64_e64 s2, 0, v[9:10]
	s_delay_alu instid0(VALU_DEP_1)
	v_cndmask_b32_e64 v2, 0, 1, s2
.LBB388_579:
	s_or_b32 exec_lo, exec_lo, s3
	v_or_b32_e32 v9, 0x100, v0
	s_delay_alu instid0(VALU_DEP_1) | instskip(NEXT) | instid1(VALU_DEP_1)
	v_cmp_gt_u32_e64 s2, s10, v9
	s_and_saveexec_b32 s4, s2
	s_cbranch_execz .LBB388_581
; %bb.580:
	v_lshlrev_b32_e32 v3, 3, v0
	global_load_b64 v[9:10], v3, s[8:9] offset:2048
	s_waitcnt vmcnt(0)
	v_cmp_neq_f64_e64 s3, 0, v[9:10]
	s_delay_alu instid0(VALU_DEP_1)
	v_cndmask_b32_e64 v3, 0, 1, s3
.LBB388_581:
	s_or_b32 exec_lo, exec_lo, s4
	v_or_b32_e32 v9, 0x180, v0
	s_delay_alu instid0(VALU_DEP_1) | instskip(NEXT) | instid1(VALU_DEP_1)
	v_cmp_gt_u32_e64 s3, s10, v9
	s_and_saveexec_b32 s5, s3
	;; [unrolled: 14-line block ×3, first 2 shown]
	s_cbranch_execz .LBB388_585
; %bb.584:
	v_lshlrev_b32_e32 v5, 3, v9
	global_load_b64 v[9:10], v5, s[8:9]
	s_waitcnt vmcnt(0)
	v_cmp_neq_f64_e64 s5, 0, v[9:10]
	s_delay_alu instid0(VALU_DEP_1)
	v_cndmask_b32_e64 v5, 0, 1, s5
.LBB388_585:
	s_or_b32 exec_lo, exec_lo, s6
	v_or_b32_e32 v9, 0x280, v0
	s_delay_alu instid0(VALU_DEP_1) | instskip(NEXT) | instid1(VALU_DEP_1)
	v_cmp_gt_u32_e64 s5, s10, v9
	s_and_saveexec_b32 s7, s5
	s_cbranch_execz .LBB388_587
; %bb.586:
	v_lshlrev_b32_e32 v6, 3, v9
	global_load_b64 v[9:10], v6, s[8:9]
	s_waitcnt vmcnt(0)
	v_cmp_neq_f64_e64 s6, 0, v[9:10]
	s_delay_alu instid0(VALU_DEP_1)
	v_cndmask_b32_e64 v6, 0, 1, s6
.LBB388_587:
	s_or_b32 exec_lo, exec_lo, s7
	v_or_b32_e32 v9, 0x300, v0
	s_delay_alu instid0(VALU_DEP_1) | instskip(NEXT) | instid1(VALU_DEP_1)
	v_cmp_gt_u32_e64 s6, s10, v9
	s_and_saveexec_b32 s11, s6
	;; [unrolled: 14-line block ×3, first 2 shown]
	s_cbranch_execz .LBB388_591
; %bb.590:
	v_lshlrev_b32_e32 v8, 3, v9
	global_load_b64 v[8:9], v8, s[8:9]
	s_waitcnt vmcnt(0)
	v_cmp_neq_f64_e64 s8, 0, v[8:9]
	s_delay_alu instid0(VALU_DEP_1)
	v_cndmask_b32_e64 v8, 0, 1, s8
.LBB388_591:
	s_or_b32 exec_lo, exec_lo, s11
	v_cndmask_b32_e32 v2, 0, v2, vcc_lo
	v_cndmask_b32_e64 v3, 0, v3, s2
	v_cndmask_b32_e64 v4, 0, v4, s3
	v_cndmask_b32_e64 v5, 0, v5, s4
	v_cndmask_b32_e64 v6, 0, v6, s5
	v_add_nc_u32_e32 v1, v2, v1
	v_mbcnt_lo_u32_b32 v2, -1, 0
	v_cndmask_b32_e64 v7, 0, v7, s6
	s_min_u32 s2, s10, 0x80
	s_mov_b32 s3, exec_lo
	v_add3_u32 v1, v1, v3, v4
	v_cmp_ne_u32_e32 vcc_lo, 31, v2
	v_cndmask_b32_e64 v3, 0, v8, s7
	s_delay_alu instid0(VALU_DEP_3) | instskip(SKIP_3) | instid1(VALU_DEP_4)
	v_add3_u32 v1, v1, v5, v6
	v_add_co_ci_u32_e32 v4, vcc_lo, 0, v2, vcc_lo
	v_cmp_gt_u32_e32 vcc_lo, 30, v2
	v_add_nc_u32_e32 v6, 1, v2
	v_add3_u32 v1, v1, v7, v3
	s_delay_alu instid0(VALU_DEP_4) | instskip(SKIP_4) | instid1(VALU_DEP_2)
	v_lshlrev_b32_e32 v4, 2, v4
	v_cndmask_b32_e64 v5, 0, 1, vcc_lo
	ds_bpermute_b32 v3, v4, v1
	v_and_b32_e32 v4, 0x60, v0
	v_lshlrev_b32_e32 v5, 1, v5
	v_sub_nc_u32_e64 v4, s2, v4 clamp
	s_delay_alu instid0(VALU_DEP_2) | instskip(NEXT) | instid1(VALU_DEP_2)
	v_add_lshl_u32 v5, v5, v2, 2
	v_cmp_lt_u32_e32 vcc_lo, v6, v4
	s_waitcnt lgkmcnt(0)
	v_dual_cndmask_b32 v3, 0, v3 :: v_dual_add_nc_u32 v6, 2, v2
	v_cmp_gt_u32_e32 vcc_lo, 28, v2
	s_delay_alu instid0(VALU_DEP_2) | instskip(SKIP_4) | instid1(VALU_DEP_3)
	v_add_nc_u32_e32 v1, v1, v3
	ds_bpermute_b32 v3, v5, v1
	v_cndmask_b32_e64 v5, 0, 1, vcc_lo
	v_cmp_lt_u32_e32 vcc_lo, v6, v4
	v_add_nc_u32_e32 v6, 4, v2
	v_lshlrev_b32_e32 v5, 2, v5
	s_delay_alu instid0(VALU_DEP_1) | instskip(SKIP_3) | instid1(VALU_DEP_2)
	v_add_lshl_u32 v5, v5, v2, 2
	s_waitcnt lgkmcnt(0)
	v_cndmask_b32_e32 v3, 0, v3, vcc_lo
	v_cmp_gt_u32_e32 vcc_lo, 24, v2
	v_add_nc_u32_e32 v1, v1, v3
	ds_bpermute_b32 v3, v5, v1
	v_cndmask_b32_e64 v5, 0, 1, vcc_lo
	v_cmp_lt_u32_e32 vcc_lo, v6, v4
	v_add_nc_u32_e32 v6, 8, v2
	s_delay_alu instid0(VALU_DEP_3) | instskip(NEXT) | instid1(VALU_DEP_1)
	v_lshlrev_b32_e32 v5, 3, v5
	v_add_lshl_u32 v5, v5, v2, 2
	s_waitcnt lgkmcnt(0)
	v_cndmask_b32_e32 v3, 0, v3, vcc_lo
	v_cmp_gt_u32_e32 vcc_lo, 16, v2
	s_delay_alu instid0(VALU_DEP_2) | instskip(SKIP_3) | instid1(VALU_DEP_2)
	v_add_nc_u32_e32 v1, v1, v3
	ds_bpermute_b32 v3, v5, v1
	v_cndmask_b32_e64 v5, 0, 1, vcc_lo
	v_cmp_lt_u32_e32 vcc_lo, v6, v4
	v_lshlrev_b32_e32 v5, 4, v5
	s_delay_alu instid0(VALU_DEP_1) | instskip(SKIP_2) | instid1(VALU_DEP_1)
	v_add_lshl_u32 v5, v5, v2, 2
	s_waitcnt lgkmcnt(0)
	v_cndmask_b32_e32 v3, 0, v3, vcc_lo
	v_add_nc_u32_e32 v1, v1, v3
	ds_bpermute_b32 v3, v5, v1
	v_add_nc_u32_e32 v5, 16, v2
	s_delay_alu instid0(VALU_DEP_1) | instskip(SKIP_2) | instid1(VALU_DEP_1)
	v_cmp_lt_u32_e32 vcc_lo, v5, v4
	s_waitcnt lgkmcnt(0)
	v_cndmask_b32_e32 v3, 0, v3, vcc_lo
	v_add_nc_u32_e32 v1, v1, v3
	v_cmpx_eq_u32_e32 0, v2
	s_cbranch_execz .LBB388_593
; %bb.592:
	v_lshrrev_b32_e32 v3, 3, v0
	s_delay_alu instid0(VALU_DEP_1)
	v_and_b32_e32 v3, 12, v3
	ds_store_b32 v3, v1 offset:128
.LBB388_593:
	s_or_b32 exec_lo, exec_lo, s3
	s_delay_alu instid0(SALU_CYCLE_1)
	s_mov_b32 s3, exec_lo
	s_waitcnt lgkmcnt(0)
	s_barrier
	buffer_gl0_inv
	v_cmpx_gt_u32_e32 4, v0
	s_cbranch_execz .LBB388_595
; %bb.594:
	v_and_b32_e32 v3, 3, v2
	s_add_i32 s2, s2, 31
	s_delay_alu instid0(SALU_CYCLE_1) | instskip(NEXT) | instid1(VALU_DEP_1)
	s_lshr_b32 s2, s2, 5
	v_cmp_ne_u32_e32 vcc_lo, 3, v3
	v_add_nc_u32_e32 v5, 1, v3
	v_add_co_ci_u32_e32 v4, vcc_lo, 0, v2, vcc_lo
	v_cmp_gt_u32_e32 vcc_lo, 2, v3
	v_add_nc_u32_e32 v3, 2, v3
	s_delay_alu instid0(VALU_DEP_3) | instskip(SKIP_3) | instid1(VALU_DEP_3)
	v_lshlrev_b32_e32 v4, 2, v4
	v_cndmask_b32_e64 v6, 0, 1, vcc_lo
	v_cmp_gt_u32_e32 vcc_lo, s2, v5
	v_lshlrev_b32_e32 v1, 2, v2
	v_lshlrev_b32_e32 v5, 1, v6
	ds_load_b32 v1, v1 offset:128
	v_add_lshl_u32 v2, v5, v2, 2
	s_waitcnt lgkmcnt(0)
	ds_bpermute_b32 v4, v4, v1
	s_waitcnt lgkmcnt(0)
	v_cndmask_b32_e32 v4, 0, v4, vcc_lo
	v_cmp_gt_u32_e32 vcc_lo, s2, v3
	s_delay_alu instid0(VALU_DEP_2) | instskip(SKIP_3) | instid1(VALU_DEP_1)
	v_add_nc_u32_e32 v1, v4, v1
	ds_bpermute_b32 v2, v2, v1
	s_waitcnt lgkmcnt(0)
	v_cndmask_b32_e32 v2, 0, v2, vcc_lo
	v_add_nc_u32_e32 v1, v1, v2
.LBB388_595:
	s_or_b32 exec_lo, exec_lo, s3
.LBB388_596:
	v_cmp_eq_u32_e64 s2, 0, v0
.LBB388_597:
	s_branch .LBB388_623
.LBB388_598:
	s_mov_b32 s3, -1
                                        ; implicit-def: $vgpr1
.LBB388_599:
	s_delay_alu instid0(SALU_CYCLE_1)
	s_and_b32 vcc_lo, exec_lo, s3
	s_cbranch_vccz .LBB388_613
; %bb.600:
	s_sub_i32 s6, s20, s2
	s_mov_b32 s2, exec_lo
                                        ; implicit-def: $vgpr1_vgpr2_vgpr3_vgpr4
	v_cmpx_gt_u32_e64 s6, v0
	s_cbranch_execz .LBB388_602
; %bb.601:
	v_lshlrev_b32_e32 v1, 3, v0
	global_load_b64 v[1:2], v1, s[4:5]
	s_waitcnt vmcnt(0)
	v_cmp_neq_f64_e32 vcc_lo, 0, v[1:2]
	v_cndmask_b32_e64 v1, 0, 1, vcc_lo
.LBB388_602:
	s_or_b32 exec_lo, exec_lo, s2
	v_or_b32_e32 v5, 0x80, v0
	s_delay_alu instid0(VALU_DEP_1)
	v_cmp_gt_u32_e32 vcc_lo, s6, v5
	s_and_saveexec_b32 s3, vcc_lo
	s_cbranch_execz .LBB388_604
; %bb.603:
	v_lshlrev_b32_e32 v2, 3, v0
	global_load_b64 v[5:6], v2, s[4:5] offset:1024
	s_waitcnt vmcnt(0)
	v_cmp_neq_f64_e64 s2, 0, v[5:6]
	s_delay_alu instid0(VALU_DEP_1)
	v_cndmask_b32_e64 v2, 0, 1, s2
.LBB388_604:
	s_or_b32 exec_lo, exec_lo, s3
	v_or_b32_e32 v5, 0x100, v0
	s_delay_alu instid0(VALU_DEP_1) | instskip(NEXT) | instid1(VALU_DEP_1)
	v_cmp_gt_u32_e64 s2, s6, v5
	s_and_saveexec_b32 s7, s2
	s_cbranch_execz .LBB388_606
; %bb.605:
	v_lshlrev_b32_e32 v3, 3, v0
	global_load_b64 v[5:6], v3, s[4:5] offset:2048
	s_waitcnt vmcnt(0)
	v_cmp_neq_f64_e64 s3, 0, v[5:6]
	s_delay_alu instid0(VALU_DEP_1)
	v_cndmask_b32_e64 v3, 0, 1, s3
.LBB388_606:
	s_or_b32 exec_lo, exec_lo, s7
	v_or_b32_e32 v5, 0x180, v0
	s_delay_alu instid0(VALU_DEP_1) | instskip(NEXT) | instid1(VALU_DEP_1)
	v_cmp_gt_u32_e64 s3, s6, v5
	s_and_saveexec_b32 s7, s3
	s_cbranch_execz .LBB388_608
; %bb.607:
	v_lshlrev_b32_e32 v4, 3, v0
	global_load_b64 v[4:5], v4, s[4:5] offset:3072
	s_waitcnt vmcnt(0)
	v_cmp_neq_f64_e64 s4, 0, v[4:5]
	s_delay_alu instid0(VALU_DEP_1)
	v_cndmask_b32_e64 v4, 0, 1, s4
.LBB388_608:
	s_or_b32 exec_lo, exec_lo, s7
	v_cndmask_b32_e32 v5, 0, v2, vcc_lo
	v_mbcnt_lo_u32_b32 v2, -1, 0
	v_cndmask_b32_e64 v3, 0, v3, s2
	v_cndmask_b32_e64 v4, 0, v4, s3
	s_min_u32 s2, s6, 0x80
	v_add_nc_u32_e32 v1, v5, v1
	v_cmp_ne_u32_e32 vcc_lo, 31, v2
	s_mov_b32 s3, exec_lo
	s_delay_alu instid0(VALU_DEP_2) | instskip(SKIP_3) | instid1(VALU_DEP_3)
	v_add3_u32 v1, v1, v3, v4
	v_and_b32_e32 v4, 0x60, v0
	v_add_co_ci_u32_e32 v5, vcc_lo, 0, v2, vcc_lo
	v_cmp_gt_u32_e32 vcc_lo, 30, v2
	v_sub_nc_u32_e64 v4, s2, v4 clamp
	s_delay_alu instid0(VALU_DEP_3) | instskip(SKIP_4) | instid1(VALU_DEP_2)
	v_lshlrev_b32_e32 v3, 2, v5
	v_cndmask_b32_e64 v5, 0, 1, vcc_lo
	ds_bpermute_b32 v3, v3, v1
	v_add_nc_u32_e32 v6, 1, v2
	v_lshlrev_b32_e32 v5, 1, v5
	v_cmp_lt_u32_e32 vcc_lo, v6, v4
	s_delay_alu instid0(VALU_DEP_2) | instskip(SKIP_3) | instid1(VALU_DEP_2)
	v_add_lshl_u32 v5, v5, v2, 2
	s_waitcnt lgkmcnt(0)
	v_cndmask_b32_e32 v3, 0, v3, vcc_lo
	v_cmp_gt_u32_e32 vcc_lo, 28, v2
	v_add_nc_u32_e32 v1, v3, v1
	ds_bpermute_b32 v3, v5, v1
	v_add_nc_u32_e32 v6, 2, v2
	v_cndmask_b32_e64 v5, 0, 1, vcc_lo
	s_delay_alu instid0(VALU_DEP_2) | instskip(NEXT) | instid1(VALU_DEP_2)
	v_cmp_lt_u32_e32 vcc_lo, v6, v4
	v_lshlrev_b32_e32 v5, 2, v5
	s_delay_alu instid0(VALU_DEP_1) | instskip(SKIP_3) | instid1(VALU_DEP_2)
	v_add_lshl_u32 v5, v5, v2, 2
	s_waitcnt lgkmcnt(0)
	v_cndmask_b32_e32 v3, 0, v3, vcc_lo
	v_cmp_gt_u32_e32 vcc_lo, 24, v2
	v_add_nc_u32_e32 v1, v1, v3
	ds_bpermute_b32 v3, v5, v1
	v_add_nc_u32_e32 v6, 4, v2
	v_cndmask_b32_e64 v5, 0, 1, vcc_lo
	s_delay_alu instid0(VALU_DEP_2) | instskip(NEXT) | instid1(VALU_DEP_2)
	v_cmp_lt_u32_e32 vcc_lo, v6, v4
	v_lshlrev_b32_e32 v5, 3, v5
	s_delay_alu instid0(VALU_DEP_1) | instskip(SKIP_3) | instid1(VALU_DEP_2)
	v_add_lshl_u32 v5, v5, v2, 2
	s_waitcnt lgkmcnt(0)
	v_cndmask_b32_e32 v3, 0, v3, vcc_lo
	v_cmp_gt_u32_e32 vcc_lo, 16, v2
	v_add_nc_u32_e32 v1, v1, v3
	ds_bpermute_b32 v3, v5, v1
	v_add_nc_u32_e32 v6, 8, v2
	v_cndmask_b32_e64 v5, 0, 1, vcc_lo
	s_delay_alu instid0(VALU_DEP_2) | instskip(NEXT) | instid1(VALU_DEP_2)
	v_cmp_lt_u32_e32 vcc_lo, v6, v4
	v_lshlrev_b32_e32 v5, 4, v5
	s_delay_alu instid0(VALU_DEP_1) | instskip(SKIP_2) | instid1(VALU_DEP_1)
	v_add_lshl_u32 v5, v5, v2, 2
	s_waitcnt lgkmcnt(0)
	v_cndmask_b32_e32 v3, 0, v3, vcc_lo
	v_add_nc_u32_e32 v1, v1, v3
	ds_bpermute_b32 v3, v5, v1
	v_add_nc_u32_e32 v5, 16, v2
	s_delay_alu instid0(VALU_DEP_1) | instskip(SKIP_2) | instid1(VALU_DEP_1)
	v_cmp_lt_u32_e32 vcc_lo, v5, v4
	s_waitcnt lgkmcnt(0)
	v_cndmask_b32_e32 v3, 0, v3, vcc_lo
	v_add_nc_u32_e32 v1, v1, v3
	v_cmpx_eq_u32_e32 0, v2
	s_cbranch_execz .LBB388_610
; %bb.609:
	v_lshrrev_b32_e32 v3, 3, v0
	s_delay_alu instid0(VALU_DEP_1)
	v_and_b32_e32 v3, 12, v3
	ds_store_b32 v3, v1 offset:128
.LBB388_610:
	s_or_b32 exec_lo, exec_lo, s3
	s_delay_alu instid0(SALU_CYCLE_1)
	s_mov_b32 s3, exec_lo
	s_waitcnt lgkmcnt(0)
	s_barrier
	buffer_gl0_inv
	v_cmpx_gt_u32_e32 4, v0
	s_cbranch_execz .LBB388_612
; %bb.611:
	v_and_b32_e32 v3, 3, v2
	s_add_i32 s2, s2, 31
	s_delay_alu instid0(SALU_CYCLE_1) | instskip(NEXT) | instid1(VALU_DEP_1)
	s_lshr_b32 s2, s2, 5
	v_cmp_ne_u32_e32 vcc_lo, 3, v3
	v_add_nc_u32_e32 v5, 1, v3
	v_add_co_ci_u32_e32 v4, vcc_lo, 0, v2, vcc_lo
	v_cmp_gt_u32_e32 vcc_lo, 2, v3
	v_add_nc_u32_e32 v3, 2, v3
	s_delay_alu instid0(VALU_DEP_3) | instskip(SKIP_3) | instid1(VALU_DEP_3)
	v_lshlrev_b32_e32 v4, 2, v4
	v_cndmask_b32_e64 v6, 0, 1, vcc_lo
	v_cmp_gt_u32_e32 vcc_lo, s2, v5
	v_lshlrev_b32_e32 v1, 2, v2
	v_lshlrev_b32_e32 v5, 1, v6
	ds_load_b32 v1, v1 offset:128
	v_add_lshl_u32 v2, v5, v2, 2
	s_waitcnt lgkmcnt(0)
	ds_bpermute_b32 v4, v4, v1
	s_waitcnt lgkmcnt(0)
	v_cndmask_b32_e32 v4, 0, v4, vcc_lo
	v_cmp_gt_u32_e32 vcc_lo, s2, v3
	s_delay_alu instid0(VALU_DEP_2) | instskip(SKIP_3) | instid1(VALU_DEP_1)
	v_add_nc_u32_e32 v1, v4, v1
	ds_bpermute_b32 v2, v2, v1
	s_waitcnt lgkmcnt(0)
	v_cndmask_b32_e32 v2, 0, v2, vcc_lo
	v_add_nc_u32_e32 v1, v1, v2
.LBB388_612:
	s_or_b32 exec_lo, exec_lo, s3
.LBB388_613:
	v_cmp_eq_u32_e64 s2, 0, v0
	s_branch .LBB388_623
.LBB388_614:
	s_cmp_gt_i32 s19, 1
	s_cbranch_scc0 .LBB388_622
; %bb.615:
	s_cmp_eq_u32 s19, 2
	s_cbranch_scc0 .LBB388_626
; %bb.616:
	s_mov_b32 s25, 0
	s_lshl_b32 s6, s24, 8
	s_mov_b32 s7, s25
	s_lshr_b64 s[8:9], s[20:21], 8
	s_lshl_b64 s[2:3], s[6:7], 3
	s_delay_alu instid0(SALU_CYCLE_1)
	s_add_u32 s4, s26, s2
	s_addc_u32 s5, s27, s3
	s_cmp_lg_u64 s[8:9], s[24:25]
	s_cbranch_scc0 .LBB388_627
; %bb.617:
	v_lshlrev_b32_e32 v3, 3, v0
	s_clause 0x1
	global_load_b64 v[1:2], v3, s[4:5]
	global_load_b64 v[3:4], v3, s[4:5] offset:1024
	s_waitcnt vmcnt(1)
	v_cmp_neq_f64_e32 vcc_lo, 0, v[1:2]
	v_cndmask_b32_e64 v1, 0, 1, vcc_lo
	s_waitcnt vmcnt(0)
	v_cmp_neq_f64_e32 vcc_lo, 0, v[3:4]
	s_delay_alu instid0(VALU_DEP_2) | instskip(SKIP_1) | instid1(VALU_DEP_1)
	v_add_co_ci_u32_e64 v2, s2, 0, v1, vcc_lo
	s_mov_b32 s2, exec_lo
	v_mov_b32_dpp v2, v2 quad_perm:[1,0,3,2] row_mask:0xf bank_mask:0xf
	s_delay_alu instid0(VALU_DEP_1) | instskip(NEXT) | instid1(VALU_DEP_1)
	v_add_co_ci_u32_e32 v1, vcc_lo, v2, v1, vcc_lo
	v_mov_b32_dpp v2, v1 quad_perm:[2,3,0,1] row_mask:0xf bank_mask:0xf
	s_delay_alu instid0(VALU_DEP_1) | instskip(NEXT) | instid1(VALU_DEP_1)
	v_add_nc_u32_e32 v1, v1, v2
	v_mov_b32_dpp v2, v1 row_ror:4 row_mask:0xf bank_mask:0xf
	s_delay_alu instid0(VALU_DEP_1) | instskip(NEXT) | instid1(VALU_DEP_1)
	v_add_nc_u32_e32 v1, v1, v2
	v_mov_b32_dpp v2, v1 row_ror:8 row_mask:0xf bank_mask:0xf
	s_delay_alu instid0(VALU_DEP_1)
	v_add_nc_u32_e32 v1, v1, v2
	ds_swizzle_b32 v2, v1 offset:swizzle(BROADCAST,32,15)
	s_waitcnt lgkmcnt(0)
	v_dual_mov_b32 v2, 0 :: v_dual_add_nc_u32 v1, v1, v2
	ds_bpermute_b32 v1, v2, v1 offset:124
	v_mbcnt_lo_u32_b32 v2, -1, 0
	s_delay_alu instid0(VALU_DEP_1)
	v_cmpx_eq_u32_e32 0, v2
	s_cbranch_execz .LBB388_619
; %bb.618:
	v_lshrrev_b32_e32 v3, 3, v0
	s_delay_alu instid0(VALU_DEP_1)
	v_and_b32_e32 v3, 12, v3
	s_waitcnt lgkmcnt(0)
	ds_store_b32 v3, v1 offset:48
.LBB388_619:
	s_or_b32 exec_lo, exec_lo, s2
	s_delay_alu instid0(SALU_CYCLE_1)
	s_mov_b32 s2, exec_lo
	s_waitcnt lgkmcnt(0)
	s_barrier
	buffer_gl0_inv
	v_cmpx_gt_u32_e32 32, v0
	s_cbranch_execz .LBB388_621
; %bb.620:
	v_and_b32_e32 v1, 3, v2
	s_delay_alu instid0(VALU_DEP_1) | instskip(SKIP_4) | instid1(VALU_DEP_2)
	v_lshlrev_b32_e32 v3, 2, v1
	v_cmp_ne_u32_e32 vcc_lo, 3, v1
	ds_load_b32 v3, v3 offset:48
	v_add_co_ci_u32_e32 v4, vcc_lo, 0, v2, vcc_lo
	v_cmp_gt_u32_e32 vcc_lo, 2, v1
	v_lshlrev_b32_e32 v4, 2, v4
	v_cndmask_b32_e64 v1, 0, 1, vcc_lo
	s_delay_alu instid0(VALU_DEP_1) | instskip(NEXT) | instid1(VALU_DEP_1)
	v_lshlrev_b32_e32 v1, 1, v1
	v_add_lshl_u32 v1, v1, v2, 2
	s_waitcnt lgkmcnt(0)
	ds_bpermute_b32 v4, v4, v3
	s_waitcnt lgkmcnt(0)
	v_add_nc_u32_e32 v3, v4, v3
	ds_bpermute_b32 v1, v1, v3
	s_waitcnt lgkmcnt(0)
	v_add_nc_u32_e32 v1, v1, v3
.LBB388_621:
	s_or_b32 exec_lo, exec_lo, s2
	s_mov_b32 s2, 0
	s_branch .LBB388_628
.LBB388_622:
                                        ; implicit-def: $vgpr1
	s_cbranch_execnz .LBB388_639
.LBB388_623:
	s_delay_alu instid0(VALU_DEP_1)
	s_and_saveexec_b32 s3, s2
	s_cbranch_execz .LBB388_625
.LBB388_624:
	s_load_b32 s2, s[0:1], 0x28
	s_cmp_lg_u64 s[20:21], 0
	s_cselect_b32 vcc_lo, -1, 0
	s_lshl_b64 s[0:1], s[24:25], 2
	v_dual_cndmask_b32 v0, 0, v1 :: v_dual_mov_b32 v1, 0
	s_add_u32 s0, s22, s0
	s_addc_u32 s1, s23, s1
	s_waitcnt lgkmcnt(0)
	s_delay_alu instid0(VALU_DEP_1)
	v_add_nc_u32_e32 v0, s2, v0
	global_store_b32 v1, v0, s[0:1]
.LBB388_625:
	s_nop 0
	s_sendmsg sendmsg(MSG_DEALLOC_VGPRS)
	s_endpgm
.LBB388_626:
                                        ; implicit-def: $vgpr1
	s_branch .LBB388_623
.LBB388_627:
	s_mov_b32 s2, -1
                                        ; implicit-def: $vgpr1
.LBB388_628:
	s_delay_alu instid0(SALU_CYCLE_1)
	s_and_b32 vcc_lo, exec_lo, s2
	s_cbranch_vccz .LBB388_638
; %bb.629:
	s_sub_i32 s3, s20, s6
	s_mov_b32 s2, exec_lo
                                        ; implicit-def: $vgpr1_vgpr2
	v_cmpx_gt_u32_e64 s3, v0
	s_cbranch_execz .LBB388_631
; %bb.630:
	v_lshlrev_b32_e32 v1, 3, v0
	global_load_b64 v[1:2], v1, s[4:5]
	s_waitcnt vmcnt(0)
	v_cmp_neq_f64_e32 vcc_lo, 0, v[1:2]
	v_cndmask_b32_e64 v1, 0, 1, vcc_lo
.LBB388_631:
	s_or_b32 exec_lo, exec_lo, s2
	v_or_b32_e32 v3, 0x80, v0
	s_delay_alu instid0(VALU_DEP_1)
	v_cmp_gt_u32_e32 vcc_lo, s3, v3
	s_and_saveexec_b32 s6, vcc_lo
	s_cbranch_execz .LBB388_633
; %bb.632:
	v_lshlrev_b32_e32 v2, 3, v0
	global_load_b64 v[2:3], v2, s[4:5] offset:1024
	s_waitcnt vmcnt(0)
	v_cmp_neq_f64_e64 s2, 0, v[2:3]
	s_delay_alu instid0(VALU_DEP_1)
	v_cndmask_b32_e64 v2, 0, 1, s2
.LBB388_633:
	s_or_b32 exec_lo, exec_lo, s6
	v_mbcnt_lo_u32_b32 v3, -1, 0
	s_delay_alu instid0(VALU_DEP_2) | instskip(SKIP_2) | instid1(VALU_DEP_2)
	v_cndmask_b32_e32 v2, 0, v2, vcc_lo
	s_min_u32 s2, s3, 0x80
	s_mov_b32 s3, exec_lo
	v_cmp_ne_u32_e32 vcc_lo, 31, v3
	v_add_nc_u32_e32 v6, 1, v3
	v_add_co_ci_u32_e32 v4, vcc_lo, 0, v3, vcc_lo
	v_cmp_gt_u32_e32 vcc_lo, 30, v3
	v_cndmask_b32_e64 v5, 0, 1, vcc_lo
	s_delay_alu instid0(VALU_DEP_1) | instskip(SKIP_3) | instid1(VALU_DEP_4)
	v_lshlrev_b32_e32 v5, 1, v5
	v_add_nc_u32_e32 v1, v2, v1
	v_lshlrev_b32_e32 v2, 2, v4
	v_and_b32_e32 v4, 0x60, v0
	v_add_lshl_u32 v5, v5, v3, 2
	ds_bpermute_b32 v2, v2, v1
	v_sub_nc_u32_e64 v4, s2, v4 clamp
	s_delay_alu instid0(VALU_DEP_1) | instskip(SKIP_4) | instid1(VALU_DEP_2)
	v_cmp_lt_u32_e32 vcc_lo, v6, v4
	v_add_nc_u32_e32 v6, 2, v3
	s_waitcnt lgkmcnt(0)
	v_cndmask_b32_e32 v2, 0, v2, vcc_lo
	v_cmp_gt_u32_e32 vcc_lo, 28, v3
	v_add_nc_u32_e32 v1, v2, v1
	ds_bpermute_b32 v2, v5, v1
	v_cndmask_b32_e64 v5, 0, 1, vcc_lo
	v_cmp_lt_u32_e32 vcc_lo, v6, v4
	v_add_nc_u32_e32 v6, 4, v3
	s_delay_alu instid0(VALU_DEP_3) | instskip(NEXT) | instid1(VALU_DEP_1)
	v_lshlrev_b32_e32 v5, 2, v5
	v_add_lshl_u32 v5, v5, v3, 2
	s_waitcnt lgkmcnt(0)
	v_cndmask_b32_e32 v2, 0, v2, vcc_lo
	v_cmp_gt_u32_e32 vcc_lo, 24, v3
	s_delay_alu instid0(VALU_DEP_2) | instskip(SKIP_4) | instid1(VALU_DEP_3)
	v_add_nc_u32_e32 v1, v1, v2
	ds_bpermute_b32 v2, v5, v1
	v_cndmask_b32_e64 v5, 0, 1, vcc_lo
	v_cmp_lt_u32_e32 vcc_lo, v6, v4
	v_add_nc_u32_e32 v6, 8, v3
	v_lshlrev_b32_e32 v5, 3, v5
	s_delay_alu instid0(VALU_DEP_1) | instskip(SKIP_3) | instid1(VALU_DEP_2)
	v_add_lshl_u32 v5, v5, v3, 2
	s_waitcnt lgkmcnt(0)
	v_cndmask_b32_e32 v2, 0, v2, vcc_lo
	v_cmp_gt_u32_e32 vcc_lo, 16, v3
	v_add_nc_u32_e32 v1, v1, v2
	ds_bpermute_b32 v2, v5, v1
	v_cndmask_b32_e64 v5, 0, 1, vcc_lo
	v_cmp_lt_u32_e32 vcc_lo, v6, v4
	s_delay_alu instid0(VALU_DEP_2) | instskip(NEXT) | instid1(VALU_DEP_1)
	v_lshlrev_b32_e32 v5, 4, v5
	v_add_lshl_u32 v5, v5, v3, 2
	s_waitcnt lgkmcnt(0)
	v_cndmask_b32_e32 v2, 0, v2, vcc_lo
	s_delay_alu instid0(VALU_DEP_1) | instskip(SKIP_2) | instid1(VALU_DEP_1)
	v_add_nc_u32_e32 v1, v1, v2
	ds_bpermute_b32 v2, v5, v1
	v_add_nc_u32_e32 v5, 16, v3
	v_cmp_lt_u32_e32 vcc_lo, v5, v4
	s_waitcnt lgkmcnt(0)
	v_cndmask_b32_e32 v2, 0, v2, vcc_lo
	s_delay_alu instid0(VALU_DEP_1)
	v_add_nc_u32_e32 v1, v1, v2
	v_cmpx_eq_u32_e32 0, v3
	s_cbranch_execz .LBB388_635
; %bb.634:
	v_lshrrev_b32_e32 v2, 3, v0
	s_delay_alu instid0(VALU_DEP_1)
	v_and_b32_e32 v2, 12, v2
	ds_store_b32 v2, v1 offset:128
.LBB388_635:
	s_or_b32 exec_lo, exec_lo, s3
	s_delay_alu instid0(SALU_CYCLE_1)
	s_mov_b32 s3, exec_lo
	s_waitcnt lgkmcnt(0)
	s_barrier
	buffer_gl0_inv
	v_cmpx_gt_u32_e32 4, v0
	s_cbranch_execz .LBB388_637
; %bb.636:
	v_and_b32_e32 v2, 3, v3
	s_add_i32 s2, s2, 31
	s_delay_alu instid0(SALU_CYCLE_1) | instskip(NEXT) | instid1(VALU_DEP_1)
	s_lshr_b32 s2, s2, 5
	v_cmp_ne_u32_e32 vcc_lo, 3, v2
	v_add_nc_u32_e32 v5, 1, v2
	v_add_co_ci_u32_e32 v4, vcc_lo, 0, v3, vcc_lo
	v_cmp_gt_u32_e32 vcc_lo, 2, v2
	v_add_nc_u32_e32 v2, 2, v2
	s_delay_alu instid0(VALU_DEP_3) | instskip(SKIP_3) | instid1(VALU_DEP_3)
	v_lshlrev_b32_e32 v4, 2, v4
	v_cndmask_b32_e64 v6, 0, 1, vcc_lo
	v_cmp_gt_u32_e32 vcc_lo, s2, v5
	v_lshlrev_b32_e32 v1, 2, v3
	v_lshlrev_b32_e32 v5, 1, v6
	ds_load_b32 v1, v1 offset:128
	v_add_lshl_u32 v3, v5, v3, 2
	s_waitcnt lgkmcnt(0)
	ds_bpermute_b32 v4, v4, v1
	s_waitcnt lgkmcnt(0)
	v_cndmask_b32_e32 v4, 0, v4, vcc_lo
	v_cmp_gt_u32_e32 vcc_lo, s2, v2
	s_delay_alu instid0(VALU_DEP_2) | instskip(SKIP_3) | instid1(VALU_DEP_1)
	v_add_nc_u32_e32 v1, v4, v1
	ds_bpermute_b32 v3, v3, v1
	s_waitcnt lgkmcnt(0)
	v_cndmask_b32_e32 v2, 0, v3, vcc_lo
	v_add_nc_u32_e32 v1, v1, v2
.LBB388_637:
	s_or_b32 exec_lo, exec_lo, s3
.LBB388_638:
	v_cmp_eq_u32_e64 s2, 0, v0
	s_branch .LBB388_623
.LBB388_639:
	s_cmp_eq_u32 s19, 1
	s_cbranch_scc0 .LBB388_647
; %bb.640:
	s_mov_b32 s5, 0
	v_mbcnt_lo_u32_b32 v2, -1, 0
	s_lshr_b64 s[2:3], s[20:21], 7
	s_mov_b32 s25, s5
	s_lshl_b32 s4, s24, 7
	s_cmp_lg_u64 s[2:3], s[24:25]
	s_cbranch_scc0 .LBB388_648
; %bb.641:
	s_lshl_b64 s[2:3], s[4:5], 3
	v_lshlrev_b32_e32 v1, 3, v0
	s_add_u32 s2, s26, s2
	s_addc_u32 s3, s27, s3
	global_load_b64 v[3:4], v1, s[2:3]
	s_waitcnt vmcnt(0)
	v_cmp_neq_f64_e32 vcc_lo, 0, v[3:4]
	v_cndmask_b32_e64 v1, 0, 1, vcc_lo
	s_delay_alu instid0(VALU_DEP_1) | instskip(NEXT) | instid1(VALU_DEP_1)
	v_mov_b32_dpp v1, v1 quad_perm:[1,0,3,2] row_mask:0xf bank_mask:0xf
	v_add_co_ci_u32_e64 v3, s2, 0, v1, vcc_lo
	s_mov_b32 s2, exec_lo
	s_delay_alu instid0(VALU_DEP_1) | instskip(NEXT) | instid1(VALU_DEP_1)
	v_mov_b32_dpp v3, v3 quad_perm:[2,3,0,1] row_mask:0xf bank_mask:0xf
	v_add_co_ci_u32_e32 v1, vcc_lo, v3, v1, vcc_lo
	s_delay_alu instid0(VALU_DEP_1) | instskip(NEXT) | instid1(VALU_DEP_1)
	v_mov_b32_dpp v3, v1 row_ror:4 row_mask:0xf bank_mask:0xf
	v_add_nc_u32_e32 v1, v1, v3
	s_delay_alu instid0(VALU_DEP_1) | instskip(NEXT) | instid1(VALU_DEP_1)
	v_mov_b32_dpp v3, v1 row_ror:8 row_mask:0xf bank_mask:0xf
	v_add_nc_u32_e32 v1, v1, v3
	ds_swizzle_b32 v3, v1 offset:swizzle(BROADCAST,32,15)
	s_waitcnt lgkmcnt(0)
	v_add_nc_u32_e32 v1, v1, v3
	v_mov_b32_e32 v3, 0
	ds_bpermute_b32 v1, v3, v1 offset:124
	v_cmpx_eq_u32_e32 0, v2
	s_cbranch_execz .LBB388_643
; %bb.642:
	v_lshrrev_b32_e32 v3, 3, v0
	s_delay_alu instid0(VALU_DEP_1)
	v_and_b32_e32 v3, 12, v3
	s_waitcnt lgkmcnt(0)
	ds_store_b32 v3, v1 offset:32
.LBB388_643:
	s_or_b32 exec_lo, exec_lo, s2
	s_delay_alu instid0(SALU_CYCLE_1)
	s_mov_b32 s2, exec_lo
	s_waitcnt lgkmcnt(0)
	s_barrier
	buffer_gl0_inv
	v_cmpx_gt_u32_e32 32, v0
	s_cbranch_execz .LBB388_645
; %bb.644:
	v_and_b32_e32 v1, 3, v2
	s_delay_alu instid0(VALU_DEP_1) | instskip(SKIP_4) | instid1(VALU_DEP_2)
	v_lshlrev_b32_e32 v3, 2, v1
	v_cmp_ne_u32_e32 vcc_lo, 3, v1
	ds_load_b32 v3, v3 offset:32
	v_add_co_ci_u32_e32 v4, vcc_lo, 0, v2, vcc_lo
	v_cmp_gt_u32_e32 vcc_lo, 2, v1
	v_lshlrev_b32_e32 v4, 2, v4
	v_cndmask_b32_e64 v1, 0, 1, vcc_lo
	s_delay_alu instid0(VALU_DEP_1) | instskip(NEXT) | instid1(VALU_DEP_1)
	v_lshlrev_b32_e32 v1, 1, v1
	v_add_lshl_u32 v1, v1, v2, 2
	s_waitcnt lgkmcnt(0)
	ds_bpermute_b32 v4, v4, v3
	s_waitcnt lgkmcnt(0)
	v_add_nc_u32_e32 v3, v4, v3
	ds_bpermute_b32 v1, v1, v3
	s_waitcnt lgkmcnt(0)
	v_add_nc_u32_e32 v1, v1, v3
.LBB388_645:
	s_or_b32 exec_lo, exec_lo, s2
.LBB388_646:
	v_cmp_eq_u32_e64 s2, 0, v0
	s_delay_alu instid0(VALU_DEP_1)
	s_and_saveexec_b32 s3, s2
	s_cbranch_execnz .LBB388_624
	s_branch .LBB388_625
.LBB388_647:
                                        ; implicit-def: $sgpr24_sgpr25
                                        ; implicit-def: $vgpr1
	s_and_saveexec_b32 s3, s2
	s_cbranch_execz .LBB388_625
	s_branch .LBB388_624
.LBB388_648:
                                        ; implicit-def: $vgpr1
	s_cbranch_execz .LBB388_646
; %bb.649:
	s_sub_i32 s2, s20, s4
	s_mov_b32 s3, exec_lo
                                        ; implicit-def: $vgpr1
	v_cmpx_gt_u32_e64 s2, v0
	s_cbranch_execz .LBB388_651
; %bb.650:
	s_lshl_b64 s[4:5], s[4:5], 3
	v_lshlrev_b32_e32 v1, 3, v0
	s_add_u32 s4, s26, s4
	s_addc_u32 s5, s27, s5
	global_load_b64 v[3:4], v1, s[4:5]
	s_waitcnt vmcnt(0)
	v_cmp_neq_f64_e32 vcc_lo, 0, v[3:4]
	v_cndmask_b32_e64 v1, 0, 1, vcc_lo
.LBB388_651:
	s_or_b32 exec_lo, exec_lo, s3
	v_cmp_ne_u32_e32 vcc_lo, 31, v2
	s_min_u32 s2, s2, 0x80
	v_add_nc_u32_e32 v5, 1, v2
	s_mov_b32 s3, exec_lo
	v_add_co_ci_u32_e32 v3, vcc_lo, 0, v2, vcc_lo
	v_cmp_gt_u32_e32 vcc_lo, 30, v2
	s_delay_alu instid0(VALU_DEP_2) | instskip(SKIP_4) | instid1(VALU_DEP_2)
	v_lshlrev_b32_e32 v3, 2, v3
	v_cndmask_b32_e64 v6, 0, 1, vcc_lo
	ds_bpermute_b32 v3, v3, v1
	v_and_b32_e32 v4, 0x60, v0
	v_lshlrev_b32_e32 v6, 1, v6
	v_sub_nc_u32_e64 v4, s2, v4 clamp
	s_delay_alu instid0(VALU_DEP_1) | instskip(NEXT) | instid1(VALU_DEP_3)
	v_cmp_lt_u32_e32 vcc_lo, v5, v4
	v_add_lshl_u32 v5, v6, v2, 2
	s_waitcnt lgkmcnt(0)
	v_dual_cndmask_b32 v3, 0, v3 :: v_dual_add_nc_u32 v6, 2, v2
	v_cmp_gt_u32_e32 vcc_lo, 28, v2
	s_delay_alu instid0(VALU_DEP_2) | instskip(SKIP_4) | instid1(VALU_DEP_3)
	v_add_nc_u32_e32 v1, v3, v1
	ds_bpermute_b32 v3, v5, v1
	v_cndmask_b32_e64 v5, 0, 1, vcc_lo
	v_cmp_lt_u32_e32 vcc_lo, v6, v4
	v_add_nc_u32_e32 v6, 4, v2
	v_lshlrev_b32_e32 v5, 2, v5
	s_delay_alu instid0(VALU_DEP_1) | instskip(SKIP_3) | instid1(VALU_DEP_2)
	v_add_lshl_u32 v5, v5, v2, 2
	s_waitcnt lgkmcnt(0)
	v_cndmask_b32_e32 v3, 0, v3, vcc_lo
	v_cmp_gt_u32_e32 vcc_lo, 24, v2
	v_add_nc_u32_e32 v1, v1, v3
	ds_bpermute_b32 v3, v5, v1
	v_cndmask_b32_e64 v5, 0, 1, vcc_lo
	v_cmp_lt_u32_e32 vcc_lo, v6, v4
	v_add_nc_u32_e32 v6, 8, v2
	s_delay_alu instid0(VALU_DEP_3) | instskip(NEXT) | instid1(VALU_DEP_1)
	v_lshlrev_b32_e32 v5, 3, v5
	v_add_lshl_u32 v5, v5, v2, 2
	s_waitcnt lgkmcnt(0)
	v_cndmask_b32_e32 v3, 0, v3, vcc_lo
	v_cmp_gt_u32_e32 vcc_lo, 16, v2
	s_delay_alu instid0(VALU_DEP_2) | instskip(SKIP_3) | instid1(VALU_DEP_2)
	v_add_nc_u32_e32 v1, v1, v3
	ds_bpermute_b32 v3, v5, v1
	v_cndmask_b32_e64 v5, 0, 1, vcc_lo
	v_cmp_lt_u32_e32 vcc_lo, v6, v4
	v_lshlrev_b32_e32 v5, 4, v5
	s_delay_alu instid0(VALU_DEP_1) | instskip(SKIP_2) | instid1(VALU_DEP_1)
	v_add_lshl_u32 v5, v5, v2, 2
	s_waitcnt lgkmcnt(0)
	v_cndmask_b32_e32 v3, 0, v3, vcc_lo
	v_add_nc_u32_e32 v1, v1, v3
	ds_bpermute_b32 v3, v5, v1
	v_add_nc_u32_e32 v5, 16, v2
	s_delay_alu instid0(VALU_DEP_1) | instskip(SKIP_2) | instid1(VALU_DEP_1)
	v_cmp_lt_u32_e32 vcc_lo, v5, v4
	s_waitcnt lgkmcnt(0)
	v_cndmask_b32_e32 v3, 0, v3, vcc_lo
	v_add_nc_u32_e32 v1, v1, v3
	v_cmpx_eq_u32_e32 0, v2
	s_cbranch_execz .LBB388_653
; %bb.652:
	v_lshrrev_b32_e32 v3, 3, v0
	s_delay_alu instid0(VALU_DEP_1)
	v_and_b32_e32 v3, 12, v3
	ds_store_b32 v3, v1 offset:128
.LBB388_653:
	s_or_b32 exec_lo, exec_lo, s3
	s_delay_alu instid0(SALU_CYCLE_1)
	s_mov_b32 s3, exec_lo
	s_waitcnt lgkmcnt(0)
	s_barrier
	buffer_gl0_inv
	v_cmpx_gt_u32_e32 4, v0
	s_cbranch_execz .LBB388_655
; %bb.654:
	v_and_b32_e32 v3, 3, v2
	s_add_i32 s2, s2, 31
	s_delay_alu instid0(SALU_CYCLE_1) | instskip(NEXT) | instid1(VALU_DEP_1)
	s_lshr_b32 s2, s2, 5
	v_cmp_ne_u32_e32 vcc_lo, 3, v3
	v_add_nc_u32_e32 v5, 1, v3
	v_add_co_ci_u32_e32 v4, vcc_lo, 0, v2, vcc_lo
	v_cmp_gt_u32_e32 vcc_lo, 2, v3
	v_add_nc_u32_e32 v3, 2, v3
	s_delay_alu instid0(VALU_DEP_3) | instskip(SKIP_3) | instid1(VALU_DEP_3)
	v_lshlrev_b32_e32 v4, 2, v4
	v_cndmask_b32_e64 v6, 0, 1, vcc_lo
	v_cmp_gt_u32_e32 vcc_lo, s2, v5
	v_lshlrev_b32_e32 v1, 2, v2
	v_lshlrev_b32_e32 v5, 1, v6
	ds_load_b32 v1, v1 offset:128
	v_add_lshl_u32 v2, v5, v2, 2
	s_waitcnt lgkmcnt(0)
	ds_bpermute_b32 v4, v4, v1
	s_waitcnt lgkmcnt(0)
	v_cndmask_b32_e32 v4, 0, v4, vcc_lo
	v_cmp_gt_u32_e32 vcc_lo, s2, v3
	s_delay_alu instid0(VALU_DEP_2) | instskip(SKIP_3) | instid1(VALU_DEP_1)
	v_add_nc_u32_e32 v1, v4, v1
	ds_bpermute_b32 v2, v2, v1
	s_waitcnt lgkmcnt(0)
	v_cndmask_b32_e32 v2, 0, v2, vcc_lo
	v_add_nc_u32_e32 v1, v1, v2
.LBB388_655:
	s_or_b32 exec_lo, exec_lo, s3
	v_cmp_eq_u32_e64 s2, 0, v0
	s_delay_alu instid0(VALU_DEP_1)
	s_and_saveexec_b32 s3, s2
	s_cbranch_execnz .LBB388_624
	s_branch .LBB388_625
	.section	.rodata,"a",@progbits
	.p2align	6, 0x0
	.amdhsa_kernel _ZN7rocprim17ROCPRIM_400000_NS6detail17trampoline_kernelINS0_14default_configENS1_22reduce_config_selectorIbEEZNS1_11reduce_implILb1ES3_N6hipcub16HIPCUB_304000_NS22TransformInputIteratorIbN2at6native12_GLOBAL__N_19NonZeroOpIdEEPKdlEEPiiNS8_6detail34convert_binary_result_type_wrapperINS8_3SumESH_iEEEE10hipError_tPvRmT1_T2_T3_mT4_P12ihipStream_tbEUlT_E1_NS1_11comp_targetILNS1_3genE9ELNS1_11target_archE1100ELNS1_3gpuE3ELNS1_3repE0EEENS1_30default_config_static_selectorELNS0_4arch9wavefront6targetE0EEEvSQ_
		.amdhsa_group_segment_fixed_size 144
		.amdhsa_private_segment_fixed_size 0
		.amdhsa_kernarg_size 48
		.amdhsa_user_sgpr_count 15
		.amdhsa_user_sgpr_dispatch_ptr 0
		.amdhsa_user_sgpr_queue_ptr 0
		.amdhsa_user_sgpr_kernarg_segment_ptr 1
		.amdhsa_user_sgpr_dispatch_id 0
		.amdhsa_user_sgpr_private_segment_size 0
		.amdhsa_wavefront_size32 1
		.amdhsa_uses_dynamic_stack 0
		.amdhsa_enable_private_segment 0
		.amdhsa_system_sgpr_workgroup_id_x 1
		.amdhsa_system_sgpr_workgroup_id_y 0
		.amdhsa_system_sgpr_workgroup_id_z 0
		.amdhsa_system_sgpr_workgroup_info 0
		.amdhsa_system_vgpr_workitem_id 0
		.amdhsa_next_free_vgpr 142
		.amdhsa_next_free_sgpr 34
		.amdhsa_reserve_vcc 1
		.amdhsa_float_round_mode_32 0
		.amdhsa_float_round_mode_16_64 0
		.amdhsa_float_denorm_mode_32 3
		.amdhsa_float_denorm_mode_16_64 3
		.amdhsa_dx10_clamp 1
		.amdhsa_ieee_mode 1
		.amdhsa_fp16_overflow 0
		.amdhsa_workgroup_processor_mode 1
		.amdhsa_memory_ordered 1
		.amdhsa_forward_progress 0
		.amdhsa_shared_vgpr_count 0
		.amdhsa_exception_fp_ieee_invalid_op 0
		.amdhsa_exception_fp_denorm_src 0
		.amdhsa_exception_fp_ieee_div_zero 0
		.amdhsa_exception_fp_ieee_overflow 0
		.amdhsa_exception_fp_ieee_underflow 0
		.amdhsa_exception_fp_ieee_inexact 0
		.amdhsa_exception_int_div_zero 0
	.end_amdhsa_kernel
	.section	.text._ZN7rocprim17ROCPRIM_400000_NS6detail17trampoline_kernelINS0_14default_configENS1_22reduce_config_selectorIbEEZNS1_11reduce_implILb1ES3_N6hipcub16HIPCUB_304000_NS22TransformInputIteratorIbN2at6native12_GLOBAL__N_19NonZeroOpIdEEPKdlEEPiiNS8_6detail34convert_binary_result_type_wrapperINS8_3SumESH_iEEEE10hipError_tPvRmT1_T2_T3_mT4_P12ihipStream_tbEUlT_E1_NS1_11comp_targetILNS1_3genE9ELNS1_11target_archE1100ELNS1_3gpuE3ELNS1_3repE0EEENS1_30default_config_static_selectorELNS0_4arch9wavefront6targetE0EEEvSQ_,"axG",@progbits,_ZN7rocprim17ROCPRIM_400000_NS6detail17trampoline_kernelINS0_14default_configENS1_22reduce_config_selectorIbEEZNS1_11reduce_implILb1ES3_N6hipcub16HIPCUB_304000_NS22TransformInputIteratorIbN2at6native12_GLOBAL__N_19NonZeroOpIdEEPKdlEEPiiNS8_6detail34convert_binary_result_type_wrapperINS8_3SumESH_iEEEE10hipError_tPvRmT1_T2_T3_mT4_P12ihipStream_tbEUlT_E1_NS1_11comp_targetILNS1_3genE9ELNS1_11target_archE1100ELNS1_3gpuE3ELNS1_3repE0EEENS1_30default_config_static_selectorELNS0_4arch9wavefront6targetE0EEEvSQ_,comdat
.Lfunc_end388:
	.size	_ZN7rocprim17ROCPRIM_400000_NS6detail17trampoline_kernelINS0_14default_configENS1_22reduce_config_selectorIbEEZNS1_11reduce_implILb1ES3_N6hipcub16HIPCUB_304000_NS22TransformInputIteratorIbN2at6native12_GLOBAL__N_19NonZeroOpIdEEPKdlEEPiiNS8_6detail34convert_binary_result_type_wrapperINS8_3SumESH_iEEEE10hipError_tPvRmT1_T2_T3_mT4_P12ihipStream_tbEUlT_E1_NS1_11comp_targetILNS1_3genE9ELNS1_11target_archE1100ELNS1_3gpuE3ELNS1_3repE0EEENS1_30default_config_static_selectorELNS0_4arch9wavefront6targetE0EEEvSQ_, .Lfunc_end388-_ZN7rocprim17ROCPRIM_400000_NS6detail17trampoline_kernelINS0_14default_configENS1_22reduce_config_selectorIbEEZNS1_11reduce_implILb1ES3_N6hipcub16HIPCUB_304000_NS22TransformInputIteratorIbN2at6native12_GLOBAL__N_19NonZeroOpIdEEPKdlEEPiiNS8_6detail34convert_binary_result_type_wrapperINS8_3SumESH_iEEEE10hipError_tPvRmT1_T2_T3_mT4_P12ihipStream_tbEUlT_E1_NS1_11comp_targetILNS1_3genE9ELNS1_11target_archE1100ELNS1_3gpuE3ELNS1_3repE0EEENS1_30default_config_static_selectorELNS0_4arch9wavefront6targetE0EEEvSQ_
                                        ; -- End function
	.section	.AMDGPU.csdata,"",@progbits
; Kernel info:
; codeLenInByte = 32352
; NumSgprs: 36
; NumVgprs: 142
; ScratchSize: 0
; MemoryBound: 0
; FloatMode: 240
; IeeeMode: 1
; LDSByteSize: 144 bytes/workgroup (compile time only)
; SGPRBlocks: 4
; VGPRBlocks: 17
; NumSGPRsForWavesPerEU: 36
; NumVGPRsForWavesPerEU: 142
; Occupancy: 10
; WaveLimiterHint : 1
; COMPUTE_PGM_RSRC2:SCRATCH_EN: 0
; COMPUTE_PGM_RSRC2:USER_SGPR: 15
; COMPUTE_PGM_RSRC2:TRAP_HANDLER: 0
; COMPUTE_PGM_RSRC2:TGID_X_EN: 1
; COMPUTE_PGM_RSRC2:TGID_Y_EN: 0
; COMPUTE_PGM_RSRC2:TGID_Z_EN: 0
; COMPUTE_PGM_RSRC2:TIDIG_COMP_CNT: 0
	.section	.text._ZN7rocprim17ROCPRIM_400000_NS6detail17trampoline_kernelINS0_14default_configENS1_22reduce_config_selectorIbEEZNS1_11reduce_implILb1ES3_N6hipcub16HIPCUB_304000_NS22TransformInputIteratorIbN2at6native12_GLOBAL__N_19NonZeroOpIdEEPKdlEEPiiNS8_6detail34convert_binary_result_type_wrapperINS8_3SumESH_iEEEE10hipError_tPvRmT1_T2_T3_mT4_P12ihipStream_tbEUlT_E1_NS1_11comp_targetILNS1_3genE8ELNS1_11target_archE1030ELNS1_3gpuE2ELNS1_3repE0EEENS1_30default_config_static_selectorELNS0_4arch9wavefront6targetE0EEEvSQ_,"axG",@progbits,_ZN7rocprim17ROCPRIM_400000_NS6detail17trampoline_kernelINS0_14default_configENS1_22reduce_config_selectorIbEEZNS1_11reduce_implILb1ES3_N6hipcub16HIPCUB_304000_NS22TransformInputIteratorIbN2at6native12_GLOBAL__N_19NonZeroOpIdEEPKdlEEPiiNS8_6detail34convert_binary_result_type_wrapperINS8_3SumESH_iEEEE10hipError_tPvRmT1_T2_T3_mT4_P12ihipStream_tbEUlT_E1_NS1_11comp_targetILNS1_3genE8ELNS1_11target_archE1030ELNS1_3gpuE2ELNS1_3repE0EEENS1_30default_config_static_selectorELNS0_4arch9wavefront6targetE0EEEvSQ_,comdat
	.globl	_ZN7rocprim17ROCPRIM_400000_NS6detail17trampoline_kernelINS0_14default_configENS1_22reduce_config_selectorIbEEZNS1_11reduce_implILb1ES3_N6hipcub16HIPCUB_304000_NS22TransformInputIteratorIbN2at6native12_GLOBAL__N_19NonZeroOpIdEEPKdlEEPiiNS8_6detail34convert_binary_result_type_wrapperINS8_3SumESH_iEEEE10hipError_tPvRmT1_T2_T3_mT4_P12ihipStream_tbEUlT_E1_NS1_11comp_targetILNS1_3genE8ELNS1_11target_archE1030ELNS1_3gpuE2ELNS1_3repE0EEENS1_30default_config_static_selectorELNS0_4arch9wavefront6targetE0EEEvSQ_ ; -- Begin function _ZN7rocprim17ROCPRIM_400000_NS6detail17trampoline_kernelINS0_14default_configENS1_22reduce_config_selectorIbEEZNS1_11reduce_implILb1ES3_N6hipcub16HIPCUB_304000_NS22TransformInputIteratorIbN2at6native12_GLOBAL__N_19NonZeroOpIdEEPKdlEEPiiNS8_6detail34convert_binary_result_type_wrapperINS8_3SumESH_iEEEE10hipError_tPvRmT1_T2_T3_mT4_P12ihipStream_tbEUlT_E1_NS1_11comp_targetILNS1_3genE8ELNS1_11target_archE1030ELNS1_3gpuE2ELNS1_3repE0EEENS1_30default_config_static_selectorELNS0_4arch9wavefront6targetE0EEEvSQ_
	.p2align	8
	.type	_ZN7rocprim17ROCPRIM_400000_NS6detail17trampoline_kernelINS0_14default_configENS1_22reduce_config_selectorIbEEZNS1_11reduce_implILb1ES3_N6hipcub16HIPCUB_304000_NS22TransformInputIteratorIbN2at6native12_GLOBAL__N_19NonZeroOpIdEEPKdlEEPiiNS8_6detail34convert_binary_result_type_wrapperINS8_3SumESH_iEEEE10hipError_tPvRmT1_T2_T3_mT4_P12ihipStream_tbEUlT_E1_NS1_11comp_targetILNS1_3genE8ELNS1_11target_archE1030ELNS1_3gpuE2ELNS1_3repE0EEENS1_30default_config_static_selectorELNS0_4arch9wavefront6targetE0EEEvSQ_,@function
_ZN7rocprim17ROCPRIM_400000_NS6detail17trampoline_kernelINS0_14default_configENS1_22reduce_config_selectorIbEEZNS1_11reduce_implILb1ES3_N6hipcub16HIPCUB_304000_NS22TransformInputIteratorIbN2at6native12_GLOBAL__N_19NonZeroOpIdEEPKdlEEPiiNS8_6detail34convert_binary_result_type_wrapperINS8_3SumESH_iEEEE10hipError_tPvRmT1_T2_T3_mT4_P12ihipStream_tbEUlT_E1_NS1_11comp_targetILNS1_3genE8ELNS1_11target_archE1030ELNS1_3gpuE2ELNS1_3repE0EEENS1_30default_config_static_selectorELNS0_4arch9wavefront6targetE0EEEvSQ_: ; @_ZN7rocprim17ROCPRIM_400000_NS6detail17trampoline_kernelINS0_14default_configENS1_22reduce_config_selectorIbEEZNS1_11reduce_implILb1ES3_N6hipcub16HIPCUB_304000_NS22TransformInputIteratorIbN2at6native12_GLOBAL__N_19NonZeroOpIdEEPKdlEEPiiNS8_6detail34convert_binary_result_type_wrapperINS8_3SumESH_iEEEE10hipError_tPvRmT1_T2_T3_mT4_P12ihipStream_tbEUlT_E1_NS1_11comp_targetILNS1_3genE8ELNS1_11target_archE1030ELNS1_3gpuE2ELNS1_3repE0EEENS1_30default_config_static_selectorELNS0_4arch9wavefront6targetE0EEEvSQ_
; %bb.0:
	.section	.rodata,"a",@progbits
	.p2align	6, 0x0
	.amdhsa_kernel _ZN7rocprim17ROCPRIM_400000_NS6detail17trampoline_kernelINS0_14default_configENS1_22reduce_config_selectorIbEEZNS1_11reduce_implILb1ES3_N6hipcub16HIPCUB_304000_NS22TransformInputIteratorIbN2at6native12_GLOBAL__N_19NonZeroOpIdEEPKdlEEPiiNS8_6detail34convert_binary_result_type_wrapperINS8_3SumESH_iEEEE10hipError_tPvRmT1_T2_T3_mT4_P12ihipStream_tbEUlT_E1_NS1_11comp_targetILNS1_3genE8ELNS1_11target_archE1030ELNS1_3gpuE2ELNS1_3repE0EEENS1_30default_config_static_selectorELNS0_4arch9wavefront6targetE0EEEvSQ_
		.amdhsa_group_segment_fixed_size 0
		.amdhsa_private_segment_fixed_size 0
		.amdhsa_kernarg_size 48
		.amdhsa_user_sgpr_count 15
		.amdhsa_user_sgpr_dispatch_ptr 0
		.amdhsa_user_sgpr_queue_ptr 0
		.amdhsa_user_sgpr_kernarg_segment_ptr 1
		.amdhsa_user_sgpr_dispatch_id 0
		.amdhsa_user_sgpr_private_segment_size 0
		.amdhsa_wavefront_size32 1
		.amdhsa_uses_dynamic_stack 0
		.amdhsa_enable_private_segment 0
		.amdhsa_system_sgpr_workgroup_id_x 1
		.amdhsa_system_sgpr_workgroup_id_y 0
		.amdhsa_system_sgpr_workgroup_id_z 0
		.amdhsa_system_sgpr_workgroup_info 0
		.amdhsa_system_vgpr_workitem_id 0
		.amdhsa_next_free_vgpr 1
		.amdhsa_next_free_sgpr 1
		.amdhsa_reserve_vcc 0
		.amdhsa_float_round_mode_32 0
		.amdhsa_float_round_mode_16_64 0
		.amdhsa_float_denorm_mode_32 3
		.amdhsa_float_denorm_mode_16_64 3
		.amdhsa_dx10_clamp 1
		.amdhsa_ieee_mode 1
		.amdhsa_fp16_overflow 0
		.amdhsa_workgroup_processor_mode 1
		.amdhsa_memory_ordered 1
		.amdhsa_forward_progress 0
		.amdhsa_shared_vgpr_count 0
		.amdhsa_exception_fp_ieee_invalid_op 0
		.amdhsa_exception_fp_denorm_src 0
		.amdhsa_exception_fp_ieee_div_zero 0
		.amdhsa_exception_fp_ieee_overflow 0
		.amdhsa_exception_fp_ieee_underflow 0
		.amdhsa_exception_fp_ieee_inexact 0
		.amdhsa_exception_int_div_zero 0
	.end_amdhsa_kernel
	.section	.text._ZN7rocprim17ROCPRIM_400000_NS6detail17trampoline_kernelINS0_14default_configENS1_22reduce_config_selectorIbEEZNS1_11reduce_implILb1ES3_N6hipcub16HIPCUB_304000_NS22TransformInputIteratorIbN2at6native12_GLOBAL__N_19NonZeroOpIdEEPKdlEEPiiNS8_6detail34convert_binary_result_type_wrapperINS8_3SumESH_iEEEE10hipError_tPvRmT1_T2_T3_mT4_P12ihipStream_tbEUlT_E1_NS1_11comp_targetILNS1_3genE8ELNS1_11target_archE1030ELNS1_3gpuE2ELNS1_3repE0EEENS1_30default_config_static_selectorELNS0_4arch9wavefront6targetE0EEEvSQ_,"axG",@progbits,_ZN7rocprim17ROCPRIM_400000_NS6detail17trampoline_kernelINS0_14default_configENS1_22reduce_config_selectorIbEEZNS1_11reduce_implILb1ES3_N6hipcub16HIPCUB_304000_NS22TransformInputIteratorIbN2at6native12_GLOBAL__N_19NonZeroOpIdEEPKdlEEPiiNS8_6detail34convert_binary_result_type_wrapperINS8_3SumESH_iEEEE10hipError_tPvRmT1_T2_T3_mT4_P12ihipStream_tbEUlT_E1_NS1_11comp_targetILNS1_3genE8ELNS1_11target_archE1030ELNS1_3gpuE2ELNS1_3repE0EEENS1_30default_config_static_selectorELNS0_4arch9wavefront6targetE0EEEvSQ_,comdat
.Lfunc_end389:
	.size	_ZN7rocprim17ROCPRIM_400000_NS6detail17trampoline_kernelINS0_14default_configENS1_22reduce_config_selectorIbEEZNS1_11reduce_implILb1ES3_N6hipcub16HIPCUB_304000_NS22TransformInputIteratorIbN2at6native12_GLOBAL__N_19NonZeroOpIdEEPKdlEEPiiNS8_6detail34convert_binary_result_type_wrapperINS8_3SumESH_iEEEE10hipError_tPvRmT1_T2_T3_mT4_P12ihipStream_tbEUlT_E1_NS1_11comp_targetILNS1_3genE8ELNS1_11target_archE1030ELNS1_3gpuE2ELNS1_3repE0EEENS1_30default_config_static_selectorELNS0_4arch9wavefront6targetE0EEEvSQ_, .Lfunc_end389-_ZN7rocprim17ROCPRIM_400000_NS6detail17trampoline_kernelINS0_14default_configENS1_22reduce_config_selectorIbEEZNS1_11reduce_implILb1ES3_N6hipcub16HIPCUB_304000_NS22TransformInputIteratorIbN2at6native12_GLOBAL__N_19NonZeroOpIdEEPKdlEEPiiNS8_6detail34convert_binary_result_type_wrapperINS8_3SumESH_iEEEE10hipError_tPvRmT1_T2_T3_mT4_P12ihipStream_tbEUlT_E1_NS1_11comp_targetILNS1_3genE8ELNS1_11target_archE1030ELNS1_3gpuE2ELNS1_3repE0EEENS1_30default_config_static_selectorELNS0_4arch9wavefront6targetE0EEEvSQ_
                                        ; -- End function
	.section	.AMDGPU.csdata,"",@progbits
; Kernel info:
; codeLenInByte = 0
; NumSgprs: 0
; NumVgprs: 0
; ScratchSize: 0
; MemoryBound: 0
; FloatMode: 240
; IeeeMode: 1
; LDSByteSize: 0 bytes/workgroup (compile time only)
; SGPRBlocks: 0
; VGPRBlocks: 0
; NumSGPRsForWavesPerEU: 1
; NumVGPRsForWavesPerEU: 1
; Occupancy: 16
; WaveLimiterHint : 0
; COMPUTE_PGM_RSRC2:SCRATCH_EN: 0
; COMPUTE_PGM_RSRC2:USER_SGPR: 15
; COMPUTE_PGM_RSRC2:TRAP_HANDLER: 0
; COMPUTE_PGM_RSRC2:TGID_X_EN: 1
; COMPUTE_PGM_RSRC2:TGID_Y_EN: 0
; COMPUTE_PGM_RSRC2:TGID_Z_EN: 0
; COMPUTE_PGM_RSRC2:TIDIG_COMP_CNT: 0
	.section	.text._ZN7rocprim17ROCPRIM_400000_NS6detail17trampoline_kernelINS0_14default_configENS1_25partition_config_selectorILNS1_17partition_subalgoE5ElNS0_10empty_typeEbEEZZNS1_14partition_implILS5_5ELb0ES3_mN6hipcub16HIPCUB_304000_NS21CountingInputIteratorIllEEPS6_NSA_22TransformInputIteratorIbN2at6native12_GLOBAL__N_19NonZeroOpIdEEPKdlEENS0_5tupleIJPlS6_EEENSN_IJSD_SD_EEES6_PiJS6_EEE10hipError_tPvRmT3_T4_T5_T6_T7_T9_mT8_P12ihipStream_tbDpT10_ENKUlT_T0_E_clISt17integral_constantIbLb0EES1B_EEDaS16_S17_EUlS16_E_NS1_11comp_targetILNS1_3genE0ELNS1_11target_archE4294967295ELNS1_3gpuE0ELNS1_3repE0EEENS1_30default_config_static_selectorELNS0_4arch9wavefront6targetE0EEEvT1_,"axG",@progbits,_ZN7rocprim17ROCPRIM_400000_NS6detail17trampoline_kernelINS0_14default_configENS1_25partition_config_selectorILNS1_17partition_subalgoE5ElNS0_10empty_typeEbEEZZNS1_14partition_implILS5_5ELb0ES3_mN6hipcub16HIPCUB_304000_NS21CountingInputIteratorIllEEPS6_NSA_22TransformInputIteratorIbN2at6native12_GLOBAL__N_19NonZeroOpIdEEPKdlEENS0_5tupleIJPlS6_EEENSN_IJSD_SD_EEES6_PiJS6_EEE10hipError_tPvRmT3_T4_T5_T6_T7_T9_mT8_P12ihipStream_tbDpT10_ENKUlT_T0_E_clISt17integral_constantIbLb0EES1B_EEDaS16_S17_EUlS16_E_NS1_11comp_targetILNS1_3genE0ELNS1_11target_archE4294967295ELNS1_3gpuE0ELNS1_3repE0EEENS1_30default_config_static_selectorELNS0_4arch9wavefront6targetE0EEEvT1_,comdat
	.globl	_ZN7rocprim17ROCPRIM_400000_NS6detail17trampoline_kernelINS0_14default_configENS1_25partition_config_selectorILNS1_17partition_subalgoE5ElNS0_10empty_typeEbEEZZNS1_14partition_implILS5_5ELb0ES3_mN6hipcub16HIPCUB_304000_NS21CountingInputIteratorIllEEPS6_NSA_22TransformInputIteratorIbN2at6native12_GLOBAL__N_19NonZeroOpIdEEPKdlEENS0_5tupleIJPlS6_EEENSN_IJSD_SD_EEES6_PiJS6_EEE10hipError_tPvRmT3_T4_T5_T6_T7_T9_mT8_P12ihipStream_tbDpT10_ENKUlT_T0_E_clISt17integral_constantIbLb0EES1B_EEDaS16_S17_EUlS16_E_NS1_11comp_targetILNS1_3genE0ELNS1_11target_archE4294967295ELNS1_3gpuE0ELNS1_3repE0EEENS1_30default_config_static_selectorELNS0_4arch9wavefront6targetE0EEEvT1_ ; -- Begin function _ZN7rocprim17ROCPRIM_400000_NS6detail17trampoline_kernelINS0_14default_configENS1_25partition_config_selectorILNS1_17partition_subalgoE5ElNS0_10empty_typeEbEEZZNS1_14partition_implILS5_5ELb0ES3_mN6hipcub16HIPCUB_304000_NS21CountingInputIteratorIllEEPS6_NSA_22TransformInputIteratorIbN2at6native12_GLOBAL__N_19NonZeroOpIdEEPKdlEENS0_5tupleIJPlS6_EEENSN_IJSD_SD_EEES6_PiJS6_EEE10hipError_tPvRmT3_T4_T5_T6_T7_T9_mT8_P12ihipStream_tbDpT10_ENKUlT_T0_E_clISt17integral_constantIbLb0EES1B_EEDaS16_S17_EUlS16_E_NS1_11comp_targetILNS1_3genE0ELNS1_11target_archE4294967295ELNS1_3gpuE0ELNS1_3repE0EEENS1_30default_config_static_selectorELNS0_4arch9wavefront6targetE0EEEvT1_
	.p2align	8
	.type	_ZN7rocprim17ROCPRIM_400000_NS6detail17trampoline_kernelINS0_14default_configENS1_25partition_config_selectorILNS1_17partition_subalgoE5ElNS0_10empty_typeEbEEZZNS1_14partition_implILS5_5ELb0ES3_mN6hipcub16HIPCUB_304000_NS21CountingInputIteratorIllEEPS6_NSA_22TransformInputIteratorIbN2at6native12_GLOBAL__N_19NonZeroOpIdEEPKdlEENS0_5tupleIJPlS6_EEENSN_IJSD_SD_EEES6_PiJS6_EEE10hipError_tPvRmT3_T4_T5_T6_T7_T9_mT8_P12ihipStream_tbDpT10_ENKUlT_T0_E_clISt17integral_constantIbLb0EES1B_EEDaS16_S17_EUlS16_E_NS1_11comp_targetILNS1_3genE0ELNS1_11target_archE4294967295ELNS1_3gpuE0ELNS1_3repE0EEENS1_30default_config_static_selectorELNS0_4arch9wavefront6targetE0EEEvT1_,@function
_ZN7rocprim17ROCPRIM_400000_NS6detail17trampoline_kernelINS0_14default_configENS1_25partition_config_selectorILNS1_17partition_subalgoE5ElNS0_10empty_typeEbEEZZNS1_14partition_implILS5_5ELb0ES3_mN6hipcub16HIPCUB_304000_NS21CountingInputIteratorIllEEPS6_NSA_22TransformInputIteratorIbN2at6native12_GLOBAL__N_19NonZeroOpIdEEPKdlEENS0_5tupleIJPlS6_EEENSN_IJSD_SD_EEES6_PiJS6_EEE10hipError_tPvRmT3_T4_T5_T6_T7_T9_mT8_P12ihipStream_tbDpT10_ENKUlT_T0_E_clISt17integral_constantIbLb0EES1B_EEDaS16_S17_EUlS16_E_NS1_11comp_targetILNS1_3genE0ELNS1_11target_archE4294967295ELNS1_3gpuE0ELNS1_3repE0EEENS1_30default_config_static_selectorELNS0_4arch9wavefront6targetE0EEEvT1_: ; @_ZN7rocprim17ROCPRIM_400000_NS6detail17trampoline_kernelINS0_14default_configENS1_25partition_config_selectorILNS1_17partition_subalgoE5ElNS0_10empty_typeEbEEZZNS1_14partition_implILS5_5ELb0ES3_mN6hipcub16HIPCUB_304000_NS21CountingInputIteratorIllEEPS6_NSA_22TransformInputIteratorIbN2at6native12_GLOBAL__N_19NonZeroOpIdEEPKdlEENS0_5tupleIJPlS6_EEENSN_IJSD_SD_EEES6_PiJS6_EEE10hipError_tPvRmT3_T4_T5_T6_T7_T9_mT8_P12ihipStream_tbDpT10_ENKUlT_T0_E_clISt17integral_constantIbLb0EES1B_EEDaS16_S17_EUlS16_E_NS1_11comp_targetILNS1_3genE0ELNS1_11target_archE4294967295ELNS1_3gpuE0ELNS1_3repE0EEENS1_30default_config_static_selectorELNS0_4arch9wavefront6targetE0EEEvT1_
; %bb.0:
	.section	.rodata,"a",@progbits
	.p2align	6, 0x0
	.amdhsa_kernel _ZN7rocprim17ROCPRIM_400000_NS6detail17trampoline_kernelINS0_14default_configENS1_25partition_config_selectorILNS1_17partition_subalgoE5ElNS0_10empty_typeEbEEZZNS1_14partition_implILS5_5ELb0ES3_mN6hipcub16HIPCUB_304000_NS21CountingInputIteratorIllEEPS6_NSA_22TransformInputIteratorIbN2at6native12_GLOBAL__N_19NonZeroOpIdEEPKdlEENS0_5tupleIJPlS6_EEENSN_IJSD_SD_EEES6_PiJS6_EEE10hipError_tPvRmT3_T4_T5_T6_T7_T9_mT8_P12ihipStream_tbDpT10_ENKUlT_T0_E_clISt17integral_constantIbLb0EES1B_EEDaS16_S17_EUlS16_E_NS1_11comp_targetILNS1_3genE0ELNS1_11target_archE4294967295ELNS1_3gpuE0ELNS1_3repE0EEENS1_30default_config_static_selectorELNS0_4arch9wavefront6targetE0EEEvT1_
		.amdhsa_group_segment_fixed_size 0
		.amdhsa_private_segment_fixed_size 0
		.amdhsa_kernarg_size 120
		.amdhsa_user_sgpr_count 15
		.amdhsa_user_sgpr_dispatch_ptr 0
		.amdhsa_user_sgpr_queue_ptr 0
		.amdhsa_user_sgpr_kernarg_segment_ptr 1
		.amdhsa_user_sgpr_dispatch_id 0
		.amdhsa_user_sgpr_private_segment_size 0
		.amdhsa_wavefront_size32 1
		.amdhsa_uses_dynamic_stack 0
		.amdhsa_enable_private_segment 0
		.amdhsa_system_sgpr_workgroup_id_x 1
		.amdhsa_system_sgpr_workgroup_id_y 0
		.amdhsa_system_sgpr_workgroup_id_z 0
		.amdhsa_system_sgpr_workgroup_info 0
		.amdhsa_system_vgpr_workitem_id 0
		.amdhsa_next_free_vgpr 1
		.amdhsa_next_free_sgpr 1
		.amdhsa_reserve_vcc 0
		.amdhsa_float_round_mode_32 0
		.amdhsa_float_round_mode_16_64 0
		.amdhsa_float_denorm_mode_32 3
		.amdhsa_float_denorm_mode_16_64 3
		.amdhsa_dx10_clamp 1
		.amdhsa_ieee_mode 1
		.amdhsa_fp16_overflow 0
		.amdhsa_workgroup_processor_mode 1
		.amdhsa_memory_ordered 1
		.amdhsa_forward_progress 0
		.amdhsa_shared_vgpr_count 0
		.amdhsa_exception_fp_ieee_invalid_op 0
		.amdhsa_exception_fp_denorm_src 0
		.amdhsa_exception_fp_ieee_div_zero 0
		.amdhsa_exception_fp_ieee_overflow 0
		.amdhsa_exception_fp_ieee_underflow 0
		.amdhsa_exception_fp_ieee_inexact 0
		.amdhsa_exception_int_div_zero 0
	.end_amdhsa_kernel
	.section	.text._ZN7rocprim17ROCPRIM_400000_NS6detail17trampoline_kernelINS0_14default_configENS1_25partition_config_selectorILNS1_17partition_subalgoE5ElNS0_10empty_typeEbEEZZNS1_14partition_implILS5_5ELb0ES3_mN6hipcub16HIPCUB_304000_NS21CountingInputIteratorIllEEPS6_NSA_22TransformInputIteratorIbN2at6native12_GLOBAL__N_19NonZeroOpIdEEPKdlEENS0_5tupleIJPlS6_EEENSN_IJSD_SD_EEES6_PiJS6_EEE10hipError_tPvRmT3_T4_T5_T6_T7_T9_mT8_P12ihipStream_tbDpT10_ENKUlT_T0_E_clISt17integral_constantIbLb0EES1B_EEDaS16_S17_EUlS16_E_NS1_11comp_targetILNS1_3genE0ELNS1_11target_archE4294967295ELNS1_3gpuE0ELNS1_3repE0EEENS1_30default_config_static_selectorELNS0_4arch9wavefront6targetE0EEEvT1_,"axG",@progbits,_ZN7rocprim17ROCPRIM_400000_NS6detail17trampoline_kernelINS0_14default_configENS1_25partition_config_selectorILNS1_17partition_subalgoE5ElNS0_10empty_typeEbEEZZNS1_14partition_implILS5_5ELb0ES3_mN6hipcub16HIPCUB_304000_NS21CountingInputIteratorIllEEPS6_NSA_22TransformInputIteratorIbN2at6native12_GLOBAL__N_19NonZeroOpIdEEPKdlEENS0_5tupleIJPlS6_EEENSN_IJSD_SD_EEES6_PiJS6_EEE10hipError_tPvRmT3_T4_T5_T6_T7_T9_mT8_P12ihipStream_tbDpT10_ENKUlT_T0_E_clISt17integral_constantIbLb0EES1B_EEDaS16_S17_EUlS16_E_NS1_11comp_targetILNS1_3genE0ELNS1_11target_archE4294967295ELNS1_3gpuE0ELNS1_3repE0EEENS1_30default_config_static_selectorELNS0_4arch9wavefront6targetE0EEEvT1_,comdat
.Lfunc_end390:
	.size	_ZN7rocprim17ROCPRIM_400000_NS6detail17trampoline_kernelINS0_14default_configENS1_25partition_config_selectorILNS1_17partition_subalgoE5ElNS0_10empty_typeEbEEZZNS1_14partition_implILS5_5ELb0ES3_mN6hipcub16HIPCUB_304000_NS21CountingInputIteratorIllEEPS6_NSA_22TransformInputIteratorIbN2at6native12_GLOBAL__N_19NonZeroOpIdEEPKdlEENS0_5tupleIJPlS6_EEENSN_IJSD_SD_EEES6_PiJS6_EEE10hipError_tPvRmT3_T4_T5_T6_T7_T9_mT8_P12ihipStream_tbDpT10_ENKUlT_T0_E_clISt17integral_constantIbLb0EES1B_EEDaS16_S17_EUlS16_E_NS1_11comp_targetILNS1_3genE0ELNS1_11target_archE4294967295ELNS1_3gpuE0ELNS1_3repE0EEENS1_30default_config_static_selectorELNS0_4arch9wavefront6targetE0EEEvT1_, .Lfunc_end390-_ZN7rocprim17ROCPRIM_400000_NS6detail17trampoline_kernelINS0_14default_configENS1_25partition_config_selectorILNS1_17partition_subalgoE5ElNS0_10empty_typeEbEEZZNS1_14partition_implILS5_5ELb0ES3_mN6hipcub16HIPCUB_304000_NS21CountingInputIteratorIllEEPS6_NSA_22TransformInputIteratorIbN2at6native12_GLOBAL__N_19NonZeroOpIdEEPKdlEENS0_5tupleIJPlS6_EEENSN_IJSD_SD_EEES6_PiJS6_EEE10hipError_tPvRmT3_T4_T5_T6_T7_T9_mT8_P12ihipStream_tbDpT10_ENKUlT_T0_E_clISt17integral_constantIbLb0EES1B_EEDaS16_S17_EUlS16_E_NS1_11comp_targetILNS1_3genE0ELNS1_11target_archE4294967295ELNS1_3gpuE0ELNS1_3repE0EEENS1_30default_config_static_selectorELNS0_4arch9wavefront6targetE0EEEvT1_
                                        ; -- End function
	.section	.AMDGPU.csdata,"",@progbits
; Kernel info:
; codeLenInByte = 0
; NumSgprs: 0
; NumVgprs: 0
; ScratchSize: 0
; MemoryBound: 0
; FloatMode: 240
; IeeeMode: 1
; LDSByteSize: 0 bytes/workgroup (compile time only)
; SGPRBlocks: 0
; VGPRBlocks: 0
; NumSGPRsForWavesPerEU: 1
; NumVGPRsForWavesPerEU: 1
; Occupancy: 16
; WaveLimiterHint : 0
; COMPUTE_PGM_RSRC2:SCRATCH_EN: 0
; COMPUTE_PGM_RSRC2:USER_SGPR: 15
; COMPUTE_PGM_RSRC2:TRAP_HANDLER: 0
; COMPUTE_PGM_RSRC2:TGID_X_EN: 1
; COMPUTE_PGM_RSRC2:TGID_Y_EN: 0
; COMPUTE_PGM_RSRC2:TGID_Z_EN: 0
; COMPUTE_PGM_RSRC2:TIDIG_COMP_CNT: 0
	.section	.text._ZN7rocprim17ROCPRIM_400000_NS6detail17trampoline_kernelINS0_14default_configENS1_25partition_config_selectorILNS1_17partition_subalgoE5ElNS0_10empty_typeEbEEZZNS1_14partition_implILS5_5ELb0ES3_mN6hipcub16HIPCUB_304000_NS21CountingInputIteratorIllEEPS6_NSA_22TransformInputIteratorIbN2at6native12_GLOBAL__N_19NonZeroOpIdEEPKdlEENS0_5tupleIJPlS6_EEENSN_IJSD_SD_EEES6_PiJS6_EEE10hipError_tPvRmT3_T4_T5_T6_T7_T9_mT8_P12ihipStream_tbDpT10_ENKUlT_T0_E_clISt17integral_constantIbLb0EES1B_EEDaS16_S17_EUlS16_E_NS1_11comp_targetILNS1_3genE5ELNS1_11target_archE942ELNS1_3gpuE9ELNS1_3repE0EEENS1_30default_config_static_selectorELNS0_4arch9wavefront6targetE0EEEvT1_,"axG",@progbits,_ZN7rocprim17ROCPRIM_400000_NS6detail17trampoline_kernelINS0_14default_configENS1_25partition_config_selectorILNS1_17partition_subalgoE5ElNS0_10empty_typeEbEEZZNS1_14partition_implILS5_5ELb0ES3_mN6hipcub16HIPCUB_304000_NS21CountingInputIteratorIllEEPS6_NSA_22TransformInputIteratorIbN2at6native12_GLOBAL__N_19NonZeroOpIdEEPKdlEENS0_5tupleIJPlS6_EEENSN_IJSD_SD_EEES6_PiJS6_EEE10hipError_tPvRmT3_T4_T5_T6_T7_T9_mT8_P12ihipStream_tbDpT10_ENKUlT_T0_E_clISt17integral_constantIbLb0EES1B_EEDaS16_S17_EUlS16_E_NS1_11comp_targetILNS1_3genE5ELNS1_11target_archE942ELNS1_3gpuE9ELNS1_3repE0EEENS1_30default_config_static_selectorELNS0_4arch9wavefront6targetE0EEEvT1_,comdat
	.globl	_ZN7rocprim17ROCPRIM_400000_NS6detail17trampoline_kernelINS0_14default_configENS1_25partition_config_selectorILNS1_17partition_subalgoE5ElNS0_10empty_typeEbEEZZNS1_14partition_implILS5_5ELb0ES3_mN6hipcub16HIPCUB_304000_NS21CountingInputIteratorIllEEPS6_NSA_22TransformInputIteratorIbN2at6native12_GLOBAL__N_19NonZeroOpIdEEPKdlEENS0_5tupleIJPlS6_EEENSN_IJSD_SD_EEES6_PiJS6_EEE10hipError_tPvRmT3_T4_T5_T6_T7_T9_mT8_P12ihipStream_tbDpT10_ENKUlT_T0_E_clISt17integral_constantIbLb0EES1B_EEDaS16_S17_EUlS16_E_NS1_11comp_targetILNS1_3genE5ELNS1_11target_archE942ELNS1_3gpuE9ELNS1_3repE0EEENS1_30default_config_static_selectorELNS0_4arch9wavefront6targetE0EEEvT1_ ; -- Begin function _ZN7rocprim17ROCPRIM_400000_NS6detail17trampoline_kernelINS0_14default_configENS1_25partition_config_selectorILNS1_17partition_subalgoE5ElNS0_10empty_typeEbEEZZNS1_14partition_implILS5_5ELb0ES3_mN6hipcub16HIPCUB_304000_NS21CountingInputIteratorIllEEPS6_NSA_22TransformInputIteratorIbN2at6native12_GLOBAL__N_19NonZeroOpIdEEPKdlEENS0_5tupleIJPlS6_EEENSN_IJSD_SD_EEES6_PiJS6_EEE10hipError_tPvRmT3_T4_T5_T6_T7_T9_mT8_P12ihipStream_tbDpT10_ENKUlT_T0_E_clISt17integral_constantIbLb0EES1B_EEDaS16_S17_EUlS16_E_NS1_11comp_targetILNS1_3genE5ELNS1_11target_archE942ELNS1_3gpuE9ELNS1_3repE0EEENS1_30default_config_static_selectorELNS0_4arch9wavefront6targetE0EEEvT1_
	.p2align	8
	.type	_ZN7rocprim17ROCPRIM_400000_NS6detail17trampoline_kernelINS0_14default_configENS1_25partition_config_selectorILNS1_17partition_subalgoE5ElNS0_10empty_typeEbEEZZNS1_14partition_implILS5_5ELb0ES3_mN6hipcub16HIPCUB_304000_NS21CountingInputIteratorIllEEPS6_NSA_22TransformInputIteratorIbN2at6native12_GLOBAL__N_19NonZeroOpIdEEPKdlEENS0_5tupleIJPlS6_EEENSN_IJSD_SD_EEES6_PiJS6_EEE10hipError_tPvRmT3_T4_T5_T6_T7_T9_mT8_P12ihipStream_tbDpT10_ENKUlT_T0_E_clISt17integral_constantIbLb0EES1B_EEDaS16_S17_EUlS16_E_NS1_11comp_targetILNS1_3genE5ELNS1_11target_archE942ELNS1_3gpuE9ELNS1_3repE0EEENS1_30default_config_static_selectorELNS0_4arch9wavefront6targetE0EEEvT1_,@function
_ZN7rocprim17ROCPRIM_400000_NS6detail17trampoline_kernelINS0_14default_configENS1_25partition_config_selectorILNS1_17partition_subalgoE5ElNS0_10empty_typeEbEEZZNS1_14partition_implILS5_5ELb0ES3_mN6hipcub16HIPCUB_304000_NS21CountingInputIteratorIllEEPS6_NSA_22TransformInputIteratorIbN2at6native12_GLOBAL__N_19NonZeroOpIdEEPKdlEENS0_5tupleIJPlS6_EEENSN_IJSD_SD_EEES6_PiJS6_EEE10hipError_tPvRmT3_T4_T5_T6_T7_T9_mT8_P12ihipStream_tbDpT10_ENKUlT_T0_E_clISt17integral_constantIbLb0EES1B_EEDaS16_S17_EUlS16_E_NS1_11comp_targetILNS1_3genE5ELNS1_11target_archE942ELNS1_3gpuE9ELNS1_3repE0EEENS1_30default_config_static_selectorELNS0_4arch9wavefront6targetE0EEEvT1_: ; @_ZN7rocprim17ROCPRIM_400000_NS6detail17trampoline_kernelINS0_14default_configENS1_25partition_config_selectorILNS1_17partition_subalgoE5ElNS0_10empty_typeEbEEZZNS1_14partition_implILS5_5ELb0ES3_mN6hipcub16HIPCUB_304000_NS21CountingInputIteratorIllEEPS6_NSA_22TransformInputIteratorIbN2at6native12_GLOBAL__N_19NonZeroOpIdEEPKdlEENS0_5tupleIJPlS6_EEENSN_IJSD_SD_EEES6_PiJS6_EEE10hipError_tPvRmT3_T4_T5_T6_T7_T9_mT8_P12ihipStream_tbDpT10_ENKUlT_T0_E_clISt17integral_constantIbLb0EES1B_EEDaS16_S17_EUlS16_E_NS1_11comp_targetILNS1_3genE5ELNS1_11target_archE942ELNS1_3gpuE9ELNS1_3repE0EEENS1_30default_config_static_selectorELNS0_4arch9wavefront6targetE0EEEvT1_
; %bb.0:
	.section	.rodata,"a",@progbits
	.p2align	6, 0x0
	.amdhsa_kernel _ZN7rocprim17ROCPRIM_400000_NS6detail17trampoline_kernelINS0_14default_configENS1_25partition_config_selectorILNS1_17partition_subalgoE5ElNS0_10empty_typeEbEEZZNS1_14partition_implILS5_5ELb0ES3_mN6hipcub16HIPCUB_304000_NS21CountingInputIteratorIllEEPS6_NSA_22TransformInputIteratorIbN2at6native12_GLOBAL__N_19NonZeroOpIdEEPKdlEENS0_5tupleIJPlS6_EEENSN_IJSD_SD_EEES6_PiJS6_EEE10hipError_tPvRmT3_T4_T5_T6_T7_T9_mT8_P12ihipStream_tbDpT10_ENKUlT_T0_E_clISt17integral_constantIbLb0EES1B_EEDaS16_S17_EUlS16_E_NS1_11comp_targetILNS1_3genE5ELNS1_11target_archE942ELNS1_3gpuE9ELNS1_3repE0EEENS1_30default_config_static_selectorELNS0_4arch9wavefront6targetE0EEEvT1_
		.amdhsa_group_segment_fixed_size 0
		.amdhsa_private_segment_fixed_size 0
		.amdhsa_kernarg_size 120
		.amdhsa_user_sgpr_count 15
		.amdhsa_user_sgpr_dispatch_ptr 0
		.amdhsa_user_sgpr_queue_ptr 0
		.amdhsa_user_sgpr_kernarg_segment_ptr 1
		.amdhsa_user_sgpr_dispatch_id 0
		.amdhsa_user_sgpr_private_segment_size 0
		.amdhsa_wavefront_size32 1
		.amdhsa_uses_dynamic_stack 0
		.amdhsa_enable_private_segment 0
		.amdhsa_system_sgpr_workgroup_id_x 1
		.amdhsa_system_sgpr_workgroup_id_y 0
		.amdhsa_system_sgpr_workgroup_id_z 0
		.amdhsa_system_sgpr_workgroup_info 0
		.amdhsa_system_vgpr_workitem_id 0
		.amdhsa_next_free_vgpr 1
		.amdhsa_next_free_sgpr 1
		.amdhsa_reserve_vcc 0
		.amdhsa_float_round_mode_32 0
		.amdhsa_float_round_mode_16_64 0
		.amdhsa_float_denorm_mode_32 3
		.amdhsa_float_denorm_mode_16_64 3
		.amdhsa_dx10_clamp 1
		.amdhsa_ieee_mode 1
		.amdhsa_fp16_overflow 0
		.amdhsa_workgroup_processor_mode 1
		.amdhsa_memory_ordered 1
		.amdhsa_forward_progress 0
		.amdhsa_shared_vgpr_count 0
		.amdhsa_exception_fp_ieee_invalid_op 0
		.amdhsa_exception_fp_denorm_src 0
		.amdhsa_exception_fp_ieee_div_zero 0
		.amdhsa_exception_fp_ieee_overflow 0
		.amdhsa_exception_fp_ieee_underflow 0
		.amdhsa_exception_fp_ieee_inexact 0
		.amdhsa_exception_int_div_zero 0
	.end_amdhsa_kernel
	.section	.text._ZN7rocprim17ROCPRIM_400000_NS6detail17trampoline_kernelINS0_14default_configENS1_25partition_config_selectorILNS1_17partition_subalgoE5ElNS0_10empty_typeEbEEZZNS1_14partition_implILS5_5ELb0ES3_mN6hipcub16HIPCUB_304000_NS21CountingInputIteratorIllEEPS6_NSA_22TransformInputIteratorIbN2at6native12_GLOBAL__N_19NonZeroOpIdEEPKdlEENS0_5tupleIJPlS6_EEENSN_IJSD_SD_EEES6_PiJS6_EEE10hipError_tPvRmT3_T4_T5_T6_T7_T9_mT8_P12ihipStream_tbDpT10_ENKUlT_T0_E_clISt17integral_constantIbLb0EES1B_EEDaS16_S17_EUlS16_E_NS1_11comp_targetILNS1_3genE5ELNS1_11target_archE942ELNS1_3gpuE9ELNS1_3repE0EEENS1_30default_config_static_selectorELNS0_4arch9wavefront6targetE0EEEvT1_,"axG",@progbits,_ZN7rocprim17ROCPRIM_400000_NS6detail17trampoline_kernelINS0_14default_configENS1_25partition_config_selectorILNS1_17partition_subalgoE5ElNS0_10empty_typeEbEEZZNS1_14partition_implILS5_5ELb0ES3_mN6hipcub16HIPCUB_304000_NS21CountingInputIteratorIllEEPS6_NSA_22TransformInputIteratorIbN2at6native12_GLOBAL__N_19NonZeroOpIdEEPKdlEENS0_5tupleIJPlS6_EEENSN_IJSD_SD_EEES6_PiJS6_EEE10hipError_tPvRmT3_T4_T5_T6_T7_T9_mT8_P12ihipStream_tbDpT10_ENKUlT_T0_E_clISt17integral_constantIbLb0EES1B_EEDaS16_S17_EUlS16_E_NS1_11comp_targetILNS1_3genE5ELNS1_11target_archE942ELNS1_3gpuE9ELNS1_3repE0EEENS1_30default_config_static_selectorELNS0_4arch9wavefront6targetE0EEEvT1_,comdat
.Lfunc_end391:
	.size	_ZN7rocprim17ROCPRIM_400000_NS6detail17trampoline_kernelINS0_14default_configENS1_25partition_config_selectorILNS1_17partition_subalgoE5ElNS0_10empty_typeEbEEZZNS1_14partition_implILS5_5ELb0ES3_mN6hipcub16HIPCUB_304000_NS21CountingInputIteratorIllEEPS6_NSA_22TransformInputIteratorIbN2at6native12_GLOBAL__N_19NonZeroOpIdEEPKdlEENS0_5tupleIJPlS6_EEENSN_IJSD_SD_EEES6_PiJS6_EEE10hipError_tPvRmT3_T4_T5_T6_T7_T9_mT8_P12ihipStream_tbDpT10_ENKUlT_T0_E_clISt17integral_constantIbLb0EES1B_EEDaS16_S17_EUlS16_E_NS1_11comp_targetILNS1_3genE5ELNS1_11target_archE942ELNS1_3gpuE9ELNS1_3repE0EEENS1_30default_config_static_selectorELNS0_4arch9wavefront6targetE0EEEvT1_, .Lfunc_end391-_ZN7rocprim17ROCPRIM_400000_NS6detail17trampoline_kernelINS0_14default_configENS1_25partition_config_selectorILNS1_17partition_subalgoE5ElNS0_10empty_typeEbEEZZNS1_14partition_implILS5_5ELb0ES3_mN6hipcub16HIPCUB_304000_NS21CountingInputIteratorIllEEPS6_NSA_22TransformInputIteratorIbN2at6native12_GLOBAL__N_19NonZeroOpIdEEPKdlEENS0_5tupleIJPlS6_EEENSN_IJSD_SD_EEES6_PiJS6_EEE10hipError_tPvRmT3_T4_T5_T6_T7_T9_mT8_P12ihipStream_tbDpT10_ENKUlT_T0_E_clISt17integral_constantIbLb0EES1B_EEDaS16_S17_EUlS16_E_NS1_11comp_targetILNS1_3genE5ELNS1_11target_archE942ELNS1_3gpuE9ELNS1_3repE0EEENS1_30default_config_static_selectorELNS0_4arch9wavefront6targetE0EEEvT1_
                                        ; -- End function
	.section	.AMDGPU.csdata,"",@progbits
; Kernel info:
; codeLenInByte = 0
; NumSgprs: 0
; NumVgprs: 0
; ScratchSize: 0
; MemoryBound: 0
; FloatMode: 240
; IeeeMode: 1
; LDSByteSize: 0 bytes/workgroup (compile time only)
; SGPRBlocks: 0
; VGPRBlocks: 0
; NumSGPRsForWavesPerEU: 1
; NumVGPRsForWavesPerEU: 1
; Occupancy: 16
; WaveLimiterHint : 0
; COMPUTE_PGM_RSRC2:SCRATCH_EN: 0
; COMPUTE_PGM_RSRC2:USER_SGPR: 15
; COMPUTE_PGM_RSRC2:TRAP_HANDLER: 0
; COMPUTE_PGM_RSRC2:TGID_X_EN: 1
; COMPUTE_PGM_RSRC2:TGID_Y_EN: 0
; COMPUTE_PGM_RSRC2:TGID_Z_EN: 0
; COMPUTE_PGM_RSRC2:TIDIG_COMP_CNT: 0
	.section	.text._ZN7rocprim17ROCPRIM_400000_NS6detail17trampoline_kernelINS0_14default_configENS1_25partition_config_selectorILNS1_17partition_subalgoE5ElNS0_10empty_typeEbEEZZNS1_14partition_implILS5_5ELb0ES3_mN6hipcub16HIPCUB_304000_NS21CountingInputIteratorIllEEPS6_NSA_22TransformInputIteratorIbN2at6native12_GLOBAL__N_19NonZeroOpIdEEPKdlEENS0_5tupleIJPlS6_EEENSN_IJSD_SD_EEES6_PiJS6_EEE10hipError_tPvRmT3_T4_T5_T6_T7_T9_mT8_P12ihipStream_tbDpT10_ENKUlT_T0_E_clISt17integral_constantIbLb0EES1B_EEDaS16_S17_EUlS16_E_NS1_11comp_targetILNS1_3genE4ELNS1_11target_archE910ELNS1_3gpuE8ELNS1_3repE0EEENS1_30default_config_static_selectorELNS0_4arch9wavefront6targetE0EEEvT1_,"axG",@progbits,_ZN7rocprim17ROCPRIM_400000_NS6detail17trampoline_kernelINS0_14default_configENS1_25partition_config_selectorILNS1_17partition_subalgoE5ElNS0_10empty_typeEbEEZZNS1_14partition_implILS5_5ELb0ES3_mN6hipcub16HIPCUB_304000_NS21CountingInputIteratorIllEEPS6_NSA_22TransformInputIteratorIbN2at6native12_GLOBAL__N_19NonZeroOpIdEEPKdlEENS0_5tupleIJPlS6_EEENSN_IJSD_SD_EEES6_PiJS6_EEE10hipError_tPvRmT3_T4_T5_T6_T7_T9_mT8_P12ihipStream_tbDpT10_ENKUlT_T0_E_clISt17integral_constantIbLb0EES1B_EEDaS16_S17_EUlS16_E_NS1_11comp_targetILNS1_3genE4ELNS1_11target_archE910ELNS1_3gpuE8ELNS1_3repE0EEENS1_30default_config_static_selectorELNS0_4arch9wavefront6targetE0EEEvT1_,comdat
	.globl	_ZN7rocprim17ROCPRIM_400000_NS6detail17trampoline_kernelINS0_14default_configENS1_25partition_config_selectorILNS1_17partition_subalgoE5ElNS0_10empty_typeEbEEZZNS1_14partition_implILS5_5ELb0ES3_mN6hipcub16HIPCUB_304000_NS21CountingInputIteratorIllEEPS6_NSA_22TransformInputIteratorIbN2at6native12_GLOBAL__N_19NonZeroOpIdEEPKdlEENS0_5tupleIJPlS6_EEENSN_IJSD_SD_EEES6_PiJS6_EEE10hipError_tPvRmT3_T4_T5_T6_T7_T9_mT8_P12ihipStream_tbDpT10_ENKUlT_T0_E_clISt17integral_constantIbLb0EES1B_EEDaS16_S17_EUlS16_E_NS1_11comp_targetILNS1_3genE4ELNS1_11target_archE910ELNS1_3gpuE8ELNS1_3repE0EEENS1_30default_config_static_selectorELNS0_4arch9wavefront6targetE0EEEvT1_ ; -- Begin function _ZN7rocprim17ROCPRIM_400000_NS6detail17trampoline_kernelINS0_14default_configENS1_25partition_config_selectorILNS1_17partition_subalgoE5ElNS0_10empty_typeEbEEZZNS1_14partition_implILS5_5ELb0ES3_mN6hipcub16HIPCUB_304000_NS21CountingInputIteratorIllEEPS6_NSA_22TransformInputIteratorIbN2at6native12_GLOBAL__N_19NonZeroOpIdEEPKdlEENS0_5tupleIJPlS6_EEENSN_IJSD_SD_EEES6_PiJS6_EEE10hipError_tPvRmT3_T4_T5_T6_T7_T9_mT8_P12ihipStream_tbDpT10_ENKUlT_T0_E_clISt17integral_constantIbLb0EES1B_EEDaS16_S17_EUlS16_E_NS1_11comp_targetILNS1_3genE4ELNS1_11target_archE910ELNS1_3gpuE8ELNS1_3repE0EEENS1_30default_config_static_selectorELNS0_4arch9wavefront6targetE0EEEvT1_
	.p2align	8
	.type	_ZN7rocprim17ROCPRIM_400000_NS6detail17trampoline_kernelINS0_14default_configENS1_25partition_config_selectorILNS1_17partition_subalgoE5ElNS0_10empty_typeEbEEZZNS1_14partition_implILS5_5ELb0ES3_mN6hipcub16HIPCUB_304000_NS21CountingInputIteratorIllEEPS6_NSA_22TransformInputIteratorIbN2at6native12_GLOBAL__N_19NonZeroOpIdEEPKdlEENS0_5tupleIJPlS6_EEENSN_IJSD_SD_EEES6_PiJS6_EEE10hipError_tPvRmT3_T4_T5_T6_T7_T9_mT8_P12ihipStream_tbDpT10_ENKUlT_T0_E_clISt17integral_constantIbLb0EES1B_EEDaS16_S17_EUlS16_E_NS1_11comp_targetILNS1_3genE4ELNS1_11target_archE910ELNS1_3gpuE8ELNS1_3repE0EEENS1_30default_config_static_selectorELNS0_4arch9wavefront6targetE0EEEvT1_,@function
_ZN7rocprim17ROCPRIM_400000_NS6detail17trampoline_kernelINS0_14default_configENS1_25partition_config_selectorILNS1_17partition_subalgoE5ElNS0_10empty_typeEbEEZZNS1_14partition_implILS5_5ELb0ES3_mN6hipcub16HIPCUB_304000_NS21CountingInputIteratorIllEEPS6_NSA_22TransformInputIteratorIbN2at6native12_GLOBAL__N_19NonZeroOpIdEEPKdlEENS0_5tupleIJPlS6_EEENSN_IJSD_SD_EEES6_PiJS6_EEE10hipError_tPvRmT3_T4_T5_T6_T7_T9_mT8_P12ihipStream_tbDpT10_ENKUlT_T0_E_clISt17integral_constantIbLb0EES1B_EEDaS16_S17_EUlS16_E_NS1_11comp_targetILNS1_3genE4ELNS1_11target_archE910ELNS1_3gpuE8ELNS1_3repE0EEENS1_30default_config_static_selectorELNS0_4arch9wavefront6targetE0EEEvT1_: ; @_ZN7rocprim17ROCPRIM_400000_NS6detail17trampoline_kernelINS0_14default_configENS1_25partition_config_selectorILNS1_17partition_subalgoE5ElNS0_10empty_typeEbEEZZNS1_14partition_implILS5_5ELb0ES3_mN6hipcub16HIPCUB_304000_NS21CountingInputIteratorIllEEPS6_NSA_22TransformInputIteratorIbN2at6native12_GLOBAL__N_19NonZeroOpIdEEPKdlEENS0_5tupleIJPlS6_EEENSN_IJSD_SD_EEES6_PiJS6_EEE10hipError_tPvRmT3_T4_T5_T6_T7_T9_mT8_P12ihipStream_tbDpT10_ENKUlT_T0_E_clISt17integral_constantIbLb0EES1B_EEDaS16_S17_EUlS16_E_NS1_11comp_targetILNS1_3genE4ELNS1_11target_archE910ELNS1_3gpuE8ELNS1_3repE0EEENS1_30default_config_static_selectorELNS0_4arch9wavefront6targetE0EEEvT1_
; %bb.0:
	.section	.rodata,"a",@progbits
	.p2align	6, 0x0
	.amdhsa_kernel _ZN7rocprim17ROCPRIM_400000_NS6detail17trampoline_kernelINS0_14default_configENS1_25partition_config_selectorILNS1_17partition_subalgoE5ElNS0_10empty_typeEbEEZZNS1_14partition_implILS5_5ELb0ES3_mN6hipcub16HIPCUB_304000_NS21CountingInputIteratorIllEEPS6_NSA_22TransformInputIteratorIbN2at6native12_GLOBAL__N_19NonZeroOpIdEEPKdlEENS0_5tupleIJPlS6_EEENSN_IJSD_SD_EEES6_PiJS6_EEE10hipError_tPvRmT3_T4_T5_T6_T7_T9_mT8_P12ihipStream_tbDpT10_ENKUlT_T0_E_clISt17integral_constantIbLb0EES1B_EEDaS16_S17_EUlS16_E_NS1_11comp_targetILNS1_3genE4ELNS1_11target_archE910ELNS1_3gpuE8ELNS1_3repE0EEENS1_30default_config_static_selectorELNS0_4arch9wavefront6targetE0EEEvT1_
		.amdhsa_group_segment_fixed_size 0
		.amdhsa_private_segment_fixed_size 0
		.amdhsa_kernarg_size 120
		.amdhsa_user_sgpr_count 15
		.amdhsa_user_sgpr_dispatch_ptr 0
		.amdhsa_user_sgpr_queue_ptr 0
		.amdhsa_user_sgpr_kernarg_segment_ptr 1
		.amdhsa_user_sgpr_dispatch_id 0
		.amdhsa_user_sgpr_private_segment_size 0
		.amdhsa_wavefront_size32 1
		.amdhsa_uses_dynamic_stack 0
		.amdhsa_enable_private_segment 0
		.amdhsa_system_sgpr_workgroup_id_x 1
		.amdhsa_system_sgpr_workgroup_id_y 0
		.amdhsa_system_sgpr_workgroup_id_z 0
		.amdhsa_system_sgpr_workgroup_info 0
		.amdhsa_system_vgpr_workitem_id 0
		.amdhsa_next_free_vgpr 1
		.amdhsa_next_free_sgpr 1
		.amdhsa_reserve_vcc 0
		.amdhsa_float_round_mode_32 0
		.amdhsa_float_round_mode_16_64 0
		.amdhsa_float_denorm_mode_32 3
		.amdhsa_float_denorm_mode_16_64 3
		.amdhsa_dx10_clamp 1
		.amdhsa_ieee_mode 1
		.amdhsa_fp16_overflow 0
		.amdhsa_workgroup_processor_mode 1
		.amdhsa_memory_ordered 1
		.amdhsa_forward_progress 0
		.amdhsa_shared_vgpr_count 0
		.amdhsa_exception_fp_ieee_invalid_op 0
		.amdhsa_exception_fp_denorm_src 0
		.amdhsa_exception_fp_ieee_div_zero 0
		.amdhsa_exception_fp_ieee_overflow 0
		.amdhsa_exception_fp_ieee_underflow 0
		.amdhsa_exception_fp_ieee_inexact 0
		.amdhsa_exception_int_div_zero 0
	.end_amdhsa_kernel
	.section	.text._ZN7rocprim17ROCPRIM_400000_NS6detail17trampoline_kernelINS0_14default_configENS1_25partition_config_selectorILNS1_17partition_subalgoE5ElNS0_10empty_typeEbEEZZNS1_14partition_implILS5_5ELb0ES3_mN6hipcub16HIPCUB_304000_NS21CountingInputIteratorIllEEPS6_NSA_22TransformInputIteratorIbN2at6native12_GLOBAL__N_19NonZeroOpIdEEPKdlEENS0_5tupleIJPlS6_EEENSN_IJSD_SD_EEES6_PiJS6_EEE10hipError_tPvRmT3_T4_T5_T6_T7_T9_mT8_P12ihipStream_tbDpT10_ENKUlT_T0_E_clISt17integral_constantIbLb0EES1B_EEDaS16_S17_EUlS16_E_NS1_11comp_targetILNS1_3genE4ELNS1_11target_archE910ELNS1_3gpuE8ELNS1_3repE0EEENS1_30default_config_static_selectorELNS0_4arch9wavefront6targetE0EEEvT1_,"axG",@progbits,_ZN7rocprim17ROCPRIM_400000_NS6detail17trampoline_kernelINS0_14default_configENS1_25partition_config_selectorILNS1_17partition_subalgoE5ElNS0_10empty_typeEbEEZZNS1_14partition_implILS5_5ELb0ES3_mN6hipcub16HIPCUB_304000_NS21CountingInputIteratorIllEEPS6_NSA_22TransformInputIteratorIbN2at6native12_GLOBAL__N_19NonZeroOpIdEEPKdlEENS0_5tupleIJPlS6_EEENSN_IJSD_SD_EEES6_PiJS6_EEE10hipError_tPvRmT3_T4_T5_T6_T7_T9_mT8_P12ihipStream_tbDpT10_ENKUlT_T0_E_clISt17integral_constantIbLb0EES1B_EEDaS16_S17_EUlS16_E_NS1_11comp_targetILNS1_3genE4ELNS1_11target_archE910ELNS1_3gpuE8ELNS1_3repE0EEENS1_30default_config_static_selectorELNS0_4arch9wavefront6targetE0EEEvT1_,comdat
.Lfunc_end392:
	.size	_ZN7rocprim17ROCPRIM_400000_NS6detail17trampoline_kernelINS0_14default_configENS1_25partition_config_selectorILNS1_17partition_subalgoE5ElNS0_10empty_typeEbEEZZNS1_14partition_implILS5_5ELb0ES3_mN6hipcub16HIPCUB_304000_NS21CountingInputIteratorIllEEPS6_NSA_22TransformInputIteratorIbN2at6native12_GLOBAL__N_19NonZeroOpIdEEPKdlEENS0_5tupleIJPlS6_EEENSN_IJSD_SD_EEES6_PiJS6_EEE10hipError_tPvRmT3_T4_T5_T6_T7_T9_mT8_P12ihipStream_tbDpT10_ENKUlT_T0_E_clISt17integral_constantIbLb0EES1B_EEDaS16_S17_EUlS16_E_NS1_11comp_targetILNS1_3genE4ELNS1_11target_archE910ELNS1_3gpuE8ELNS1_3repE0EEENS1_30default_config_static_selectorELNS0_4arch9wavefront6targetE0EEEvT1_, .Lfunc_end392-_ZN7rocprim17ROCPRIM_400000_NS6detail17trampoline_kernelINS0_14default_configENS1_25partition_config_selectorILNS1_17partition_subalgoE5ElNS0_10empty_typeEbEEZZNS1_14partition_implILS5_5ELb0ES3_mN6hipcub16HIPCUB_304000_NS21CountingInputIteratorIllEEPS6_NSA_22TransformInputIteratorIbN2at6native12_GLOBAL__N_19NonZeroOpIdEEPKdlEENS0_5tupleIJPlS6_EEENSN_IJSD_SD_EEES6_PiJS6_EEE10hipError_tPvRmT3_T4_T5_T6_T7_T9_mT8_P12ihipStream_tbDpT10_ENKUlT_T0_E_clISt17integral_constantIbLb0EES1B_EEDaS16_S17_EUlS16_E_NS1_11comp_targetILNS1_3genE4ELNS1_11target_archE910ELNS1_3gpuE8ELNS1_3repE0EEENS1_30default_config_static_selectorELNS0_4arch9wavefront6targetE0EEEvT1_
                                        ; -- End function
	.section	.AMDGPU.csdata,"",@progbits
; Kernel info:
; codeLenInByte = 0
; NumSgprs: 0
; NumVgprs: 0
; ScratchSize: 0
; MemoryBound: 0
; FloatMode: 240
; IeeeMode: 1
; LDSByteSize: 0 bytes/workgroup (compile time only)
; SGPRBlocks: 0
; VGPRBlocks: 0
; NumSGPRsForWavesPerEU: 1
; NumVGPRsForWavesPerEU: 1
; Occupancy: 15
; WaveLimiterHint : 0
; COMPUTE_PGM_RSRC2:SCRATCH_EN: 0
; COMPUTE_PGM_RSRC2:USER_SGPR: 15
; COMPUTE_PGM_RSRC2:TRAP_HANDLER: 0
; COMPUTE_PGM_RSRC2:TGID_X_EN: 1
; COMPUTE_PGM_RSRC2:TGID_Y_EN: 0
; COMPUTE_PGM_RSRC2:TGID_Z_EN: 0
; COMPUTE_PGM_RSRC2:TIDIG_COMP_CNT: 0
	.section	.text._ZN7rocprim17ROCPRIM_400000_NS6detail17trampoline_kernelINS0_14default_configENS1_25partition_config_selectorILNS1_17partition_subalgoE5ElNS0_10empty_typeEbEEZZNS1_14partition_implILS5_5ELb0ES3_mN6hipcub16HIPCUB_304000_NS21CountingInputIteratorIllEEPS6_NSA_22TransformInputIteratorIbN2at6native12_GLOBAL__N_19NonZeroOpIdEEPKdlEENS0_5tupleIJPlS6_EEENSN_IJSD_SD_EEES6_PiJS6_EEE10hipError_tPvRmT3_T4_T5_T6_T7_T9_mT8_P12ihipStream_tbDpT10_ENKUlT_T0_E_clISt17integral_constantIbLb0EES1B_EEDaS16_S17_EUlS16_E_NS1_11comp_targetILNS1_3genE3ELNS1_11target_archE908ELNS1_3gpuE7ELNS1_3repE0EEENS1_30default_config_static_selectorELNS0_4arch9wavefront6targetE0EEEvT1_,"axG",@progbits,_ZN7rocprim17ROCPRIM_400000_NS6detail17trampoline_kernelINS0_14default_configENS1_25partition_config_selectorILNS1_17partition_subalgoE5ElNS0_10empty_typeEbEEZZNS1_14partition_implILS5_5ELb0ES3_mN6hipcub16HIPCUB_304000_NS21CountingInputIteratorIllEEPS6_NSA_22TransformInputIteratorIbN2at6native12_GLOBAL__N_19NonZeroOpIdEEPKdlEENS0_5tupleIJPlS6_EEENSN_IJSD_SD_EEES6_PiJS6_EEE10hipError_tPvRmT3_T4_T5_T6_T7_T9_mT8_P12ihipStream_tbDpT10_ENKUlT_T0_E_clISt17integral_constantIbLb0EES1B_EEDaS16_S17_EUlS16_E_NS1_11comp_targetILNS1_3genE3ELNS1_11target_archE908ELNS1_3gpuE7ELNS1_3repE0EEENS1_30default_config_static_selectorELNS0_4arch9wavefront6targetE0EEEvT1_,comdat
	.globl	_ZN7rocprim17ROCPRIM_400000_NS6detail17trampoline_kernelINS0_14default_configENS1_25partition_config_selectorILNS1_17partition_subalgoE5ElNS0_10empty_typeEbEEZZNS1_14partition_implILS5_5ELb0ES3_mN6hipcub16HIPCUB_304000_NS21CountingInputIteratorIllEEPS6_NSA_22TransformInputIteratorIbN2at6native12_GLOBAL__N_19NonZeroOpIdEEPKdlEENS0_5tupleIJPlS6_EEENSN_IJSD_SD_EEES6_PiJS6_EEE10hipError_tPvRmT3_T4_T5_T6_T7_T9_mT8_P12ihipStream_tbDpT10_ENKUlT_T0_E_clISt17integral_constantIbLb0EES1B_EEDaS16_S17_EUlS16_E_NS1_11comp_targetILNS1_3genE3ELNS1_11target_archE908ELNS1_3gpuE7ELNS1_3repE0EEENS1_30default_config_static_selectorELNS0_4arch9wavefront6targetE0EEEvT1_ ; -- Begin function _ZN7rocprim17ROCPRIM_400000_NS6detail17trampoline_kernelINS0_14default_configENS1_25partition_config_selectorILNS1_17partition_subalgoE5ElNS0_10empty_typeEbEEZZNS1_14partition_implILS5_5ELb0ES3_mN6hipcub16HIPCUB_304000_NS21CountingInputIteratorIllEEPS6_NSA_22TransformInputIteratorIbN2at6native12_GLOBAL__N_19NonZeroOpIdEEPKdlEENS0_5tupleIJPlS6_EEENSN_IJSD_SD_EEES6_PiJS6_EEE10hipError_tPvRmT3_T4_T5_T6_T7_T9_mT8_P12ihipStream_tbDpT10_ENKUlT_T0_E_clISt17integral_constantIbLb0EES1B_EEDaS16_S17_EUlS16_E_NS1_11comp_targetILNS1_3genE3ELNS1_11target_archE908ELNS1_3gpuE7ELNS1_3repE0EEENS1_30default_config_static_selectorELNS0_4arch9wavefront6targetE0EEEvT1_
	.p2align	8
	.type	_ZN7rocprim17ROCPRIM_400000_NS6detail17trampoline_kernelINS0_14default_configENS1_25partition_config_selectorILNS1_17partition_subalgoE5ElNS0_10empty_typeEbEEZZNS1_14partition_implILS5_5ELb0ES3_mN6hipcub16HIPCUB_304000_NS21CountingInputIteratorIllEEPS6_NSA_22TransformInputIteratorIbN2at6native12_GLOBAL__N_19NonZeroOpIdEEPKdlEENS0_5tupleIJPlS6_EEENSN_IJSD_SD_EEES6_PiJS6_EEE10hipError_tPvRmT3_T4_T5_T6_T7_T9_mT8_P12ihipStream_tbDpT10_ENKUlT_T0_E_clISt17integral_constantIbLb0EES1B_EEDaS16_S17_EUlS16_E_NS1_11comp_targetILNS1_3genE3ELNS1_11target_archE908ELNS1_3gpuE7ELNS1_3repE0EEENS1_30default_config_static_selectorELNS0_4arch9wavefront6targetE0EEEvT1_,@function
_ZN7rocprim17ROCPRIM_400000_NS6detail17trampoline_kernelINS0_14default_configENS1_25partition_config_selectorILNS1_17partition_subalgoE5ElNS0_10empty_typeEbEEZZNS1_14partition_implILS5_5ELb0ES3_mN6hipcub16HIPCUB_304000_NS21CountingInputIteratorIllEEPS6_NSA_22TransformInputIteratorIbN2at6native12_GLOBAL__N_19NonZeroOpIdEEPKdlEENS0_5tupleIJPlS6_EEENSN_IJSD_SD_EEES6_PiJS6_EEE10hipError_tPvRmT3_T4_T5_T6_T7_T9_mT8_P12ihipStream_tbDpT10_ENKUlT_T0_E_clISt17integral_constantIbLb0EES1B_EEDaS16_S17_EUlS16_E_NS1_11comp_targetILNS1_3genE3ELNS1_11target_archE908ELNS1_3gpuE7ELNS1_3repE0EEENS1_30default_config_static_selectorELNS0_4arch9wavefront6targetE0EEEvT1_: ; @_ZN7rocprim17ROCPRIM_400000_NS6detail17trampoline_kernelINS0_14default_configENS1_25partition_config_selectorILNS1_17partition_subalgoE5ElNS0_10empty_typeEbEEZZNS1_14partition_implILS5_5ELb0ES3_mN6hipcub16HIPCUB_304000_NS21CountingInputIteratorIllEEPS6_NSA_22TransformInputIteratorIbN2at6native12_GLOBAL__N_19NonZeroOpIdEEPKdlEENS0_5tupleIJPlS6_EEENSN_IJSD_SD_EEES6_PiJS6_EEE10hipError_tPvRmT3_T4_T5_T6_T7_T9_mT8_P12ihipStream_tbDpT10_ENKUlT_T0_E_clISt17integral_constantIbLb0EES1B_EEDaS16_S17_EUlS16_E_NS1_11comp_targetILNS1_3genE3ELNS1_11target_archE908ELNS1_3gpuE7ELNS1_3repE0EEENS1_30default_config_static_selectorELNS0_4arch9wavefront6targetE0EEEvT1_
; %bb.0:
	.section	.rodata,"a",@progbits
	.p2align	6, 0x0
	.amdhsa_kernel _ZN7rocprim17ROCPRIM_400000_NS6detail17trampoline_kernelINS0_14default_configENS1_25partition_config_selectorILNS1_17partition_subalgoE5ElNS0_10empty_typeEbEEZZNS1_14partition_implILS5_5ELb0ES3_mN6hipcub16HIPCUB_304000_NS21CountingInputIteratorIllEEPS6_NSA_22TransformInputIteratorIbN2at6native12_GLOBAL__N_19NonZeroOpIdEEPKdlEENS0_5tupleIJPlS6_EEENSN_IJSD_SD_EEES6_PiJS6_EEE10hipError_tPvRmT3_T4_T5_T6_T7_T9_mT8_P12ihipStream_tbDpT10_ENKUlT_T0_E_clISt17integral_constantIbLb0EES1B_EEDaS16_S17_EUlS16_E_NS1_11comp_targetILNS1_3genE3ELNS1_11target_archE908ELNS1_3gpuE7ELNS1_3repE0EEENS1_30default_config_static_selectorELNS0_4arch9wavefront6targetE0EEEvT1_
		.amdhsa_group_segment_fixed_size 0
		.amdhsa_private_segment_fixed_size 0
		.amdhsa_kernarg_size 120
		.amdhsa_user_sgpr_count 15
		.amdhsa_user_sgpr_dispatch_ptr 0
		.amdhsa_user_sgpr_queue_ptr 0
		.amdhsa_user_sgpr_kernarg_segment_ptr 1
		.amdhsa_user_sgpr_dispatch_id 0
		.amdhsa_user_sgpr_private_segment_size 0
		.amdhsa_wavefront_size32 1
		.amdhsa_uses_dynamic_stack 0
		.amdhsa_enable_private_segment 0
		.amdhsa_system_sgpr_workgroup_id_x 1
		.amdhsa_system_sgpr_workgroup_id_y 0
		.amdhsa_system_sgpr_workgroup_id_z 0
		.amdhsa_system_sgpr_workgroup_info 0
		.amdhsa_system_vgpr_workitem_id 0
		.amdhsa_next_free_vgpr 1
		.amdhsa_next_free_sgpr 1
		.amdhsa_reserve_vcc 0
		.amdhsa_float_round_mode_32 0
		.amdhsa_float_round_mode_16_64 0
		.amdhsa_float_denorm_mode_32 3
		.amdhsa_float_denorm_mode_16_64 3
		.amdhsa_dx10_clamp 1
		.amdhsa_ieee_mode 1
		.amdhsa_fp16_overflow 0
		.amdhsa_workgroup_processor_mode 1
		.amdhsa_memory_ordered 1
		.amdhsa_forward_progress 0
		.amdhsa_shared_vgpr_count 0
		.amdhsa_exception_fp_ieee_invalid_op 0
		.amdhsa_exception_fp_denorm_src 0
		.amdhsa_exception_fp_ieee_div_zero 0
		.amdhsa_exception_fp_ieee_overflow 0
		.amdhsa_exception_fp_ieee_underflow 0
		.amdhsa_exception_fp_ieee_inexact 0
		.amdhsa_exception_int_div_zero 0
	.end_amdhsa_kernel
	.section	.text._ZN7rocprim17ROCPRIM_400000_NS6detail17trampoline_kernelINS0_14default_configENS1_25partition_config_selectorILNS1_17partition_subalgoE5ElNS0_10empty_typeEbEEZZNS1_14partition_implILS5_5ELb0ES3_mN6hipcub16HIPCUB_304000_NS21CountingInputIteratorIllEEPS6_NSA_22TransformInputIteratorIbN2at6native12_GLOBAL__N_19NonZeroOpIdEEPKdlEENS0_5tupleIJPlS6_EEENSN_IJSD_SD_EEES6_PiJS6_EEE10hipError_tPvRmT3_T4_T5_T6_T7_T9_mT8_P12ihipStream_tbDpT10_ENKUlT_T0_E_clISt17integral_constantIbLb0EES1B_EEDaS16_S17_EUlS16_E_NS1_11comp_targetILNS1_3genE3ELNS1_11target_archE908ELNS1_3gpuE7ELNS1_3repE0EEENS1_30default_config_static_selectorELNS0_4arch9wavefront6targetE0EEEvT1_,"axG",@progbits,_ZN7rocprim17ROCPRIM_400000_NS6detail17trampoline_kernelINS0_14default_configENS1_25partition_config_selectorILNS1_17partition_subalgoE5ElNS0_10empty_typeEbEEZZNS1_14partition_implILS5_5ELb0ES3_mN6hipcub16HIPCUB_304000_NS21CountingInputIteratorIllEEPS6_NSA_22TransformInputIteratorIbN2at6native12_GLOBAL__N_19NonZeroOpIdEEPKdlEENS0_5tupleIJPlS6_EEENSN_IJSD_SD_EEES6_PiJS6_EEE10hipError_tPvRmT3_T4_T5_T6_T7_T9_mT8_P12ihipStream_tbDpT10_ENKUlT_T0_E_clISt17integral_constantIbLb0EES1B_EEDaS16_S17_EUlS16_E_NS1_11comp_targetILNS1_3genE3ELNS1_11target_archE908ELNS1_3gpuE7ELNS1_3repE0EEENS1_30default_config_static_selectorELNS0_4arch9wavefront6targetE0EEEvT1_,comdat
.Lfunc_end393:
	.size	_ZN7rocprim17ROCPRIM_400000_NS6detail17trampoline_kernelINS0_14default_configENS1_25partition_config_selectorILNS1_17partition_subalgoE5ElNS0_10empty_typeEbEEZZNS1_14partition_implILS5_5ELb0ES3_mN6hipcub16HIPCUB_304000_NS21CountingInputIteratorIllEEPS6_NSA_22TransformInputIteratorIbN2at6native12_GLOBAL__N_19NonZeroOpIdEEPKdlEENS0_5tupleIJPlS6_EEENSN_IJSD_SD_EEES6_PiJS6_EEE10hipError_tPvRmT3_T4_T5_T6_T7_T9_mT8_P12ihipStream_tbDpT10_ENKUlT_T0_E_clISt17integral_constantIbLb0EES1B_EEDaS16_S17_EUlS16_E_NS1_11comp_targetILNS1_3genE3ELNS1_11target_archE908ELNS1_3gpuE7ELNS1_3repE0EEENS1_30default_config_static_selectorELNS0_4arch9wavefront6targetE0EEEvT1_, .Lfunc_end393-_ZN7rocprim17ROCPRIM_400000_NS6detail17trampoline_kernelINS0_14default_configENS1_25partition_config_selectorILNS1_17partition_subalgoE5ElNS0_10empty_typeEbEEZZNS1_14partition_implILS5_5ELb0ES3_mN6hipcub16HIPCUB_304000_NS21CountingInputIteratorIllEEPS6_NSA_22TransformInputIteratorIbN2at6native12_GLOBAL__N_19NonZeroOpIdEEPKdlEENS0_5tupleIJPlS6_EEENSN_IJSD_SD_EEES6_PiJS6_EEE10hipError_tPvRmT3_T4_T5_T6_T7_T9_mT8_P12ihipStream_tbDpT10_ENKUlT_T0_E_clISt17integral_constantIbLb0EES1B_EEDaS16_S17_EUlS16_E_NS1_11comp_targetILNS1_3genE3ELNS1_11target_archE908ELNS1_3gpuE7ELNS1_3repE0EEENS1_30default_config_static_selectorELNS0_4arch9wavefront6targetE0EEEvT1_
                                        ; -- End function
	.section	.AMDGPU.csdata,"",@progbits
; Kernel info:
; codeLenInByte = 0
; NumSgprs: 0
; NumVgprs: 0
; ScratchSize: 0
; MemoryBound: 0
; FloatMode: 240
; IeeeMode: 1
; LDSByteSize: 0 bytes/workgroup (compile time only)
; SGPRBlocks: 0
; VGPRBlocks: 0
; NumSGPRsForWavesPerEU: 1
; NumVGPRsForWavesPerEU: 1
; Occupancy: 16
; WaveLimiterHint : 0
; COMPUTE_PGM_RSRC2:SCRATCH_EN: 0
; COMPUTE_PGM_RSRC2:USER_SGPR: 15
; COMPUTE_PGM_RSRC2:TRAP_HANDLER: 0
; COMPUTE_PGM_RSRC2:TGID_X_EN: 1
; COMPUTE_PGM_RSRC2:TGID_Y_EN: 0
; COMPUTE_PGM_RSRC2:TGID_Z_EN: 0
; COMPUTE_PGM_RSRC2:TIDIG_COMP_CNT: 0
	.section	.text._ZN7rocprim17ROCPRIM_400000_NS6detail17trampoline_kernelINS0_14default_configENS1_25partition_config_selectorILNS1_17partition_subalgoE5ElNS0_10empty_typeEbEEZZNS1_14partition_implILS5_5ELb0ES3_mN6hipcub16HIPCUB_304000_NS21CountingInputIteratorIllEEPS6_NSA_22TransformInputIteratorIbN2at6native12_GLOBAL__N_19NonZeroOpIdEEPKdlEENS0_5tupleIJPlS6_EEENSN_IJSD_SD_EEES6_PiJS6_EEE10hipError_tPvRmT3_T4_T5_T6_T7_T9_mT8_P12ihipStream_tbDpT10_ENKUlT_T0_E_clISt17integral_constantIbLb0EES1B_EEDaS16_S17_EUlS16_E_NS1_11comp_targetILNS1_3genE2ELNS1_11target_archE906ELNS1_3gpuE6ELNS1_3repE0EEENS1_30default_config_static_selectorELNS0_4arch9wavefront6targetE0EEEvT1_,"axG",@progbits,_ZN7rocprim17ROCPRIM_400000_NS6detail17trampoline_kernelINS0_14default_configENS1_25partition_config_selectorILNS1_17partition_subalgoE5ElNS0_10empty_typeEbEEZZNS1_14partition_implILS5_5ELb0ES3_mN6hipcub16HIPCUB_304000_NS21CountingInputIteratorIllEEPS6_NSA_22TransformInputIteratorIbN2at6native12_GLOBAL__N_19NonZeroOpIdEEPKdlEENS0_5tupleIJPlS6_EEENSN_IJSD_SD_EEES6_PiJS6_EEE10hipError_tPvRmT3_T4_T5_T6_T7_T9_mT8_P12ihipStream_tbDpT10_ENKUlT_T0_E_clISt17integral_constantIbLb0EES1B_EEDaS16_S17_EUlS16_E_NS1_11comp_targetILNS1_3genE2ELNS1_11target_archE906ELNS1_3gpuE6ELNS1_3repE0EEENS1_30default_config_static_selectorELNS0_4arch9wavefront6targetE0EEEvT1_,comdat
	.globl	_ZN7rocprim17ROCPRIM_400000_NS6detail17trampoline_kernelINS0_14default_configENS1_25partition_config_selectorILNS1_17partition_subalgoE5ElNS0_10empty_typeEbEEZZNS1_14partition_implILS5_5ELb0ES3_mN6hipcub16HIPCUB_304000_NS21CountingInputIteratorIllEEPS6_NSA_22TransformInputIteratorIbN2at6native12_GLOBAL__N_19NonZeroOpIdEEPKdlEENS0_5tupleIJPlS6_EEENSN_IJSD_SD_EEES6_PiJS6_EEE10hipError_tPvRmT3_T4_T5_T6_T7_T9_mT8_P12ihipStream_tbDpT10_ENKUlT_T0_E_clISt17integral_constantIbLb0EES1B_EEDaS16_S17_EUlS16_E_NS1_11comp_targetILNS1_3genE2ELNS1_11target_archE906ELNS1_3gpuE6ELNS1_3repE0EEENS1_30default_config_static_selectorELNS0_4arch9wavefront6targetE0EEEvT1_ ; -- Begin function _ZN7rocprim17ROCPRIM_400000_NS6detail17trampoline_kernelINS0_14default_configENS1_25partition_config_selectorILNS1_17partition_subalgoE5ElNS0_10empty_typeEbEEZZNS1_14partition_implILS5_5ELb0ES3_mN6hipcub16HIPCUB_304000_NS21CountingInputIteratorIllEEPS6_NSA_22TransformInputIteratorIbN2at6native12_GLOBAL__N_19NonZeroOpIdEEPKdlEENS0_5tupleIJPlS6_EEENSN_IJSD_SD_EEES6_PiJS6_EEE10hipError_tPvRmT3_T4_T5_T6_T7_T9_mT8_P12ihipStream_tbDpT10_ENKUlT_T0_E_clISt17integral_constantIbLb0EES1B_EEDaS16_S17_EUlS16_E_NS1_11comp_targetILNS1_3genE2ELNS1_11target_archE906ELNS1_3gpuE6ELNS1_3repE0EEENS1_30default_config_static_selectorELNS0_4arch9wavefront6targetE0EEEvT1_
	.p2align	8
	.type	_ZN7rocprim17ROCPRIM_400000_NS6detail17trampoline_kernelINS0_14default_configENS1_25partition_config_selectorILNS1_17partition_subalgoE5ElNS0_10empty_typeEbEEZZNS1_14partition_implILS5_5ELb0ES3_mN6hipcub16HIPCUB_304000_NS21CountingInputIteratorIllEEPS6_NSA_22TransformInputIteratorIbN2at6native12_GLOBAL__N_19NonZeroOpIdEEPKdlEENS0_5tupleIJPlS6_EEENSN_IJSD_SD_EEES6_PiJS6_EEE10hipError_tPvRmT3_T4_T5_T6_T7_T9_mT8_P12ihipStream_tbDpT10_ENKUlT_T0_E_clISt17integral_constantIbLb0EES1B_EEDaS16_S17_EUlS16_E_NS1_11comp_targetILNS1_3genE2ELNS1_11target_archE906ELNS1_3gpuE6ELNS1_3repE0EEENS1_30default_config_static_selectorELNS0_4arch9wavefront6targetE0EEEvT1_,@function
_ZN7rocprim17ROCPRIM_400000_NS6detail17trampoline_kernelINS0_14default_configENS1_25partition_config_selectorILNS1_17partition_subalgoE5ElNS0_10empty_typeEbEEZZNS1_14partition_implILS5_5ELb0ES3_mN6hipcub16HIPCUB_304000_NS21CountingInputIteratorIllEEPS6_NSA_22TransformInputIteratorIbN2at6native12_GLOBAL__N_19NonZeroOpIdEEPKdlEENS0_5tupleIJPlS6_EEENSN_IJSD_SD_EEES6_PiJS6_EEE10hipError_tPvRmT3_T4_T5_T6_T7_T9_mT8_P12ihipStream_tbDpT10_ENKUlT_T0_E_clISt17integral_constantIbLb0EES1B_EEDaS16_S17_EUlS16_E_NS1_11comp_targetILNS1_3genE2ELNS1_11target_archE906ELNS1_3gpuE6ELNS1_3repE0EEENS1_30default_config_static_selectorELNS0_4arch9wavefront6targetE0EEEvT1_: ; @_ZN7rocprim17ROCPRIM_400000_NS6detail17trampoline_kernelINS0_14default_configENS1_25partition_config_selectorILNS1_17partition_subalgoE5ElNS0_10empty_typeEbEEZZNS1_14partition_implILS5_5ELb0ES3_mN6hipcub16HIPCUB_304000_NS21CountingInputIteratorIllEEPS6_NSA_22TransformInputIteratorIbN2at6native12_GLOBAL__N_19NonZeroOpIdEEPKdlEENS0_5tupleIJPlS6_EEENSN_IJSD_SD_EEES6_PiJS6_EEE10hipError_tPvRmT3_T4_T5_T6_T7_T9_mT8_P12ihipStream_tbDpT10_ENKUlT_T0_E_clISt17integral_constantIbLb0EES1B_EEDaS16_S17_EUlS16_E_NS1_11comp_targetILNS1_3genE2ELNS1_11target_archE906ELNS1_3gpuE6ELNS1_3repE0EEENS1_30default_config_static_selectorELNS0_4arch9wavefront6targetE0EEEvT1_
; %bb.0:
	.section	.rodata,"a",@progbits
	.p2align	6, 0x0
	.amdhsa_kernel _ZN7rocprim17ROCPRIM_400000_NS6detail17trampoline_kernelINS0_14default_configENS1_25partition_config_selectorILNS1_17partition_subalgoE5ElNS0_10empty_typeEbEEZZNS1_14partition_implILS5_5ELb0ES3_mN6hipcub16HIPCUB_304000_NS21CountingInputIteratorIllEEPS6_NSA_22TransformInputIteratorIbN2at6native12_GLOBAL__N_19NonZeroOpIdEEPKdlEENS0_5tupleIJPlS6_EEENSN_IJSD_SD_EEES6_PiJS6_EEE10hipError_tPvRmT3_T4_T5_T6_T7_T9_mT8_P12ihipStream_tbDpT10_ENKUlT_T0_E_clISt17integral_constantIbLb0EES1B_EEDaS16_S17_EUlS16_E_NS1_11comp_targetILNS1_3genE2ELNS1_11target_archE906ELNS1_3gpuE6ELNS1_3repE0EEENS1_30default_config_static_selectorELNS0_4arch9wavefront6targetE0EEEvT1_
		.amdhsa_group_segment_fixed_size 0
		.amdhsa_private_segment_fixed_size 0
		.amdhsa_kernarg_size 120
		.amdhsa_user_sgpr_count 15
		.amdhsa_user_sgpr_dispatch_ptr 0
		.amdhsa_user_sgpr_queue_ptr 0
		.amdhsa_user_sgpr_kernarg_segment_ptr 1
		.amdhsa_user_sgpr_dispatch_id 0
		.amdhsa_user_sgpr_private_segment_size 0
		.amdhsa_wavefront_size32 1
		.amdhsa_uses_dynamic_stack 0
		.amdhsa_enable_private_segment 0
		.amdhsa_system_sgpr_workgroup_id_x 1
		.amdhsa_system_sgpr_workgroup_id_y 0
		.amdhsa_system_sgpr_workgroup_id_z 0
		.amdhsa_system_sgpr_workgroup_info 0
		.amdhsa_system_vgpr_workitem_id 0
		.amdhsa_next_free_vgpr 1
		.amdhsa_next_free_sgpr 1
		.amdhsa_reserve_vcc 0
		.amdhsa_float_round_mode_32 0
		.amdhsa_float_round_mode_16_64 0
		.amdhsa_float_denorm_mode_32 3
		.amdhsa_float_denorm_mode_16_64 3
		.amdhsa_dx10_clamp 1
		.amdhsa_ieee_mode 1
		.amdhsa_fp16_overflow 0
		.amdhsa_workgroup_processor_mode 1
		.amdhsa_memory_ordered 1
		.amdhsa_forward_progress 0
		.amdhsa_shared_vgpr_count 0
		.amdhsa_exception_fp_ieee_invalid_op 0
		.amdhsa_exception_fp_denorm_src 0
		.amdhsa_exception_fp_ieee_div_zero 0
		.amdhsa_exception_fp_ieee_overflow 0
		.amdhsa_exception_fp_ieee_underflow 0
		.amdhsa_exception_fp_ieee_inexact 0
		.amdhsa_exception_int_div_zero 0
	.end_amdhsa_kernel
	.section	.text._ZN7rocprim17ROCPRIM_400000_NS6detail17trampoline_kernelINS0_14default_configENS1_25partition_config_selectorILNS1_17partition_subalgoE5ElNS0_10empty_typeEbEEZZNS1_14partition_implILS5_5ELb0ES3_mN6hipcub16HIPCUB_304000_NS21CountingInputIteratorIllEEPS6_NSA_22TransformInputIteratorIbN2at6native12_GLOBAL__N_19NonZeroOpIdEEPKdlEENS0_5tupleIJPlS6_EEENSN_IJSD_SD_EEES6_PiJS6_EEE10hipError_tPvRmT3_T4_T5_T6_T7_T9_mT8_P12ihipStream_tbDpT10_ENKUlT_T0_E_clISt17integral_constantIbLb0EES1B_EEDaS16_S17_EUlS16_E_NS1_11comp_targetILNS1_3genE2ELNS1_11target_archE906ELNS1_3gpuE6ELNS1_3repE0EEENS1_30default_config_static_selectorELNS0_4arch9wavefront6targetE0EEEvT1_,"axG",@progbits,_ZN7rocprim17ROCPRIM_400000_NS6detail17trampoline_kernelINS0_14default_configENS1_25partition_config_selectorILNS1_17partition_subalgoE5ElNS0_10empty_typeEbEEZZNS1_14partition_implILS5_5ELb0ES3_mN6hipcub16HIPCUB_304000_NS21CountingInputIteratorIllEEPS6_NSA_22TransformInputIteratorIbN2at6native12_GLOBAL__N_19NonZeroOpIdEEPKdlEENS0_5tupleIJPlS6_EEENSN_IJSD_SD_EEES6_PiJS6_EEE10hipError_tPvRmT3_T4_T5_T6_T7_T9_mT8_P12ihipStream_tbDpT10_ENKUlT_T0_E_clISt17integral_constantIbLb0EES1B_EEDaS16_S17_EUlS16_E_NS1_11comp_targetILNS1_3genE2ELNS1_11target_archE906ELNS1_3gpuE6ELNS1_3repE0EEENS1_30default_config_static_selectorELNS0_4arch9wavefront6targetE0EEEvT1_,comdat
.Lfunc_end394:
	.size	_ZN7rocprim17ROCPRIM_400000_NS6detail17trampoline_kernelINS0_14default_configENS1_25partition_config_selectorILNS1_17partition_subalgoE5ElNS0_10empty_typeEbEEZZNS1_14partition_implILS5_5ELb0ES3_mN6hipcub16HIPCUB_304000_NS21CountingInputIteratorIllEEPS6_NSA_22TransformInputIteratorIbN2at6native12_GLOBAL__N_19NonZeroOpIdEEPKdlEENS0_5tupleIJPlS6_EEENSN_IJSD_SD_EEES6_PiJS6_EEE10hipError_tPvRmT3_T4_T5_T6_T7_T9_mT8_P12ihipStream_tbDpT10_ENKUlT_T0_E_clISt17integral_constantIbLb0EES1B_EEDaS16_S17_EUlS16_E_NS1_11comp_targetILNS1_3genE2ELNS1_11target_archE906ELNS1_3gpuE6ELNS1_3repE0EEENS1_30default_config_static_selectorELNS0_4arch9wavefront6targetE0EEEvT1_, .Lfunc_end394-_ZN7rocprim17ROCPRIM_400000_NS6detail17trampoline_kernelINS0_14default_configENS1_25partition_config_selectorILNS1_17partition_subalgoE5ElNS0_10empty_typeEbEEZZNS1_14partition_implILS5_5ELb0ES3_mN6hipcub16HIPCUB_304000_NS21CountingInputIteratorIllEEPS6_NSA_22TransformInputIteratorIbN2at6native12_GLOBAL__N_19NonZeroOpIdEEPKdlEENS0_5tupleIJPlS6_EEENSN_IJSD_SD_EEES6_PiJS6_EEE10hipError_tPvRmT3_T4_T5_T6_T7_T9_mT8_P12ihipStream_tbDpT10_ENKUlT_T0_E_clISt17integral_constantIbLb0EES1B_EEDaS16_S17_EUlS16_E_NS1_11comp_targetILNS1_3genE2ELNS1_11target_archE906ELNS1_3gpuE6ELNS1_3repE0EEENS1_30default_config_static_selectorELNS0_4arch9wavefront6targetE0EEEvT1_
                                        ; -- End function
	.section	.AMDGPU.csdata,"",@progbits
; Kernel info:
; codeLenInByte = 0
; NumSgprs: 0
; NumVgprs: 0
; ScratchSize: 0
; MemoryBound: 0
; FloatMode: 240
; IeeeMode: 1
; LDSByteSize: 0 bytes/workgroup (compile time only)
; SGPRBlocks: 0
; VGPRBlocks: 0
; NumSGPRsForWavesPerEU: 1
; NumVGPRsForWavesPerEU: 1
; Occupancy: 16
; WaveLimiterHint : 0
; COMPUTE_PGM_RSRC2:SCRATCH_EN: 0
; COMPUTE_PGM_RSRC2:USER_SGPR: 15
; COMPUTE_PGM_RSRC2:TRAP_HANDLER: 0
; COMPUTE_PGM_RSRC2:TGID_X_EN: 1
; COMPUTE_PGM_RSRC2:TGID_Y_EN: 0
; COMPUTE_PGM_RSRC2:TGID_Z_EN: 0
; COMPUTE_PGM_RSRC2:TIDIG_COMP_CNT: 0
	.section	.text._ZN7rocprim17ROCPRIM_400000_NS6detail17trampoline_kernelINS0_14default_configENS1_25partition_config_selectorILNS1_17partition_subalgoE5ElNS0_10empty_typeEbEEZZNS1_14partition_implILS5_5ELb0ES3_mN6hipcub16HIPCUB_304000_NS21CountingInputIteratorIllEEPS6_NSA_22TransformInputIteratorIbN2at6native12_GLOBAL__N_19NonZeroOpIdEEPKdlEENS0_5tupleIJPlS6_EEENSN_IJSD_SD_EEES6_PiJS6_EEE10hipError_tPvRmT3_T4_T5_T6_T7_T9_mT8_P12ihipStream_tbDpT10_ENKUlT_T0_E_clISt17integral_constantIbLb0EES1B_EEDaS16_S17_EUlS16_E_NS1_11comp_targetILNS1_3genE10ELNS1_11target_archE1200ELNS1_3gpuE4ELNS1_3repE0EEENS1_30default_config_static_selectorELNS0_4arch9wavefront6targetE0EEEvT1_,"axG",@progbits,_ZN7rocprim17ROCPRIM_400000_NS6detail17trampoline_kernelINS0_14default_configENS1_25partition_config_selectorILNS1_17partition_subalgoE5ElNS0_10empty_typeEbEEZZNS1_14partition_implILS5_5ELb0ES3_mN6hipcub16HIPCUB_304000_NS21CountingInputIteratorIllEEPS6_NSA_22TransformInputIteratorIbN2at6native12_GLOBAL__N_19NonZeroOpIdEEPKdlEENS0_5tupleIJPlS6_EEENSN_IJSD_SD_EEES6_PiJS6_EEE10hipError_tPvRmT3_T4_T5_T6_T7_T9_mT8_P12ihipStream_tbDpT10_ENKUlT_T0_E_clISt17integral_constantIbLb0EES1B_EEDaS16_S17_EUlS16_E_NS1_11comp_targetILNS1_3genE10ELNS1_11target_archE1200ELNS1_3gpuE4ELNS1_3repE0EEENS1_30default_config_static_selectorELNS0_4arch9wavefront6targetE0EEEvT1_,comdat
	.globl	_ZN7rocprim17ROCPRIM_400000_NS6detail17trampoline_kernelINS0_14default_configENS1_25partition_config_selectorILNS1_17partition_subalgoE5ElNS0_10empty_typeEbEEZZNS1_14partition_implILS5_5ELb0ES3_mN6hipcub16HIPCUB_304000_NS21CountingInputIteratorIllEEPS6_NSA_22TransformInputIteratorIbN2at6native12_GLOBAL__N_19NonZeroOpIdEEPKdlEENS0_5tupleIJPlS6_EEENSN_IJSD_SD_EEES6_PiJS6_EEE10hipError_tPvRmT3_T4_T5_T6_T7_T9_mT8_P12ihipStream_tbDpT10_ENKUlT_T0_E_clISt17integral_constantIbLb0EES1B_EEDaS16_S17_EUlS16_E_NS1_11comp_targetILNS1_3genE10ELNS1_11target_archE1200ELNS1_3gpuE4ELNS1_3repE0EEENS1_30default_config_static_selectorELNS0_4arch9wavefront6targetE0EEEvT1_ ; -- Begin function _ZN7rocprim17ROCPRIM_400000_NS6detail17trampoline_kernelINS0_14default_configENS1_25partition_config_selectorILNS1_17partition_subalgoE5ElNS0_10empty_typeEbEEZZNS1_14partition_implILS5_5ELb0ES3_mN6hipcub16HIPCUB_304000_NS21CountingInputIteratorIllEEPS6_NSA_22TransformInputIteratorIbN2at6native12_GLOBAL__N_19NonZeroOpIdEEPKdlEENS0_5tupleIJPlS6_EEENSN_IJSD_SD_EEES6_PiJS6_EEE10hipError_tPvRmT3_T4_T5_T6_T7_T9_mT8_P12ihipStream_tbDpT10_ENKUlT_T0_E_clISt17integral_constantIbLb0EES1B_EEDaS16_S17_EUlS16_E_NS1_11comp_targetILNS1_3genE10ELNS1_11target_archE1200ELNS1_3gpuE4ELNS1_3repE0EEENS1_30default_config_static_selectorELNS0_4arch9wavefront6targetE0EEEvT1_
	.p2align	8
	.type	_ZN7rocprim17ROCPRIM_400000_NS6detail17trampoline_kernelINS0_14default_configENS1_25partition_config_selectorILNS1_17partition_subalgoE5ElNS0_10empty_typeEbEEZZNS1_14partition_implILS5_5ELb0ES3_mN6hipcub16HIPCUB_304000_NS21CountingInputIteratorIllEEPS6_NSA_22TransformInputIteratorIbN2at6native12_GLOBAL__N_19NonZeroOpIdEEPKdlEENS0_5tupleIJPlS6_EEENSN_IJSD_SD_EEES6_PiJS6_EEE10hipError_tPvRmT3_T4_T5_T6_T7_T9_mT8_P12ihipStream_tbDpT10_ENKUlT_T0_E_clISt17integral_constantIbLb0EES1B_EEDaS16_S17_EUlS16_E_NS1_11comp_targetILNS1_3genE10ELNS1_11target_archE1200ELNS1_3gpuE4ELNS1_3repE0EEENS1_30default_config_static_selectorELNS0_4arch9wavefront6targetE0EEEvT1_,@function
_ZN7rocprim17ROCPRIM_400000_NS6detail17trampoline_kernelINS0_14default_configENS1_25partition_config_selectorILNS1_17partition_subalgoE5ElNS0_10empty_typeEbEEZZNS1_14partition_implILS5_5ELb0ES3_mN6hipcub16HIPCUB_304000_NS21CountingInputIteratorIllEEPS6_NSA_22TransformInputIteratorIbN2at6native12_GLOBAL__N_19NonZeroOpIdEEPKdlEENS0_5tupleIJPlS6_EEENSN_IJSD_SD_EEES6_PiJS6_EEE10hipError_tPvRmT3_T4_T5_T6_T7_T9_mT8_P12ihipStream_tbDpT10_ENKUlT_T0_E_clISt17integral_constantIbLb0EES1B_EEDaS16_S17_EUlS16_E_NS1_11comp_targetILNS1_3genE10ELNS1_11target_archE1200ELNS1_3gpuE4ELNS1_3repE0EEENS1_30default_config_static_selectorELNS0_4arch9wavefront6targetE0EEEvT1_: ; @_ZN7rocprim17ROCPRIM_400000_NS6detail17trampoline_kernelINS0_14default_configENS1_25partition_config_selectorILNS1_17partition_subalgoE5ElNS0_10empty_typeEbEEZZNS1_14partition_implILS5_5ELb0ES3_mN6hipcub16HIPCUB_304000_NS21CountingInputIteratorIllEEPS6_NSA_22TransformInputIteratorIbN2at6native12_GLOBAL__N_19NonZeroOpIdEEPKdlEENS0_5tupleIJPlS6_EEENSN_IJSD_SD_EEES6_PiJS6_EEE10hipError_tPvRmT3_T4_T5_T6_T7_T9_mT8_P12ihipStream_tbDpT10_ENKUlT_T0_E_clISt17integral_constantIbLb0EES1B_EEDaS16_S17_EUlS16_E_NS1_11comp_targetILNS1_3genE10ELNS1_11target_archE1200ELNS1_3gpuE4ELNS1_3repE0EEENS1_30default_config_static_selectorELNS0_4arch9wavefront6targetE0EEEvT1_
; %bb.0:
	.section	.rodata,"a",@progbits
	.p2align	6, 0x0
	.amdhsa_kernel _ZN7rocprim17ROCPRIM_400000_NS6detail17trampoline_kernelINS0_14default_configENS1_25partition_config_selectorILNS1_17partition_subalgoE5ElNS0_10empty_typeEbEEZZNS1_14partition_implILS5_5ELb0ES3_mN6hipcub16HIPCUB_304000_NS21CountingInputIteratorIllEEPS6_NSA_22TransformInputIteratorIbN2at6native12_GLOBAL__N_19NonZeroOpIdEEPKdlEENS0_5tupleIJPlS6_EEENSN_IJSD_SD_EEES6_PiJS6_EEE10hipError_tPvRmT3_T4_T5_T6_T7_T9_mT8_P12ihipStream_tbDpT10_ENKUlT_T0_E_clISt17integral_constantIbLb0EES1B_EEDaS16_S17_EUlS16_E_NS1_11comp_targetILNS1_3genE10ELNS1_11target_archE1200ELNS1_3gpuE4ELNS1_3repE0EEENS1_30default_config_static_selectorELNS0_4arch9wavefront6targetE0EEEvT1_
		.amdhsa_group_segment_fixed_size 0
		.amdhsa_private_segment_fixed_size 0
		.amdhsa_kernarg_size 120
		.amdhsa_user_sgpr_count 15
		.amdhsa_user_sgpr_dispatch_ptr 0
		.amdhsa_user_sgpr_queue_ptr 0
		.amdhsa_user_sgpr_kernarg_segment_ptr 1
		.amdhsa_user_sgpr_dispatch_id 0
		.amdhsa_user_sgpr_private_segment_size 0
		.amdhsa_wavefront_size32 1
		.amdhsa_uses_dynamic_stack 0
		.amdhsa_enable_private_segment 0
		.amdhsa_system_sgpr_workgroup_id_x 1
		.amdhsa_system_sgpr_workgroup_id_y 0
		.amdhsa_system_sgpr_workgroup_id_z 0
		.amdhsa_system_sgpr_workgroup_info 0
		.amdhsa_system_vgpr_workitem_id 0
		.amdhsa_next_free_vgpr 1
		.amdhsa_next_free_sgpr 1
		.amdhsa_reserve_vcc 0
		.amdhsa_float_round_mode_32 0
		.amdhsa_float_round_mode_16_64 0
		.amdhsa_float_denorm_mode_32 3
		.amdhsa_float_denorm_mode_16_64 3
		.amdhsa_dx10_clamp 1
		.amdhsa_ieee_mode 1
		.amdhsa_fp16_overflow 0
		.amdhsa_workgroup_processor_mode 1
		.amdhsa_memory_ordered 1
		.amdhsa_forward_progress 0
		.amdhsa_shared_vgpr_count 0
		.amdhsa_exception_fp_ieee_invalid_op 0
		.amdhsa_exception_fp_denorm_src 0
		.amdhsa_exception_fp_ieee_div_zero 0
		.amdhsa_exception_fp_ieee_overflow 0
		.amdhsa_exception_fp_ieee_underflow 0
		.amdhsa_exception_fp_ieee_inexact 0
		.amdhsa_exception_int_div_zero 0
	.end_amdhsa_kernel
	.section	.text._ZN7rocprim17ROCPRIM_400000_NS6detail17trampoline_kernelINS0_14default_configENS1_25partition_config_selectorILNS1_17partition_subalgoE5ElNS0_10empty_typeEbEEZZNS1_14partition_implILS5_5ELb0ES3_mN6hipcub16HIPCUB_304000_NS21CountingInputIteratorIllEEPS6_NSA_22TransformInputIteratorIbN2at6native12_GLOBAL__N_19NonZeroOpIdEEPKdlEENS0_5tupleIJPlS6_EEENSN_IJSD_SD_EEES6_PiJS6_EEE10hipError_tPvRmT3_T4_T5_T6_T7_T9_mT8_P12ihipStream_tbDpT10_ENKUlT_T0_E_clISt17integral_constantIbLb0EES1B_EEDaS16_S17_EUlS16_E_NS1_11comp_targetILNS1_3genE10ELNS1_11target_archE1200ELNS1_3gpuE4ELNS1_3repE0EEENS1_30default_config_static_selectorELNS0_4arch9wavefront6targetE0EEEvT1_,"axG",@progbits,_ZN7rocprim17ROCPRIM_400000_NS6detail17trampoline_kernelINS0_14default_configENS1_25partition_config_selectorILNS1_17partition_subalgoE5ElNS0_10empty_typeEbEEZZNS1_14partition_implILS5_5ELb0ES3_mN6hipcub16HIPCUB_304000_NS21CountingInputIteratorIllEEPS6_NSA_22TransformInputIteratorIbN2at6native12_GLOBAL__N_19NonZeroOpIdEEPKdlEENS0_5tupleIJPlS6_EEENSN_IJSD_SD_EEES6_PiJS6_EEE10hipError_tPvRmT3_T4_T5_T6_T7_T9_mT8_P12ihipStream_tbDpT10_ENKUlT_T0_E_clISt17integral_constantIbLb0EES1B_EEDaS16_S17_EUlS16_E_NS1_11comp_targetILNS1_3genE10ELNS1_11target_archE1200ELNS1_3gpuE4ELNS1_3repE0EEENS1_30default_config_static_selectorELNS0_4arch9wavefront6targetE0EEEvT1_,comdat
.Lfunc_end395:
	.size	_ZN7rocprim17ROCPRIM_400000_NS6detail17trampoline_kernelINS0_14default_configENS1_25partition_config_selectorILNS1_17partition_subalgoE5ElNS0_10empty_typeEbEEZZNS1_14partition_implILS5_5ELb0ES3_mN6hipcub16HIPCUB_304000_NS21CountingInputIteratorIllEEPS6_NSA_22TransformInputIteratorIbN2at6native12_GLOBAL__N_19NonZeroOpIdEEPKdlEENS0_5tupleIJPlS6_EEENSN_IJSD_SD_EEES6_PiJS6_EEE10hipError_tPvRmT3_T4_T5_T6_T7_T9_mT8_P12ihipStream_tbDpT10_ENKUlT_T0_E_clISt17integral_constantIbLb0EES1B_EEDaS16_S17_EUlS16_E_NS1_11comp_targetILNS1_3genE10ELNS1_11target_archE1200ELNS1_3gpuE4ELNS1_3repE0EEENS1_30default_config_static_selectorELNS0_4arch9wavefront6targetE0EEEvT1_, .Lfunc_end395-_ZN7rocprim17ROCPRIM_400000_NS6detail17trampoline_kernelINS0_14default_configENS1_25partition_config_selectorILNS1_17partition_subalgoE5ElNS0_10empty_typeEbEEZZNS1_14partition_implILS5_5ELb0ES3_mN6hipcub16HIPCUB_304000_NS21CountingInputIteratorIllEEPS6_NSA_22TransformInputIteratorIbN2at6native12_GLOBAL__N_19NonZeroOpIdEEPKdlEENS0_5tupleIJPlS6_EEENSN_IJSD_SD_EEES6_PiJS6_EEE10hipError_tPvRmT3_T4_T5_T6_T7_T9_mT8_P12ihipStream_tbDpT10_ENKUlT_T0_E_clISt17integral_constantIbLb0EES1B_EEDaS16_S17_EUlS16_E_NS1_11comp_targetILNS1_3genE10ELNS1_11target_archE1200ELNS1_3gpuE4ELNS1_3repE0EEENS1_30default_config_static_selectorELNS0_4arch9wavefront6targetE0EEEvT1_
                                        ; -- End function
	.section	.AMDGPU.csdata,"",@progbits
; Kernel info:
; codeLenInByte = 0
; NumSgprs: 0
; NumVgprs: 0
; ScratchSize: 0
; MemoryBound: 0
; FloatMode: 240
; IeeeMode: 1
; LDSByteSize: 0 bytes/workgroup (compile time only)
; SGPRBlocks: 0
; VGPRBlocks: 0
; NumSGPRsForWavesPerEU: 1
; NumVGPRsForWavesPerEU: 1
; Occupancy: 16
; WaveLimiterHint : 0
; COMPUTE_PGM_RSRC2:SCRATCH_EN: 0
; COMPUTE_PGM_RSRC2:USER_SGPR: 15
; COMPUTE_PGM_RSRC2:TRAP_HANDLER: 0
; COMPUTE_PGM_RSRC2:TGID_X_EN: 1
; COMPUTE_PGM_RSRC2:TGID_Y_EN: 0
; COMPUTE_PGM_RSRC2:TGID_Z_EN: 0
; COMPUTE_PGM_RSRC2:TIDIG_COMP_CNT: 0
	.section	.text._ZN7rocprim17ROCPRIM_400000_NS6detail17trampoline_kernelINS0_14default_configENS1_25partition_config_selectorILNS1_17partition_subalgoE5ElNS0_10empty_typeEbEEZZNS1_14partition_implILS5_5ELb0ES3_mN6hipcub16HIPCUB_304000_NS21CountingInputIteratorIllEEPS6_NSA_22TransformInputIteratorIbN2at6native12_GLOBAL__N_19NonZeroOpIdEEPKdlEENS0_5tupleIJPlS6_EEENSN_IJSD_SD_EEES6_PiJS6_EEE10hipError_tPvRmT3_T4_T5_T6_T7_T9_mT8_P12ihipStream_tbDpT10_ENKUlT_T0_E_clISt17integral_constantIbLb0EES1B_EEDaS16_S17_EUlS16_E_NS1_11comp_targetILNS1_3genE9ELNS1_11target_archE1100ELNS1_3gpuE3ELNS1_3repE0EEENS1_30default_config_static_selectorELNS0_4arch9wavefront6targetE0EEEvT1_,"axG",@progbits,_ZN7rocprim17ROCPRIM_400000_NS6detail17trampoline_kernelINS0_14default_configENS1_25partition_config_selectorILNS1_17partition_subalgoE5ElNS0_10empty_typeEbEEZZNS1_14partition_implILS5_5ELb0ES3_mN6hipcub16HIPCUB_304000_NS21CountingInputIteratorIllEEPS6_NSA_22TransformInputIteratorIbN2at6native12_GLOBAL__N_19NonZeroOpIdEEPKdlEENS0_5tupleIJPlS6_EEENSN_IJSD_SD_EEES6_PiJS6_EEE10hipError_tPvRmT3_T4_T5_T6_T7_T9_mT8_P12ihipStream_tbDpT10_ENKUlT_T0_E_clISt17integral_constantIbLb0EES1B_EEDaS16_S17_EUlS16_E_NS1_11comp_targetILNS1_3genE9ELNS1_11target_archE1100ELNS1_3gpuE3ELNS1_3repE0EEENS1_30default_config_static_selectorELNS0_4arch9wavefront6targetE0EEEvT1_,comdat
	.globl	_ZN7rocprim17ROCPRIM_400000_NS6detail17trampoline_kernelINS0_14default_configENS1_25partition_config_selectorILNS1_17partition_subalgoE5ElNS0_10empty_typeEbEEZZNS1_14partition_implILS5_5ELb0ES3_mN6hipcub16HIPCUB_304000_NS21CountingInputIteratorIllEEPS6_NSA_22TransformInputIteratorIbN2at6native12_GLOBAL__N_19NonZeroOpIdEEPKdlEENS0_5tupleIJPlS6_EEENSN_IJSD_SD_EEES6_PiJS6_EEE10hipError_tPvRmT3_T4_T5_T6_T7_T9_mT8_P12ihipStream_tbDpT10_ENKUlT_T0_E_clISt17integral_constantIbLb0EES1B_EEDaS16_S17_EUlS16_E_NS1_11comp_targetILNS1_3genE9ELNS1_11target_archE1100ELNS1_3gpuE3ELNS1_3repE0EEENS1_30default_config_static_selectorELNS0_4arch9wavefront6targetE0EEEvT1_ ; -- Begin function _ZN7rocprim17ROCPRIM_400000_NS6detail17trampoline_kernelINS0_14default_configENS1_25partition_config_selectorILNS1_17partition_subalgoE5ElNS0_10empty_typeEbEEZZNS1_14partition_implILS5_5ELb0ES3_mN6hipcub16HIPCUB_304000_NS21CountingInputIteratorIllEEPS6_NSA_22TransformInputIteratorIbN2at6native12_GLOBAL__N_19NonZeroOpIdEEPKdlEENS0_5tupleIJPlS6_EEENSN_IJSD_SD_EEES6_PiJS6_EEE10hipError_tPvRmT3_T4_T5_T6_T7_T9_mT8_P12ihipStream_tbDpT10_ENKUlT_T0_E_clISt17integral_constantIbLb0EES1B_EEDaS16_S17_EUlS16_E_NS1_11comp_targetILNS1_3genE9ELNS1_11target_archE1100ELNS1_3gpuE3ELNS1_3repE0EEENS1_30default_config_static_selectorELNS0_4arch9wavefront6targetE0EEEvT1_
	.p2align	8
	.type	_ZN7rocprim17ROCPRIM_400000_NS6detail17trampoline_kernelINS0_14default_configENS1_25partition_config_selectorILNS1_17partition_subalgoE5ElNS0_10empty_typeEbEEZZNS1_14partition_implILS5_5ELb0ES3_mN6hipcub16HIPCUB_304000_NS21CountingInputIteratorIllEEPS6_NSA_22TransformInputIteratorIbN2at6native12_GLOBAL__N_19NonZeroOpIdEEPKdlEENS0_5tupleIJPlS6_EEENSN_IJSD_SD_EEES6_PiJS6_EEE10hipError_tPvRmT3_T4_T5_T6_T7_T9_mT8_P12ihipStream_tbDpT10_ENKUlT_T0_E_clISt17integral_constantIbLb0EES1B_EEDaS16_S17_EUlS16_E_NS1_11comp_targetILNS1_3genE9ELNS1_11target_archE1100ELNS1_3gpuE3ELNS1_3repE0EEENS1_30default_config_static_selectorELNS0_4arch9wavefront6targetE0EEEvT1_,@function
_ZN7rocprim17ROCPRIM_400000_NS6detail17trampoline_kernelINS0_14default_configENS1_25partition_config_selectorILNS1_17partition_subalgoE5ElNS0_10empty_typeEbEEZZNS1_14partition_implILS5_5ELb0ES3_mN6hipcub16HIPCUB_304000_NS21CountingInputIteratorIllEEPS6_NSA_22TransformInputIteratorIbN2at6native12_GLOBAL__N_19NonZeroOpIdEEPKdlEENS0_5tupleIJPlS6_EEENSN_IJSD_SD_EEES6_PiJS6_EEE10hipError_tPvRmT3_T4_T5_T6_T7_T9_mT8_P12ihipStream_tbDpT10_ENKUlT_T0_E_clISt17integral_constantIbLb0EES1B_EEDaS16_S17_EUlS16_E_NS1_11comp_targetILNS1_3genE9ELNS1_11target_archE1100ELNS1_3gpuE3ELNS1_3repE0EEENS1_30default_config_static_selectorELNS0_4arch9wavefront6targetE0EEEvT1_: ; @_ZN7rocprim17ROCPRIM_400000_NS6detail17trampoline_kernelINS0_14default_configENS1_25partition_config_selectorILNS1_17partition_subalgoE5ElNS0_10empty_typeEbEEZZNS1_14partition_implILS5_5ELb0ES3_mN6hipcub16HIPCUB_304000_NS21CountingInputIteratorIllEEPS6_NSA_22TransformInputIteratorIbN2at6native12_GLOBAL__N_19NonZeroOpIdEEPKdlEENS0_5tupleIJPlS6_EEENSN_IJSD_SD_EEES6_PiJS6_EEE10hipError_tPvRmT3_T4_T5_T6_T7_T9_mT8_P12ihipStream_tbDpT10_ENKUlT_T0_E_clISt17integral_constantIbLb0EES1B_EEDaS16_S17_EUlS16_E_NS1_11comp_targetILNS1_3genE9ELNS1_11target_archE1100ELNS1_3gpuE3ELNS1_3repE0EEENS1_30default_config_static_selectorELNS0_4arch9wavefront6targetE0EEEvT1_
; %bb.0:
	s_clause 0x4
	s_load_b128 s[8:11], s[0:1], 0x8
	s_load_b128 s[4:7], s[0:1], 0x48
	s_load_b32 s14, s[0:1], 0x70
	s_load_b64 s[2:3], s[0:1], 0x58
	s_load_b64 s[12:13], s[0:1], 0x20
	s_waitcnt lgkmcnt(0)
	s_add_u32 s18, s10, s8
	s_load_b64 s[6:7], s[6:7], 0x0
	s_mul_i32 s17, s14, 0x300
	s_addc_u32 s19, s11, s9
	s_add_i32 s14, s14, -1
	s_add_u32 s8, s10, s17
	s_addc_u32 s9, s11, 0
	s_cmp_eq_u32 s15, s14
	v_cmp_ge_u64_e64 s3, s[8:9], s[2:3]
	s_cselect_b32 s14, -1, 0
	s_mul_i32 s8, s15, 0x300
	s_mov_b32 s9, 0
	s_delay_alu instid0(VALU_DEP_1) | instskip(NEXT) | instid1(SALU_CYCLE_1)
	s_and_b32 s3, s14, s3
	s_xor_b32 s16, s3, -1
	s_mov_b32 s3, -1
	s_and_b32 vcc_lo, exec_lo, s16
	s_cbranch_vccz .LBB396_2
; %bb.1:
	s_add_u32 s3, s18, s8
	s_addc_u32 s20, s19, 0
	v_add_co_u32 v1, s3, s3, v0
	s_delay_alu instid0(VALU_DEP_1) | instskip(SKIP_1) | instid1(VALU_DEP_3)
	v_add_co_ci_u32_e64 v2, null, s20, 0, s3
	v_lshlrev_b32_e32 v13, 3, v0
	v_add_co_u32 v3, vcc_lo, 0x80, v1
	s_delay_alu instid0(VALU_DEP_3)
	v_add_co_ci_u32_e32 v4, vcc_lo, 0, v2, vcc_lo
	v_add_co_u32 v5, vcc_lo, 0x100, v1
	v_add_co_ci_u32_e32 v6, vcc_lo, 0, v2, vcc_lo
	v_add_co_u32 v7, vcc_lo, 0x180, v1
	;; [unrolled: 2-line block ×4, first 2 shown]
	v_add_co_ci_u32_e32 v12, vcc_lo, 0, v2, vcc_lo
	ds_store_2addr_stride64_b64 v13, v[1:2], v[3:4] offset1:2
	ds_store_2addr_stride64_b64 v13, v[5:6], v[7:8] offset0:4 offset1:6
	ds_store_2addr_stride64_b64 v13, v[9:10], v[11:12] offset0:8 offset1:10
	s_waitcnt lgkmcnt(0)
	s_mov_b32 s3, s9
	s_barrier
.LBB396_2:
	v_or_b32_e32 v17, 0x100, v0
	v_or_b32_e32 v16, 0x180, v0
	;; [unrolled: 1-line block ×4, first 2 shown]
	s_and_not1_b32 vcc_lo, exec_lo, s3
	s_cbranch_vccnz .LBB396_4
; %bb.3:
	v_or_b32_e32 v3, 0x80, v0
	s_add_u32 s3, s18, s8
	s_addc_u32 s18, s19, 0
	v_add_co_u32 v1, s19, s3, v0
	s_delay_alu instid0(VALU_DEP_1) | instskip(SKIP_1) | instid1(VALU_DEP_1)
	v_add_co_ci_u32_e64 v2, null, s18, 0, s19
	v_add_co_u32 v3, s19, s3, v3
	v_add_co_ci_u32_e64 v4, null, s18, 0, s19
	v_add_co_u32 v5, s19, s3, v17
	s_delay_alu instid0(VALU_DEP_1) | instskip(SKIP_1) | instid1(VALU_DEP_1)
	v_add_co_ci_u32_e64 v6, null, s18, 0, s19
	v_add_co_u32 v7, s19, s3, v16
	v_add_co_ci_u32_e64 v8, null, s18, 0, s19
	v_add_co_u32 v9, s19, s3, v14
	v_lshlrev_b32_e32 v15, 3, v0
	v_add_co_u32 v11, s3, s3, v13
	v_add_co_ci_u32_e64 v10, null, s18, 0, s19
	v_add_co_ci_u32_e64 v12, null, s18, 0, s3
	ds_store_2addr_stride64_b64 v15, v[1:2], v[3:4] offset1:2
	ds_store_2addr_stride64_b64 v15, v[5:6], v[7:8] offset0:4 offset1:6
	ds_store_2addr_stride64_b64 v15, v[9:10], v[11:12] offset0:8 offset1:10
	s_waitcnt lgkmcnt(0)
	s_barrier
.LBB396_4:
	v_mul_u32_u24_e32 v1, 6, v0
	s_waitcnt lgkmcnt(0)
	buffer_gl0_inv
	s_lshl_b64 s[18:19], s[10:11], 3
	s_delay_alu instid0(SALU_CYCLE_1)
	s_add_u32 s3, s12, s18
	v_lshlrev_b32_e32 v15, 3, v1
	s_addc_u32 s11, s13, s19
	s_lshl_b64 s[8:9], s[8:9], 3
	ds_load_b128 v[9:12], v15
	ds_load_b128 v[5:8], v15 offset:16
	ds_load_b128 v[1:4], v15 offset:32
	s_add_u32 s12, s3, s8
	s_addc_u32 s13, s11, s9
	s_and_b32 vcc_lo, exec_lo, s16
	s_mov_b32 s3, -1
	s_waitcnt lgkmcnt(0)
	s_barrier
	buffer_gl0_inv
	s_cbranch_vccz .LBB396_6
; %bb.5:
	v_lshlrev_b32_e32 v26, 3, v0
	s_clause 0x1
	global_load_b64 v[18:19], v26, s[12:13]
	global_load_b64 v[20:21], v26, s[12:13] offset:1024
	v_add_co_u32 v22, s3, s12, v26
	s_delay_alu instid0(VALU_DEP_1) | instskip(SKIP_1) | instid1(VALU_DEP_2)
	v_add_co_ci_u32_e64 v23, null, s13, 0, s3
	s_mov_b32 s3, 0
	v_add_co_u32 v22, vcc_lo, 0x1000, v22
	s_delay_alu instid0(VALU_DEP_2)
	v_add_co_ci_u32_e32 v23, vcc_lo, 0, v23, vcc_lo
	s_clause 0x3
	global_load_b64 v[24:25], v26, s[12:13] offset:2048
	global_load_b64 v[26:27], v26, s[12:13] offset:3072
	global_load_b64 v[28:29], v[22:23], off
	global_load_b64 v[22:23], v[22:23], off offset:1024
	s_waitcnt vmcnt(5)
	v_cmp_neq_f64_e32 vcc_lo, 0, v[18:19]
	v_cndmask_b32_e64 v18, 0, 1, vcc_lo
	s_waitcnt vmcnt(4)
	v_cmp_neq_f64_e32 vcc_lo, 0, v[20:21]
	v_cndmask_b32_e64 v19, 0, 1, vcc_lo
	;; [unrolled: 3-line block ×6, first 2 shown]
	ds_store_b8 v0, v18
	ds_store_b8 v0, v19 offset:128
	ds_store_b8 v0, v20 offset:256
	;; [unrolled: 1-line block ×5, first 2 shown]
	s_waitcnt lgkmcnt(0)
	s_barrier
.LBB396_6:
	s_load_b64 s[8:9], s[0:1], 0x68
	s_and_not1_b32 vcc_lo, exec_lo, s3
	s_cbranch_vccnz .LBB396_20
; %bb.7:
	s_add_i32 s17, s17, s10
	v_dual_mov_b32 v18, 0 :: v_dual_mov_b32 v19, 0
	s_sub_i32 s2, s2, s17
	s_mov_b32 s3, exec_lo
	s_addk_i32 s2, 0x300
	s_delay_alu instid0(SALU_CYCLE_1)
	v_cmpx_gt_u32_e64 s2, v0
	s_cbranch_execz .LBB396_9
; %bb.8:
	v_lshlrev_b32_e32 v19, 3, v0
	global_load_b64 v[19:20], v19, s[12:13]
	s_waitcnt vmcnt(0)
	v_cmp_neq_f64_e32 vcc_lo, 0, v[19:20]
	v_cndmask_b32_e64 v19, 0, 1, vcc_lo
.LBB396_9:
	s_or_b32 exec_lo, exec_lo, s3
	v_or_b32_e32 v20, 0x80, v0
	s_mov_b32 s3, exec_lo
	s_delay_alu instid0(VALU_DEP_1)
	v_cmpx_gt_u32_e64 s2, v20
	s_cbranch_execz .LBB396_11
; %bb.10:
	v_lshlrev_b32_e32 v18, 3, v0
	global_load_b64 v[20:21], v18, s[12:13] offset:1024
	s_waitcnt vmcnt(0)
	v_cmp_neq_f64_e32 vcc_lo, 0, v[20:21]
	v_cndmask_b32_e64 v18, 0, 1, vcc_lo
.LBB396_11:
	s_or_b32 exec_lo, exec_lo, s3
	v_cmp_gt_u32_e32 vcc_lo, s2, v17
	v_dual_mov_b32 v17, 0 :: v_dual_mov_b32 v20, 0
	s_and_saveexec_b32 s3, vcc_lo
	s_cbranch_execz .LBB396_13
; %bb.12:
	v_lshlrev_b32_e32 v20, 3, v0
	global_load_b64 v[20:21], v20, s[12:13] offset:2048
	s_waitcnt vmcnt(0)
	v_cmp_neq_f64_e32 vcc_lo, 0, v[20:21]
	v_cndmask_b32_e64 v20, 0, 1, vcc_lo
.LBB396_13:
	s_or_b32 exec_lo, exec_lo, s3
	s_delay_alu instid0(SALU_CYCLE_1)
	s_mov_b32 s3, exec_lo
	v_cmpx_gt_u32_e64 s2, v16
	s_cbranch_execz .LBB396_15
; %bb.14:
	v_lshlrev_b32_e32 v16, 3, v0
	global_load_b64 v[16:17], v16, s[12:13] offset:3072
	s_waitcnt vmcnt(0)
	v_cmp_neq_f64_e32 vcc_lo, 0, v[16:17]
	v_cndmask_b32_e64 v17, 0, 1, vcc_lo
.LBB396_15:
	s_or_b32 exec_lo, exec_lo, s3
	v_dual_mov_b32 v16, 0 :: v_dual_mov_b32 v21, 0
	s_mov_b32 s3, exec_lo
	v_cmpx_gt_u32_e64 s2, v14
	s_cbranch_execz .LBB396_17
; %bb.16:
	v_lshlrev_b32_e32 v14, 3, v14
	global_load_b64 v[21:22], v14, s[12:13]
	s_waitcnt vmcnt(0)
	v_cmp_neq_f64_e32 vcc_lo, 0, v[21:22]
	v_cndmask_b32_e64 v21, 0, 1, vcc_lo
.LBB396_17:
	s_or_b32 exec_lo, exec_lo, s3
	v_cmp_gt_u32_e32 vcc_lo, s2, v13
	s_and_saveexec_b32 s2, vcc_lo
	s_cbranch_execz .LBB396_19
; %bb.18:
	v_lshlrev_b32_e32 v13, 3, v13
	global_load_b64 v[13:14], v13, s[12:13]
	s_waitcnt vmcnt(0)
	v_cmp_neq_f64_e32 vcc_lo, 0, v[13:14]
	v_cndmask_b32_e64 v16, 0, 1, vcc_lo
.LBB396_19:
	s_or_b32 exec_lo, exec_lo, s2
	ds_store_b8 v0, v19
	ds_store_b8 v0, v18 offset:128
	ds_store_b8 v0, v20 offset:256
	;; [unrolled: 1-line block ×5, first 2 shown]
	s_waitcnt lgkmcnt(0)
	s_barrier
.LBB396_20:
	v_mad_i32_i24 v43, 0xffffffd6, v0, v15
	s_waitcnt lgkmcnt(0)
	buffer_gl0_inv
	v_mbcnt_lo_u32_b32 v42, -1, 0
	s_cmp_lg_u32 s15, 0
	s_mov_b32 s3, -1
	ds_load_u16 v36, v43
	ds_load_u16 v33, v43 offset:2
	ds_load_u16 v31, v43 offset:4
	v_mov_b32_e32 v14, 0
	v_and_b32_e32 v44, 15, v42
	s_waitcnt lgkmcnt(0)
	s_barrier
	buffer_gl0_inv
	v_and_b32_e32 v41, 0xff, v36
	v_lshrrev_b16 v34, 8, v36
	v_lshrrev_b16 v35, 8, v33
	v_and_b32_e32 v39, 0xff, v33
	v_lshrrev_b16 v32, 8, v31
	v_and_b32_e32 v37, 0xff, v31
	v_and_b32_e32 v40, 0xffff, v34
	;; [unrolled: 1-line block ×3, first 2 shown]
	s_delay_alu instid0(VALU_DEP_4) | instskip(NEXT) | instid1(VALU_DEP_3)
	v_and_b32_e32 v16, 0xffff, v32
	v_add_co_u32 v13, s2, v40, v41
	s_delay_alu instid0(VALU_DEP_1) | instskip(SKIP_1) | instid1(VALU_DEP_3)
	v_add_co_ci_u32_e64 v15, null, 0, 0, s2
	v_cmp_ne_u32_e64 s2, 0, v44
	v_add_co_u32 v13, vcc_lo, v13, v39
	s_delay_alu instid0(VALU_DEP_3) | instskip(NEXT) | instid1(VALU_DEP_2)
	v_add_co_ci_u32_e32 v15, vcc_lo, 0, v15, vcc_lo
	v_add_co_u32 v13, vcc_lo, v13, v38
	s_delay_alu instid0(VALU_DEP_2) | instskip(NEXT) | instid1(VALU_DEP_2)
	v_add_co_ci_u32_e32 v15, vcc_lo, 0, v15, vcc_lo
	v_add_co_u32 v13, vcc_lo, v13, v37
	s_delay_alu instid0(VALU_DEP_2) | instskip(NEXT) | instid1(VALU_DEP_2)
	v_add_co_ci_u32_e32 v15, vcc_lo, 0, v15, vcc_lo
	v_add_co_u32 v21, vcc_lo, v13, v16
	s_delay_alu instid0(VALU_DEP_2)
	v_add_co_ci_u32_e32 v22, vcc_lo, 0, v15, vcc_lo
	s_cbranch_scc0 .LBB396_84
; %bb.21:
	s_delay_alu instid0(VALU_DEP_2)
	v_mov_b32_e32 v15, v21
	v_mov_b32_dpp v13, v21 row_shr:1 row_mask:0xf bank_mask:0xf
	v_mov_b32_dpp v18, v14 row_shr:1 row_mask:0xf bank_mask:0xf
	v_dual_mov_b32 v17, v21 :: v_dual_mov_b32 v16, v22
	s_and_saveexec_b32 s3, s2
; %bb.22:
	s_delay_alu instid0(VALU_DEP_3) | instskip(SKIP_1) | instid1(VALU_DEP_2)
	v_add_co_u32 v17, vcc_lo, v21, v13
	v_add_co_ci_u32_e32 v14, vcc_lo, 0, v22, vcc_lo
	v_add_co_u32 v13, vcc_lo, 0, v17
	s_delay_alu instid0(VALU_DEP_2) | instskip(NEXT) | instid1(VALU_DEP_1)
	v_add_co_ci_u32_e32 v14, vcc_lo, v18, v14, vcc_lo
	v_dual_mov_b32 v16, v14 :: v_dual_mov_b32 v15, v13
; %bb.23:
	s_or_b32 exec_lo, exec_lo, s3
	v_mov_b32_dpp v13, v17 row_shr:2 row_mask:0xf bank_mask:0xf
	v_mov_b32_dpp v18, v14 row_shr:2 row_mask:0xf bank_mask:0xf
	s_mov_b32 s3, exec_lo
	v_cmpx_lt_u32_e32 1, v44
; %bb.24:
	s_delay_alu instid0(VALU_DEP_3) | instskip(SKIP_1) | instid1(VALU_DEP_2)
	v_add_co_u32 v17, vcc_lo, v15, v13
	v_add_co_ci_u32_e32 v14, vcc_lo, 0, v16, vcc_lo
	v_add_co_u32 v13, vcc_lo, 0, v17
	s_delay_alu instid0(VALU_DEP_2) | instskip(NEXT) | instid1(VALU_DEP_1)
	v_add_co_ci_u32_e32 v14, vcc_lo, v18, v14, vcc_lo
	v_dual_mov_b32 v16, v14 :: v_dual_mov_b32 v15, v13
; %bb.25:
	s_or_b32 exec_lo, exec_lo, s3
	v_mov_b32_dpp v13, v17 row_shr:4 row_mask:0xf bank_mask:0xf
	v_mov_b32_dpp v18, v14 row_shr:4 row_mask:0xf bank_mask:0xf
	s_mov_b32 s3, exec_lo
	v_cmpx_lt_u32_e32 3, v44
	;; [unrolled: 14-line block ×3, first 2 shown]
; %bb.28:
	s_delay_alu instid0(VALU_DEP_3) | instskip(SKIP_1) | instid1(VALU_DEP_2)
	v_add_co_u32 v17, vcc_lo, v15, v18
	v_add_co_ci_u32_e32 v14, vcc_lo, 0, v16, vcc_lo
	v_add_co_u32 v15, vcc_lo, 0, v17
	s_delay_alu instid0(VALU_DEP_2) | instskip(NEXT) | instid1(VALU_DEP_1)
	v_add_co_ci_u32_e32 v16, vcc_lo, v13, v14, vcc_lo
	v_mov_b32_e32 v14, v16
; %bb.29:
	s_or_b32 exec_lo, exec_lo, s3
	ds_swizzle_b32 v13, v17 offset:swizzle(BROADCAST,32,15)
	ds_swizzle_b32 v18, v14 offset:swizzle(BROADCAST,32,15)
	v_and_b32_e32 v19, 16, v42
	s_mov_b32 s3, exec_lo
	s_delay_alu instid0(VALU_DEP_1)
	v_cmpx_ne_u32_e32 0, v19
	s_cbranch_execz .LBB396_31
; %bb.30:
	s_waitcnt lgkmcnt(1)
	v_add_co_u32 v17, vcc_lo, v15, v13
	v_add_co_ci_u32_e32 v14, vcc_lo, 0, v16, vcc_lo
	s_delay_alu instid0(VALU_DEP_2) | instskip(SKIP_1) | instid1(VALU_DEP_2)
	v_add_co_u32 v13, vcc_lo, 0, v17
	s_waitcnt lgkmcnt(0)
	v_add_co_ci_u32_e32 v14, vcc_lo, v18, v14, vcc_lo
	s_delay_alu instid0(VALU_DEP_1)
	v_dual_mov_b32 v16, v14 :: v_dual_mov_b32 v15, v13
.LBB396_31:
	s_or_b32 exec_lo, exec_lo, s3
	s_waitcnt lgkmcnt(0)
	v_or_b32_e32 v18, 31, v0
	v_lshrrev_b32_e32 v13, 5, v0
	s_mov_b32 s3, exec_lo
	s_delay_alu instid0(VALU_DEP_2)
	v_cmpx_eq_u32_e64 v18, v0
	s_cbranch_execz .LBB396_33
; %bb.32:
	s_delay_alu instid0(VALU_DEP_2)
	v_lshlrev_b32_e32 v18, 3, v13
	ds_store_b64 v18, v[15:16]
.LBB396_33:
	s_or_b32 exec_lo, exec_lo, s3
	s_delay_alu instid0(SALU_CYCLE_1)
	s_mov_b32 s3, exec_lo
	s_waitcnt lgkmcnt(0)
	s_barrier
	buffer_gl0_inv
	v_cmpx_gt_u32_e32 4, v0
	s_cbranch_execz .LBB396_39
; %bb.34:
	v_lshlrev_b32_e32 v18, 3, v0
	s_mov_b32 s10, exec_lo
	ds_load_b64 v[15:16], v18
	s_waitcnt lgkmcnt(0)
	v_dual_mov_b32 v20, v15 :: v_dual_and_b32 v19, 3, v42
	v_mov_b32_dpp v24, v15 row_shr:1 row_mask:0xf bank_mask:0xf
	v_mov_b32_dpp v23, v16 row_shr:1 row_mask:0xf bank_mask:0xf
	s_delay_alu instid0(VALU_DEP_3)
	v_cmpx_ne_u32_e32 0, v19
; %bb.35:
	s_delay_alu instid0(VALU_DEP_3) | instskip(SKIP_1) | instid1(VALU_DEP_2)
	v_add_co_u32 v20, vcc_lo, v15, v24
	v_add_co_ci_u32_e32 v16, vcc_lo, 0, v16, vcc_lo
	v_add_co_u32 v15, vcc_lo, 0, v20
	s_delay_alu instid0(VALU_DEP_2)
	v_add_co_ci_u32_e32 v16, vcc_lo, v23, v16, vcc_lo
; %bb.36:
	s_or_b32 exec_lo, exec_lo, s10
	v_mov_b32_dpp v23, v20 row_shr:2 row_mask:0xf bank_mask:0xf
	s_delay_alu instid0(VALU_DEP_2)
	v_mov_b32_dpp v20, v16 row_shr:2 row_mask:0xf bank_mask:0xf
	s_mov_b32 s10, exec_lo
	v_cmpx_lt_u32_e32 1, v19
; %bb.37:
	s_delay_alu instid0(VALU_DEP_3) | instskip(SKIP_1) | instid1(VALU_DEP_2)
	v_add_co_u32 v15, vcc_lo, v15, v23
	v_add_co_ci_u32_e32 v16, vcc_lo, 0, v16, vcc_lo
	v_add_co_u32 v15, vcc_lo, v15, 0
	s_delay_alu instid0(VALU_DEP_2)
	v_add_co_ci_u32_e32 v16, vcc_lo, v16, v20, vcc_lo
; %bb.38:
	s_or_b32 exec_lo, exec_lo, s10
	ds_store_b64 v18, v[15:16]
.LBB396_39:
	s_or_b32 exec_lo, exec_lo, s3
	v_cmp_gt_u32_e32 vcc_lo, 32, v0
	s_mov_b32 s10, exec_lo
	s_waitcnt lgkmcnt(0)
	s_barrier
	buffer_gl0_inv
                                        ; implicit-def: $vgpr23_vgpr24
	v_cmpx_lt_u32_e32 31, v0
	s_cbranch_execz .LBB396_41
; %bb.40:
	v_lshl_add_u32 v13, v13, 3, -8
	ds_load_b64 v[23:24], v13
	s_waitcnt lgkmcnt(0)
	v_add_co_u32 v17, s3, v17, v23
	s_delay_alu instid0(VALU_DEP_1)
	v_add_co_ci_u32_e64 v14, s3, v14, v24, s3
.LBB396_41:
	s_or_b32 exec_lo, exec_lo, s10
	v_add_nc_u32_e32 v13, -1, v42
	s_delay_alu instid0(VALU_DEP_1) | instskip(NEXT) | instid1(VALU_DEP_1)
	v_cmp_gt_i32_e64 s3, 0, v13
	v_cndmask_b32_e64 v13, v13, v42, s3
	v_cmp_eq_u32_e64 s3, 0, v42
	s_delay_alu instid0(VALU_DEP_2)
	v_lshlrev_b32_e32 v13, 2, v13
	ds_bpermute_b32 v29, v13, v17
	ds_bpermute_b32 v30, v13, v14
	s_and_saveexec_b32 s10, vcc_lo
	s_cbranch_execz .LBB396_79
; %bb.42:
	v_mov_b32_e32 v16, 0
	ds_load_b64 v[13:14], v16 offset:24
	s_and_saveexec_b32 s11, s3
	s_cbranch_execz .LBB396_44
; %bb.43:
	s_add_i32 s12, s15, 32
	s_mov_b32 s13, 0
	s_delay_alu instid0(SALU_CYCLE_1) | instskip(NEXT) | instid1(SALU_CYCLE_1)
	s_lshl_b64 s[12:13], s[12:13], 4
	s_add_u32 s12, s8, s12
	s_addc_u32 s13, s9, s13
	s_delay_alu instid0(SALU_CYCLE_1)
	v_dual_mov_b32 v15, 1 :: v_dual_mov_b32 v18, s13
	v_mov_b32_e32 v17, s12
	s_waitcnt lgkmcnt(0)
	;;#ASMSTART
	global_store_dwordx4 v[17:18], v[13:16] off	
s_waitcnt vmcnt(0)
	;;#ASMEND
.LBB396_44:
	s_or_b32 exec_lo, exec_lo, s11
	v_xad_u32 v25, v42, -1, s15
	s_mov_b32 s12, 0
	s_mov_b32 s11, exec_lo
	s_delay_alu instid0(VALU_DEP_1) | instskip(NEXT) | instid1(VALU_DEP_1)
	v_add_nc_u32_e32 v15, 32, v25
	v_lshlrev_b64 v[15:16], 4, v[15:16]
	s_delay_alu instid0(VALU_DEP_1) | instskip(NEXT) | instid1(VALU_DEP_2)
	v_add_co_u32 v15, vcc_lo, s8, v15
	v_add_co_ci_u32_e32 v16, vcc_lo, s9, v16, vcc_lo
	;;#ASMSTART
	global_load_dwordx4 v[17:20], v[15:16] off glc	
s_waitcnt vmcnt(0)
	;;#ASMEND
	v_and_b32_e32 v20, 0xff, v18
	v_and_b32_e32 v26, 0xff00, v18
	v_or3_b32 v17, v17, 0, 0
	v_and_b32_e32 v27, 0xff000000, v18
	v_and_b32_e32 v18, 0xff0000, v18
	s_delay_alu instid0(VALU_DEP_4) | instskip(SKIP_2) | instid1(VALU_DEP_3)
	v_or3_b32 v20, 0, v20, v26
	v_and_b32_e32 v26, 0xff, v19
	v_or3_b32 v17, v17, 0, 0
	v_or3_b32 v18, v20, v18, v27
	s_delay_alu instid0(VALU_DEP_3)
	v_cmpx_eq_u16_e32 0, v26
	s_cbranch_execz .LBB396_47
.LBB396_45:                             ; =>This Inner Loop Header: Depth=1
	;;#ASMSTART
	global_load_dwordx4 v[17:20], v[15:16] off glc	
s_waitcnt vmcnt(0)
	;;#ASMEND
	v_and_b32_e32 v20, 0xff, v19
	s_delay_alu instid0(VALU_DEP_1) | instskip(SKIP_1) | instid1(SALU_CYCLE_1)
	v_cmp_ne_u16_e32 vcc_lo, 0, v20
	s_or_b32 s12, vcc_lo, s12
	s_and_not1_b32 exec_lo, exec_lo, s12
	s_cbranch_execnz .LBB396_45
; %bb.46:
	s_or_b32 exec_lo, exec_lo, s12
.LBB396_47:
	s_delay_alu instid0(SALU_CYCLE_1)
	s_or_b32 exec_lo, exec_lo, s11
	v_cmp_ne_u32_e32 vcc_lo, 31, v42
	v_and_b32_e32 v16, 0xff, v19
	v_lshlrev_b32_e64 v46, v42, -1
	s_mov_b32 s11, exec_lo
	v_add_co_ci_u32_e32 v15, vcc_lo, 0, v42, vcc_lo
	s_delay_alu instid0(VALU_DEP_3) | instskip(NEXT) | instid1(VALU_DEP_2)
	v_cmp_eq_u16_e32 vcc_lo, 2, v16
	v_dual_mov_b32 v16, v17 :: v_dual_lshlrev_b32 v45, 2, v15
	v_and_or_b32 v15, vcc_lo, v46, 0x80000000
	ds_bpermute_b32 v26, v45, v17
	ds_bpermute_b32 v20, v45, v18
	v_ctz_i32_b32_e32 v15, v15
	s_delay_alu instid0(VALU_DEP_1)
	v_cmpx_lt_u32_e64 v42, v15
	s_cbranch_execz .LBB396_49
; %bb.48:
	s_waitcnt lgkmcnt(1)
	v_add_co_u32 v16, vcc_lo, v17, v26
	v_add_co_ci_u32_e32 v18, vcc_lo, 0, v18, vcc_lo
	s_delay_alu instid0(VALU_DEP_2) | instskip(SKIP_1) | instid1(VALU_DEP_2)
	v_add_co_u32 v17, vcc_lo, 0, v16
	s_waitcnt lgkmcnt(0)
	v_add_co_ci_u32_e32 v18, vcc_lo, v20, v18, vcc_lo
.LBB396_49:
	s_or_b32 exec_lo, exec_lo, s11
	v_cmp_gt_u32_e32 vcc_lo, 30, v42
	v_add_nc_u32_e32 v48, 2, v42
	s_mov_b32 s11, exec_lo
	s_waitcnt lgkmcnt(0)
	v_cndmask_b32_e64 v20, 0, 1, vcc_lo
	s_delay_alu instid0(VALU_DEP_1) | instskip(NEXT) | instid1(VALU_DEP_1)
	v_lshlrev_b32_e32 v20, 1, v20
	v_add_lshl_u32 v47, v20, v42, 2
	ds_bpermute_b32 v26, v47, v16
	ds_bpermute_b32 v20, v47, v18
	v_cmpx_le_u32_e64 v48, v15
	s_cbranch_execz .LBB396_51
; %bb.50:
	s_waitcnt lgkmcnt(1)
	v_add_co_u32 v16, vcc_lo, v17, v26
	v_add_co_ci_u32_e32 v18, vcc_lo, 0, v18, vcc_lo
	s_delay_alu instid0(VALU_DEP_2) | instskip(SKIP_1) | instid1(VALU_DEP_2)
	v_add_co_u32 v17, vcc_lo, 0, v16
	s_waitcnt lgkmcnt(0)
	v_add_co_ci_u32_e32 v18, vcc_lo, v20, v18, vcc_lo
.LBB396_51:
	s_or_b32 exec_lo, exec_lo, s11
	v_cmp_gt_u32_e32 vcc_lo, 28, v42
	v_add_nc_u32_e32 v50, 4, v42
	s_mov_b32 s11, exec_lo
	s_waitcnt lgkmcnt(0)
	v_cndmask_b32_e64 v20, 0, 1, vcc_lo
	s_delay_alu instid0(VALU_DEP_1) | instskip(NEXT) | instid1(VALU_DEP_1)
	v_lshlrev_b32_e32 v20, 2, v20
	v_add_lshl_u32 v49, v20, v42, 2
	ds_bpermute_b32 v26, v49, v16
	ds_bpermute_b32 v20, v49, v18
	v_cmpx_le_u32_e64 v50, v15
	;; [unrolled: 22-line block ×4, first 2 shown]
	s_cbranch_execz .LBB396_57
; %bb.56:
	s_waitcnt lgkmcnt(1)
	v_add_co_u32 v15, vcc_lo, v17, v20
	v_add_co_ci_u32_e32 v18, vcc_lo, 0, v18, vcc_lo
	s_delay_alu instid0(VALU_DEP_2) | instskip(SKIP_1) | instid1(VALU_DEP_2)
	v_add_co_u32 v17, vcc_lo, v15, 0
	s_waitcnt lgkmcnt(0)
	v_add_co_ci_u32_e32 v18, vcc_lo, v18, v16, vcc_lo
.LBB396_57:
	s_or_b32 exec_lo, exec_lo, s11
	v_mov_b32_e32 v26, 0
	s_branch .LBB396_59
.LBB396_58:                             ;   in Loop: Header=BB396_59 Depth=1
	s_or_b32 exec_lo, exec_lo, s11
	v_add_co_u32 v17, vcc_lo, v17, v15
	v_subrev_nc_u32_e32 v25, 32, v25
	v_add_co_ci_u32_e32 v18, vcc_lo, v18, v16, vcc_lo
.LBB396_59:                             ; =>This Loop Header: Depth=1
                                        ;     Child Loop BB396_62 Depth 2
	v_and_b32_e32 v15, 0xff, v19
	s_delay_alu instid0(VALU_DEP_1) | instskip(SKIP_2) | instid1(VALU_DEP_1)
	v_cmp_ne_u16_e32 vcc_lo, 2, v15
	v_cndmask_b32_e64 v15, 0, 1, vcc_lo
	;;#ASMSTART
	;;#ASMEND
	v_cmp_ne_u32_e32 vcc_lo, 0, v15
	s_waitcnt lgkmcnt(0)
	v_dual_mov_b32 v15, v17 :: v_dual_mov_b32 v16, v18
	s_cmp_lg_u32 vcc_lo, exec_lo
	s_cbranch_scc1 .LBB396_74
; %bb.60:                               ;   in Loop: Header=BB396_59 Depth=1
	v_lshlrev_b64 v[17:18], 4, v[25:26]
	s_mov_b32 s11, exec_lo
	s_delay_alu instid0(VALU_DEP_1) | instskip(NEXT) | instid1(VALU_DEP_2)
	v_add_co_u32 v27, vcc_lo, s8, v17
	v_add_co_ci_u32_e32 v28, vcc_lo, s9, v18, vcc_lo
	;;#ASMSTART
	global_load_dwordx4 v[17:20], v[27:28] off glc	
s_waitcnt vmcnt(0)
	;;#ASMEND
	v_and_b32_e32 v20, 0xff, v18
	v_and_b32_e32 v55, 0xff00, v18
	v_or3_b32 v17, v17, 0, 0
	v_and_b32_e32 v56, 0xff000000, v18
	v_and_b32_e32 v18, 0xff0000, v18
	s_delay_alu instid0(VALU_DEP_4) | instskip(SKIP_2) | instid1(VALU_DEP_3)
	v_or3_b32 v20, 0, v20, v55
	v_and_b32_e32 v55, 0xff, v19
	v_or3_b32 v17, v17, 0, 0
	v_or3_b32 v18, v20, v18, v56
	s_delay_alu instid0(VALU_DEP_3)
	v_cmpx_eq_u16_e32 0, v55
	s_cbranch_execz .LBB396_64
; %bb.61:                               ;   in Loop: Header=BB396_59 Depth=1
	s_mov_b32 s12, 0
.LBB396_62:                             ;   Parent Loop BB396_59 Depth=1
                                        ; =>  This Inner Loop Header: Depth=2
	;;#ASMSTART
	global_load_dwordx4 v[17:20], v[27:28] off glc	
s_waitcnt vmcnt(0)
	;;#ASMEND
	v_and_b32_e32 v20, 0xff, v19
	s_delay_alu instid0(VALU_DEP_1) | instskip(SKIP_1) | instid1(SALU_CYCLE_1)
	v_cmp_ne_u16_e32 vcc_lo, 0, v20
	s_or_b32 s12, vcc_lo, s12
	s_and_not1_b32 exec_lo, exec_lo, s12
	s_cbranch_execnz .LBB396_62
; %bb.63:                               ;   in Loop: Header=BB396_59 Depth=1
	s_or_b32 exec_lo, exec_lo, s12
.LBB396_64:                             ;   in Loop: Header=BB396_59 Depth=1
	s_delay_alu instid0(SALU_CYCLE_1)
	s_or_b32 exec_lo, exec_lo, s11
	v_dual_mov_b32 v27, v17 :: v_dual_and_b32 v20, 0xff, v19
	ds_bpermute_b32 v55, v45, v17
	ds_bpermute_b32 v28, v45, v18
	s_mov_b32 s11, exec_lo
	v_cmp_eq_u16_e32 vcc_lo, 2, v20
	v_and_or_b32 v20, vcc_lo, v46, 0x80000000
	s_delay_alu instid0(VALU_DEP_1) | instskip(NEXT) | instid1(VALU_DEP_1)
	v_ctz_i32_b32_e32 v20, v20
	v_cmpx_lt_u32_e64 v42, v20
	s_cbranch_execz .LBB396_66
; %bb.65:                               ;   in Loop: Header=BB396_59 Depth=1
	s_waitcnt lgkmcnt(1)
	v_add_co_u32 v27, vcc_lo, v17, v55
	v_add_co_ci_u32_e32 v18, vcc_lo, 0, v18, vcc_lo
	s_delay_alu instid0(VALU_DEP_2) | instskip(SKIP_1) | instid1(VALU_DEP_2)
	v_add_co_u32 v17, vcc_lo, 0, v27
	s_waitcnt lgkmcnt(0)
	v_add_co_ci_u32_e32 v18, vcc_lo, v28, v18, vcc_lo
.LBB396_66:                             ;   in Loop: Header=BB396_59 Depth=1
	s_or_b32 exec_lo, exec_lo, s11
	s_waitcnt lgkmcnt(1)
	ds_bpermute_b32 v55, v47, v27
	s_waitcnt lgkmcnt(1)
	ds_bpermute_b32 v28, v47, v18
	s_mov_b32 s11, exec_lo
	v_cmpx_le_u32_e64 v48, v20
	s_cbranch_execz .LBB396_68
; %bb.67:                               ;   in Loop: Header=BB396_59 Depth=1
	s_waitcnt lgkmcnt(1)
	v_add_co_u32 v27, vcc_lo, v17, v55
	v_add_co_ci_u32_e32 v18, vcc_lo, 0, v18, vcc_lo
	s_delay_alu instid0(VALU_DEP_2) | instskip(SKIP_1) | instid1(VALU_DEP_2)
	v_add_co_u32 v17, vcc_lo, 0, v27
	s_waitcnt lgkmcnt(0)
	v_add_co_ci_u32_e32 v18, vcc_lo, v28, v18, vcc_lo
.LBB396_68:                             ;   in Loop: Header=BB396_59 Depth=1
	s_or_b32 exec_lo, exec_lo, s11
	s_waitcnt lgkmcnt(1)
	ds_bpermute_b32 v55, v49, v27
	s_waitcnt lgkmcnt(1)
	ds_bpermute_b32 v28, v49, v18
	s_mov_b32 s11, exec_lo
	v_cmpx_le_u32_e64 v50, v20
	;; [unrolled: 17-line block ×3, first 2 shown]
	s_cbranch_execz .LBB396_72
; %bb.71:                               ;   in Loop: Header=BB396_59 Depth=1
	s_waitcnt lgkmcnt(1)
	v_add_co_u32 v27, vcc_lo, v17, v55
	v_add_co_ci_u32_e32 v18, vcc_lo, 0, v18, vcc_lo
	s_delay_alu instid0(VALU_DEP_2) | instskip(SKIP_1) | instid1(VALU_DEP_2)
	v_add_co_u32 v17, vcc_lo, 0, v27
	s_waitcnt lgkmcnt(0)
	v_add_co_ci_u32_e32 v18, vcc_lo, v28, v18, vcc_lo
.LBB396_72:                             ;   in Loop: Header=BB396_59 Depth=1
	s_or_b32 exec_lo, exec_lo, s11
	s_waitcnt lgkmcnt(0)
	ds_bpermute_b32 v28, v53, v27
	ds_bpermute_b32 v27, v53, v18
	s_mov_b32 s11, exec_lo
	v_cmpx_le_u32_e64 v54, v20
	s_cbranch_execz .LBB396_58
; %bb.73:                               ;   in Loop: Header=BB396_59 Depth=1
	s_waitcnt lgkmcnt(1)
	v_add_co_u32 v17, vcc_lo, v17, v28
	v_add_co_ci_u32_e32 v18, vcc_lo, 0, v18, vcc_lo
	s_delay_alu instid0(VALU_DEP_2) | instskip(SKIP_1) | instid1(VALU_DEP_2)
	v_add_co_u32 v17, vcc_lo, v17, 0
	s_waitcnt lgkmcnt(0)
	v_add_co_ci_u32_e32 v18, vcc_lo, v18, v27, vcc_lo
	s_branch .LBB396_58
.LBB396_74:                             ;   in Loop: Header=BB396_59 Depth=1
                                        ; implicit-def: $vgpr17_vgpr18
	s_cbranch_execz .LBB396_59
; %bb.75:
	s_and_saveexec_b32 s11, s3
	s_cbranch_execz .LBB396_77
; %bb.76:
	s_add_i32 s12, s15, 32
	s_mov_b32 s13, 0
	v_add_co_u32 v17, vcc_lo, v15, v13
	s_lshl_b64 s[12:13], s[12:13], 4
	v_dual_mov_b32 v19, 2 :: v_dual_mov_b32 v20, 0
	s_add_u32 s12, s8, s12
	s_addc_u32 s13, s9, s13
	v_add_co_ci_u32_e32 v18, vcc_lo, v16, v14, vcc_lo
	v_dual_mov_b32 v26, s13 :: v_dual_mov_b32 v25, s12
	;;#ASMSTART
	global_store_dwordx4 v[25:26], v[17:20] off	
s_waitcnt vmcnt(0)
	;;#ASMEND
	ds_store_b128 v20, v[13:16] offset:6144
.LBB396_77:
	s_or_b32 exec_lo, exec_lo, s11
	v_cmp_eq_u32_e32 vcc_lo, 0, v0
	s_and_b32 exec_lo, exec_lo, vcc_lo
	s_cbranch_execz .LBB396_79
; %bb.78:
	v_mov_b32_e32 v13, 0
	ds_store_b64 v13, v[15:16] offset:24
.LBB396_79:
	s_or_b32 exec_lo, exec_lo, s10
	s_waitcnt lgkmcnt(1)
	v_cndmask_b32_e64 v16, v29, v23, s3
	v_cmp_ne_u32_e32 vcc_lo, 0, v0
	v_mov_b32_e32 v15, 0
	s_waitcnt lgkmcnt(0)
	s_barrier
	buffer_gl0_inv
	v_cndmask_b32_e32 v16, 0, v16, vcc_lo
	ds_load_b64 v[13:14], v15 offset:24
	v_cndmask_b32_e64 v17, v30, v24, s3
	s_waitcnt lgkmcnt(0)
	s_barrier
	buffer_gl0_inv
	v_cndmask_b32_e32 v17, 0, v17, vcc_lo
	v_add_co_u32 v29, vcc_lo, v13, v16
	s_delay_alu instid0(VALU_DEP_2) | instskip(SKIP_3) | instid1(VALU_DEP_2)
	v_add_co_ci_u32_e32 v30, vcc_lo, v14, v17, vcc_lo
	ds_load_b128 v[13:16], v15 offset:6144
	v_add_co_u32 v27, vcc_lo, v29, v41
	v_add_co_ci_u32_e32 v28, vcc_lo, 0, v30, vcc_lo
	v_add_co_u32 v25, vcc_lo, v27, v40
	s_delay_alu instid0(VALU_DEP_2) | instskip(NEXT) | instid1(VALU_DEP_2)
	v_add_co_ci_u32_e32 v26, vcc_lo, 0, v28, vcc_lo
	v_add_co_u32 v23, vcc_lo, v25, v39
	s_delay_alu instid0(VALU_DEP_2) | instskip(NEXT) | instid1(VALU_DEP_2)
	;; [unrolled: 3-line block ×3, first 2 shown]
	v_add_co_ci_u32_e32 v20, vcc_lo, 0, v24, vcc_lo
	v_add_co_u32 v17, vcc_lo, v19, v37
	s_delay_alu instid0(VALU_DEP_2)
	v_add_co_ci_u32_e32 v18, vcc_lo, 0, v20, vcc_lo
	s_load_b64 s[10:11], s[0:1], 0x30
.LBB396_80:
	s_waitcnt lgkmcnt(0)
	v_cmp_gt_u64_e32 vcc_lo, 0x81, v[13:14]
	s_mov_b32 s0, -1
	s_cbranch_vccnz .LBB396_108
.LBB396_81:
	s_and_b32 vcc_lo, exec_lo, s0
	s_cbranch_vccnz .LBB396_127
.LBB396_82:
	v_cmp_eq_u32_e32 vcc_lo, 0, v0
	s_and_b32 s0, vcc_lo, s14
	s_delay_alu instid0(SALU_CYCLE_1)
	s_and_saveexec_b32 s1, s0
	s_cbranch_execnz .LBB396_143
.LBB396_83:
	s_nop 0
	s_sendmsg sendmsg(MSG_DEALLOC_VGPRS)
	s_endpgm
.LBB396_84:
                                        ; kill: def $vgpr13_vgpr14 killed $sgpr0_sgpr1 killed $exec
                                        ; implicit-def: $vgpr17_vgpr18
                                        ; implicit-def: $vgpr19_vgpr20
                                        ; implicit-def: $vgpr23_vgpr24
                                        ; implicit-def: $vgpr25_vgpr26
                                        ; implicit-def: $vgpr27_vgpr28
                                        ; implicit-def: $vgpr29_vgpr30
                                        ; implicit-def: $vgpr15_vgpr16
	s_load_b64 s[10:11], s[0:1], 0x30
	s_and_b32 vcc_lo, exec_lo, s3
	s_cbranch_vccz .LBB396_80
; %bb.85:
	s_waitcnt lgkmcnt(0)
	v_dual_mov_b32 v14, 0 :: v_dual_mov_b32 v15, v21
	v_mov_b32_dpp v16, v21 row_shr:1 row_mask:0xf bank_mask:0xf
	s_delay_alu instid0(VALU_DEP_2)
	v_mov_b32_dpp v13, v14 row_shr:1 row_mask:0xf bank_mask:0xf
	s_and_saveexec_b32 s0, s2
; %bb.86:
	s_delay_alu instid0(VALU_DEP_2) | instskip(SKIP_1) | instid1(VALU_DEP_2)
	v_add_co_u32 v15, vcc_lo, v21, v16
	v_add_co_ci_u32_e32 v14, vcc_lo, 0, v22, vcc_lo
	v_add_co_u32 v21, vcc_lo, 0, v15
	s_delay_alu instid0(VALU_DEP_2) | instskip(NEXT) | instid1(VALU_DEP_1)
	v_add_co_ci_u32_e32 v22, vcc_lo, v13, v14, vcc_lo
	v_mov_b32_e32 v14, v22
; %bb.87:
	s_or_b32 exec_lo, exec_lo, s0
	v_mov_b32_dpp v13, v15 row_shr:2 row_mask:0xf bank_mask:0xf
	s_delay_alu instid0(VALU_DEP_2)
	v_mov_b32_dpp v16, v14 row_shr:2 row_mask:0xf bank_mask:0xf
	s_mov_b32 s0, exec_lo
	v_cmpx_lt_u32_e32 1, v44
; %bb.88:
	s_delay_alu instid0(VALU_DEP_3) | instskip(SKIP_1) | instid1(VALU_DEP_2)
	v_add_co_u32 v15, vcc_lo, v21, v13
	v_add_co_ci_u32_e32 v14, vcc_lo, 0, v22, vcc_lo
	v_add_co_u32 v13, vcc_lo, 0, v15
	s_delay_alu instid0(VALU_DEP_2) | instskip(NEXT) | instid1(VALU_DEP_1)
	v_add_co_ci_u32_e32 v14, vcc_lo, v16, v14, vcc_lo
	v_dual_mov_b32 v22, v14 :: v_dual_mov_b32 v21, v13
; %bb.89:
	s_or_b32 exec_lo, exec_lo, s0
	v_mov_b32_dpp v13, v15 row_shr:4 row_mask:0xf bank_mask:0xf
	v_mov_b32_dpp v16, v14 row_shr:4 row_mask:0xf bank_mask:0xf
	s_mov_b32 s0, exec_lo
	v_cmpx_lt_u32_e32 3, v44
; %bb.90:
	s_delay_alu instid0(VALU_DEP_3) | instskip(SKIP_1) | instid1(VALU_DEP_2)
	v_add_co_u32 v15, vcc_lo, v21, v13
	v_add_co_ci_u32_e32 v14, vcc_lo, 0, v22, vcc_lo
	v_add_co_u32 v13, vcc_lo, 0, v15
	s_delay_alu instid0(VALU_DEP_2) | instskip(NEXT) | instid1(VALU_DEP_1)
	v_add_co_ci_u32_e32 v14, vcc_lo, v16, v14, vcc_lo
	v_dual_mov_b32 v22, v14 :: v_dual_mov_b32 v21, v13
; %bb.91:
	s_or_b32 exec_lo, exec_lo, s0
	v_mov_b32_dpp v16, v15 row_shr:8 row_mask:0xf bank_mask:0xf
	v_mov_b32_dpp v13, v14 row_shr:8 row_mask:0xf bank_mask:0xf
	s_mov_b32 s0, exec_lo
	v_cmpx_lt_u32_e32 7, v44
; %bb.92:
	s_delay_alu instid0(VALU_DEP_3) | instskip(SKIP_1) | instid1(VALU_DEP_2)
	v_add_co_u32 v15, vcc_lo, v21, v16
	v_add_co_ci_u32_e32 v14, vcc_lo, 0, v22, vcc_lo
	v_add_co_u32 v21, vcc_lo, 0, v15
	s_delay_alu instid0(VALU_DEP_2) | instskip(NEXT) | instid1(VALU_DEP_1)
	v_add_co_ci_u32_e32 v22, vcc_lo, v13, v14, vcc_lo
	v_mov_b32_e32 v14, v22
; %bb.93:
	s_or_b32 exec_lo, exec_lo, s0
	ds_swizzle_b32 v15, v15 offset:swizzle(BROADCAST,32,15)
	ds_swizzle_b32 v13, v14 offset:swizzle(BROADCAST,32,15)
	v_and_b32_e32 v14, 16, v42
	s_mov_b32 s0, exec_lo
	s_delay_alu instid0(VALU_DEP_1)
	v_cmpx_ne_u32_e32 0, v14
	s_cbranch_execz .LBB396_95
; %bb.94:
	s_waitcnt lgkmcnt(1)
	v_add_co_u32 v14, vcc_lo, v21, v15
	v_add_co_ci_u32_e32 v15, vcc_lo, 0, v22, vcc_lo
	s_delay_alu instid0(VALU_DEP_2) | instskip(SKIP_1) | instid1(VALU_DEP_2)
	v_add_co_u32 v21, vcc_lo, v14, 0
	s_waitcnt lgkmcnt(0)
	v_add_co_ci_u32_e32 v22, vcc_lo, v15, v13, vcc_lo
.LBB396_95:
	s_or_b32 exec_lo, exec_lo, s0
	s_waitcnt lgkmcnt(0)
	v_or_b32_e32 v13, 31, v0
	v_lshrrev_b32_e32 v15, 5, v0
	s_mov_b32 s0, exec_lo
	s_delay_alu instid0(VALU_DEP_2)
	v_cmpx_eq_u32_e64 v13, v0
	s_cbranch_execz .LBB396_97
; %bb.96:
	s_delay_alu instid0(VALU_DEP_2)
	v_lshlrev_b32_e32 v13, 3, v15
	ds_store_b64 v13, v[21:22]
.LBB396_97:
	s_or_b32 exec_lo, exec_lo, s0
	s_delay_alu instid0(SALU_CYCLE_1)
	s_mov_b32 s0, exec_lo
	s_waitcnt lgkmcnt(0)
	s_barrier
	buffer_gl0_inv
	v_cmpx_gt_u32_e32 4, v0
	s_cbranch_execz .LBB396_103
; %bb.98:
	v_lshlrev_b32_e32 v13, 1, v0
	s_mov_b32 s1, exec_lo
	s_delay_alu instid0(VALU_DEP_1)
	v_add_nc_u32_e32 v16, v43, v13
	ds_load_b64 v[13:14], v16
	s_waitcnt lgkmcnt(0)
	v_dual_mov_b32 v18, v13 :: v_dual_and_b32 v17, 3, v42
	v_mov_b32_dpp v20, v13 row_shr:1 row_mask:0xf bank_mask:0xf
	v_mov_b32_dpp v19, v14 row_shr:1 row_mask:0xf bank_mask:0xf
	s_delay_alu instid0(VALU_DEP_3)
	v_cmpx_ne_u32_e32 0, v17
; %bb.99:
	s_delay_alu instid0(VALU_DEP_3) | instskip(SKIP_1) | instid1(VALU_DEP_2)
	v_add_co_u32 v18, vcc_lo, v13, v20
	v_add_co_ci_u32_e32 v14, vcc_lo, 0, v14, vcc_lo
	v_add_co_u32 v13, vcc_lo, 0, v18
	s_delay_alu instid0(VALU_DEP_2)
	v_add_co_ci_u32_e32 v14, vcc_lo, v19, v14, vcc_lo
; %bb.100:
	s_or_b32 exec_lo, exec_lo, s1
	v_mov_b32_dpp v19, v18 row_shr:2 row_mask:0xf bank_mask:0xf
	s_delay_alu instid0(VALU_DEP_2)
	v_mov_b32_dpp v18, v14 row_shr:2 row_mask:0xf bank_mask:0xf
	s_mov_b32 s1, exec_lo
	v_cmpx_lt_u32_e32 1, v17
; %bb.101:
	s_delay_alu instid0(VALU_DEP_3) | instskip(SKIP_1) | instid1(VALU_DEP_2)
	v_add_co_u32 v13, vcc_lo, v13, v19
	v_add_co_ci_u32_e32 v14, vcc_lo, 0, v14, vcc_lo
	v_add_co_u32 v13, vcc_lo, v13, 0
	s_delay_alu instid0(VALU_DEP_2)
	v_add_co_ci_u32_e32 v14, vcc_lo, v14, v18, vcc_lo
; %bb.102:
	s_or_b32 exec_lo, exec_lo, s1
	ds_store_b64 v16, v[13:14]
.LBB396_103:
	s_or_b32 exec_lo, exec_lo, s0
	v_mov_b32_e32 v17, 0
	v_mov_b32_e32 v18, 0
	s_mov_b32 s0, exec_lo
	s_waitcnt lgkmcnt(0)
	s_barrier
	buffer_gl0_inv
	v_cmpx_lt_u32_e32 31, v0
	s_cbranch_execz .LBB396_105
; %bb.104:
	v_lshl_add_u32 v13, v15, 3, -8
	ds_load_b64 v[17:18], v13
.LBB396_105:
	s_or_b32 exec_lo, exec_lo, s0
	v_dual_mov_b32 v16, 0 :: v_dual_add_nc_u32 v13, -1, v42
	s_delay_alu instid0(VALU_DEP_1) | instskip(SKIP_4) | instid1(VALU_DEP_3)
	v_cmp_gt_i32_e32 vcc_lo, 0, v13
	v_cndmask_b32_e32 v13, v13, v42, vcc_lo
	s_waitcnt lgkmcnt(0)
	v_add_co_u32 v14, vcc_lo, v17, v21
	v_add_co_ci_u32_e32 v15, vcc_lo, v18, v22, vcc_lo
	v_lshlrev_b32_e32 v13, 2, v13
	v_cmp_eq_u32_e32 vcc_lo, 0, v0
	ds_bpermute_b32 v19, v13, v14
	ds_bpermute_b32 v20, v13, v15
	ds_load_b64 v[13:14], v16 offset:24
	s_and_saveexec_b32 s0, vcc_lo
	s_cbranch_execz .LBB396_107
; %bb.106:
	s_add_u32 s2, s8, 0x200
	s_addc_u32 s3, s9, 0
	s_delay_alu instid0(SALU_CYCLE_1)
	v_dual_mov_b32 v15, 2 :: v_dual_mov_b32 v22, s3
	v_mov_b32_e32 v21, s2
	s_waitcnt lgkmcnt(0)
	;;#ASMSTART
	global_store_dwordx4 v[21:22], v[13:16] off	
s_waitcnt vmcnt(0)
	;;#ASMEND
.LBB396_107:
	s_or_b32 exec_lo, exec_lo, s0
	v_cmp_eq_u32_e64 s0, 0, v42
	s_waitcnt lgkmcnt(0)
	s_barrier
	buffer_gl0_inv
	v_cndmask_b32_e64 v15, v19, v17, s0
	v_cndmask_b32_e64 v16, v20, v18, s0
	s_delay_alu instid0(VALU_DEP_2) | instskip(NEXT) | instid1(VALU_DEP_2)
	v_cndmask_b32_e64 v29, v15, 0, vcc_lo
	v_cndmask_b32_e64 v30, v16, 0, vcc_lo
	v_mov_b32_e32 v15, 0
	v_mov_b32_e32 v16, 0
	s_delay_alu instid0(VALU_DEP_4) | instskip(NEXT) | instid1(VALU_DEP_4)
	v_add_co_u32 v27, vcc_lo, v29, v41
	v_add_co_ci_u32_e32 v28, vcc_lo, 0, v30, vcc_lo
	s_delay_alu instid0(VALU_DEP_2) | instskip(NEXT) | instid1(VALU_DEP_2)
	v_add_co_u32 v25, vcc_lo, v27, v40
	v_add_co_ci_u32_e32 v26, vcc_lo, 0, v28, vcc_lo
	s_delay_alu instid0(VALU_DEP_2) | instskip(NEXT) | instid1(VALU_DEP_2)
	v_add_co_u32 v23, vcc_lo, v25, v39
	v_add_co_ci_u32_e32 v24, vcc_lo, 0, v26, vcc_lo
	s_delay_alu instid0(VALU_DEP_2) | instskip(NEXT) | instid1(VALU_DEP_2)
	v_add_co_u32 v19, vcc_lo, v23, v38
	v_add_co_ci_u32_e32 v20, vcc_lo, 0, v24, vcc_lo
	s_delay_alu instid0(VALU_DEP_2) | instskip(NEXT) | instid1(VALU_DEP_2)
	v_add_co_u32 v17, vcc_lo, v19, v37
	v_add_co_ci_u32_e32 v18, vcc_lo, 0, v20, vcc_lo
	v_cmp_gt_u64_e32 vcc_lo, 0x81, v[13:14]
	s_mov_b32 s0, -1
	s_cbranch_vccz .LBB396_81
.LBB396_108:
	v_add_co_u32 v21, vcc_lo, v15, v13
	v_add_co_ci_u32_e32 v22, vcc_lo, v16, v14, vcc_lo
	s_delay_alu instid0(VALU_DEP_1) | instskip(SKIP_1) | instid1(SALU_CYCLE_1)
	v_cmp_lt_u64_e32 vcc_lo, v[29:30], v[21:22]
	s_or_b32 s1, s16, vcc_lo
	s_and_saveexec_b32 s0, s1
	s_cbranch_execz .LBB396_111
; %bb.109:
	v_and_b32_e32 v37, 1, v36
	s_delay_alu instid0(VALU_DEP_1)
	v_cmp_eq_u32_e32 vcc_lo, 1, v37
	s_and_b32 exec_lo, exec_lo, vcc_lo
	s_cbranch_execz .LBB396_111
; %bb.110:
	v_lshlrev_b64 v[37:38], 3, v[29:30]
	s_lshl_b64 s[2:3], s[6:7], 3
	s_delay_alu instid0(SALU_CYCLE_1) | instskip(SKIP_1) | instid1(VALU_DEP_1)
	s_add_u32 s1, s10, s2
	s_addc_u32 s2, s11, s3
	v_add_co_u32 v37, vcc_lo, s1, v37
	s_delay_alu instid0(VALU_DEP_2)
	v_add_co_ci_u32_e32 v38, vcc_lo, s2, v38, vcc_lo
	global_store_b64 v[37:38], v[9:10], off
.LBB396_111:
	s_or_b32 exec_lo, exec_lo, s0
	v_cmp_lt_u64_e32 vcc_lo, v[27:28], v[21:22]
	s_or_b32 s1, s16, vcc_lo
	s_delay_alu instid0(SALU_CYCLE_1)
	s_and_saveexec_b32 s0, s1
	s_cbranch_execz .LBB396_114
; %bb.112:
	v_and_b32_e32 v30, 1, v34
	s_delay_alu instid0(VALU_DEP_1)
	v_cmp_eq_u32_e32 vcc_lo, 1, v30
	s_and_b32 exec_lo, exec_lo, vcc_lo
	s_cbranch_execz .LBB396_114
; %bb.113:
	v_lshlrev_b64 v[37:38], 3, v[27:28]
	s_lshl_b64 s[2:3], s[6:7], 3
	s_delay_alu instid0(SALU_CYCLE_1) | instskip(SKIP_1) | instid1(VALU_DEP_1)
	s_add_u32 s1, s10, s2
	s_addc_u32 s2, s11, s3
	v_add_co_u32 v37, vcc_lo, s1, v37
	s_delay_alu instid0(VALU_DEP_2)
	v_add_co_ci_u32_e32 v38, vcc_lo, s2, v38, vcc_lo
	global_store_b64 v[37:38], v[11:12], off
.LBB396_114:
	s_or_b32 exec_lo, exec_lo, s0
	v_cmp_lt_u64_e32 vcc_lo, v[25:26], v[21:22]
	s_or_b32 s1, s16, vcc_lo
	s_delay_alu instid0(SALU_CYCLE_1)
	s_and_saveexec_b32 s0, s1
	s_cbranch_execz .LBB396_117
; %bb.115:
	v_and_b32_e32 v28, 1, v33
	s_delay_alu instid0(VALU_DEP_1)
	v_cmp_eq_u32_e32 vcc_lo, 1, v28
	s_and_b32 exec_lo, exec_lo, vcc_lo
	s_cbranch_execz .LBB396_117
; %bb.116:
	v_lshlrev_b64 v[37:38], 3, v[25:26]
	s_lshl_b64 s[2:3], s[6:7], 3
	s_delay_alu instid0(SALU_CYCLE_1) | instskip(SKIP_1) | instid1(VALU_DEP_1)
	s_add_u32 s1, s10, s2
	s_addc_u32 s2, s11, s3
	v_add_co_u32 v37, vcc_lo, s1, v37
	s_delay_alu instid0(VALU_DEP_2)
	v_add_co_ci_u32_e32 v38, vcc_lo, s2, v38, vcc_lo
	global_store_b64 v[37:38], v[5:6], off
.LBB396_117:
	s_or_b32 exec_lo, exec_lo, s0
	v_cmp_lt_u64_e32 vcc_lo, v[23:24], v[21:22]
	s_or_b32 s1, s16, vcc_lo
	s_delay_alu instid0(SALU_CYCLE_1)
	s_and_saveexec_b32 s0, s1
	s_cbranch_execz .LBB396_120
; %bb.118:
	v_and_b32_e32 v26, 1, v35
	s_delay_alu instid0(VALU_DEP_1)
	v_cmp_eq_u32_e32 vcc_lo, 1, v26
	s_and_b32 exec_lo, exec_lo, vcc_lo
	s_cbranch_execz .LBB396_120
; %bb.119:
	v_lshlrev_b64 v[37:38], 3, v[23:24]
	s_lshl_b64 s[2:3], s[6:7], 3
	s_delay_alu instid0(SALU_CYCLE_1) | instskip(SKIP_1) | instid1(VALU_DEP_1)
	s_add_u32 s1, s10, s2
	s_addc_u32 s2, s11, s3
	v_add_co_u32 v37, vcc_lo, s1, v37
	s_delay_alu instid0(VALU_DEP_2)
	v_add_co_ci_u32_e32 v38, vcc_lo, s2, v38, vcc_lo
	global_store_b64 v[37:38], v[7:8], off
.LBB396_120:
	s_or_b32 exec_lo, exec_lo, s0
	v_cmp_lt_u64_e32 vcc_lo, v[19:20], v[21:22]
	s_or_b32 s1, s16, vcc_lo
	s_delay_alu instid0(SALU_CYCLE_1)
	s_and_saveexec_b32 s0, s1
	s_cbranch_execz .LBB396_123
; %bb.121:
	v_and_b32_e32 v24, 1, v31
	s_delay_alu instid0(VALU_DEP_1)
	v_cmp_eq_u32_e32 vcc_lo, 1, v24
	s_and_b32 exec_lo, exec_lo, vcc_lo
	s_cbranch_execz .LBB396_123
; %bb.122:
	v_lshlrev_b64 v[37:38], 3, v[19:20]
	s_lshl_b64 s[2:3], s[6:7], 3
	s_delay_alu instid0(SALU_CYCLE_1) | instskip(SKIP_1) | instid1(VALU_DEP_1)
	s_add_u32 s1, s10, s2
	s_addc_u32 s2, s11, s3
	v_add_co_u32 v37, vcc_lo, s1, v37
	s_delay_alu instid0(VALU_DEP_2)
	v_add_co_ci_u32_e32 v38, vcc_lo, s2, v38, vcc_lo
	global_store_b64 v[37:38], v[1:2], off
.LBB396_123:
	s_or_b32 exec_lo, exec_lo, s0
	v_cmp_lt_u64_e32 vcc_lo, v[17:18], v[21:22]
	s_or_b32 s1, s16, vcc_lo
	s_delay_alu instid0(SALU_CYCLE_1)
	s_and_saveexec_b32 s0, s1
	s_cbranch_execz .LBB396_126
; %bb.124:
	v_and_b32_e32 v20, 1, v32
	s_delay_alu instid0(VALU_DEP_1)
	v_cmp_eq_u32_e32 vcc_lo, 1, v20
	s_and_b32 exec_lo, exec_lo, vcc_lo
	s_cbranch_execz .LBB396_126
; %bb.125:
	v_lshlrev_b64 v[20:21], 3, v[17:18]
	s_lshl_b64 s[2:3], s[6:7], 3
	s_delay_alu instid0(SALU_CYCLE_1) | instskip(SKIP_1) | instid1(VALU_DEP_1)
	s_add_u32 s1, s10, s2
	s_addc_u32 s2, s11, s3
	v_add_co_u32 v20, vcc_lo, s1, v20
	s_delay_alu instid0(VALU_DEP_2)
	v_add_co_ci_u32_e32 v21, vcc_lo, s2, v21, vcc_lo
	global_store_b64 v[20:21], v[3:4], off
.LBB396_126:
	s_or_b32 exec_lo, exec_lo, s0
	s_branch .LBB396_82
.LBB396_127:
	v_and_b32_e32 v18, 1, v36
	s_mov_b32 s0, exec_lo
	s_delay_alu instid0(VALU_DEP_1)
	v_cmpx_eq_u32_e32 1, v18
	s_cbranch_execz .LBB396_129
; %bb.128:
	v_sub_nc_u32_e32 v18, v29, v15
	s_delay_alu instid0(VALU_DEP_1)
	v_lshlrev_b32_e32 v18, 3, v18
	ds_store_b64 v18, v[9:10]
.LBB396_129:
	s_or_b32 exec_lo, exec_lo, s0
	v_and_b32_e32 v9, 1, v34
	s_mov_b32 s0, exec_lo
	s_delay_alu instid0(VALU_DEP_1)
	v_cmpx_eq_u32_e32 1, v9
	s_cbranch_execz .LBB396_131
; %bb.130:
	v_sub_nc_u32_e32 v9, v27, v15
	s_delay_alu instid0(VALU_DEP_1)
	v_lshlrev_b32_e32 v9, 3, v9
	ds_store_b64 v9, v[11:12]
.LBB396_131:
	s_or_b32 exec_lo, exec_lo, s0
	;; [unrolled: 12-line block ×6, first 2 shown]
	v_mov_b32_e32 v3, 0
	s_mov_b32 s1, exec_lo
	s_waitcnt lgkmcnt(0)
	s_waitcnt_vscnt null, 0x0
	s_barrier
	buffer_gl0_inv
	v_mov_b32_e32 v1, v3
	s_delay_alu instid0(VALU_DEP_1)
	v_cmpx_gt_u64_e64 v[13:14], v[0:1]
	s_cbranch_execz .LBB396_142
; %bb.140:
	v_lshlrev_b64 v[4:5], 3, v[15:16]
	s_lshl_b64 s[2:3], s[6:7], 3
	v_or_b32_e32 v2, 0x80, v0
	s_delay_alu instid0(VALU_DEP_2) | instskip(NEXT) | instid1(VALU_DEP_3)
	v_add_co_u32 v4, vcc_lo, s10, v4
	v_add_co_ci_u32_e32 v5, vcc_lo, s11, v5, vcc_lo
	s_delay_alu instid0(VALU_DEP_2) | instskip(NEXT) | instid1(VALU_DEP_2)
	v_add_co_u32 v6, vcc_lo, v4, s2
	v_add_co_ci_u32_e32 v7, vcc_lo, s3, v5, vcc_lo
	v_dual_mov_b32 v5, v1 :: v_dual_mov_b32 v4, v0
	s_mov_b32 s2, 0
	.p2align	6
.LBB396_141:                            ; =>This Inner Loop Header: Depth=1
	s_delay_alu instid0(VALU_DEP_1) | instskip(NEXT) | instid1(VALU_DEP_2)
	v_lshlrev_b32_e32 v1, 3, v4
	v_lshlrev_b64 v[10:11], 3, v[4:5]
	v_dual_mov_b32 v5, v3 :: v_dual_mov_b32 v4, v2
	v_cmp_le_u64_e32 vcc_lo, v[13:14], v[2:3]
	v_add_nc_u32_e32 v2, 0x80, v2
	ds_load_b64 v[8:9], v1
	v_add_co_u32 v10, s0, v6, v10
	s_delay_alu instid0(VALU_DEP_1)
	v_add_co_ci_u32_e64 v11, s0, v7, v11, s0
	s_or_b32 s2, vcc_lo, s2
	s_waitcnt lgkmcnt(0)
	global_store_b64 v[10:11], v[8:9], off
	s_and_not1_b32 exec_lo, exec_lo, s2
	s_cbranch_execnz .LBB396_141
.LBB396_142:
	s_or_b32 exec_lo, exec_lo, s1
	v_cmp_eq_u32_e32 vcc_lo, 0, v0
	s_and_b32 s0, vcc_lo, s14
	s_delay_alu instid0(SALU_CYCLE_1)
	s_and_saveexec_b32 s1, s0
	s_cbranch_execz .LBB396_83
.LBB396_143:
	v_add_co_u32 v0, vcc_lo, v15, v13
	v_add_co_ci_u32_e32 v1, vcc_lo, v16, v14, vcc_lo
	v_mov_b32_e32 v2, 0
	s_delay_alu instid0(VALU_DEP_3) | instskip(NEXT) | instid1(VALU_DEP_3)
	v_add_co_u32 v0, vcc_lo, v0, s6
	v_add_co_ci_u32_e32 v1, vcc_lo, s7, v1, vcc_lo
	global_store_b64 v2, v[0:1], s[4:5]
	s_nop 0
	s_sendmsg sendmsg(MSG_DEALLOC_VGPRS)
	s_endpgm
	.section	.rodata,"a",@progbits
	.p2align	6, 0x0
	.amdhsa_kernel _ZN7rocprim17ROCPRIM_400000_NS6detail17trampoline_kernelINS0_14default_configENS1_25partition_config_selectorILNS1_17partition_subalgoE5ElNS0_10empty_typeEbEEZZNS1_14partition_implILS5_5ELb0ES3_mN6hipcub16HIPCUB_304000_NS21CountingInputIteratorIllEEPS6_NSA_22TransformInputIteratorIbN2at6native12_GLOBAL__N_19NonZeroOpIdEEPKdlEENS0_5tupleIJPlS6_EEENSN_IJSD_SD_EEES6_PiJS6_EEE10hipError_tPvRmT3_T4_T5_T6_T7_T9_mT8_P12ihipStream_tbDpT10_ENKUlT_T0_E_clISt17integral_constantIbLb0EES1B_EEDaS16_S17_EUlS16_E_NS1_11comp_targetILNS1_3genE9ELNS1_11target_archE1100ELNS1_3gpuE3ELNS1_3repE0EEENS1_30default_config_static_selectorELNS0_4arch9wavefront6targetE0EEEvT1_
		.amdhsa_group_segment_fixed_size 6160
		.amdhsa_private_segment_fixed_size 0
		.amdhsa_kernarg_size 120
		.amdhsa_user_sgpr_count 15
		.amdhsa_user_sgpr_dispatch_ptr 0
		.amdhsa_user_sgpr_queue_ptr 0
		.amdhsa_user_sgpr_kernarg_segment_ptr 1
		.amdhsa_user_sgpr_dispatch_id 0
		.amdhsa_user_sgpr_private_segment_size 0
		.amdhsa_wavefront_size32 1
		.amdhsa_uses_dynamic_stack 0
		.amdhsa_enable_private_segment 0
		.amdhsa_system_sgpr_workgroup_id_x 1
		.amdhsa_system_sgpr_workgroup_id_y 0
		.amdhsa_system_sgpr_workgroup_id_z 0
		.amdhsa_system_sgpr_workgroup_info 0
		.amdhsa_system_vgpr_workitem_id 0
		.amdhsa_next_free_vgpr 57
		.amdhsa_next_free_sgpr 21
		.amdhsa_reserve_vcc 1
		.amdhsa_float_round_mode_32 0
		.amdhsa_float_round_mode_16_64 0
		.amdhsa_float_denorm_mode_32 3
		.amdhsa_float_denorm_mode_16_64 3
		.amdhsa_dx10_clamp 1
		.amdhsa_ieee_mode 1
		.amdhsa_fp16_overflow 0
		.amdhsa_workgroup_processor_mode 1
		.amdhsa_memory_ordered 1
		.amdhsa_forward_progress 0
		.amdhsa_shared_vgpr_count 0
		.amdhsa_exception_fp_ieee_invalid_op 0
		.amdhsa_exception_fp_denorm_src 0
		.amdhsa_exception_fp_ieee_div_zero 0
		.amdhsa_exception_fp_ieee_overflow 0
		.amdhsa_exception_fp_ieee_underflow 0
		.amdhsa_exception_fp_ieee_inexact 0
		.amdhsa_exception_int_div_zero 0
	.end_amdhsa_kernel
	.section	.text._ZN7rocprim17ROCPRIM_400000_NS6detail17trampoline_kernelINS0_14default_configENS1_25partition_config_selectorILNS1_17partition_subalgoE5ElNS0_10empty_typeEbEEZZNS1_14partition_implILS5_5ELb0ES3_mN6hipcub16HIPCUB_304000_NS21CountingInputIteratorIllEEPS6_NSA_22TransformInputIteratorIbN2at6native12_GLOBAL__N_19NonZeroOpIdEEPKdlEENS0_5tupleIJPlS6_EEENSN_IJSD_SD_EEES6_PiJS6_EEE10hipError_tPvRmT3_T4_T5_T6_T7_T9_mT8_P12ihipStream_tbDpT10_ENKUlT_T0_E_clISt17integral_constantIbLb0EES1B_EEDaS16_S17_EUlS16_E_NS1_11comp_targetILNS1_3genE9ELNS1_11target_archE1100ELNS1_3gpuE3ELNS1_3repE0EEENS1_30default_config_static_selectorELNS0_4arch9wavefront6targetE0EEEvT1_,"axG",@progbits,_ZN7rocprim17ROCPRIM_400000_NS6detail17trampoline_kernelINS0_14default_configENS1_25partition_config_selectorILNS1_17partition_subalgoE5ElNS0_10empty_typeEbEEZZNS1_14partition_implILS5_5ELb0ES3_mN6hipcub16HIPCUB_304000_NS21CountingInputIteratorIllEEPS6_NSA_22TransformInputIteratorIbN2at6native12_GLOBAL__N_19NonZeroOpIdEEPKdlEENS0_5tupleIJPlS6_EEENSN_IJSD_SD_EEES6_PiJS6_EEE10hipError_tPvRmT3_T4_T5_T6_T7_T9_mT8_P12ihipStream_tbDpT10_ENKUlT_T0_E_clISt17integral_constantIbLb0EES1B_EEDaS16_S17_EUlS16_E_NS1_11comp_targetILNS1_3genE9ELNS1_11target_archE1100ELNS1_3gpuE3ELNS1_3repE0EEENS1_30default_config_static_selectorELNS0_4arch9wavefront6targetE0EEEvT1_,comdat
.Lfunc_end396:
	.size	_ZN7rocprim17ROCPRIM_400000_NS6detail17trampoline_kernelINS0_14default_configENS1_25partition_config_selectorILNS1_17partition_subalgoE5ElNS0_10empty_typeEbEEZZNS1_14partition_implILS5_5ELb0ES3_mN6hipcub16HIPCUB_304000_NS21CountingInputIteratorIllEEPS6_NSA_22TransformInputIteratorIbN2at6native12_GLOBAL__N_19NonZeroOpIdEEPKdlEENS0_5tupleIJPlS6_EEENSN_IJSD_SD_EEES6_PiJS6_EEE10hipError_tPvRmT3_T4_T5_T6_T7_T9_mT8_P12ihipStream_tbDpT10_ENKUlT_T0_E_clISt17integral_constantIbLb0EES1B_EEDaS16_S17_EUlS16_E_NS1_11comp_targetILNS1_3genE9ELNS1_11target_archE1100ELNS1_3gpuE3ELNS1_3repE0EEENS1_30default_config_static_selectorELNS0_4arch9wavefront6targetE0EEEvT1_, .Lfunc_end396-_ZN7rocprim17ROCPRIM_400000_NS6detail17trampoline_kernelINS0_14default_configENS1_25partition_config_selectorILNS1_17partition_subalgoE5ElNS0_10empty_typeEbEEZZNS1_14partition_implILS5_5ELb0ES3_mN6hipcub16HIPCUB_304000_NS21CountingInputIteratorIllEEPS6_NSA_22TransformInputIteratorIbN2at6native12_GLOBAL__N_19NonZeroOpIdEEPKdlEENS0_5tupleIJPlS6_EEENSN_IJSD_SD_EEES6_PiJS6_EEE10hipError_tPvRmT3_T4_T5_T6_T7_T9_mT8_P12ihipStream_tbDpT10_ENKUlT_T0_E_clISt17integral_constantIbLb0EES1B_EEDaS16_S17_EUlS16_E_NS1_11comp_targetILNS1_3genE9ELNS1_11target_archE1100ELNS1_3gpuE3ELNS1_3repE0EEENS1_30default_config_static_selectorELNS0_4arch9wavefront6targetE0EEEvT1_
                                        ; -- End function
	.section	.AMDGPU.csdata,"",@progbits
; Kernel info:
; codeLenInByte = 6424
; NumSgprs: 23
; NumVgprs: 57
; ScratchSize: 0
; MemoryBound: 0
; FloatMode: 240
; IeeeMode: 1
; LDSByteSize: 6160 bytes/workgroup (compile time only)
; SGPRBlocks: 2
; VGPRBlocks: 7
; NumSGPRsForWavesPerEU: 23
; NumVGPRsForWavesPerEU: 57
; Occupancy: 16
; WaveLimiterHint : 1
; COMPUTE_PGM_RSRC2:SCRATCH_EN: 0
; COMPUTE_PGM_RSRC2:USER_SGPR: 15
; COMPUTE_PGM_RSRC2:TRAP_HANDLER: 0
; COMPUTE_PGM_RSRC2:TGID_X_EN: 1
; COMPUTE_PGM_RSRC2:TGID_Y_EN: 0
; COMPUTE_PGM_RSRC2:TGID_Z_EN: 0
; COMPUTE_PGM_RSRC2:TIDIG_COMP_CNT: 0
	.section	.text._ZN7rocprim17ROCPRIM_400000_NS6detail17trampoline_kernelINS0_14default_configENS1_25partition_config_selectorILNS1_17partition_subalgoE5ElNS0_10empty_typeEbEEZZNS1_14partition_implILS5_5ELb0ES3_mN6hipcub16HIPCUB_304000_NS21CountingInputIteratorIllEEPS6_NSA_22TransformInputIteratorIbN2at6native12_GLOBAL__N_19NonZeroOpIdEEPKdlEENS0_5tupleIJPlS6_EEENSN_IJSD_SD_EEES6_PiJS6_EEE10hipError_tPvRmT3_T4_T5_T6_T7_T9_mT8_P12ihipStream_tbDpT10_ENKUlT_T0_E_clISt17integral_constantIbLb0EES1B_EEDaS16_S17_EUlS16_E_NS1_11comp_targetILNS1_3genE8ELNS1_11target_archE1030ELNS1_3gpuE2ELNS1_3repE0EEENS1_30default_config_static_selectorELNS0_4arch9wavefront6targetE0EEEvT1_,"axG",@progbits,_ZN7rocprim17ROCPRIM_400000_NS6detail17trampoline_kernelINS0_14default_configENS1_25partition_config_selectorILNS1_17partition_subalgoE5ElNS0_10empty_typeEbEEZZNS1_14partition_implILS5_5ELb0ES3_mN6hipcub16HIPCUB_304000_NS21CountingInputIteratorIllEEPS6_NSA_22TransformInputIteratorIbN2at6native12_GLOBAL__N_19NonZeroOpIdEEPKdlEENS0_5tupleIJPlS6_EEENSN_IJSD_SD_EEES6_PiJS6_EEE10hipError_tPvRmT3_T4_T5_T6_T7_T9_mT8_P12ihipStream_tbDpT10_ENKUlT_T0_E_clISt17integral_constantIbLb0EES1B_EEDaS16_S17_EUlS16_E_NS1_11comp_targetILNS1_3genE8ELNS1_11target_archE1030ELNS1_3gpuE2ELNS1_3repE0EEENS1_30default_config_static_selectorELNS0_4arch9wavefront6targetE0EEEvT1_,comdat
	.globl	_ZN7rocprim17ROCPRIM_400000_NS6detail17trampoline_kernelINS0_14default_configENS1_25partition_config_selectorILNS1_17partition_subalgoE5ElNS0_10empty_typeEbEEZZNS1_14partition_implILS5_5ELb0ES3_mN6hipcub16HIPCUB_304000_NS21CountingInputIteratorIllEEPS6_NSA_22TransformInputIteratorIbN2at6native12_GLOBAL__N_19NonZeroOpIdEEPKdlEENS0_5tupleIJPlS6_EEENSN_IJSD_SD_EEES6_PiJS6_EEE10hipError_tPvRmT3_T4_T5_T6_T7_T9_mT8_P12ihipStream_tbDpT10_ENKUlT_T0_E_clISt17integral_constantIbLb0EES1B_EEDaS16_S17_EUlS16_E_NS1_11comp_targetILNS1_3genE8ELNS1_11target_archE1030ELNS1_3gpuE2ELNS1_3repE0EEENS1_30default_config_static_selectorELNS0_4arch9wavefront6targetE0EEEvT1_ ; -- Begin function _ZN7rocprim17ROCPRIM_400000_NS6detail17trampoline_kernelINS0_14default_configENS1_25partition_config_selectorILNS1_17partition_subalgoE5ElNS0_10empty_typeEbEEZZNS1_14partition_implILS5_5ELb0ES3_mN6hipcub16HIPCUB_304000_NS21CountingInputIteratorIllEEPS6_NSA_22TransformInputIteratorIbN2at6native12_GLOBAL__N_19NonZeroOpIdEEPKdlEENS0_5tupleIJPlS6_EEENSN_IJSD_SD_EEES6_PiJS6_EEE10hipError_tPvRmT3_T4_T5_T6_T7_T9_mT8_P12ihipStream_tbDpT10_ENKUlT_T0_E_clISt17integral_constantIbLb0EES1B_EEDaS16_S17_EUlS16_E_NS1_11comp_targetILNS1_3genE8ELNS1_11target_archE1030ELNS1_3gpuE2ELNS1_3repE0EEENS1_30default_config_static_selectorELNS0_4arch9wavefront6targetE0EEEvT1_
	.p2align	8
	.type	_ZN7rocprim17ROCPRIM_400000_NS6detail17trampoline_kernelINS0_14default_configENS1_25partition_config_selectorILNS1_17partition_subalgoE5ElNS0_10empty_typeEbEEZZNS1_14partition_implILS5_5ELb0ES3_mN6hipcub16HIPCUB_304000_NS21CountingInputIteratorIllEEPS6_NSA_22TransformInputIteratorIbN2at6native12_GLOBAL__N_19NonZeroOpIdEEPKdlEENS0_5tupleIJPlS6_EEENSN_IJSD_SD_EEES6_PiJS6_EEE10hipError_tPvRmT3_T4_T5_T6_T7_T9_mT8_P12ihipStream_tbDpT10_ENKUlT_T0_E_clISt17integral_constantIbLb0EES1B_EEDaS16_S17_EUlS16_E_NS1_11comp_targetILNS1_3genE8ELNS1_11target_archE1030ELNS1_3gpuE2ELNS1_3repE0EEENS1_30default_config_static_selectorELNS0_4arch9wavefront6targetE0EEEvT1_,@function
_ZN7rocprim17ROCPRIM_400000_NS6detail17trampoline_kernelINS0_14default_configENS1_25partition_config_selectorILNS1_17partition_subalgoE5ElNS0_10empty_typeEbEEZZNS1_14partition_implILS5_5ELb0ES3_mN6hipcub16HIPCUB_304000_NS21CountingInputIteratorIllEEPS6_NSA_22TransformInputIteratorIbN2at6native12_GLOBAL__N_19NonZeroOpIdEEPKdlEENS0_5tupleIJPlS6_EEENSN_IJSD_SD_EEES6_PiJS6_EEE10hipError_tPvRmT3_T4_T5_T6_T7_T9_mT8_P12ihipStream_tbDpT10_ENKUlT_T0_E_clISt17integral_constantIbLb0EES1B_EEDaS16_S17_EUlS16_E_NS1_11comp_targetILNS1_3genE8ELNS1_11target_archE1030ELNS1_3gpuE2ELNS1_3repE0EEENS1_30default_config_static_selectorELNS0_4arch9wavefront6targetE0EEEvT1_: ; @_ZN7rocprim17ROCPRIM_400000_NS6detail17trampoline_kernelINS0_14default_configENS1_25partition_config_selectorILNS1_17partition_subalgoE5ElNS0_10empty_typeEbEEZZNS1_14partition_implILS5_5ELb0ES3_mN6hipcub16HIPCUB_304000_NS21CountingInputIteratorIllEEPS6_NSA_22TransformInputIteratorIbN2at6native12_GLOBAL__N_19NonZeroOpIdEEPKdlEENS0_5tupleIJPlS6_EEENSN_IJSD_SD_EEES6_PiJS6_EEE10hipError_tPvRmT3_T4_T5_T6_T7_T9_mT8_P12ihipStream_tbDpT10_ENKUlT_T0_E_clISt17integral_constantIbLb0EES1B_EEDaS16_S17_EUlS16_E_NS1_11comp_targetILNS1_3genE8ELNS1_11target_archE1030ELNS1_3gpuE2ELNS1_3repE0EEENS1_30default_config_static_selectorELNS0_4arch9wavefront6targetE0EEEvT1_
; %bb.0:
	.section	.rodata,"a",@progbits
	.p2align	6, 0x0
	.amdhsa_kernel _ZN7rocprim17ROCPRIM_400000_NS6detail17trampoline_kernelINS0_14default_configENS1_25partition_config_selectorILNS1_17partition_subalgoE5ElNS0_10empty_typeEbEEZZNS1_14partition_implILS5_5ELb0ES3_mN6hipcub16HIPCUB_304000_NS21CountingInputIteratorIllEEPS6_NSA_22TransformInputIteratorIbN2at6native12_GLOBAL__N_19NonZeroOpIdEEPKdlEENS0_5tupleIJPlS6_EEENSN_IJSD_SD_EEES6_PiJS6_EEE10hipError_tPvRmT3_T4_T5_T6_T7_T9_mT8_P12ihipStream_tbDpT10_ENKUlT_T0_E_clISt17integral_constantIbLb0EES1B_EEDaS16_S17_EUlS16_E_NS1_11comp_targetILNS1_3genE8ELNS1_11target_archE1030ELNS1_3gpuE2ELNS1_3repE0EEENS1_30default_config_static_selectorELNS0_4arch9wavefront6targetE0EEEvT1_
		.amdhsa_group_segment_fixed_size 0
		.amdhsa_private_segment_fixed_size 0
		.amdhsa_kernarg_size 120
		.amdhsa_user_sgpr_count 15
		.amdhsa_user_sgpr_dispatch_ptr 0
		.amdhsa_user_sgpr_queue_ptr 0
		.amdhsa_user_sgpr_kernarg_segment_ptr 1
		.amdhsa_user_sgpr_dispatch_id 0
		.amdhsa_user_sgpr_private_segment_size 0
		.amdhsa_wavefront_size32 1
		.amdhsa_uses_dynamic_stack 0
		.amdhsa_enable_private_segment 0
		.amdhsa_system_sgpr_workgroup_id_x 1
		.amdhsa_system_sgpr_workgroup_id_y 0
		.amdhsa_system_sgpr_workgroup_id_z 0
		.amdhsa_system_sgpr_workgroup_info 0
		.amdhsa_system_vgpr_workitem_id 0
		.amdhsa_next_free_vgpr 1
		.amdhsa_next_free_sgpr 1
		.amdhsa_reserve_vcc 0
		.amdhsa_float_round_mode_32 0
		.amdhsa_float_round_mode_16_64 0
		.amdhsa_float_denorm_mode_32 3
		.amdhsa_float_denorm_mode_16_64 3
		.amdhsa_dx10_clamp 1
		.amdhsa_ieee_mode 1
		.amdhsa_fp16_overflow 0
		.amdhsa_workgroup_processor_mode 1
		.amdhsa_memory_ordered 1
		.amdhsa_forward_progress 0
		.amdhsa_shared_vgpr_count 0
		.amdhsa_exception_fp_ieee_invalid_op 0
		.amdhsa_exception_fp_denorm_src 0
		.amdhsa_exception_fp_ieee_div_zero 0
		.amdhsa_exception_fp_ieee_overflow 0
		.amdhsa_exception_fp_ieee_underflow 0
		.amdhsa_exception_fp_ieee_inexact 0
		.amdhsa_exception_int_div_zero 0
	.end_amdhsa_kernel
	.section	.text._ZN7rocprim17ROCPRIM_400000_NS6detail17trampoline_kernelINS0_14default_configENS1_25partition_config_selectorILNS1_17partition_subalgoE5ElNS0_10empty_typeEbEEZZNS1_14partition_implILS5_5ELb0ES3_mN6hipcub16HIPCUB_304000_NS21CountingInputIteratorIllEEPS6_NSA_22TransformInputIteratorIbN2at6native12_GLOBAL__N_19NonZeroOpIdEEPKdlEENS0_5tupleIJPlS6_EEENSN_IJSD_SD_EEES6_PiJS6_EEE10hipError_tPvRmT3_T4_T5_T6_T7_T9_mT8_P12ihipStream_tbDpT10_ENKUlT_T0_E_clISt17integral_constantIbLb0EES1B_EEDaS16_S17_EUlS16_E_NS1_11comp_targetILNS1_3genE8ELNS1_11target_archE1030ELNS1_3gpuE2ELNS1_3repE0EEENS1_30default_config_static_selectorELNS0_4arch9wavefront6targetE0EEEvT1_,"axG",@progbits,_ZN7rocprim17ROCPRIM_400000_NS6detail17trampoline_kernelINS0_14default_configENS1_25partition_config_selectorILNS1_17partition_subalgoE5ElNS0_10empty_typeEbEEZZNS1_14partition_implILS5_5ELb0ES3_mN6hipcub16HIPCUB_304000_NS21CountingInputIteratorIllEEPS6_NSA_22TransformInputIteratorIbN2at6native12_GLOBAL__N_19NonZeroOpIdEEPKdlEENS0_5tupleIJPlS6_EEENSN_IJSD_SD_EEES6_PiJS6_EEE10hipError_tPvRmT3_T4_T5_T6_T7_T9_mT8_P12ihipStream_tbDpT10_ENKUlT_T0_E_clISt17integral_constantIbLb0EES1B_EEDaS16_S17_EUlS16_E_NS1_11comp_targetILNS1_3genE8ELNS1_11target_archE1030ELNS1_3gpuE2ELNS1_3repE0EEENS1_30default_config_static_selectorELNS0_4arch9wavefront6targetE0EEEvT1_,comdat
.Lfunc_end397:
	.size	_ZN7rocprim17ROCPRIM_400000_NS6detail17trampoline_kernelINS0_14default_configENS1_25partition_config_selectorILNS1_17partition_subalgoE5ElNS0_10empty_typeEbEEZZNS1_14partition_implILS5_5ELb0ES3_mN6hipcub16HIPCUB_304000_NS21CountingInputIteratorIllEEPS6_NSA_22TransformInputIteratorIbN2at6native12_GLOBAL__N_19NonZeroOpIdEEPKdlEENS0_5tupleIJPlS6_EEENSN_IJSD_SD_EEES6_PiJS6_EEE10hipError_tPvRmT3_T4_T5_T6_T7_T9_mT8_P12ihipStream_tbDpT10_ENKUlT_T0_E_clISt17integral_constantIbLb0EES1B_EEDaS16_S17_EUlS16_E_NS1_11comp_targetILNS1_3genE8ELNS1_11target_archE1030ELNS1_3gpuE2ELNS1_3repE0EEENS1_30default_config_static_selectorELNS0_4arch9wavefront6targetE0EEEvT1_, .Lfunc_end397-_ZN7rocprim17ROCPRIM_400000_NS6detail17trampoline_kernelINS0_14default_configENS1_25partition_config_selectorILNS1_17partition_subalgoE5ElNS0_10empty_typeEbEEZZNS1_14partition_implILS5_5ELb0ES3_mN6hipcub16HIPCUB_304000_NS21CountingInputIteratorIllEEPS6_NSA_22TransformInputIteratorIbN2at6native12_GLOBAL__N_19NonZeroOpIdEEPKdlEENS0_5tupleIJPlS6_EEENSN_IJSD_SD_EEES6_PiJS6_EEE10hipError_tPvRmT3_T4_T5_T6_T7_T9_mT8_P12ihipStream_tbDpT10_ENKUlT_T0_E_clISt17integral_constantIbLb0EES1B_EEDaS16_S17_EUlS16_E_NS1_11comp_targetILNS1_3genE8ELNS1_11target_archE1030ELNS1_3gpuE2ELNS1_3repE0EEENS1_30default_config_static_selectorELNS0_4arch9wavefront6targetE0EEEvT1_
                                        ; -- End function
	.section	.AMDGPU.csdata,"",@progbits
; Kernel info:
; codeLenInByte = 0
; NumSgprs: 0
; NumVgprs: 0
; ScratchSize: 0
; MemoryBound: 0
; FloatMode: 240
; IeeeMode: 1
; LDSByteSize: 0 bytes/workgroup (compile time only)
; SGPRBlocks: 0
; VGPRBlocks: 0
; NumSGPRsForWavesPerEU: 1
; NumVGPRsForWavesPerEU: 1
; Occupancy: 16
; WaveLimiterHint : 0
; COMPUTE_PGM_RSRC2:SCRATCH_EN: 0
; COMPUTE_PGM_RSRC2:USER_SGPR: 15
; COMPUTE_PGM_RSRC2:TRAP_HANDLER: 0
; COMPUTE_PGM_RSRC2:TGID_X_EN: 1
; COMPUTE_PGM_RSRC2:TGID_Y_EN: 0
; COMPUTE_PGM_RSRC2:TGID_Z_EN: 0
; COMPUTE_PGM_RSRC2:TIDIG_COMP_CNT: 0
	.section	.text._ZN7rocprim17ROCPRIM_400000_NS6detail17trampoline_kernelINS0_14default_configENS1_25partition_config_selectorILNS1_17partition_subalgoE5ElNS0_10empty_typeEbEEZZNS1_14partition_implILS5_5ELb0ES3_mN6hipcub16HIPCUB_304000_NS21CountingInputIteratorIllEEPS6_NSA_22TransformInputIteratorIbN2at6native12_GLOBAL__N_19NonZeroOpIdEEPKdlEENS0_5tupleIJPlS6_EEENSN_IJSD_SD_EEES6_PiJS6_EEE10hipError_tPvRmT3_T4_T5_T6_T7_T9_mT8_P12ihipStream_tbDpT10_ENKUlT_T0_E_clISt17integral_constantIbLb1EES1B_EEDaS16_S17_EUlS16_E_NS1_11comp_targetILNS1_3genE0ELNS1_11target_archE4294967295ELNS1_3gpuE0ELNS1_3repE0EEENS1_30default_config_static_selectorELNS0_4arch9wavefront6targetE0EEEvT1_,"axG",@progbits,_ZN7rocprim17ROCPRIM_400000_NS6detail17trampoline_kernelINS0_14default_configENS1_25partition_config_selectorILNS1_17partition_subalgoE5ElNS0_10empty_typeEbEEZZNS1_14partition_implILS5_5ELb0ES3_mN6hipcub16HIPCUB_304000_NS21CountingInputIteratorIllEEPS6_NSA_22TransformInputIteratorIbN2at6native12_GLOBAL__N_19NonZeroOpIdEEPKdlEENS0_5tupleIJPlS6_EEENSN_IJSD_SD_EEES6_PiJS6_EEE10hipError_tPvRmT3_T4_T5_T6_T7_T9_mT8_P12ihipStream_tbDpT10_ENKUlT_T0_E_clISt17integral_constantIbLb1EES1B_EEDaS16_S17_EUlS16_E_NS1_11comp_targetILNS1_3genE0ELNS1_11target_archE4294967295ELNS1_3gpuE0ELNS1_3repE0EEENS1_30default_config_static_selectorELNS0_4arch9wavefront6targetE0EEEvT1_,comdat
	.globl	_ZN7rocprim17ROCPRIM_400000_NS6detail17trampoline_kernelINS0_14default_configENS1_25partition_config_selectorILNS1_17partition_subalgoE5ElNS0_10empty_typeEbEEZZNS1_14partition_implILS5_5ELb0ES3_mN6hipcub16HIPCUB_304000_NS21CountingInputIteratorIllEEPS6_NSA_22TransformInputIteratorIbN2at6native12_GLOBAL__N_19NonZeroOpIdEEPKdlEENS0_5tupleIJPlS6_EEENSN_IJSD_SD_EEES6_PiJS6_EEE10hipError_tPvRmT3_T4_T5_T6_T7_T9_mT8_P12ihipStream_tbDpT10_ENKUlT_T0_E_clISt17integral_constantIbLb1EES1B_EEDaS16_S17_EUlS16_E_NS1_11comp_targetILNS1_3genE0ELNS1_11target_archE4294967295ELNS1_3gpuE0ELNS1_3repE0EEENS1_30default_config_static_selectorELNS0_4arch9wavefront6targetE0EEEvT1_ ; -- Begin function _ZN7rocprim17ROCPRIM_400000_NS6detail17trampoline_kernelINS0_14default_configENS1_25partition_config_selectorILNS1_17partition_subalgoE5ElNS0_10empty_typeEbEEZZNS1_14partition_implILS5_5ELb0ES3_mN6hipcub16HIPCUB_304000_NS21CountingInputIteratorIllEEPS6_NSA_22TransformInputIteratorIbN2at6native12_GLOBAL__N_19NonZeroOpIdEEPKdlEENS0_5tupleIJPlS6_EEENSN_IJSD_SD_EEES6_PiJS6_EEE10hipError_tPvRmT3_T4_T5_T6_T7_T9_mT8_P12ihipStream_tbDpT10_ENKUlT_T0_E_clISt17integral_constantIbLb1EES1B_EEDaS16_S17_EUlS16_E_NS1_11comp_targetILNS1_3genE0ELNS1_11target_archE4294967295ELNS1_3gpuE0ELNS1_3repE0EEENS1_30default_config_static_selectorELNS0_4arch9wavefront6targetE0EEEvT1_
	.p2align	8
	.type	_ZN7rocprim17ROCPRIM_400000_NS6detail17trampoline_kernelINS0_14default_configENS1_25partition_config_selectorILNS1_17partition_subalgoE5ElNS0_10empty_typeEbEEZZNS1_14partition_implILS5_5ELb0ES3_mN6hipcub16HIPCUB_304000_NS21CountingInputIteratorIllEEPS6_NSA_22TransformInputIteratorIbN2at6native12_GLOBAL__N_19NonZeroOpIdEEPKdlEENS0_5tupleIJPlS6_EEENSN_IJSD_SD_EEES6_PiJS6_EEE10hipError_tPvRmT3_T4_T5_T6_T7_T9_mT8_P12ihipStream_tbDpT10_ENKUlT_T0_E_clISt17integral_constantIbLb1EES1B_EEDaS16_S17_EUlS16_E_NS1_11comp_targetILNS1_3genE0ELNS1_11target_archE4294967295ELNS1_3gpuE0ELNS1_3repE0EEENS1_30default_config_static_selectorELNS0_4arch9wavefront6targetE0EEEvT1_,@function
_ZN7rocprim17ROCPRIM_400000_NS6detail17trampoline_kernelINS0_14default_configENS1_25partition_config_selectorILNS1_17partition_subalgoE5ElNS0_10empty_typeEbEEZZNS1_14partition_implILS5_5ELb0ES3_mN6hipcub16HIPCUB_304000_NS21CountingInputIteratorIllEEPS6_NSA_22TransformInputIteratorIbN2at6native12_GLOBAL__N_19NonZeroOpIdEEPKdlEENS0_5tupleIJPlS6_EEENSN_IJSD_SD_EEES6_PiJS6_EEE10hipError_tPvRmT3_T4_T5_T6_T7_T9_mT8_P12ihipStream_tbDpT10_ENKUlT_T0_E_clISt17integral_constantIbLb1EES1B_EEDaS16_S17_EUlS16_E_NS1_11comp_targetILNS1_3genE0ELNS1_11target_archE4294967295ELNS1_3gpuE0ELNS1_3repE0EEENS1_30default_config_static_selectorELNS0_4arch9wavefront6targetE0EEEvT1_: ; @_ZN7rocprim17ROCPRIM_400000_NS6detail17trampoline_kernelINS0_14default_configENS1_25partition_config_selectorILNS1_17partition_subalgoE5ElNS0_10empty_typeEbEEZZNS1_14partition_implILS5_5ELb0ES3_mN6hipcub16HIPCUB_304000_NS21CountingInputIteratorIllEEPS6_NSA_22TransformInputIteratorIbN2at6native12_GLOBAL__N_19NonZeroOpIdEEPKdlEENS0_5tupleIJPlS6_EEENSN_IJSD_SD_EEES6_PiJS6_EEE10hipError_tPvRmT3_T4_T5_T6_T7_T9_mT8_P12ihipStream_tbDpT10_ENKUlT_T0_E_clISt17integral_constantIbLb1EES1B_EEDaS16_S17_EUlS16_E_NS1_11comp_targetILNS1_3genE0ELNS1_11target_archE4294967295ELNS1_3gpuE0ELNS1_3repE0EEENS1_30default_config_static_selectorELNS0_4arch9wavefront6targetE0EEEvT1_
; %bb.0:
	.section	.rodata,"a",@progbits
	.p2align	6, 0x0
	.amdhsa_kernel _ZN7rocprim17ROCPRIM_400000_NS6detail17trampoline_kernelINS0_14default_configENS1_25partition_config_selectorILNS1_17partition_subalgoE5ElNS0_10empty_typeEbEEZZNS1_14partition_implILS5_5ELb0ES3_mN6hipcub16HIPCUB_304000_NS21CountingInputIteratorIllEEPS6_NSA_22TransformInputIteratorIbN2at6native12_GLOBAL__N_19NonZeroOpIdEEPKdlEENS0_5tupleIJPlS6_EEENSN_IJSD_SD_EEES6_PiJS6_EEE10hipError_tPvRmT3_T4_T5_T6_T7_T9_mT8_P12ihipStream_tbDpT10_ENKUlT_T0_E_clISt17integral_constantIbLb1EES1B_EEDaS16_S17_EUlS16_E_NS1_11comp_targetILNS1_3genE0ELNS1_11target_archE4294967295ELNS1_3gpuE0ELNS1_3repE0EEENS1_30default_config_static_selectorELNS0_4arch9wavefront6targetE0EEEvT1_
		.amdhsa_group_segment_fixed_size 0
		.amdhsa_private_segment_fixed_size 0
		.amdhsa_kernarg_size 136
		.amdhsa_user_sgpr_count 15
		.amdhsa_user_sgpr_dispatch_ptr 0
		.amdhsa_user_sgpr_queue_ptr 0
		.amdhsa_user_sgpr_kernarg_segment_ptr 1
		.amdhsa_user_sgpr_dispatch_id 0
		.amdhsa_user_sgpr_private_segment_size 0
		.amdhsa_wavefront_size32 1
		.amdhsa_uses_dynamic_stack 0
		.amdhsa_enable_private_segment 0
		.amdhsa_system_sgpr_workgroup_id_x 1
		.amdhsa_system_sgpr_workgroup_id_y 0
		.amdhsa_system_sgpr_workgroup_id_z 0
		.amdhsa_system_sgpr_workgroup_info 0
		.amdhsa_system_vgpr_workitem_id 0
		.amdhsa_next_free_vgpr 1
		.amdhsa_next_free_sgpr 1
		.amdhsa_reserve_vcc 0
		.amdhsa_float_round_mode_32 0
		.amdhsa_float_round_mode_16_64 0
		.amdhsa_float_denorm_mode_32 3
		.amdhsa_float_denorm_mode_16_64 3
		.amdhsa_dx10_clamp 1
		.amdhsa_ieee_mode 1
		.amdhsa_fp16_overflow 0
		.amdhsa_workgroup_processor_mode 1
		.amdhsa_memory_ordered 1
		.amdhsa_forward_progress 0
		.amdhsa_shared_vgpr_count 0
		.amdhsa_exception_fp_ieee_invalid_op 0
		.amdhsa_exception_fp_denorm_src 0
		.amdhsa_exception_fp_ieee_div_zero 0
		.amdhsa_exception_fp_ieee_overflow 0
		.amdhsa_exception_fp_ieee_underflow 0
		.amdhsa_exception_fp_ieee_inexact 0
		.amdhsa_exception_int_div_zero 0
	.end_amdhsa_kernel
	.section	.text._ZN7rocprim17ROCPRIM_400000_NS6detail17trampoline_kernelINS0_14default_configENS1_25partition_config_selectorILNS1_17partition_subalgoE5ElNS0_10empty_typeEbEEZZNS1_14partition_implILS5_5ELb0ES3_mN6hipcub16HIPCUB_304000_NS21CountingInputIteratorIllEEPS6_NSA_22TransformInputIteratorIbN2at6native12_GLOBAL__N_19NonZeroOpIdEEPKdlEENS0_5tupleIJPlS6_EEENSN_IJSD_SD_EEES6_PiJS6_EEE10hipError_tPvRmT3_T4_T5_T6_T7_T9_mT8_P12ihipStream_tbDpT10_ENKUlT_T0_E_clISt17integral_constantIbLb1EES1B_EEDaS16_S17_EUlS16_E_NS1_11comp_targetILNS1_3genE0ELNS1_11target_archE4294967295ELNS1_3gpuE0ELNS1_3repE0EEENS1_30default_config_static_selectorELNS0_4arch9wavefront6targetE0EEEvT1_,"axG",@progbits,_ZN7rocprim17ROCPRIM_400000_NS6detail17trampoline_kernelINS0_14default_configENS1_25partition_config_selectorILNS1_17partition_subalgoE5ElNS0_10empty_typeEbEEZZNS1_14partition_implILS5_5ELb0ES3_mN6hipcub16HIPCUB_304000_NS21CountingInputIteratorIllEEPS6_NSA_22TransformInputIteratorIbN2at6native12_GLOBAL__N_19NonZeroOpIdEEPKdlEENS0_5tupleIJPlS6_EEENSN_IJSD_SD_EEES6_PiJS6_EEE10hipError_tPvRmT3_T4_T5_T6_T7_T9_mT8_P12ihipStream_tbDpT10_ENKUlT_T0_E_clISt17integral_constantIbLb1EES1B_EEDaS16_S17_EUlS16_E_NS1_11comp_targetILNS1_3genE0ELNS1_11target_archE4294967295ELNS1_3gpuE0ELNS1_3repE0EEENS1_30default_config_static_selectorELNS0_4arch9wavefront6targetE0EEEvT1_,comdat
.Lfunc_end398:
	.size	_ZN7rocprim17ROCPRIM_400000_NS6detail17trampoline_kernelINS0_14default_configENS1_25partition_config_selectorILNS1_17partition_subalgoE5ElNS0_10empty_typeEbEEZZNS1_14partition_implILS5_5ELb0ES3_mN6hipcub16HIPCUB_304000_NS21CountingInputIteratorIllEEPS6_NSA_22TransformInputIteratorIbN2at6native12_GLOBAL__N_19NonZeroOpIdEEPKdlEENS0_5tupleIJPlS6_EEENSN_IJSD_SD_EEES6_PiJS6_EEE10hipError_tPvRmT3_T4_T5_T6_T7_T9_mT8_P12ihipStream_tbDpT10_ENKUlT_T0_E_clISt17integral_constantIbLb1EES1B_EEDaS16_S17_EUlS16_E_NS1_11comp_targetILNS1_3genE0ELNS1_11target_archE4294967295ELNS1_3gpuE0ELNS1_3repE0EEENS1_30default_config_static_selectorELNS0_4arch9wavefront6targetE0EEEvT1_, .Lfunc_end398-_ZN7rocprim17ROCPRIM_400000_NS6detail17trampoline_kernelINS0_14default_configENS1_25partition_config_selectorILNS1_17partition_subalgoE5ElNS0_10empty_typeEbEEZZNS1_14partition_implILS5_5ELb0ES3_mN6hipcub16HIPCUB_304000_NS21CountingInputIteratorIllEEPS6_NSA_22TransformInputIteratorIbN2at6native12_GLOBAL__N_19NonZeroOpIdEEPKdlEENS0_5tupleIJPlS6_EEENSN_IJSD_SD_EEES6_PiJS6_EEE10hipError_tPvRmT3_T4_T5_T6_T7_T9_mT8_P12ihipStream_tbDpT10_ENKUlT_T0_E_clISt17integral_constantIbLb1EES1B_EEDaS16_S17_EUlS16_E_NS1_11comp_targetILNS1_3genE0ELNS1_11target_archE4294967295ELNS1_3gpuE0ELNS1_3repE0EEENS1_30default_config_static_selectorELNS0_4arch9wavefront6targetE0EEEvT1_
                                        ; -- End function
	.section	.AMDGPU.csdata,"",@progbits
; Kernel info:
; codeLenInByte = 0
; NumSgprs: 0
; NumVgprs: 0
; ScratchSize: 0
; MemoryBound: 0
; FloatMode: 240
; IeeeMode: 1
; LDSByteSize: 0 bytes/workgroup (compile time only)
; SGPRBlocks: 0
; VGPRBlocks: 0
; NumSGPRsForWavesPerEU: 1
; NumVGPRsForWavesPerEU: 1
; Occupancy: 16
; WaveLimiterHint : 0
; COMPUTE_PGM_RSRC2:SCRATCH_EN: 0
; COMPUTE_PGM_RSRC2:USER_SGPR: 15
; COMPUTE_PGM_RSRC2:TRAP_HANDLER: 0
; COMPUTE_PGM_RSRC2:TGID_X_EN: 1
; COMPUTE_PGM_RSRC2:TGID_Y_EN: 0
; COMPUTE_PGM_RSRC2:TGID_Z_EN: 0
; COMPUTE_PGM_RSRC2:TIDIG_COMP_CNT: 0
	.section	.text._ZN7rocprim17ROCPRIM_400000_NS6detail17trampoline_kernelINS0_14default_configENS1_25partition_config_selectorILNS1_17partition_subalgoE5ElNS0_10empty_typeEbEEZZNS1_14partition_implILS5_5ELb0ES3_mN6hipcub16HIPCUB_304000_NS21CountingInputIteratorIllEEPS6_NSA_22TransformInputIteratorIbN2at6native12_GLOBAL__N_19NonZeroOpIdEEPKdlEENS0_5tupleIJPlS6_EEENSN_IJSD_SD_EEES6_PiJS6_EEE10hipError_tPvRmT3_T4_T5_T6_T7_T9_mT8_P12ihipStream_tbDpT10_ENKUlT_T0_E_clISt17integral_constantIbLb1EES1B_EEDaS16_S17_EUlS16_E_NS1_11comp_targetILNS1_3genE5ELNS1_11target_archE942ELNS1_3gpuE9ELNS1_3repE0EEENS1_30default_config_static_selectorELNS0_4arch9wavefront6targetE0EEEvT1_,"axG",@progbits,_ZN7rocprim17ROCPRIM_400000_NS6detail17trampoline_kernelINS0_14default_configENS1_25partition_config_selectorILNS1_17partition_subalgoE5ElNS0_10empty_typeEbEEZZNS1_14partition_implILS5_5ELb0ES3_mN6hipcub16HIPCUB_304000_NS21CountingInputIteratorIllEEPS6_NSA_22TransformInputIteratorIbN2at6native12_GLOBAL__N_19NonZeroOpIdEEPKdlEENS0_5tupleIJPlS6_EEENSN_IJSD_SD_EEES6_PiJS6_EEE10hipError_tPvRmT3_T4_T5_T6_T7_T9_mT8_P12ihipStream_tbDpT10_ENKUlT_T0_E_clISt17integral_constantIbLb1EES1B_EEDaS16_S17_EUlS16_E_NS1_11comp_targetILNS1_3genE5ELNS1_11target_archE942ELNS1_3gpuE9ELNS1_3repE0EEENS1_30default_config_static_selectorELNS0_4arch9wavefront6targetE0EEEvT1_,comdat
	.globl	_ZN7rocprim17ROCPRIM_400000_NS6detail17trampoline_kernelINS0_14default_configENS1_25partition_config_selectorILNS1_17partition_subalgoE5ElNS0_10empty_typeEbEEZZNS1_14partition_implILS5_5ELb0ES3_mN6hipcub16HIPCUB_304000_NS21CountingInputIteratorIllEEPS6_NSA_22TransformInputIteratorIbN2at6native12_GLOBAL__N_19NonZeroOpIdEEPKdlEENS0_5tupleIJPlS6_EEENSN_IJSD_SD_EEES6_PiJS6_EEE10hipError_tPvRmT3_T4_T5_T6_T7_T9_mT8_P12ihipStream_tbDpT10_ENKUlT_T0_E_clISt17integral_constantIbLb1EES1B_EEDaS16_S17_EUlS16_E_NS1_11comp_targetILNS1_3genE5ELNS1_11target_archE942ELNS1_3gpuE9ELNS1_3repE0EEENS1_30default_config_static_selectorELNS0_4arch9wavefront6targetE0EEEvT1_ ; -- Begin function _ZN7rocprim17ROCPRIM_400000_NS6detail17trampoline_kernelINS0_14default_configENS1_25partition_config_selectorILNS1_17partition_subalgoE5ElNS0_10empty_typeEbEEZZNS1_14partition_implILS5_5ELb0ES3_mN6hipcub16HIPCUB_304000_NS21CountingInputIteratorIllEEPS6_NSA_22TransformInputIteratorIbN2at6native12_GLOBAL__N_19NonZeroOpIdEEPKdlEENS0_5tupleIJPlS6_EEENSN_IJSD_SD_EEES6_PiJS6_EEE10hipError_tPvRmT3_T4_T5_T6_T7_T9_mT8_P12ihipStream_tbDpT10_ENKUlT_T0_E_clISt17integral_constantIbLb1EES1B_EEDaS16_S17_EUlS16_E_NS1_11comp_targetILNS1_3genE5ELNS1_11target_archE942ELNS1_3gpuE9ELNS1_3repE0EEENS1_30default_config_static_selectorELNS0_4arch9wavefront6targetE0EEEvT1_
	.p2align	8
	.type	_ZN7rocprim17ROCPRIM_400000_NS6detail17trampoline_kernelINS0_14default_configENS1_25partition_config_selectorILNS1_17partition_subalgoE5ElNS0_10empty_typeEbEEZZNS1_14partition_implILS5_5ELb0ES3_mN6hipcub16HIPCUB_304000_NS21CountingInputIteratorIllEEPS6_NSA_22TransformInputIteratorIbN2at6native12_GLOBAL__N_19NonZeroOpIdEEPKdlEENS0_5tupleIJPlS6_EEENSN_IJSD_SD_EEES6_PiJS6_EEE10hipError_tPvRmT3_T4_T5_T6_T7_T9_mT8_P12ihipStream_tbDpT10_ENKUlT_T0_E_clISt17integral_constantIbLb1EES1B_EEDaS16_S17_EUlS16_E_NS1_11comp_targetILNS1_3genE5ELNS1_11target_archE942ELNS1_3gpuE9ELNS1_3repE0EEENS1_30default_config_static_selectorELNS0_4arch9wavefront6targetE0EEEvT1_,@function
_ZN7rocprim17ROCPRIM_400000_NS6detail17trampoline_kernelINS0_14default_configENS1_25partition_config_selectorILNS1_17partition_subalgoE5ElNS0_10empty_typeEbEEZZNS1_14partition_implILS5_5ELb0ES3_mN6hipcub16HIPCUB_304000_NS21CountingInputIteratorIllEEPS6_NSA_22TransformInputIteratorIbN2at6native12_GLOBAL__N_19NonZeroOpIdEEPKdlEENS0_5tupleIJPlS6_EEENSN_IJSD_SD_EEES6_PiJS6_EEE10hipError_tPvRmT3_T4_T5_T6_T7_T9_mT8_P12ihipStream_tbDpT10_ENKUlT_T0_E_clISt17integral_constantIbLb1EES1B_EEDaS16_S17_EUlS16_E_NS1_11comp_targetILNS1_3genE5ELNS1_11target_archE942ELNS1_3gpuE9ELNS1_3repE0EEENS1_30default_config_static_selectorELNS0_4arch9wavefront6targetE0EEEvT1_: ; @_ZN7rocprim17ROCPRIM_400000_NS6detail17trampoline_kernelINS0_14default_configENS1_25partition_config_selectorILNS1_17partition_subalgoE5ElNS0_10empty_typeEbEEZZNS1_14partition_implILS5_5ELb0ES3_mN6hipcub16HIPCUB_304000_NS21CountingInputIteratorIllEEPS6_NSA_22TransformInputIteratorIbN2at6native12_GLOBAL__N_19NonZeroOpIdEEPKdlEENS0_5tupleIJPlS6_EEENSN_IJSD_SD_EEES6_PiJS6_EEE10hipError_tPvRmT3_T4_T5_T6_T7_T9_mT8_P12ihipStream_tbDpT10_ENKUlT_T0_E_clISt17integral_constantIbLb1EES1B_EEDaS16_S17_EUlS16_E_NS1_11comp_targetILNS1_3genE5ELNS1_11target_archE942ELNS1_3gpuE9ELNS1_3repE0EEENS1_30default_config_static_selectorELNS0_4arch9wavefront6targetE0EEEvT1_
; %bb.0:
	.section	.rodata,"a",@progbits
	.p2align	6, 0x0
	.amdhsa_kernel _ZN7rocprim17ROCPRIM_400000_NS6detail17trampoline_kernelINS0_14default_configENS1_25partition_config_selectorILNS1_17partition_subalgoE5ElNS0_10empty_typeEbEEZZNS1_14partition_implILS5_5ELb0ES3_mN6hipcub16HIPCUB_304000_NS21CountingInputIteratorIllEEPS6_NSA_22TransformInputIteratorIbN2at6native12_GLOBAL__N_19NonZeroOpIdEEPKdlEENS0_5tupleIJPlS6_EEENSN_IJSD_SD_EEES6_PiJS6_EEE10hipError_tPvRmT3_T4_T5_T6_T7_T9_mT8_P12ihipStream_tbDpT10_ENKUlT_T0_E_clISt17integral_constantIbLb1EES1B_EEDaS16_S17_EUlS16_E_NS1_11comp_targetILNS1_3genE5ELNS1_11target_archE942ELNS1_3gpuE9ELNS1_3repE0EEENS1_30default_config_static_selectorELNS0_4arch9wavefront6targetE0EEEvT1_
		.amdhsa_group_segment_fixed_size 0
		.amdhsa_private_segment_fixed_size 0
		.amdhsa_kernarg_size 136
		.amdhsa_user_sgpr_count 15
		.amdhsa_user_sgpr_dispatch_ptr 0
		.amdhsa_user_sgpr_queue_ptr 0
		.amdhsa_user_sgpr_kernarg_segment_ptr 1
		.amdhsa_user_sgpr_dispatch_id 0
		.amdhsa_user_sgpr_private_segment_size 0
		.amdhsa_wavefront_size32 1
		.amdhsa_uses_dynamic_stack 0
		.amdhsa_enable_private_segment 0
		.amdhsa_system_sgpr_workgroup_id_x 1
		.amdhsa_system_sgpr_workgroup_id_y 0
		.amdhsa_system_sgpr_workgroup_id_z 0
		.amdhsa_system_sgpr_workgroup_info 0
		.amdhsa_system_vgpr_workitem_id 0
		.amdhsa_next_free_vgpr 1
		.amdhsa_next_free_sgpr 1
		.amdhsa_reserve_vcc 0
		.amdhsa_float_round_mode_32 0
		.amdhsa_float_round_mode_16_64 0
		.amdhsa_float_denorm_mode_32 3
		.amdhsa_float_denorm_mode_16_64 3
		.amdhsa_dx10_clamp 1
		.amdhsa_ieee_mode 1
		.amdhsa_fp16_overflow 0
		.amdhsa_workgroup_processor_mode 1
		.amdhsa_memory_ordered 1
		.amdhsa_forward_progress 0
		.amdhsa_shared_vgpr_count 0
		.amdhsa_exception_fp_ieee_invalid_op 0
		.amdhsa_exception_fp_denorm_src 0
		.amdhsa_exception_fp_ieee_div_zero 0
		.amdhsa_exception_fp_ieee_overflow 0
		.amdhsa_exception_fp_ieee_underflow 0
		.amdhsa_exception_fp_ieee_inexact 0
		.amdhsa_exception_int_div_zero 0
	.end_amdhsa_kernel
	.section	.text._ZN7rocprim17ROCPRIM_400000_NS6detail17trampoline_kernelINS0_14default_configENS1_25partition_config_selectorILNS1_17partition_subalgoE5ElNS0_10empty_typeEbEEZZNS1_14partition_implILS5_5ELb0ES3_mN6hipcub16HIPCUB_304000_NS21CountingInputIteratorIllEEPS6_NSA_22TransformInputIteratorIbN2at6native12_GLOBAL__N_19NonZeroOpIdEEPKdlEENS0_5tupleIJPlS6_EEENSN_IJSD_SD_EEES6_PiJS6_EEE10hipError_tPvRmT3_T4_T5_T6_T7_T9_mT8_P12ihipStream_tbDpT10_ENKUlT_T0_E_clISt17integral_constantIbLb1EES1B_EEDaS16_S17_EUlS16_E_NS1_11comp_targetILNS1_3genE5ELNS1_11target_archE942ELNS1_3gpuE9ELNS1_3repE0EEENS1_30default_config_static_selectorELNS0_4arch9wavefront6targetE0EEEvT1_,"axG",@progbits,_ZN7rocprim17ROCPRIM_400000_NS6detail17trampoline_kernelINS0_14default_configENS1_25partition_config_selectorILNS1_17partition_subalgoE5ElNS0_10empty_typeEbEEZZNS1_14partition_implILS5_5ELb0ES3_mN6hipcub16HIPCUB_304000_NS21CountingInputIteratorIllEEPS6_NSA_22TransformInputIteratorIbN2at6native12_GLOBAL__N_19NonZeroOpIdEEPKdlEENS0_5tupleIJPlS6_EEENSN_IJSD_SD_EEES6_PiJS6_EEE10hipError_tPvRmT3_T4_T5_T6_T7_T9_mT8_P12ihipStream_tbDpT10_ENKUlT_T0_E_clISt17integral_constantIbLb1EES1B_EEDaS16_S17_EUlS16_E_NS1_11comp_targetILNS1_3genE5ELNS1_11target_archE942ELNS1_3gpuE9ELNS1_3repE0EEENS1_30default_config_static_selectorELNS0_4arch9wavefront6targetE0EEEvT1_,comdat
.Lfunc_end399:
	.size	_ZN7rocprim17ROCPRIM_400000_NS6detail17trampoline_kernelINS0_14default_configENS1_25partition_config_selectorILNS1_17partition_subalgoE5ElNS0_10empty_typeEbEEZZNS1_14partition_implILS5_5ELb0ES3_mN6hipcub16HIPCUB_304000_NS21CountingInputIteratorIllEEPS6_NSA_22TransformInputIteratorIbN2at6native12_GLOBAL__N_19NonZeroOpIdEEPKdlEENS0_5tupleIJPlS6_EEENSN_IJSD_SD_EEES6_PiJS6_EEE10hipError_tPvRmT3_T4_T5_T6_T7_T9_mT8_P12ihipStream_tbDpT10_ENKUlT_T0_E_clISt17integral_constantIbLb1EES1B_EEDaS16_S17_EUlS16_E_NS1_11comp_targetILNS1_3genE5ELNS1_11target_archE942ELNS1_3gpuE9ELNS1_3repE0EEENS1_30default_config_static_selectorELNS0_4arch9wavefront6targetE0EEEvT1_, .Lfunc_end399-_ZN7rocprim17ROCPRIM_400000_NS6detail17trampoline_kernelINS0_14default_configENS1_25partition_config_selectorILNS1_17partition_subalgoE5ElNS0_10empty_typeEbEEZZNS1_14partition_implILS5_5ELb0ES3_mN6hipcub16HIPCUB_304000_NS21CountingInputIteratorIllEEPS6_NSA_22TransformInputIteratorIbN2at6native12_GLOBAL__N_19NonZeroOpIdEEPKdlEENS0_5tupleIJPlS6_EEENSN_IJSD_SD_EEES6_PiJS6_EEE10hipError_tPvRmT3_T4_T5_T6_T7_T9_mT8_P12ihipStream_tbDpT10_ENKUlT_T0_E_clISt17integral_constantIbLb1EES1B_EEDaS16_S17_EUlS16_E_NS1_11comp_targetILNS1_3genE5ELNS1_11target_archE942ELNS1_3gpuE9ELNS1_3repE0EEENS1_30default_config_static_selectorELNS0_4arch9wavefront6targetE0EEEvT1_
                                        ; -- End function
	.section	.AMDGPU.csdata,"",@progbits
; Kernel info:
; codeLenInByte = 0
; NumSgprs: 0
; NumVgprs: 0
; ScratchSize: 0
; MemoryBound: 0
; FloatMode: 240
; IeeeMode: 1
; LDSByteSize: 0 bytes/workgroup (compile time only)
; SGPRBlocks: 0
; VGPRBlocks: 0
; NumSGPRsForWavesPerEU: 1
; NumVGPRsForWavesPerEU: 1
; Occupancy: 16
; WaveLimiterHint : 0
; COMPUTE_PGM_RSRC2:SCRATCH_EN: 0
; COMPUTE_PGM_RSRC2:USER_SGPR: 15
; COMPUTE_PGM_RSRC2:TRAP_HANDLER: 0
; COMPUTE_PGM_RSRC2:TGID_X_EN: 1
; COMPUTE_PGM_RSRC2:TGID_Y_EN: 0
; COMPUTE_PGM_RSRC2:TGID_Z_EN: 0
; COMPUTE_PGM_RSRC2:TIDIG_COMP_CNT: 0
	.section	.text._ZN7rocprim17ROCPRIM_400000_NS6detail17trampoline_kernelINS0_14default_configENS1_25partition_config_selectorILNS1_17partition_subalgoE5ElNS0_10empty_typeEbEEZZNS1_14partition_implILS5_5ELb0ES3_mN6hipcub16HIPCUB_304000_NS21CountingInputIteratorIllEEPS6_NSA_22TransformInputIteratorIbN2at6native12_GLOBAL__N_19NonZeroOpIdEEPKdlEENS0_5tupleIJPlS6_EEENSN_IJSD_SD_EEES6_PiJS6_EEE10hipError_tPvRmT3_T4_T5_T6_T7_T9_mT8_P12ihipStream_tbDpT10_ENKUlT_T0_E_clISt17integral_constantIbLb1EES1B_EEDaS16_S17_EUlS16_E_NS1_11comp_targetILNS1_3genE4ELNS1_11target_archE910ELNS1_3gpuE8ELNS1_3repE0EEENS1_30default_config_static_selectorELNS0_4arch9wavefront6targetE0EEEvT1_,"axG",@progbits,_ZN7rocprim17ROCPRIM_400000_NS6detail17trampoline_kernelINS0_14default_configENS1_25partition_config_selectorILNS1_17partition_subalgoE5ElNS0_10empty_typeEbEEZZNS1_14partition_implILS5_5ELb0ES3_mN6hipcub16HIPCUB_304000_NS21CountingInputIteratorIllEEPS6_NSA_22TransformInputIteratorIbN2at6native12_GLOBAL__N_19NonZeroOpIdEEPKdlEENS0_5tupleIJPlS6_EEENSN_IJSD_SD_EEES6_PiJS6_EEE10hipError_tPvRmT3_T4_T5_T6_T7_T9_mT8_P12ihipStream_tbDpT10_ENKUlT_T0_E_clISt17integral_constantIbLb1EES1B_EEDaS16_S17_EUlS16_E_NS1_11comp_targetILNS1_3genE4ELNS1_11target_archE910ELNS1_3gpuE8ELNS1_3repE0EEENS1_30default_config_static_selectorELNS0_4arch9wavefront6targetE0EEEvT1_,comdat
	.globl	_ZN7rocprim17ROCPRIM_400000_NS6detail17trampoline_kernelINS0_14default_configENS1_25partition_config_selectorILNS1_17partition_subalgoE5ElNS0_10empty_typeEbEEZZNS1_14partition_implILS5_5ELb0ES3_mN6hipcub16HIPCUB_304000_NS21CountingInputIteratorIllEEPS6_NSA_22TransformInputIteratorIbN2at6native12_GLOBAL__N_19NonZeroOpIdEEPKdlEENS0_5tupleIJPlS6_EEENSN_IJSD_SD_EEES6_PiJS6_EEE10hipError_tPvRmT3_T4_T5_T6_T7_T9_mT8_P12ihipStream_tbDpT10_ENKUlT_T0_E_clISt17integral_constantIbLb1EES1B_EEDaS16_S17_EUlS16_E_NS1_11comp_targetILNS1_3genE4ELNS1_11target_archE910ELNS1_3gpuE8ELNS1_3repE0EEENS1_30default_config_static_selectorELNS0_4arch9wavefront6targetE0EEEvT1_ ; -- Begin function _ZN7rocprim17ROCPRIM_400000_NS6detail17trampoline_kernelINS0_14default_configENS1_25partition_config_selectorILNS1_17partition_subalgoE5ElNS0_10empty_typeEbEEZZNS1_14partition_implILS5_5ELb0ES3_mN6hipcub16HIPCUB_304000_NS21CountingInputIteratorIllEEPS6_NSA_22TransformInputIteratorIbN2at6native12_GLOBAL__N_19NonZeroOpIdEEPKdlEENS0_5tupleIJPlS6_EEENSN_IJSD_SD_EEES6_PiJS6_EEE10hipError_tPvRmT3_T4_T5_T6_T7_T9_mT8_P12ihipStream_tbDpT10_ENKUlT_T0_E_clISt17integral_constantIbLb1EES1B_EEDaS16_S17_EUlS16_E_NS1_11comp_targetILNS1_3genE4ELNS1_11target_archE910ELNS1_3gpuE8ELNS1_3repE0EEENS1_30default_config_static_selectorELNS0_4arch9wavefront6targetE0EEEvT1_
	.p2align	8
	.type	_ZN7rocprim17ROCPRIM_400000_NS6detail17trampoline_kernelINS0_14default_configENS1_25partition_config_selectorILNS1_17partition_subalgoE5ElNS0_10empty_typeEbEEZZNS1_14partition_implILS5_5ELb0ES3_mN6hipcub16HIPCUB_304000_NS21CountingInputIteratorIllEEPS6_NSA_22TransformInputIteratorIbN2at6native12_GLOBAL__N_19NonZeroOpIdEEPKdlEENS0_5tupleIJPlS6_EEENSN_IJSD_SD_EEES6_PiJS6_EEE10hipError_tPvRmT3_T4_T5_T6_T7_T9_mT8_P12ihipStream_tbDpT10_ENKUlT_T0_E_clISt17integral_constantIbLb1EES1B_EEDaS16_S17_EUlS16_E_NS1_11comp_targetILNS1_3genE4ELNS1_11target_archE910ELNS1_3gpuE8ELNS1_3repE0EEENS1_30default_config_static_selectorELNS0_4arch9wavefront6targetE0EEEvT1_,@function
_ZN7rocprim17ROCPRIM_400000_NS6detail17trampoline_kernelINS0_14default_configENS1_25partition_config_selectorILNS1_17partition_subalgoE5ElNS0_10empty_typeEbEEZZNS1_14partition_implILS5_5ELb0ES3_mN6hipcub16HIPCUB_304000_NS21CountingInputIteratorIllEEPS6_NSA_22TransformInputIteratorIbN2at6native12_GLOBAL__N_19NonZeroOpIdEEPKdlEENS0_5tupleIJPlS6_EEENSN_IJSD_SD_EEES6_PiJS6_EEE10hipError_tPvRmT3_T4_T5_T6_T7_T9_mT8_P12ihipStream_tbDpT10_ENKUlT_T0_E_clISt17integral_constantIbLb1EES1B_EEDaS16_S17_EUlS16_E_NS1_11comp_targetILNS1_3genE4ELNS1_11target_archE910ELNS1_3gpuE8ELNS1_3repE0EEENS1_30default_config_static_selectorELNS0_4arch9wavefront6targetE0EEEvT1_: ; @_ZN7rocprim17ROCPRIM_400000_NS6detail17trampoline_kernelINS0_14default_configENS1_25partition_config_selectorILNS1_17partition_subalgoE5ElNS0_10empty_typeEbEEZZNS1_14partition_implILS5_5ELb0ES3_mN6hipcub16HIPCUB_304000_NS21CountingInputIteratorIllEEPS6_NSA_22TransformInputIteratorIbN2at6native12_GLOBAL__N_19NonZeroOpIdEEPKdlEENS0_5tupleIJPlS6_EEENSN_IJSD_SD_EEES6_PiJS6_EEE10hipError_tPvRmT3_T4_T5_T6_T7_T9_mT8_P12ihipStream_tbDpT10_ENKUlT_T0_E_clISt17integral_constantIbLb1EES1B_EEDaS16_S17_EUlS16_E_NS1_11comp_targetILNS1_3genE4ELNS1_11target_archE910ELNS1_3gpuE8ELNS1_3repE0EEENS1_30default_config_static_selectorELNS0_4arch9wavefront6targetE0EEEvT1_
; %bb.0:
	.section	.rodata,"a",@progbits
	.p2align	6, 0x0
	.amdhsa_kernel _ZN7rocprim17ROCPRIM_400000_NS6detail17trampoline_kernelINS0_14default_configENS1_25partition_config_selectorILNS1_17partition_subalgoE5ElNS0_10empty_typeEbEEZZNS1_14partition_implILS5_5ELb0ES3_mN6hipcub16HIPCUB_304000_NS21CountingInputIteratorIllEEPS6_NSA_22TransformInputIteratorIbN2at6native12_GLOBAL__N_19NonZeroOpIdEEPKdlEENS0_5tupleIJPlS6_EEENSN_IJSD_SD_EEES6_PiJS6_EEE10hipError_tPvRmT3_T4_T5_T6_T7_T9_mT8_P12ihipStream_tbDpT10_ENKUlT_T0_E_clISt17integral_constantIbLb1EES1B_EEDaS16_S17_EUlS16_E_NS1_11comp_targetILNS1_3genE4ELNS1_11target_archE910ELNS1_3gpuE8ELNS1_3repE0EEENS1_30default_config_static_selectorELNS0_4arch9wavefront6targetE0EEEvT1_
		.amdhsa_group_segment_fixed_size 0
		.amdhsa_private_segment_fixed_size 0
		.amdhsa_kernarg_size 136
		.amdhsa_user_sgpr_count 15
		.amdhsa_user_sgpr_dispatch_ptr 0
		.amdhsa_user_sgpr_queue_ptr 0
		.amdhsa_user_sgpr_kernarg_segment_ptr 1
		.amdhsa_user_sgpr_dispatch_id 0
		.amdhsa_user_sgpr_private_segment_size 0
		.amdhsa_wavefront_size32 1
		.amdhsa_uses_dynamic_stack 0
		.amdhsa_enable_private_segment 0
		.amdhsa_system_sgpr_workgroup_id_x 1
		.amdhsa_system_sgpr_workgroup_id_y 0
		.amdhsa_system_sgpr_workgroup_id_z 0
		.amdhsa_system_sgpr_workgroup_info 0
		.amdhsa_system_vgpr_workitem_id 0
		.amdhsa_next_free_vgpr 1
		.amdhsa_next_free_sgpr 1
		.amdhsa_reserve_vcc 0
		.amdhsa_float_round_mode_32 0
		.amdhsa_float_round_mode_16_64 0
		.amdhsa_float_denorm_mode_32 3
		.amdhsa_float_denorm_mode_16_64 3
		.amdhsa_dx10_clamp 1
		.amdhsa_ieee_mode 1
		.amdhsa_fp16_overflow 0
		.amdhsa_workgroup_processor_mode 1
		.amdhsa_memory_ordered 1
		.amdhsa_forward_progress 0
		.amdhsa_shared_vgpr_count 0
		.amdhsa_exception_fp_ieee_invalid_op 0
		.amdhsa_exception_fp_denorm_src 0
		.amdhsa_exception_fp_ieee_div_zero 0
		.amdhsa_exception_fp_ieee_overflow 0
		.amdhsa_exception_fp_ieee_underflow 0
		.amdhsa_exception_fp_ieee_inexact 0
		.amdhsa_exception_int_div_zero 0
	.end_amdhsa_kernel
	.section	.text._ZN7rocprim17ROCPRIM_400000_NS6detail17trampoline_kernelINS0_14default_configENS1_25partition_config_selectorILNS1_17partition_subalgoE5ElNS0_10empty_typeEbEEZZNS1_14partition_implILS5_5ELb0ES3_mN6hipcub16HIPCUB_304000_NS21CountingInputIteratorIllEEPS6_NSA_22TransformInputIteratorIbN2at6native12_GLOBAL__N_19NonZeroOpIdEEPKdlEENS0_5tupleIJPlS6_EEENSN_IJSD_SD_EEES6_PiJS6_EEE10hipError_tPvRmT3_T4_T5_T6_T7_T9_mT8_P12ihipStream_tbDpT10_ENKUlT_T0_E_clISt17integral_constantIbLb1EES1B_EEDaS16_S17_EUlS16_E_NS1_11comp_targetILNS1_3genE4ELNS1_11target_archE910ELNS1_3gpuE8ELNS1_3repE0EEENS1_30default_config_static_selectorELNS0_4arch9wavefront6targetE0EEEvT1_,"axG",@progbits,_ZN7rocprim17ROCPRIM_400000_NS6detail17trampoline_kernelINS0_14default_configENS1_25partition_config_selectorILNS1_17partition_subalgoE5ElNS0_10empty_typeEbEEZZNS1_14partition_implILS5_5ELb0ES3_mN6hipcub16HIPCUB_304000_NS21CountingInputIteratorIllEEPS6_NSA_22TransformInputIteratorIbN2at6native12_GLOBAL__N_19NonZeroOpIdEEPKdlEENS0_5tupleIJPlS6_EEENSN_IJSD_SD_EEES6_PiJS6_EEE10hipError_tPvRmT3_T4_T5_T6_T7_T9_mT8_P12ihipStream_tbDpT10_ENKUlT_T0_E_clISt17integral_constantIbLb1EES1B_EEDaS16_S17_EUlS16_E_NS1_11comp_targetILNS1_3genE4ELNS1_11target_archE910ELNS1_3gpuE8ELNS1_3repE0EEENS1_30default_config_static_selectorELNS0_4arch9wavefront6targetE0EEEvT1_,comdat
.Lfunc_end400:
	.size	_ZN7rocprim17ROCPRIM_400000_NS6detail17trampoline_kernelINS0_14default_configENS1_25partition_config_selectorILNS1_17partition_subalgoE5ElNS0_10empty_typeEbEEZZNS1_14partition_implILS5_5ELb0ES3_mN6hipcub16HIPCUB_304000_NS21CountingInputIteratorIllEEPS6_NSA_22TransformInputIteratorIbN2at6native12_GLOBAL__N_19NonZeroOpIdEEPKdlEENS0_5tupleIJPlS6_EEENSN_IJSD_SD_EEES6_PiJS6_EEE10hipError_tPvRmT3_T4_T5_T6_T7_T9_mT8_P12ihipStream_tbDpT10_ENKUlT_T0_E_clISt17integral_constantIbLb1EES1B_EEDaS16_S17_EUlS16_E_NS1_11comp_targetILNS1_3genE4ELNS1_11target_archE910ELNS1_3gpuE8ELNS1_3repE0EEENS1_30default_config_static_selectorELNS0_4arch9wavefront6targetE0EEEvT1_, .Lfunc_end400-_ZN7rocprim17ROCPRIM_400000_NS6detail17trampoline_kernelINS0_14default_configENS1_25partition_config_selectorILNS1_17partition_subalgoE5ElNS0_10empty_typeEbEEZZNS1_14partition_implILS5_5ELb0ES3_mN6hipcub16HIPCUB_304000_NS21CountingInputIteratorIllEEPS6_NSA_22TransformInputIteratorIbN2at6native12_GLOBAL__N_19NonZeroOpIdEEPKdlEENS0_5tupleIJPlS6_EEENSN_IJSD_SD_EEES6_PiJS6_EEE10hipError_tPvRmT3_T4_T5_T6_T7_T9_mT8_P12ihipStream_tbDpT10_ENKUlT_T0_E_clISt17integral_constantIbLb1EES1B_EEDaS16_S17_EUlS16_E_NS1_11comp_targetILNS1_3genE4ELNS1_11target_archE910ELNS1_3gpuE8ELNS1_3repE0EEENS1_30default_config_static_selectorELNS0_4arch9wavefront6targetE0EEEvT1_
                                        ; -- End function
	.section	.AMDGPU.csdata,"",@progbits
; Kernel info:
; codeLenInByte = 0
; NumSgprs: 0
; NumVgprs: 0
; ScratchSize: 0
; MemoryBound: 0
; FloatMode: 240
; IeeeMode: 1
; LDSByteSize: 0 bytes/workgroup (compile time only)
; SGPRBlocks: 0
; VGPRBlocks: 0
; NumSGPRsForWavesPerEU: 1
; NumVGPRsForWavesPerEU: 1
; Occupancy: 15
; WaveLimiterHint : 0
; COMPUTE_PGM_RSRC2:SCRATCH_EN: 0
; COMPUTE_PGM_RSRC2:USER_SGPR: 15
; COMPUTE_PGM_RSRC2:TRAP_HANDLER: 0
; COMPUTE_PGM_RSRC2:TGID_X_EN: 1
; COMPUTE_PGM_RSRC2:TGID_Y_EN: 0
; COMPUTE_PGM_RSRC2:TGID_Z_EN: 0
; COMPUTE_PGM_RSRC2:TIDIG_COMP_CNT: 0
	.section	.text._ZN7rocprim17ROCPRIM_400000_NS6detail17trampoline_kernelINS0_14default_configENS1_25partition_config_selectorILNS1_17partition_subalgoE5ElNS0_10empty_typeEbEEZZNS1_14partition_implILS5_5ELb0ES3_mN6hipcub16HIPCUB_304000_NS21CountingInputIteratorIllEEPS6_NSA_22TransformInputIteratorIbN2at6native12_GLOBAL__N_19NonZeroOpIdEEPKdlEENS0_5tupleIJPlS6_EEENSN_IJSD_SD_EEES6_PiJS6_EEE10hipError_tPvRmT3_T4_T5_T6_T7_T9_mT8_P12ihipStream_tbDpT10_ENKUlT_T0_E_clISt17integral_constantIbLb1EES1B_EEDaS16_S17_EUlS16_E_NS1_11comp_targetILNS1_3genE3ELNS1_11target_archE908ELNS1_3gpuE7ELNS1_3repE0EEENS1_30default_config_static_selectorELNS0_4arch9wavefront6targetE0EEEvT1_,"axG",@progbits,_ZN7rocprim17ROCPRIM_400000_NS6detail17trampoline_kernelINS0_14default_configENS1_25partition_config_selectorILNS1_17partition_subalgoE5ElNS0_10empty_typeEbEEZZNS1_14partition_implILS5_5ELb0ES3_mN6hipcub16HIPCUB_304000_NS21CountingInputIteratorIllEEPS6_NSA_22TransformInputIteratorIbN2at6native12_GLOBAL__N_19NonZeroOpIdEEPKdlEENS0_5tupleIJPlS6_EEENSN_IJSD_SD_EEES6_PiJS6_EEE10hipError_tPvRmT3_T4_T5_T6_T7_T9_mT8_P12ihipStream_tbDpT10_ENKUlT_T0_E_clISt17integral_constantIbLb1EES1B_EEDaS16_S17_EUlS16_E_NS1_11comp_targetILNS1_3genE3ELNS1_11target_archE908ELNS1_3gpuE7ELNS1_3repE0EEENS1_30default_config_static_selectorELNS0_4arch9wavefront6targetE0EEEvT1_,comdat
	.globl	_ZN7rocprim17ROCPRIM_400000_NS6detail17trampoline_kernelINS0_14default_configENS1_25partition_config_selectorILNS1_17partition_subalgoE5ElNS0_10empty_typeEbEEZZNS1_14partition_implILS5_5ELb0ES3_mN6hipcub16HIPCUB_304000_NS21CountingInputIteratorIllEEPS6_NSA_22TransformInputIteratorIbN2at6native12_GLOBAL__N_19NonZeroOpIdEEPKdlEENS0_5tupleIJPlS6_EEENSN_IJSD_SD_EEES6_PiJS6_EEE10hipError_tPvRmT3_T4_T5_T6_T7_T9_mT8_P12ihipStream_tbDpT10_ENKUlT_T0_E_clISt17integral_constantIbLb1EES1B_EEDaS16_S17_EUlS16_E_NS1_11comp_targetILNS1_3genE3ELNS1_11target_archE908ELNS1_3gpuE7ELNS1_3repE0EEENS1_30default_config_static_selectorELNS0_4arch9wavefront6targetE0EEEvT1_ ; -- Begin function _ZN7rocprim17ROCPRIM_400000_NS6detail17trampoline_kernelINS0_14default_configENS1_25partition_config_selectorILNS1_17partition_subalgoE5ElNS0_10empty_typeEbEEZZNS1_14partition_implILS5_5ELb0ES3_mN6hipcub16HIPCUB_304000_NS21CountingInputIteratorIllEEPS6_NSA_22TransformInputIteratorIbN2at6native12_GLOBAL__N_19NonZeroOpIdEEPKdlEENS0_5tupleIJPlS6_EEENSN_IJSD_SD_EEES6_PiJS6_EEE10hipError_tPvRmT3_T4_T5_T6_T7_T9_mT8_P12ihipStream_tbDpT10_ENKUlT_T0_E_clISt17integral_constantIbLb1EES1B_EEDaS16_S17_EUlS16_E_NS1_11comp_targetILNS1_3genE3ELNS1_11target_archE908ELNS1_3gpuE7ELNS1_3repE0EEENS1_30default_config_static_selectorELNS0_4arch9wavefront6targetE0EEEvT1_
	.p2align	8
	.type	_ZN7rocprim17ROCPRIM_400000_NS6detail17trampoline_kernelINS0_14default_configENS1_25partition_config_selectorILNS1_17partition_subalgoE5ElNS0_10empty_typeEbEEZZNS1_14partition_implILS5_5ELb0ES3_mN6hipcub16HIPCUB_304000_NS21CountingInputIteratorIllEEPS6_NSA_22TransformInputIteratorIbN2at6native12_GLOBAL__N_19NonZeroOpIdEEPKdlEENS0_5tupleIJPlS6_EEENSN_IJSD_SD_EEES6_PiJS6_EEE10hipError_tPvRmT3_T4_T5_T6_T7_T9_mT8_P12ihipStream_tbDpT10_ENKUlT_T0_E_clISt17integral_constantIbLb1EES1B_EEDaS16_S17_EUlS16_E_NS1_11comp_targetILNS1_3genE3ELNS1_11target_archE908ELNS1_3gpuE7ELNS1_3repE0EEENS1_30default_config_static_selectorELNS0_4arch9wavefront6targetE0EEEvT1_,@function
_ZN7rocprim17ROCPRIM_400000_NS6detail17trampoline_kernelINS0_14default_configENS1_25partition_config_selectorILNS1_17partition_subalgoE5ElNS0_10empty_typeEbEEZZNS1_14partition_implILS5_5ELb0ES3_mN6hipcub16HIPCUB_304000_NS21CountingInputIteratorIllEEPS6_NSA_22TransformInputIteratorIbN2at6native12_GLOBAL__N_19NonZeroOpIdEEPKdlEENS0_5tupleIJPlS6_EEENSN_IJSD_SD_EEES6_PiJS6_EEE10hipError_tPvRmT3_T4_T5_T6_T7_T9_mT8_P12ihipStream_tbDpT10_ENKUlT_T0_E_clISt17integral_constantIbLb1EES1B_EEDaS16_S17_EUlS16_E_NS1_11comp_targetILNS1_3genE3ELNS1_11target_archE908ELNS1_3gpuE7ELNS1_3repE0EEENS1_30default_config_static_selectorELNS0_4arch9wavefront6targetE0EEEvT1_: ; @_ZN7rocprim17ROCPRIM_400000_NS6detail17trampoline_kernelINS0_14default_configENS1_25partition_config_selectorILNS1_17partition_subalgoE5ElNS0_10empty_typeEbEEZZNS1_14partition_implILS5_5ELb0ES3_mN6hipcub16HIPCUB_304000_NS21CountingInputIteratorIllEEPS6_NSA_22TransformInputIteratorIbN2at6native12_GLOBAL__N_19NonZeroOpIdEEPKdlEENS0_5tupleIJPlS6_EEENSN_IJSD_SD_EEES6_PiJS6_EEE10hipError_tPvRmT3_T4_T5_T6_T7_T9_mT8_P12ihipStream_tbDpT10_ENKUlT_T0_E_clISt17integral_constantIbLb1EES1B_EEDaS16_S17_EUlS16_E_NS1_11comp_targetILNS1_3genE3ELNS1_11target_archE908ELNS1_3gpuE7ELNS1_3repE0EEENS1_30default_config_static_selectorELNS0_4arch9wavefront6targetE0EEEvT1_
; %bb.0:
	.section	.rodata,"a",@progbits
	.p2align	6, 0x0
	.amdhsa_kernel _ZN7rocprim17ROCPRIM_400000_NS6detail17trampoline_kernelINS0_14default_configENS1_25partition_config_selectorILNS1_17partition_subalgoE5ElNS0_10empty_typeEbEEZZNS1_14partition_implILS5_5ELb0ES3_mN6hipcub16HIPCUB_304000_NS21CountingInputIteratorIllEEPS6_NSA_22TransformInputIteratorIbN2at6native12_GLOBAL__N_19NonZeroOpIdEEPKdlEENS0_5tupleIJPlS6_EEENSN_IJSD_SD_EEES6_PiJS6_EEE10hipError_tPvRmT3_T4_T5_T6_T7_T9_mT8_P12ihipStream_tbDpT10_ENKUlT_T0_E_clISt17integral_constantIbLb1EES1B_EEDaS16_S17_EUlS16_E_NS1_11comp_targetILNS1_3genE3ELNS1_11target_archE908ELNS1_3gpuE7ELNS1_3repE0EEENS1_30default_config_static_selectorELNS0_4arch9wavefront6targetE0EEEvT1_
		.amdhsa_group_segment_fixed_size 0
		.amdhsa_private_segment_fixed_size 0
		.amdhsa_kernarg_size 136
		.amdhsa_user_sgpr_count 15
		.amdhsa_user_sgpr_dispatch_ptr 0
		.amdhsa_user_sgpr_queue_ptr 0
		.amdhsa_user_sgpr_kernarg_segment_ptr 1
		.amdhsa_user_sgpr_dispatch_id 0
		.amdhsa_user_sgpr_private_segment_size 0
		.amdhsa_wavefront_size32 1
		.amdhsa_uses_dynamic_stack 0
		.amdhsa_enable_private_segment 0
		.amdhsa_system_sgpr_workgroup_id_x 1
		.amdhsa_system_sgpr_workgroup_id_y 0
		.amdhsa_system_sgpr_workgroup_id_z 0
		.amdhsa_system_sgpr_workgroup_info 0
		.amdhsa_system_vgpr_workitem_id 0
		.amdhsa_next_free_vgpr 1
		.amdhsa_next_free_sgpr 1
		.amdhsa_reserve_vcc 0
		.amdhsa_float_round_mode_32 0
		.amdhsa_float_round_mode_16_64 0
		.amdhsa_float_denorm_mode_32 3
		.amdhsa_float_denorm_mode_16_64 3
		.amdhsa_dx10_clamp 1
		.amdhsa_ieee_mode 1
		.amdhsa_fp16_overflow 0
		.amdhsa_workgroup_processor_mode 1
		.amdhsa_memory_ordered 1
		.amdhsa_forward_progress 0
		.amdhsa_shared_vgpr_count 0
		.amdhsa_exception_fp_ieee_invalid_op 0
		.amdhsa_exception_fp_denorm_src 0
		.amdhsa_exception_fp_ieee_div_zero 0
		.amdhsa_exception_fp_ieee_overflow 0
		.amdhsa_exception_fp_ieee_underflow 0
		.amdhsa_exception_fp_ieee_inexact 0
		.amdhsa_exception_int_div_zero 0
	.end_amdhsa_kernel
	.section	.text._ZN7rocprim17ROCPRIM_400000_NS6detail17trampoline_kernelINS0_14default_configENS1_25partition_config_selectorILNS1_17partition_subalgoE5ElNS0_10empty_typeEbEEZZNS1_14partition_implILS5_5ELb0ES3_mN6hipcub16HIPCUB_304000_NS21CountingInputIteratorIllEEPS6_NSA_22TransformInputIteratorIbN2at6native12_GLOBAL__N_19NonZeroOpIdEEPKdlEENS0_5tupleIJPlS6_EEENSN_IJSD_SD_EEES6_PiJS6_EEE10hipError_tPvRmT3_T4_T5_T6_T7_T9_mT8_P12ihipStream_tbDpT10_ENKUlT_T0_E_clISt17integral_constantIbLb1EES1B_EEDaS16_S17_EUlS16_E_NS1_11comp_targetILNS1_3genE3ELNS1_11target_archE908ELNS1_3gpuE7ELNS1_3repE0EEENS1_30default_config_static_selectorELNS0_4arch9wavefront6targetE0EEEvT1_,"axG",@progbits,_ZN7rocprim17ROCPRIM_400000_NS6detail17trampoline_kernelINS0_14default_configENS1_25partition_config_selectorILNS1_17partition_subalgoE5ElNS0_10empty_typeEbEEZZNS1_14partition_implILS5_5ELb0ES3_mN6hipcub16HIPCUB_304000_NS21CountingInputIteratorIllEEPS6_NSA_22TransformInputIteratorIbN2at6native12_GLOBAL__N_19NonZeroOpIdEEPKdlEENS0_5tupleIJPlS6_EEENSN_IJSD_SD_EEES6_PiJS6_EEE10hipError_tPvRmT3_T4_T5_T6_T7_T9_mT8_P12ihipStream_tbDpT10_ENKUlT_T0_E_clISt17integral_constantIbLb1EES1B_EEDaS16_S17_EUlS16_E_NS1_11comp_targetILNS1_3genE3ELNS1_11target_archE908ELNS1_3gpuE7ELNS1_3repE0EEENS1_30default_config_static_selectorELNS0_4arch9wavefront6targetE0EEEvT1_,comdat
.Lfunc_end401:
	.size	_ZN7rocprim17ROCPRIM_400000_NS6detail17trampoline_kernelINS0_14default_configENS1_25partition_config_selectorILNS1_17partition_subalgoE5ElNS0_10empty_typeEbEEZZNS1_14partition_implILS5_5ELb0ES3_mN6hipcub16HIPCUB_304000_NS21CountingInputIteratorIllEEPS6_NSA_22TransformInputIteratorIbN2at6native12_GLOBAL__N_19NonZeroOpIdEEPKdlEENS0_5tupleIJPlS6_EEENSN_IJSD_SD_EEES6_PiJS6_EEE10hipError_tPvRmT3_T4_T5_T6_T7_T9_mT8_P12ihipStream_tbDpT10_ENKUlT_T0_E_clISt17integral_constantIbLb1EES1B_EEDaS16_S17_EUlS16_E_NS1_11comp_targetILNS1_3genE3ELNS1_11target_archE908ELNS1_3gpuE7ELNS1_3repE0EEENS1_30default_config_static_selectorELNS0_4arch9wavefront6targetE0EEEvT1_, .Lfunc_end401-_ZN7rocprim17ROCPRIM_400000_NS6detail17trampoline_kernelINS0_14default_configENS1_25partition_config_selectorILNS1_17partition_subalgoE5ElNS0_10empty_typeEbEEZZNS1_14partition_implILS5_5ELb0ES3_mN6hipcub16HIPCUB_304000_NS21CountingInputIteratorIllEEPS6_NSA_22TransformInputIteratorIbN2at6native12_GLOBAL__N_19NonZeroOpIdEEPKdlEENS0_5tupleIJPlS6_EEENSN_IJSD_SD_EEES6_PiJS6_EEE10hipError_tPvRmT3_T4_T5_T6_T7_T9_mT8_P12ihipStream_tbDpT10_ENKUlT_T0_E_clISt17integral_constantIbLb1EES1B_EEDaS16_S17_EUlS16_E_NS1_11comp_targetILNS1_3genE3ELNS1_11target_archE908ELNS1_3gpuE7ELNS1_3repE0EEENS1_30default_config_static_selectorELNS0_4arch9wavefront6targetE0EEEvT1_
                                        ; -- End function
	.section	.AMDGPU.csdata,"",@progbits
; Kernel info:
; codeLenInByte = 0
; NumSgprs: 0
; NumVgprs: 0
; ScratchSize: 0
; MemoryBound: 0
; FloatMode: 240
; IeeeMode: 1
; LDSByteSize: 0 bytes/workgroup (compile time only)
; SGPRBlocks: 0
; VGPRBlocks: 0
; NumSGPRsForWavesPerEU: 1
; NumVGPRsForWavesPerEU: 1
; Occupancy: 16
; WaveLimiterHint : 0
; COMPUTE_PGM_RSRC2:SCRATCH_EN: 0
; COMPUTE_PGM_RSRC2:USER_SGPR: 15
; COMPUTE_PGM_RSRC2:TRAP_HANDLER: 0
; COMPUTE_PGM_RSRC2:TGID_X_EN: 1
; COMPUTE_PGM_RSRC2:TGID_Y_EN: 0
; COMPUTE_PGM_RSRC2:TGID_Z_EN: 0
; COMPUTE_PGM_RSRC2:TIDIG_COMP_CNT: 0
	.section	.text._ZN7rocprim17ROCPRIM_400000_NS6detail17trampoline_kernelINS0_14default_configENS1_25partition_config_selectorILNS1_17partition_subalgoE5ElNS0_10empty_typeEbEEZZNS1_14partition_implILS5_5ELb0ES3_mN6hipcub16HIPCUB_304000_NS21CountingInputIteratorIllEEPS6_NSA_22TransformInputIteratorIbN2at6native12_GLOBAL__N_19NonZeroOpIdEEPKdlEENS0_5tupleIJPlS6_EEENSN_IJSD_SD_EEES6_PiJS6_EEE10hipError_tPvRmT3_T4_T5_T6_T7_T9_mT8_P12ihipStream_tbDpT10_ENKUlT_T0_E_clISt17integral_constantIbLb1EES1B_EEDaS16_S17_EUlS16_E_NS1_11comp_targetILNS1_3genE2ELNS1_11target_archE906ELNS1_3gpuE6ELNS1_3repE0EEENS1_30default_config_static_selectorELNS0_4arch9wavefront6targetE0EEEvT1_,"axG",@progbits,_ZN7rocprim17ROCPRIM_400000_NS6detail17trampoline_kernelINS0_14default_configENS1_25partition_config_selectorILNS1_17partition_subalgoE5ElNS0_10empty_typeEbEEZZNS1_14partition_implILS5_5ELb0ES3_mN6hipcub16HIPCUB_304000_NS21CountingInputIteratorIllEEPS6_NSA_22TransformInputIteratorIbN2at6native12_GLOBAL__N_19NonZeroOpIdEEPKdlEENS0_5tupleIJPlS6_EEENSN_IJSD_SD_EEES6_PiJS6_EEE10hipError_tPvRmT3_T4_T5_T6_T7_T9_mT8_P12ihipStream_tbDpT10_ENKUlT_T0_E_clISt17integral_constantIbLb1EES1B_EEDaS16_S17_EUlS16_E_NS1_11comp_targetILNS1_3genE2ELNS1_11target_archE906ELNS1_3gpuE6ELNS1_3repE0EEENS1_30default_config_static_selectorELNS0_4arch9wavefront6targetE0EEEvT1_,comdat
	.globl	_ZN7rocprim17ROCPRIM_400000_NS6detail17trampoline_kernelINS0_14default_configENS1_25partition_config_selectorILNS1_17partition_subalgoE5ElNS0_10empty_typeEbEEZZNS1_14partition_implILS5_5ELb0ES3_mN6hipcub16HIPCUB_304000_NS21CountingInputIteratorIllEEPS6_NSA_22TransformInputIteratorIbN2at6native12_GLOBAL__N_19NonZeroOpIdEEPKdlEENS0_5tupleIJPlS6_EEENSN_IJSD_SD_EEES6_PiJS6_EEE10hipError_tPvRmT3_T4_T5_T6_T7_T9_mT8_P12ihipStream_tbDpT10_ENKUlT_T0_E_clISt17integral_constantIbLb1EES1B_EEDaS16_S17_EUlS16_E_NS1_11comp_targetILNS1_3genE2ELNS1_11target_archE906ELNS1_3gpuE6ELNS1_3repE0EEENS1_30default_config_static_selectorELNS0_4arch9wavefront6targetE0EEEvT1_ ; -- Begin function _ZN7rocprim17ROCPRIM_400000_NS6detail17trampoline_kernelINS0_14default_configENS1_25partition_config_selectorILNS1_17partition_subalgoE5ElNS0_10empty_typeEbEEZZNS1_14partition_implILS5_5ELb0ES3_mN6hipcub16HIPCUB_304000_NS21CountingInputIteratorIllEEPS6_NSA_22TransformInputIteratorIbN2at6native12_GLOBAL__N_19NonZeroOpIdEEPKdlEENS0_5tupleIJPlS6_EEENSN_IJSD_SD_EEES6_PiJS6_EEE10hipError_tPvRmT3_T4_T5_T6_T7_T9_mT8_P12ihipStream_tbDpT10_ENKUlT_T0_E_clISt17integral_constantIbLb1EES1B_EEDaS16_S17_EUlS16_E_NS1_11comp_targetILNS1_3genE2ELNS1_11target_archE906ELNS1_3gpuE6ELNS1_3repE0EEENS1_30default_config_static_selectorELNS0_4arch9wavefront6targetE0EEEvT1_
	.p2align	8
	.type	_ZN7rocprim17ROCPRIM_400000_NS6detail17trampoline_kernelINS0_14default_configENS1_25partition_config_selectorILNS1_17partition_subalgoE5ElNS0_10empty_typeEbEEZZNS1_14partition_implILS5_5ELb0ES3_mN6hipcub16HIPCUB_304000_NS21CountingInputIteratorIllEEPS6_NSA_22TransformInputIteratorIbN2at6native12_GLOBAL__N_19NonZeroOpIdEEPKdlEENS0_5tupleIJPlS6_EEENSN_IJSD_SD_EEES6_PiJS6_EEE10hipError_tPvRmT3_T4_T5_T6_T7_T9_mT8_P12ihipStream_tbDpT10_ENKUlT_T0_E_clISt17integral_constantIbLb1EES1B_EEDaS16_S17_EUlS16_E_NS1_11comp_targetILNS1_3genE2ELNS1_11target_archE906ELNS1_3gpuE6ELNS1_3repE0EEENS1_30default_config_static_selectorELNS0_4arch9wavefront6targetE0EEEvT1_,@function
_ZN7rocprim17ROCPRIM_400000_NS6detail17trampoline_kernelINS0_14default_configENS1_25partition_config_selectorILNS1_17partition_subalgoE5ElNS0_10empty_typeEbEEZZNS1_14partition_implILS5_5ELb0ES3_mN6hipcub16HIPCUB_304000_NS21CountingInputIteratorIllEEPS6_NSA_22TransformInputIteratorIbN2at6native12_GLOBAL__N_19NonZeroOpIdEEPKdlEENS0_5tupleIJPlS6_EEENSN_IJSD_SD_EEES6_PiJS6_EEE10hipError_tPvRmT3_T4_T5_T6_T7_T9_mT8_P12ihipStream_tbDpT10_ENKUlT_T0_E_clISt17integral_constantIbLb1EES1B_EEDaS16_S17_EUlS16_E_NS1_11comp_targetILNS1_3genE2ELNS1_11target_archE906ELNS1_3gpuE6ELNS1_3repE0EEENS1_30default_config_static_selectorELNS0_4arch9wavefront6targetE0EEEvT1_: ; @_ZN7rocprim17ROCPRIM_400000_NS6detail17trampoline_kernelINS0_14default_configENS1_25partition_config_selectorILNS1_17partition_subalgoE5ElNS0_10empty_typeEbEEZZNS1_14partition_implILS5_5ELb0ES3_mN6hipcub16HIPCUB_304000_NS21CountingInputIteratorIllEEPS6_NSA_22TransformInputIteratorIbN2at6native12_GLOBAL__N_19NonZeroOpIdEEPKdlEENS0_5tupleIJPlS6_EEENSN_IJSD_SD_EEES6_PiJS6_EEE10hipError_tPvRmT3_T4_T5_T6_T7_T9_mT8_P12ihipStream_tbDpT10_ENKUlT_T0_E_clISt17integral_constantIbLb1EES1B_EEDaS16_S17_EUlS16_E_NS1_11comp_targetILNS1_3genE2ELNS1_11target_archE906ELNS1_3gpuE6ELNS1_3repE0EEENS1_30default_config_static_selectorELNS0_4arch9wavefront6targetE0EEEvT1_
; %bb.0:
	.section	.rodata,"a",@progbits
	.p2align	6, 0x0
	.amdhsa_kernel _ZN7rocprim17ROCPRIM_400000_NS6detail17trampoline_kernelINS0_14default_configENS1_25partition_config_selectorILNS1_17partition_subalgoE5ElNS0_10empty_typeEbEEZZNS1_14partition_implILS5_5ELb0ES3_mN6hipcub16HIPCUB_304000_NS21CountingInputIteratorIllEEPS6_NSA_22TransformInputIteratorIbN2at6native12_GLOBAL__N_19NonZeroOpIdEEPKdlEENS0_5tupleIJPlS6_EEENSN_IJSD_SD_EEES6_PiJS6_EEE10hipError_tPvRmT3_T4_T5_T6_T7_T9_mT8_P12ihipStream_tbDpT10_ENKUlT_T0_E_clISt17integral_constantIbLb1EES1B_EEDaS16_S17_EUlS16_E_NS1_11comp_targetILNS1_3genE2ELNS1_11target_archE906ELNS1_3gpuE6ELNS1_3repE0EEENS1_30default_config_static_selectorELNS0_4arch9wavefront6targetE0EEEvT1_
		.amdhsa_group_segment_fixed_size 0
		.amdhsa_private_segment_fixed_size 0
		.amdhsa_kernarg_size 136
		.amdhsa_user_sgpr_count 15
		.amdhsa_user_sgpr_dispatch_ptr 0
		.amdhsa_user_sgpr_queue_ptr 0
		.amdhsa_user_sgpr_kernarg_segment_ptr 1
		.amdhsa_user_sgpr_dispatch_id 0
		.amdhsa_user_sgpr_private_segment_size 0
		.amdhsa_wavefront_size32 1
		.amdhsa_uses_dynamic_stack 0
		.amdhsa_enable_private_segment 0
		.amdhsa_system_sgpr_workgroup_id_x 1
		.amdhsa_system_sgpr_workgroup_id_y 0
		.amdhsa_system_sgpr_workgroup_id_z 0
		.amdhsa_system_sgpr_workgroup_info 0
		.amdhsa_system_vgpr_workitem_id 0
		.amdhsa_next_free_vgpr 1
		.amdhsa_next_free_sgpr 1
		.amdhsa_reserve_vcc 0
		.amdhsa_float_round_mode_32 0
		.amdhsa_float_round_mode_16_64 0
		.amdhsa_float_denorm_mode_32 3
		.amdhsa_float_denorm_mode_16_64 3
		.amdhsa_dx10_clamp 1
		.amdhsa_ieee_mode 1
		.amdhsa_fp16_overflow 0
		.amdhsa_workgroup_processor_mode 1
		.amdhsa_memory_ordered 1
		.amdhsa_forward_progress 0
		.amdhsa_shared_vgpr_count 0
		.amdhsa_exception_fp_ieee_invalid_op 0
		.amdhsa_exception_fp_denorm_src 0
		.amdhsa_exception_fp_ieee_div_zero 0
		.amdhsa_exception_fp_ieee_overflow 0
		.amdhsa_exception_fp_ieee_underflow 0
		.amdhsa_exception_fp_ieee_inexact 0
		.amdhsa_exception_int_div_zero 0
	.end_amdhsa_kernel
	.section	.text._ZN7rocprim17ROCPRIM_400000_NS6detail17trampoline_kernelINS0_14default_configENS1_25partition_config_selectorILNS1_17partition_subalgoE5ElNS0_10empty_typeEbEEZZNS1_14partition_implILS5_5ELb0ES3_mN6hipcub16HIPCUB_304000_NS21CountingInputIteratorIllEEPS6_NSA_22TransformInputIteratorIbN2at6native12_GLOBAL__N_19NonZeroOpIdEEPKdlEENS0_5tupleIJPlS6_EEENSN_IJSD_SD_EEES6_PiJS6_EEE10hipError_tPvRmT3_T4_T5_T6_T7_T9_mT8_P12ihipStream_tbDpT10_ENKUlT_T0_E_clISt17integral_constantIbLb1EES1B_EEDaS16_S17_EUlS16_E_NS1_11comp_targetILNS1_3genE2ELNS1_11target_archE906ELNS1_3gpuE6ELNS1_3repE0EEENS1_30default_config_static_selectorELNS0_4arch9wavefront6targetE0EEEvT1_,"axG",@progbits,_ZN7rocprim17ROCPRIM_400000_NS6detail17trampoline_kernelINS0_14default_configENS1_25partition_config_selectorILNS1_17partition_subalgoE5ElNS0_10empty_typeEbEEZZNS1_14partition_implILS5_5ELb0ES3_mN6hipcub16HIPCUB_304000_NS21CountingInputIteratorIllEEPS6_NSA_22TransformInputIteratorIbN2at6native12_GLOBAL__N_19NonZeroOpIdEEPKdlEENS0_5tupleIJPlS6_EEENSN_IJSD_SD_EEES6_PiJS6_EEE10hipError_tPvRmT3_T4_T5_T6_T7_T9_mT8_P12ihipStream_tbDpT10_ENKUlT_T0_E_clISt17integral_constantIbLb1EES1B_EEDaS16_S17_EUlS16_E_NS1_11comp_targetILNS1_3genE2ELNS1_11target_archE906ELNS1_3gpuE6ELNS1_3repE0EEENS1_30default_config_static_selectorELNS0_4arch9wavefront6targetE0EEEvT1_,comdat
.Lfunc_end402:
	.size	_ZN7rocprim17ROCPRIM_400000_NS6detail17trampoline_kernelINS0_14default_configENS1_25partition_config_selectorILNS1_17partition_subalgoE5ElNS0_10empty_typeEbEEZZNS1_14partition_implILS5_5ELb0ES3_mN6hipcub16HIPCUB_304000_NS21CountingInputIteratorIllEEPS6_NSA_22TransformInputIteratorIbN2at6native12_GLOBAL__N_19NonZeroOpIdEEPKdlEENS0_5tupleIJPlS6_EEENSN_IJSD_SD_EEES6_PiJS6_EEE10hipError_tPvRmT3_T4_T5_T6_T7_T9_mT8_P12ihipStream_tbDpT10_ENKUlT_T0_E_clISt17integral_constantIbLb1EES1B_EEDaS16_S17_EUlS16_E_NS1_11comp_targetILNS1_3genE2ELNS1_11target_archE906ELNS1_3gpuE6ELNS1_3repE0EEENS1_30default_config_static_selectorELNS0_4arch9wavefront6targetE0EEEvT1_, .Lfunc_end402-_ZN7rocprim17ROCPRIM_400000_NS6detail17trampoline_kernelINS0_14default_configENS1_25partition_config_selectorILNS1_17partition_subalgoE5ElNS0_10empty_typeEbEEZZNS1_14partition_implILS5_5ELb0ES3_mN6hipcub16HIPCUB_304000_NS21CountingInputIteratorIllEEPS6_NSA_22TransformInputIteratorIbN2at6native12_GLOBAL__N_19NonZeroOpIdEEPKdlEENS0_5tupleIJPlS6_EEENSN_IJSD_SD_EEES6_PiJS6_EEE10hipError_tPvRmT3_T4_T5_T6_T7_T9_mT8_P12ihipStream_tbDpT10_ENKUlT_T0_E_clISt17integral_constantIbLb1EES1B_EEDaS16_S17_EUlS16_E_NS1_11comp_targetILNS1_3genE2ELNS1_11target_archE906ELNS1_3gpuE6ELNS1_3repE0EEENS1_30default_config_static_selectorELNS0_4arch9wavefront6targetE0EEEvT1_
                                        ; -- End function
	.section	.AMDGPU.csdata,"",@progbits
; Kernel info:
; codeLenInByte = 0
; NumSgprs: 0
; NumVgprs: 0
; ScratchSize: 0
; MemoryBound: 0
; FloatMode: 240
; IeeeMode: 1
; LDSByteSize: 0 bytes/workgroup (compile time only)
; SGPRBlocks: 0
; VGPRBlocks: 0
; NumSGPRsForWavesPerEU: 1
; NumVGPRsForWavesPerEU: 1
; Occupancy: 16
; WaveLimiterHint : 0
; COMPUTE_PGM_RSRC2:SCRATCH_EN: 0
; COMPUTE_PGM_RSRC2:USER_SGPR: 15
; COMPUTE_PGM_RSRC2:TRAP_HANDLER: 0
; COMPUTE_PGM_RSRC2:TGID_X_EN: 1
; COMPUTE_PGM_RSRC2:TGID_Y_EN: 0
; COMPUTE_PGM_RSRC2:TGID_Z_EN: 0
; COMPUTE_PGM_RSRC2:TIDIG_COMP_CNT: 0
	.section	.text._ZN7rocprim17ROCPRIM_400000_NS6detail17trampoline_kernelINS0_14default_configENS1_25partition_config_selectorILNS1_17partition_subalgoE5ElNS0_10empty_typeEbEEZZNS1_14partition_implILS5_5ELb0ES3_mN6hipcub16HIPCUB_304000_NS21CountingInputIteratorIllEEPS6_NSA_22TransformInputIteratorIbN2at6native12_GLOBAL__N_19NonZeroOpIdEEPKdlEENS0_5tupleIJPlS6_EEENSN_IJSD_SD_EEES6_PiJS6_EEE10hipError_tPvRmT3_T4_T5_T6_T7_T9_mT8_P12ihipStream_tbDpT10_ENKUlT_T0_E_clISt17integral_constantIbLb1EES1B_EEDaS16_S17_EUlS16_E_NS1_11comp_targetILNS1_3genE10ELNS1_11target_archE1200ELNS1_3gpuE4ELNS1_3repE0EEENS1_30default_config_static_selectorELNS0_4arch9wavefront6targetE0EEEvT1_,"axG",@progbits,_ZN7rocprim17ROCPRIM_400000_NS6detail17trampoline_kernelINS0_14default_configENS1_25partition_config_selectorILNS1_17partition_subalgoE5ElNS0_10empty_typeEbEEZZNS1_14partition_implILS5_5ELb0ES3_mN6hipcub16HIPCUB_304000_NS21CountingInputIteratorIllEEPS6_NSA_22TransformInputIteratorIbN2at6native12_GLOBAL__N_19NonZeroOpIdEEPKdlEENS0_5tupleIJPlS6_EEENSN_IJSD_SD_EEES6_PiJS6_EEE10hipError_tPvRmT3_T4_T5_T6_T7_T9_mT8_P12ihipStream_tbDpT10_ENKUlT_T0_E_clISt17integral_constantIbLb1EES1B_EEDaS16_S17_EUlS16_E_NS1_11comp_targetILNS1_3genE10ELNS1_11target_archE1200ELNS1_3gpuE4ELNS1_3repE0EEENS1_30default_config_static_selectorELNS0_4arch9wavefront6targetE0EEEvT1_,comdat
	.globl	_ZN7rocprim17ROCPRIM_400000_NS6detail17trampoline_kernelINS0_14default_configENS1_25partition_config_selectorILNS1_17partition_subalgoE5ElNS0_10empty_typeEbEEZZNS1_14partition_implILS5_5ELb0ES3_mN6hipcub16HIPCUB_304000_NS21CountingInputIteratorIllEEPS6_NSA_22TransformInputIteratorIbN2at6native12_GLOBAL__N_19NonZeroOpIdEEPKdlEENS0_5tupleIJPlS6_EEENSN_IJSD_SD_EEES6_PiJS6_EEE10hipError_tPvRmT3_T4_T5_T6_T7_T9_mT8_P12ihipStream_tbDpT10_ENKUlT_T0_E_clISt17integral_constantIbLb1EES1B_EEDaS16_S17_EUlS16_E_NS1_11comp_targetILNS1_3genE10ELNS1_11target_archE1200ELNS1_3gpuE4ELNS1_3repE0EEENS1_30default_config_static_selectorELNS0_4arch9wavefront6targetE0EEEvT1_ ; -- Begin function _ZN7rocprim17ROCPRIM_400000_NS6detail17trampoline_kernelINS0_14default_configENS1_25partition_config_selectorILNS1_17partition_subalgoE5ElNS0_10empty_typeEbEEZZNS1_14partition_implILS5_5ELb0ES3_mN6hipcub16HIPCUB_304000_NS21CountingInputIteratorIllEEPS6_NSA_22TransformInputIteratorIbN2at6native12_GLOBAL__N_19NonZeroOpIdEEPKdlEENS0_5tupleIJPlS6_EEENSN_IJSD_SD_EEES6_PiJS6_EEE10hipError_tPvRmT3_T4_T5_T6_T7_T9_mT8_P12ihipStream_tbDpT10_ENKUlT_T0_E_clISt17integral_constantIbLb1EES1B_EEDaS16_S17_EUlS16_E_NS1_11comp_targetILNS1_3genE10ELNS1_11target_archE1200ELNS1_3gpuE4ELNS1_3repE0EEENS1_30default_config_static_selectorELNS0_4arch9wavefront6targetE0EEEvT1_
	.p2align	8
	.type	_ZN7rocprim17ROCPRIM_400000_NS6detail17trampoline_kernelINS0_14default_configENS1_25partition_config_selectorILNS1_17partition_subalgoE5ElNS0_10empty_typeEbEEZZNS1_14partition_implILS5_5ELb0ES3_mN6hipcub16HIPCUB_304000_NS21CountingInputIteratorIllEEPS6_NSA_22TransformInputIteratorIbN2at6native12_GLOBAL__N_19NonZeroOpIdEEPKdlEENS0_5tupleIJPlS6_EEENSN_IJSD_SD_EEES6_PiJS6_EEE10hipError_tPvRmT3_T4_T5_T6_T7_T9_mT8_P12ihipStream_tbDpT10_ENKUlT_T0_E_clISt17integral_constantIbLb1EES1B_EEDaS16_S17_EUlS16_E_NS1_11comp_targetILNS1_3genE10ELNS1_11target_archE1200ELNS1_3gpuE4ELNS1_3repE0EEENS1_30default_config_static_selectorELNS0_4arch9wavefront6targetE0EEEvT1_,@function
_ZN7rocprim17ROCPRIM_400000_NS6detail17trampoline_kernelINS0_14default_configENS1_25partition_config_selectorILNS1_17partition_subalgoE5ElNS0_10empty_typeEbEEZZNS1_14partition_implILS5_5ELb0ES3_mN6hipcub16HIPCUB_304000_NS21CountingInputIteratorIllEEPS6_NSA_22TransformInputIteratorIbN2at6native12_GLOBAL__N_19NonZeroOpIdEEPKdlEENS0_5tupleIJPlS6_EEENSN_IJSD_SD_EEES6_PiJS6_EEE10hipError_tPvRmT3_T4_T5_T6_T7_T9_mT8_P12ihipStream_tbDpT10_ENKUlT_T0_E_clISt17integral_constantIbLb1EES1B_EEDaS16_S17_EUlS16_E_NS1_11comp_targetILNS1_3genE10ELNS1_11target_archE1200ELNS1_3gpuE4ELNS1_3repE0EEENS1_30default_config_static_selectorELNS0_4arch9wavefront6targetE0EEEvT1_: ; @_ZN7rocprim17ROCPRIM_400000_NS6detail17trampoline_kernelINS0_14default_configENS1_25partition_config_selectorILNS1_17partition_subalgoE5ElNS0_10empty_typeEbEEZZNS1_14partition_implILS5_5ELb0ES3_mN6hipcub16HIPCUB_304000_NS21CountingInputIteratorIllEEPS6_NSA_22TransformInputIteratorIbN2at6native12_GLOBAL__N_19NonZeroOpIdEEPKdlEENS0_5tupleIJPlS6_EEENSN_IJSD_SD_EEES6_PiJS6_EEE10hipError_tPvRmT3_T4_T5_T6_T7_T9_mT8_P12ihipStream_tbDpT10_ENKUlT_T0_E_clISt17integral_constantIbLb1EES1B_EEDaS16_S17_EUlS16_E_NS1_11comp_targetILNS1_3genE10ELNS1_11target_archE1200ELNS1_3gpuE4ELNS1_3repE0EEENS1_30default_config_static_selectorELNS0_4arch9wavefront6targetE0EEEvT1_
; %bb.0:
	.section	.rodata,"a",@progbits
	.p2align	6, 0x0
	.amdhsa_kernel _ZN7rocprim17ROCPRIM_400000_NS6detail17trampoline_kernelINS0_14default_configENS1_25partition_config_selectorILNS1_17partition_subalgoE5ElNS0_10empty_typeEbEEZZNS1_14partition_implILS5_5ELb0ES3_mN6hipcub16HIPCUB_304000_NS21CountingInputIteratorIllEEPS6_NSA_22TransformInputIteratorIbN2at6native12_GLOBAL__N_19NonZeroOpIdEEPKdlEENS0_5tupleIJPlS6_EEENSN_IJSD_SD_EEES6_PiJS6_EEE10hipError_tPvRmT3_T4_T5_T6_T7_T9_mT8_P12ihipStream_tbDpT10_ENKUlT_T0_E_clISt17integral_constantIbLb1EES1B_EEDaS16_S17_EUlS16_E_NS1_11comp_targetILNS1_3genE10ELNS1_11target_archE1200ELNS1_3gpuE4ELNS1_3repE0EEENS1_30default_config_static_selectorELNS0_4arch9wavefront6targetE0EEEvT1_
		.amdhsa_group_segment_fixed_size 0
		.amdhsa_private_segment_fixed_size 0
		.amdhsa_kernarg_size 136
		.amdhsa_user_sgpr_count 15
		.amdhsa_user_sgpr_dispatch_ptr 0
		.amdhsa_user_sgpr_queue_ptr 0
		.amdhsa_user_sgpr_kernarg_segment_ptr 1
		.amdhsa_user_sgpr_dispatch_id 0
		.amdhsa_user_sgpr_private_segment_size 0
		.amdhsa_wavefront_size32 1
		.amdhsa_uses_dynamic_stack 0
		.amdhsa_enable_private_segment 0
		.amdhsa_system_sgpr_workgroup_id_x 1
		.amdhsa_system_sgpr_workgroup_id_y 0
		.amdhsa_system_sgpr_workgroup_id_z 0
		.amdhsa_system_sgpr_workgroup_info 0
		.amdhsa_system_vgpr_workitem_id 0
		.amdhsa_next_free_vgpr 1
		.amdhsa_next_free_sgpr 1
		.amdhsa_reserve_vcc 0
		.amdhsa_float_round_mode_32 0
		.amdhsa_float_round_mode_16_64 0
		.amdhsa_float_denorm_mode_32 3
		.amdhsa_float_denorm_mode_16_64 3
		.amdhsa_dx10_clamp 1
		.amdhsa_ieee_mode 1
		.amdhsa_fp16_overflow 0
		.amdhsa_workgroup_processor_mode 1
		.amdhsa_memory_ordered 1
		.amdhsa_forward_progress 0
		.amdhsa_shared_vgpr_count 0
		.amdhsa_exception_fp_ieee_invalid_op 0
		.amdhsa_exception_fp_denorm_src 0
		.amdhsa_exception_fp_ieee_div_zero 0
		.amdhsa_exception_fp_ieee_overflow 0
		.amdhsa_exception_fp_ieee_underflow 0
		.amdhsa_exception_fp_ieee_inexact 0
		.amdhsa_exception_int_div_zero 0
	.end_amdhsa_kernel
	.section	.text._ZN7rocprim17ROCPRIM_400000_NS6detail17trampoline_kernelINS0_14default_configENS1_25partition_config_selectorILNS1_17partition_subalgoE5ElNS0_10empty_typeEbEEZZNS1_14partition_implILS5_5ELb0ES3_mN6hipcub16HIPCUB_304000_NS21CountingInputIteratorIllEEPS6_NSA_22TransformInputIteratorIbN2at6native12_GLOBAL__N_19NonZeroOpIdEEPKdlEENS0_5tupleIJPlS6_EEENSN_IJSD_SD_EEES6_PiJS6_EEE10hipError_tPvRmT3_T4_T5_T6_T7_T9_mT8_P12ihipStream_tbDpT10_ENKUlT_T0_E_clISt17integral_constantIbLb1EES1B_EEDaS16_S17_EUlS16_E_NS1_11comp_targetILNS1_3genE10ELNS1_11target_archE1200ELNS1_3gpuE4ELNS1_3repE0EEENS1_30default_config_static_selectorELNS0_4arch9wavefront6targetE0EEEvT1_,"axG",@progbits,_ZN7rocprim17ROCPRIM_400000_NS6detail17trampoline_kernelINS0_14default_configENS1_25partition_config_selectorILNS1_17partition_subalgoE5ElNS0_10empty_typeEbEEZZNS1_14partition_implILS5_5ELb0ES3_mN6hipcub16HIPCUB_304000_NS21CountingInputIteratorIllEEPS6_NSA_22TransformInputIteratorIbN2at6native12_GLOBAL__N_19NonZeroOpIdEEPKdlEENS0_5tupleIJPlS6_EEENSN_IJSD_SD_EEES6_PiJS6_EEE10hipError_tPvRmT3_T4_T5_T6_T7_T9_mT8_P12ihipStream_tbDpT10_ENKUlT_T0_E_clISt17integral_constantIbLb1EES1B_EEDaS16_S17_EUlS16_E_NS1_11comp_targetILNS1_3genE10ELNS1_11target_archE1200ELNS1_3gpuE4ELNS1_3repE0EEENS1_30default_config_static_selectorELNS0_4arch9wavefront6targetE0EEEvT1_,comdat
.Lfunc_end403:
	.size	_ZN7rocprim17ROCPRIM_400000_NS6detail17trampoline_kernelINS0_14default_configENS1_25partition_config_selectorILNS1_17partition_subalgoE5ElNS0_10empty_typeEbEEZZNS1_14partition_implILS5_5ELb0ES3_mN6hipcub16HIPCUB_304000_NS21CountingInputIteratorIllEEPS6_NSA_22TransformInputIteratorIbN2at6native12_GLOBAL__N_19NonZeroOpIdEEPKdlEENS0_5tupleIJPlS6_EEENSN_IJSD_SD_EEES6_PiJS6_EEE10hipError_tPvRmT3_T4_T5_T6_T7_T9_mT8_P12ihipStream_tbDpT10_ENKUlT_T0_E_clISt17integral_constantIbLb1EES1B_EEDaS16_S17_EUlS16_E_NS1_11comp_targetILNS1_3genE10ELNS1_11target_archE1200ELNS1_3gpuE4ELNS1_3repE0EEENS1_30default_config_static_selectorELNS0_4arch9wavefront6targetE0EEEvT1_, .Lfunc_end403-_ZN7rocprim17ROCPRIM_400000_NS6detail17trampoline_kernelINS0_14default_configENS1_25partition_config_selectorILNS1_17partition_subalgoE5ElNS0_10empty_typeEbEEZZNS1_14partition_implILS5_5ELb0ES3_mN6hipcub16HIPCUB_304000_NS21CountingInputIteratorIllEEPS6_NSA_22TransformInputIteratorIbN2at6native12_GLOBAL__N_19NonZeroOpIdEEPKdlEENS0_5tupleIJPlS6_EEENSN_IJSD_SD_EEES6_PiJS6_EEE10hipError_tPvRmT3_T4_T5_T6_T7_T9_mT8_P12ihipStream_tbDpT10_ENKUlT_T0_E_clISt17integral_constantIbLb1EES1B_EEDaS16_S17_EUlS16_E_NS1_11comp_targetILNS1_3genE10ELNS1_11target_archE1200ELNS1_3gpuE4ELNS1_3repE0EEENS1_30default_config_static_selectorELNS0_4arch9wavefront6targetE0EEEvT1_
                                        ; -- End function
	.section	.AMDGPU.csdata,"",@progbits
; Kernel info:
; codeLenInByte = 0
; NumSgprs: 0
; NumVgprs: 0
; ScratchSize: 0
; MemoryBound: 0
; FloatMode: 240
; IeeeMode: 1
; LDSByteSize: 0 bytes/workgroup (compile time only)
; SGPRBlocks: 0
; VGPRBlocks: 0
; NumSGPRsForWavesPerEU: 1
; NumVGPRsForWavesPerEU: 1
; Occupancy: 16
; WaveLimiterHint : 0
; COMPUTE_PGM_RSRC2:SCRATCH_EN: 0
; COMPUTE_PGM_RSRC2:USER_SGPR: 15
; COMPUTE_PGM_RSRC2:TRAP_HANDLER: 0
; COMPUTE_PGM_RSRC2:TGID_X_EN: 1
; COMPUTE_PGM_RSRC2:TGID_Y_EN: 0
; COMPUTE_PGM_RSRC2:TGID_Z_EN: 0
; COMPUTE_PGM_RSRC2:TIDIG_COMP_CNT: 0
	.section	.text._ZN7rocprim17ROCPRIM_400000_NS6detail17trampoline_kernelINS0_14default_configENS1_25partition_config_selectorILNS1_17partition_subalgoE5ElNS0_10empty_typeEbEEZZNS1_14partition_implILS5_5ELb0ES3_mN6hipcub16HIPCUB_304000_NS21CountingInputIteratorIllEEPS6_NSA_22TransformInputIteratorIbN2at6native12_GLOBAL__N_19NonZeroOpIdEEPKdlEENS0_5tupleIJPlS6_EEENSN_IJSD_SD_EEES6_PiJS6_EEE10hipError_tPvRmT3_T4_T5_T6_T7_T9_mT8_P12ihipStream_tbDpT10_ENKUlT_T0_E_clISt17integral_constantIbLb1EES1B_EEDaS16_S17_EUlS16_E_NS1_11comp_targetILNS1_3genE9ELNS1_11target_archE1100ELNS1_3gpuE3ELNS1_3repE0EEENS1_30default_config_static_selectorELNS0_4arch9wavefront6targetE0EEEvT1_,"axG",@progbits,_ZN7rocprim17ROCPRIM_400000_NS6detail17trampoline_kernelINS0_14default_configENS1_25partition_config_selectorILNS1_17partition_subalgoE5ElNS0_10empty_typeEbEEZZNS1_14partition_implILS5_5ELb0ES3_mN6hipcub16HIPCUB_304000_NS21CountingInputIteratorIllEEPS6_NSA_22TransformInputIteratorIbN2at6native12_GLOBAL__N_19NonZeroOpIdEEPKdlEENS0_5tupleIJPlS6_EEENSN_IJSD_SD_EEES6_PiJS6_EEE10hipError_tPvRmT3_T4_T5_T6_T7_T9_mT8_P12ihipStream_tbDpT10_ENKUlT_T0_E_clISt17integral_constantIbLb1EES1B_EEDaS16_S17_EUlS16_E_NS1_11comp_targetILNS1_3genE9ELNS1_11target_archE1100ELNS1_3gpuE3ELNS1_3repE0EEENS1_30default_config_static_selectorELNS0_4arch9wavefront6targetE0EEEvT1_,comdat
	.globl	_ZN7rocprim17ROCPRIM_400000_NS6detail17trampoline_kernelINS0_14default_configENS1_25partition_config_selectorILNS1_17partition_subalgoE5ElNS0_10empty_typeEbEEZZNS1_14partition_implILS5_5ELb0ES3_mN6hipcub16HIPCUB_304000_NS21CountingInputIteratorIllEEPS6_NSA_22TransformInputIteratorIbN2at6native12_GLOBAL__N_19NonZeroOpIdEEPKdlEENS0_5tupleIJPlS6_EEENSN_IJSD_SD_EEES6_PiJS6_EEE10hipError_tPvRmT3_T4_T5_T6_T7_T9_mT8_P12ihipStream_tbDpT10_ENKUlT_T0_E_clISt17integral_constantIbLb1EES1B_EEDaS16_S17_EUlS16_E_NS1_11comp_targetILNS1_3genE9ELNS1_11target_archE1100ELNS1_3gpuE3ELNS1_3repE0EEENS1_30default_config_static_selectorELNS0_4arch9wavefront6targetE0EEEvT1_ ; -- Begin function _ZN7rocprim17ROCPRIM_400000_NS6detail17trampoline_kernelINS0_14default_configENS1_25partition_config_selectorILNS1_17partition_subalgoE5ElNS0_10empty_typeEbEEZZNS1_14partition_implILS5_5ELb0ES3_mN6hipcub16HIPCUB_304000_NS21CountingInputIteratorIllEEPS6_NSA_22TransformInputIteratorIbN2at6native12_GLOBAL__N_19NonZeroOpIdEEPKdlEENS0_5tupleIJPlS6_EEENSN_IJSD_SD_EEES6_PiJS6_EEE10hipError_tPvRmT3_T4_T5_T6_T7_T9_mT8_P12ihipStream_tbDpT10_ENKUlT_T0_E_clISt17integral_constantIbLb1EES1B_EEDaS16_S17_EUlS16_E_NS1_11comp_targetILNS1_3genE9ELNS1_11target_archE1100ELNS1_3gpuE3ELNS1_3repE0EEENS1_30default_config_static_selectorELNS0_4arch9wavefront6targetE0EEEvT1_
	.p2align	8
	.type	_ZN7rocprim17ROCPRIM_400000_NS6detail17trampoline_kernelINS0_14default_configENS1_25partition_config_selectorILNS1_17partition_subalgoE5ElNS0_10empty_typeEbEEZZNS1_14partition_implILS5_5ELb0ES3_mN6hipcub16HIPCUB_304000_NS21CountingInputIteratorIllEEPS6_NSA_22TransformInputIteratorIbN2at6native12_GLOBAL__N_19NonZeroOpIdEEPKdlEENS0_5tupleIJPlS6_EEENSN_IJSD_SD_EEES6_PiJS6_EEE10hipError_tPvRmT3_T4_T5_T6_T7_T9_mT8_P12ihipStream_tbDpT10_ENKUlT_T0_E_clISt17integral_constantIbLb1EES1B_EEDaS16_S17_EUlS16_E_NS1_11comp_targetILNS1_3genE9ELNS1_11target_archE1100ELNS1_3gpuE3ELNS1_3repE0EEENS1_30default_config_static_selectorELNS0_4arch9wavefront6targetE0EEEvT1_,@function
_ZN7rocprim17ROCPRIM_400000_NS6detail17trampoline_kernelINS0_14default_configENS1_25partition_config_selectorILNS1_17partition_subalgoE5ElNS0_10empty_typeEbEEZZNS1_14partition_implILS5_5ELb0ES3_mN6hipcub16HIPCUB_304000_NS21CountingInputIteratorIllEEPS6_NSA_22TransformInputIteratorIbN2at6native12_GLOBAL__N_19NonZeroOpIdEEPKdlEENS0_5tupleIJPlS6_EEENSN_IJSD_SD_EEES6_PiJS6_EEE10hipError_tPvRmT3_T4_T5_T6_T7_T9_mT8_P12ihipStream_tbDpT10_ENKUlT_T0_E_clISt17integral_constantIbLb1EES1B_EEDaS16_S17_EUlS16_E_NS1_11comp_targetILNS1_3genE9ELNS1_11target_archE1100ELNS1_3gpuE3ELNS1_3repE0EEENS1_30default_config_static_selectorELNS0_4arch9wavefront6targetE0EEEvT1_: ; @_ZN7rocprim17ROCPRIM_400000_NS6detail17trampoline_kernelINS0_14default_configENS1_25partition_config_selectorILNS1_17partition_subalgoE5ElNS0_10empty_typeEbEEZZNS1_14partition_implILS5_5ELb0ES3_mN6hipcub16HIPCUB_304000_NS21CountingInputIteratorIllEEPS6_NSA_22TransformInputIteratorIbN2at6native12_GLOBAL__N_19NonZeroOpIdEEPKdlEENS0_5tupleIJPlS6_EEENSN_IJSD_SD_EEES6_PiJS6_EEE10hipError_tPvRmT3_T4_T5_T6_T7_T9_mT8_P12ihipStream_tbDpT10_ENKUlT_T0_E_clISt17integral_constantIbLb1EES1B_EEDaS16_S17_EUlS16_E_NS1_11comp_targetILNS1_3genE9ELNS1_11target_archE1100ELNS1_3gpuE3ELNS1_3repE0EEENS1_30default_config_static_selectorELNS0_4arch9wavefront6targetE0EEEvT1_
; %bb.0:
	s_clause 0x4
	s_load_b64 s[18:19], s[0:1], 0x20
	s_load_b64 s[12:13], s[0:1], 0x30
	s_load_b64 s[16:17], s[0:1], 0x58
	s_load_b128 s[4:7], s[0:1], 0x48
	s_load_b64 s[14:15], s[0:1], 0x68
	v_cmp_eq_u32_e64 s2, 0, v0
	s_delay_alu instid0(VALU_DEP_1)
	s_and_saveexec_b32 s3, s2
	s_cbranch_execz .LBB404_4
; %bb.1:
	s_mov_b32 s9, exec_lo
	s_mov_b32 s8, exec_lo
	v_mbcnt_lo_u32_b32 v1, s9, 0
                                        ; implicit-def: $vgpr2
	s_delay_alu instid0(VALU_DEP_1)
	v_cmpx_eq_u32_e32 0, v1
	s_cbranch_execz .LBB404_3
; %bb.2:
	s_load_b64 s[10:11], s[0:1], 0x78
	s_bcnt1_i32_b32 s9, s9
	s_delay_alu instid0(SALU_CYCLE_1)
	v_dual_mov_b32 v2, 0 :: v_dual_mov_b32 v3, s9
	s_waitcnt lgkmcnt(0)
	global_atomic_add_u32 v2, v2, v3, s[10:11] glc
.LBB404_3:
	s_or_b32 exec_lo, exec_lo, s8
	s_waitcnt vmcnt(0)
	v_readfirstlane_b32 s8, v2
	s_delay_alu instid0(VALU_DEP_1)
	v_dual_mov_b32 v2, 0 :: v_dual_add_nc_u32 v1, s8, v1
	ds_store_b32 v2, v1
.LBB404_4:
	s_or_b32 exec_lo, exec_lo, s3
	v_mov_b32_e32 v1, 0
	s_clause 0x1
	s_load_b128 s[8:11], s[0:1], 0x8
	s_load_b32 s0, s[0:1], 0x70
	s_waitcnt lgkmcnt(0)
	s_barrier
	buffer_gl0_inv
	ds_load_b32 v3, v1
	s_waitcnt lgkmcnt(0)
	s_barrier
	buffer_gl0_inv
	global_load_b64 v[1:2], v1, s[6:7]
	s_add_u32 s21, s10, s8
	s_mul_i32 s20, s0, 0x300
	s_addc_u32 s22, s11, s9
	s_add_i32 s3, s0, -1
	s_add_u32 s0, s10, s20
	v_readfirstlane_b32 s9, v3
	s_addc_u32 s1, s11, 0
	s_delay_alu instid0(SALU_CYCLE_1) | instskip(SKIP_1) | instid1(VALU_DEP_2)
	v_cmp_ge_u64_e64 s0, s[0:1], s[16:17]
	s_mov_b32 s17, -1
	s_cmp_eq_u32 s9, s3
	s_cselect_b32 s3, -1, 0
	s_delay_alu instid0(VALU_DEP_1) | instid1(SALU_CYCLE_1)
	s_and_b32 s1, s0, s3
	s_mul_i32 s0, s9, 0x300
	s_xor_b32 s8, s1, -1
	s_mov_b32 s1, 0
	s_and_b32 vcc_lo, exec_lo, s8
	s_waitcnt vmcnt(0)
	v_readfirstlane_b32 s6, v1
	v_readfirstlane_b32 s7, v2
	s_cbranch_vccz .LBB404_6
; %bb.5:
	s_add_u32 s17, s0, s21
	s_addc_u32 s23, 0, s22
	v_add_co_u32 v1, s17, s17, v0
	s_delay_alu instid0(VALU_DEP_1) | instskip(SKIP_1) | instid1(VALU_DEP_3)
	v_add_co_ci_u32_e64 v2, null, s23, 0, s17
	v_lshlrev_b32_e32 v13, 3, v0
	v_add_co_u32 v3, vcc_lo, 0x80, v1
	s_delay_alu instid0(VALU_DEP_3)
	v_add_co_ci_u32_e32 v4, vcc_lo, 0, v2, vcc_lo
	v_add_co_u32 v5, vcc_lo, 0x100, v1
	v_add_co_ci_u32_e32 v6, vcc_lo, 0, v2, vcc_lo
	v_add_co_u32 v7, vcc_lo, 0x180, v1
	;; [unrolled: 2-line block ×4, first 2 shown]
	v_add_co_ci_u32_e32 v12, vcc_lo, 0, v2, vcc_lo
	ds_store_2addr_stride64_b64 v13, v[1:2], v[3:4] offset1:2
	ds_store_2addr_stride64_b64 v13, v[5:6], v[7:8] offset0:4 offset1:6
	ds_store_2addr_stride64_b64 v13, v[9:10], v[11:12] offset0:8 offset1:10
	s_waitcnt lgkmcnt(0)
	s_mov_b32 s17, s1
	s_barrier
.LBB404_6:
	v_or_b32_e32 v17, 0x100, v0
	v_or_b32_e32 v16, 0x180, v0
	;; [unrolled: 1-line block ×4, first 2 shown]
	s_and_not1_b32 vcc_lo, exec_lo, s17
	s_cbranch_vccnz .LBB404_8
; %bb.7:
	v_or_b32_e32 v3, 0x80, v0
	s_add_u32 s17, s21, s0
	s_addc_u32 s21, s22, 0
	v_add_co_u32 v1, s22, s17, v0
	s_delay_alu instid0(VALU_DEP_1) | instskip(SKIP_1) | instid1(VALU_DEP_1)
	v_add_co_ci_u32_e64 v2, null, s21, 0, s22
	v_add_co_u32 v3, s22, s17, v3
	v_add_co_ci_u32_e64 v4, null, s21, 0, s22
	v_add_co_u32 v5, s22, s17, v17
	s_delay_alu instid0(VALU_DEP_1) | instskip(SKIP_1) | instid1(VALU_DEP_1)
	v_add_co_ci_u32_e64 v6, null, s21, 0, s22
	v_add_co_u32 v7, s22, s17, v16
	v_add_co_ci_u32_e64 v8, null, s21, 0, s22
	v_add_co_u32 v9, s22, s17, v14
	v_lshlrev_b32_e32 v15, 3, v0
	v_add_co_u32 v11, s17, s17, v13
	v_add_co_ci_u32_e64 v10, null, s21, 0, s22
	v_add_co_ci_u32_e64 v12, null, s21, 0, s17
	ds_store_2addr_stride64_b64 v15, v[1:2], v[3:4] offset1:2
	ds_store_2addr_stride64_b64 v15, v[5:6], v[7:8] offset0:4 offset1:6
	ds_store_2addr_stride64_b64 v15, v[9:10], v[11:12] offset0:8 offset1:10
	s_waitcnt lgkmcnt(0)
	s_barrier
.LBB404_8:
	v_mul_u32_u24_e32 v1, 6, v0
	buffer_gl0_inv
	s_lshl_b64 s[22:23], s[10:11], 3
	s_delay_alu instid0(SALU_CYCLE_1)
	s_add_u32 s11, s18, s22
	v_lshlrev_b32_e32 v15, 3, v1
	s_addc_u32 s17, s19, s23
	s_lshl_b64 s[0:1], s[0:1], 3
	ds_load_b128 v[9:12], v15
	ds_load_b128 v[5:8], v15 offset:16
	ds_load_b128 v[1:4], v15 offset:32
	s_add_u32 s0, s11, s0
	s_addc_u32 s1, s17, s1
	s_and_b32 vcc_lo, exec_lo, s8
	s_mov_b32 s11, -1
	s_waitcnt lgkmcnt(0)
	s_barrier
	buffer_gl0_inv
	s_cbranch_vccz .LBB404_10
; %bb.9:
	v_lshlrev_b32_e32 v26, 3, v0
	s_clause 0x1
	global_load_b64 v[18:19], v26, s[0:1]
	global_load_b64 v[20:21], v26, s[0:1] offset:1024
	v_add_co_u32 v22, s11, s0, v26
	s_delay_alu instid0(VALU_DEP_1) | instskip(SKIP_1) | instid1(VALU_DEP_2)
	v_add_co_ci_u32_e64 v23, null, s1, 0, s11
	s_mov_b32 s11, 0
	v_add_co_u32 v22, vcc_lo, 0x1000, v22
	s_delay_alu instid0(VALU_DEP_2)
	v_add_co_ci_u32_e32 v23, vcc_lo, 0, v23, vcc_lo
	s_clause 0x3
	global_load_b64 v[24:25], v26, s[0:1] offset:2048
	global_load_b64 v[26:27], v26, s[0:1] offset:3072
	global_load_b64 v[28:29], v[22:23], off
	global_load_b64 v[22:23], v[22:23], off offset:1024
	s_waitcnt vmcnt(5)
	v_cmp_neq_f64_e32 vcc_lo, 0, v[18:19]
	v_cndmask_b32_e64 v18, 0, 1, vcc_lo
	s_waitcnt vmcnt(4)
	v_cmp_neq_f64_e32 vcc_lo, 0, v[20:21]
	v_cndmask_b32_e64 v19, 0, 1, vcc_lo
	;; [unrolled: 3-line block ×6, first 2 shown]
	ds_store_b8 v0, v18
	ds_store_b8 v0, v19 offset:128
	ds_store_b8 v0, v20 offset:256
	;; [unrolled: 1-line block ×5, first 2 shown]
	s_waitcnt lgkmcnt(0)
	s_barrier
.LBB404_10:
	s_and_not1_b32 vcc_lo, exec_lo, s11
	s_cbranch_vccnz .LBB404_24
; %bb.11:
	s_add_i32 s20, s20, s10
	v_dual_mov_b32 v18, 0 :: v_dual_mov_b32 v19, 0
	s_sub_i32 s10, s16, s20
	s_mov_b32 s11, exec_lo
	s_addk_i32 s10, 0x300
	s_delay_alu instid0(SALU_CYCLE_1)
	v_cmpx_gt_u32_e64 s10, v0
	s_cbranch_execz .LBB404_13
; %bb.12:
	v_lshlrev_b32_e32 v19, 3, v0
	global_load_b64 v[19:20], v19, s[0:1]
	s_waitcnt vmcnt(0)
	v_cmp_neq_f64_e32 vcc_lo, 0, v[19:20]
	v_cndmask_b32_e64 v19, 0, 1, vcc_lo
.LBB404_13:
	s_or_b32 exec_lo, exec_lo, s11
	v_or_b32_e32 v20, 0x80, v0
	s_mov_b32 s11, exec_lo
	s_delay_alu instid0(VALU_DEP_1)
	v_cmpx_gt_u32_e64 s10, v20
	s_cbranch_execz .LBB404_15
; %bb.14:
	v_lshlrev_b32_e32 v18, 3, v0
	global_load_b64 v[20:21], v18, s[0:1] offset:1024
	s_waitcnt vmcnt(0)
	v_cmp_neq_f64_e32 vcc_lo, 0, v[20:21]
	v_cndmask_b32_e64 v18, 0, 1, vcc_lo
.LBB404_15:
	s_or_b32 exec_lo, exec_lo, s11
	v_cmp_gt_u32_e32 vcc_lo, s10, v17
	v_dual_mov_b32 v17, 0 :: v_dual_mov_b32 v20, 0
	s_and_saveexec_b32 s11, vcc_lo
	s_cbranch_execz .LBB404_17
; %bb.16:
	v_lshlrev_b32_e32 v20, 3, v0
	global_load_b64 v[20:21], v20, s[0:1] offset:2048
	s_waitcnt vmcnt(0)
	v_cmp_neq_f64_e32 vcc_lo, 0, v[20:21]
	v_cndmask_b32_e64 v20, 0, 1, vcc_lo
.LBB404_17:
	s_or_b32 exec_lo, exec_lo, s11
	s_delay_alu instid0(SALU_CYCLE_1)
	s_mov_b32 s11, exec_lo
	v_cmpx_gt_u32_e64 s10, v16
	s_cbranch_execz .LBB404_19
; %bb.18:
	v_lshlrev_b32_e32 v16, 3, v0
	global_load_b64 v[16:17], v16, s[0:1] offset:3072
	s_waitcnt vmcnt(0)
	v_cmp_neq_f64_e32 vcc_lo, 0, v[16:17]
	v_cndmask_b32_e64 v17, 0, 1, vcc_lo
.LBB404_19:
	s_or_b32 exec_lo, exec_lo, s11
	v_dual_mov_b32 v16, 0 :: v_dual_mov_b32 v21, 0
	s_mov_b32 s11, exec_lo
	v_cmpx_gt_u32_e64 s10, v14
	s_cbranch_execz .LBB404_21
; %bb.20:
	v_lshlrev_b32_e32 v14, 3, v14
	global_load_b64 v[21:22], v14, s[0:1]
	s_waitcnt vmcnt(0)
	v_cmp_neq_f64_e32 vcc_lo, 0, v[21:22]
	v_cndmask_b32_e64 v21, 0, 1, vcc_lo
.LBB404_21:
	s_or_b32 exec_lo, exec_lo, s11
	v_cmp_gt_u32_e32 vcc_lo, s10, v13
	s_and_saveexec_b32 s10, vcc_lo
	s_cbranch_execz .LBB404_23
; %bb.22:
	v_lshlrev_b32_e32 v13, 3, v13
	global_load_b64 v[13:14], v13, s[0:1]
	s_waitcnt vmcnt(0)
	v_cmp_neq_f64_e32 vcc_lo, 0, v[13:14]
	v_cndmask_b32_e64 v16, 0, 1, vcc_lo
.LBB404_23:
	s_or_b32 exec_lo, exec_lo, s10
	ds_store_b8 v0, v19
	ds_store_b8 v0, v18 offset:128
	ds_store_b8 v0, v20 offset:256
	;; [unrolled: 1-line block ×5, first 2 shown]
	s_waitcnt lgkmcnt(0)
	s_barrier
.LBB404_24:
	v_mad_i32_i24 v43, 0xffffffd6, v0, v15
	buffer_gl0_inv
	v_mbcnt_lo_u32_b32 v42, -1, 0
	s_cmp_lg_u32 s9, 0
	s_mov_b32 s1, -1
	ds_load_u16 v36, v43
	ds_load_u16 v33, v43 offset:2
	ds_load_u16 v31, v43 offset:4
	v_mov_b32_e32 v14, 0
	v_and_b32_e32 v44, 15, v42
	s_waitcnt lgkmcnt(0)
	s_barrier
	buffer_gl0_inv
	v_and_b32_e32 v41, 0xff, v36
	v_lshrrev_b16 v34, 8, v36
	v_lshrrev_b16 v35, 8, v33
	v_and_b32_e32 v39, 0xff, v33
	v_lshrrev_b16 v32, 8, v31
	v_and_b32_e32 v37, 0xff, v31
	v_and_b32_e32 v40, 0xffff, v34
	;; [unrolled: 1-line block ×3, first 2 shown]
	s_delay_alu instid0(VALU_DEP_4) | instskip(NEXT) | instid1(VALU_DEP_3)
	v_and_b32_e32 v16, 0xffff, v32
	v_add_co_u32 v13, s0, v40, v41
	s_delay_alu instid0(VALU_DEP_1) | instskip(SKIP_1) | instid1(VALU_DEP_3)
	v_add_co_ci_u32_e64 v15, null, 0, 0, s0
	v_cmp_ne_u32_e64 s0, 0, v44
	v_add_co_u32 v13, vcc_lo, v13, v39
	s_delay_alu instid0(VALU_DEP_3) | instskip(NEXT) | instid1(VALU_DEP_2)
	v_add_co_ci_u32_e32 v15, vcc_lo, 0, v15, vcc_lo
	v_add_co_u32 v13, vcc_lo, v13, v38
	s_delay_alu instid0(VALU_DEP_2) | instskip(NEXT) | instid1(VALU_DEP_2)
	v_add_co_ci_u32_e32 v15, vcc_lo, 0, v15, vcc_lo
	v_add_co_u32 v13, vcc_lo, v13, v37
	s_delay_alu instid0(VALU_DEP_2) | instskip(NEXT) | instid1(VALU_DEP_2)
	v_add_co_ci_u32_e32 v15, vcc_lo, 0, v15, vcc_lo
	v_add_co_u32 v21, vcc_lo, v13, v16
	s_delay_alu instid0(VALU_DEP_2)
	v_add_co_ci_u32_e32 v22, vcc_lo, 0, v15, vcc_lo
	s_cbranch_scc0 .LBB404_93
; %bb.25:
	s_delay_alu instid0(VALU_DEP_2)
	v_mov_b32_e32 v15, v21
	v_mov_b32_dpp v13, v21 row_shr:1 row_mask:0xf bank_mask:0xf
	v_mov_b32_dpp v18, v14 row_shr:1 row_mask:0xf bank_mask:0xf
	v_dual_mov_b32 v17, v21 :: v_dual_mov_b32 v16, v22
	s_and_saveexec_b32 s1, s0
; %bb.26:
	s_delay_alu instid0(VALU_DEP_3) | instskip(SKIP_1) | instid1(VALU_DEP_2)
	v_add_co_u32 v17, vcc_lo, v21, v13
	v_add_co_ci_u32_e32 v14, vcc_lo, 0, v22, vcc_lo
	v_add_co_u32 v13, vcc_lo, 0, v17
	s_delay_alu instid0(VALU_DEP_2) | instskip(NEXT) | instid1(VALU_DEP_1)
	v_add_co_ci_u32_e32 v14, vcc_lo, v18, v14, vcc_lo
	v_dual_mov_b32 v16, v14 :: v_dual_mov_b32 v15, v13
; %bb.27:
	s_or_b32 exec_lo, exec_lo, s1
	v_mov_b32_dpp v13, v17 row_shr:2 row_mask:0xf bank_mask:0xf
	v_mov_b32_dpp v18, v14 row_shr:2 row_mask:0xf bank_mask:0xf
	s_mov_b32 s1, exec_lo
	v_cmpx_lt_u32_e32 1, v44
; %bb.28:
	s_delay_alu instid0(VALU_DEP_3) | instskip(SKIP_1) | instid1(VALU_DEP_2)
	v_add_co_u32 v17, vcc_lo, v15, v13
	v_add_co_ci_u32_e32 v14, vcc_lo, 0, v16, vcc_lo
	v_add_co_u32 v13, vcc_lo, 0, v17
	s_delay_alu instid0(VALU_DEP_2) | instskip(NEXT) | instid1(VALU_DEP_1)
	v_add_co_ci_u32_e32 v14, vcc_lo, v18, v14, vcc_lo
	v_dual_mov_b32 v16, v14 :: v_dual_mov_b32 v15, v13
; %bb.29:
	s_or_b32 exec_lo, exec_lo, s1
	v_mov_b32_dpp v13, v17 row_shr:4 row_mask:0xf bank_mask:0xf
	v_mov_b32_dpp v18, v14 row_shr:4 row_mask:0xf bank_mask:0xf
	s_mov_b32 s1, exec_lo
	v_cmpx_lt_u32_e32 3, v44
	;; [unrolled: 14-line block ×3, first 2 shown]
; %bb.32:
	s_delay_alu instid0(VALU_DEP_3) | instskip(SKIP_1) | instid1(VALU_DEP_2)
	v_add_co_u32 v17, vcc_lo, v15, v18
	v_add_co_ci_u32_e32 v14, vcc_lo, 0, v16, vcc_lo
	v_add_co_u32 v15, vcc_lo, 0, v17
	s_delay_alu instid0(VALU_DEP_2) | instskip(NEXT) | instid1(VALU_DEP_1)
	v_add_co_ci_u32_e32 v16, vcc_lo, v13, v14, vcc_lo
	v_mov_b32_e32 v14, v16
; %bb.33:
	s_or_b32 exec_lo, exec_lo, s1
	ds_swizzle_b32 v13, v17 offset:swizzle(BROADCAST,32,15)
	ds_swizzle_b32 v18, v14 offset:swizzle(BROADCAST,32,15)
	v_and_b32_e32 v19, 16, v42
	s_mov_b32 s1, exec_lo
	s_delay_alu instid0(VALU_DEP_1)
	v_cmpx_ne_u32_e32 0, v19
	s_cbranch_execz .LBB404_35
; %bb.34:
	s_waitcnt lgkmcnt(1)
	v_add_co_u32 v17, vcc_lo, v15, v13
	v_add_co_ci_u32_e32 v14, vcc_lo, 0, v16, vcc_lo
	s_delay_alu instid0(VALU_DEP_2) | instskip(SKIP_1) | instid1(VALU_DEP_2)
	v_add_co_u32 v13, vcc_lo, 0, v17
	s_waitcnt lgkmcnt(0)
	v_add_co_ci_u32_e32 v14, vcc_lo, v18, v14, vcc_lo
	s_delay_alu instid0(VALU_DEP_1)
	v_dual_mov_b32 v16, v14 :: v_dual_mov_b32 v15, v13
.LBB404_35:
	s_or_b32 exec_lo, exec_lo, s1
	s_waitcnt lgkmcnt(0)
	v_or_b32_e32 v18, 31, v0
	v_lshrrev_b32_e32 v13, 5, v0
	s_mov_b32 s1, exec_lo
	s_delay_alu instid0(VALU_DEP_2)
	v_cmpx_eq_u32_e64 v18, v0
	s_cbranch_execz .LBB404_37
; %bb.36:
	s_delay_alu instid0(VALU_DEP_2)
	v_lshlrev_b32_e32 v18, 3, v13
	ds_store_b64 v18, v[15:16]
.LBB404_37:
	s_or_b32 exec_lo, exec_lo, s1
	s_delay_alu instid0(SALU_CYCLE_1)
	s_mov_b32 s1, exec_lo
	s_waitcnt lgkmcnt(0)
	s_barrier
	buffer_gl0_inv
	v_cmpx_gt_u32_e32 4, v0
	s_cbranch_execz .LBB404_43
; %bb.38:
	v_lshlrev_b32_e32 v18, 3, v0
	s_mov_b32 s10, exec_lo
	ds_load_b64 v[15:16], v18
	s_waitcnt lgkmcnt(0)
	v_dual_mov_b32 v20, v15 :: v_dual_and_b32 v19, 3, v42
	v_mov_b32_dpp v24, v15 row_shr:1 row_mask:0xf bank_mask:0xf
	v_mov_b32_dpp v23, v16 row_shr:1 row_mask:0xf bank_mask:0xf
	s_delay_alu instid0(VALU_DEP_3)
	v_cmpx_ne_u32_e32 0, v19
; %bb.39:
	s_delay_alu instid0(VALU_DEP_3) | instskip(SKIP_1) | instid1(VALU_DEP_2)
	v_add_co_u32 v20, vcc_lo, v15, v24
	v_add_co_ci_u32_e32 v16, vcc_lo, 0, v16, vcc_lo
	v_add_co_u32 v15, vcc_lo, 0, v20
	s_delay_alu instid0(VALU_DEP_2)
	v_add_co_ci_u32_e32 v16, vcc_lo, v23, v16, vcc_lo
; %bb.40:
	s_or_b32 exec_lo, exec_lo, s10
	v_mov_b32_dpp v23, v20 row_shr:2 row_mask:0xf bank_mask:0xf
	s_delay_alu instid0(VALU_DEP_2)
	v_mov_b32_dpp v20, v16 row_shr:2 row_mask:0xf bank_mask:0xf
	s_mov_b32 s10, exec_lo
	v_cmpx_lt_u32_e32 1, v19
; %bb.41:
	s_delay_alu instid0(VALU_DEP_3) | instskip(SKIP_1) | instid1(VALU_DEP_2)
	v_add_co_u32 v15, vcc_lo, v15, v23
	v_add_co_ci_u32_e32 v16, vcc_lo, 0, v16, vcc_lo
	v_add_co_u32 v15, vcc_lo, v15, 0
	s_delay_alu instid0(VALU_DEP_2)
	v_add_co_ci_u32_e32 v16, vcc_lo, v16, v20, vcc_lo
; %bb.42:
	s_or_b32 exec_lo, exec_lo, s10
	ds_store_b64 v18, v[15:16]
.LBB404_43:
	s_or_b32 exec_lo, exec_lo, s1
	v_cmp_gt_u32_e32 vcc_lo, 32, v0
	s_mov_b32 s10, exec_lo
	s_waitcnt lgkmcnt(0)
	s_barrier
	buffer_gl0_inv
                                        ; implicit-def: $vgpr23_vgpr24
	v_cmpx_lt_u32_e32 31, v0
	s_cbranch_execz .LBB404_45
; %bb.44:
	v_lshl_add_u32 v13, v13, 3, -8
	ds_load_b64 v[23:24], v13
	s_waitcnt lgkmcnt(0)
	v_add_co_u32 v17, s1, v17, v23
	s_delay_alu instid0(VALU_DEP_1)
	v_add_co_ci_u32_e64 v14, s1, v14, v24, s1
.LBB404_45:
	s_or_b32 exec_lo, exec_lo, s10
	v_add_nc_u32_e32 v13, -1, v42
	s_delay_alu instid0(VALU_DEP_1) | instskip(NEXT) | instid1(VALU_DEP_1)
	v_cmp_gt_i32_e64 s1, 0, v13
	v_cndmask_b32_e64 v13, v13, v42, s1
	v_cmp_eq_u32_e64 s1, 0, v42
	s_delay_alu instid0(VALU_DEP_2)
	v_lshlrev_b32_e32 v13, 2, v13
	ds_bpermute_b32 v29, v13, v17
	ds_bpermute_b32 v30, v13, v14
	s_and_saveexec_b32 s10, vcc_lo
	s_cbranch_execz .LBB404_88
; %bb.46:
	v_mov_b32_e32 v16, 0
	ds_load_b64 v[13:14], v16 offset:24
	s_and_saveexec_b32 s11, s1
	s_cbranch_execz .LBB404_48
; %bb.47:
	s_add_i32 s16, s9, 32
	s_mov_b32 s17, 0
	s_delay_alu instid0(SALU_CYCLE_1) | instskip(NEXT) | instid1(SALU_CYCLE_1)
	s_lshl_b64 s[16:17], s[16:17], 4
	s_add_u32 s16, s14, s16
	s_addc_u32 s17, s15, s17
	s_delay_alu instid0(SALU_CYCLE_1)
	v_dual_mov_b32 v15, 1 :: v_dual_mov_b32 v18, s17
	v_mov_b32_e32 v17, s16
	s_waitcnt lgkmcnt(0)
	;;#ASMSTART
	global_store_dwordx4 v[17:18], v[13:16] off	
s_waitcnt vmcnt(0)
	;;#ASMEND
.LBB404_48:
	s_or_b32 exec_lo, exec_lo, s11
	v_xad_u32 v25, v42, -1, s9
	s_mov_b32 s16, 0
	s_mov_b32 s11, exec_lo
	s_delay_alu instid0(VALU_DEP_1) | instskip(NEXT) | instid1(VALU_DEP_1)
	v_add_nc_u32_e32 v15, 32, v25
	v_lshlrev_b64 v[15:16], 4, v[15:16]
	s_delay_alu instid0(VALU_DEP_1) | instskip(NEXT) | instid1(VALU_DEP_2)
	v_add_co_u32 v15, vcc_lo, s14, v15
	v_add_co_ci_u32_e32 v16, vcc_lo, s15, v16, vcc_lo
	;;#ASMSTART
	global_load_dwordx4 v[17:20], v[15:16] off glc	
s_waitcnt vmcnt(0)
	;;#ASMEND
	v_and_b32_e32 v20, 0xff, v18
	v_and_b32_e32 v26, 0xff00, v18
	v_or3_b32 v17, v17, 0, 0
	v_and_b32_e32 v27, 0xff000000, v18
	v_and_b32_e32 v18, 0xff0000, v18
	s_delay_alu instid0(VALU_DEP_4) | instskip(SKIP_2) | instid1(VALU_DEP_3)
	v_or3_b32 v20, 0, v20, v26
	v_and_b32_e32 v26, 0xff, v19
	v_or3_b32 v17, v17, 0, 0
	v_or3_b32 v18, v20, v18, v27
	s_delay_alu instid0(VALU_DEP_3)
	v_cmpx_eq_u16_e32 0, v26
	s_cbranch_execz .LBB404_54
; %bb.49:
	s_mov_b32 s17, 1
	.p2align	6
.LBB404_50:                             ; =>This Loop Header: Depth=1
                                        ;     Child Loop BB404_51 Depth 2
	s_delay_alu instid0(SALU_CYCLE_1)
	s_max_u32 s18, s17, 1
.LBB404_51:                             ;   Parent Loop BB404_50 Depth=1
                                        ; =>  This Inner Loop Header: Depth=2
	s_delay_alu instid0(SALU_CYCLE_1)
	s_add_i32 s18, s18, -1
	s_sleep 1
	s_cmp_eq_u32 s18, 0
	s_cbranch_scc0 .LBB404_51
; %bb.52:                               ;   in Loop: Header=BB404_50 Depth=1
	;;#ASMSTART
	global_load_dwordx4 v[17:20], v[15:16] off glc	
s_waitcnt vmcnt(0)
	;;#ASMEND
	v_and_b32_e32 v20, 0xff, v19
	s_cmp_lt_u32 s17, 32
	s_cselect_b32 s18, -1, 0
	s_delay_alu instid0(SALU_CYCLE_1) | instskip(NEXT) | instid1(VALU_DEP_1)
	s_cmp_lg_u32 s18, 0
	v_cmp_ne_u16_e32 vcc_lo, 0, v20
	s_addc_u32 s17, s17, 0
	s_or_b32 s16, vcc_lo, s16
	s_delay_alu instid0(SALU_CYCLE_1)
	s_and_not1_b32 exec_lo, exec_lo, s16
	s_cbranch_execnz .LBB404_50
; %bb.53:
	s_or_b32 exec_lo, exec_lo, s16
.LBB404_54:
	s_delay_alu instid0(SALU_CYCLE_1)
	s_or_b32 exec_lo, exec_lo, s11
	v_cmp_ne_u32_e32 vcc_lo, 31, v42
	v_and_b32_e32 v16, 0xff, v19
	v_lshlrev_b32_e64 v46, v42, -1
	s_mov_b32 s11, exec_lo
	v_add_co_ci_u32_e32 v15, vcc_lo, 0, v42, vcc_lo
	s_delay_alu instid0(VALU_DEP_3) | instskip(NEXT) | instid1(VALU_DEP_2)
	v_cmp_eq_u16_e32 vcc_lo, 2, v16
	v_dual_mov_b32 v16, v17 :: v_dual_lshlrev_b32 v45, 2, v15
	v_and_or_b32 v15, vcc_lo, v46, 0x80000000
	ds_bpermute_b32 v26, v45, v17
	ds_bpermute_b32 v20, v45, v18
	v_ctz_i32_b32_e32 v15, v15
	s_delay_alu instid0(VALU_DEP_1)
	v_cmpx_lt_u32_e64 v42, v15
	s_cbranch_execz .LBB404_56
; %bb.55:
	s_waitcnt lgkmcnt(1)
	v_add_co_u32 v16, vcc_lo, v17, v26
	v_add_co_ci_u32_e32 v18, vcc_lo, 0, v18, vcc_lo
	s_delay_alu instid0(VALU_DEP_2) | instskip(SKIP_1) | instid1(VALU_DEP_2)
	v_add_co_u32 v17, vcc_lo, 0, v16
	s_waitcnt lgkmcnt(0)
	v_add_co_ci_u32_e32 v18, vcc_lo, v20, v18, vcc_lo
.LBB404_56:
	s_or_b32 exec_lo, exec_lo, s11
	v_cmp_gt_u32_e32 vcc_lo, 30, v42
	v_add_nc_u32_e32 v48, 2, v42
	s_mov_b32 s11, exec_lo
	s_waitcnt lgkmcnt(0)
	v_cndmask_b32_e64 v20, 0, 1, vcc_lo
	s_delay_alu instid0(VALU_DEP_1) | instskip(NEXT) | instid1(VALU_DEP_1)
	v_lshlrev_b32_e32 v20, 1, v20
	v_add_lshl_u32 v47, v20, v42, 2
	ds_bpermute_b32 v26, v47, v16
	ds_bpermute_b32 v20, v47, v18
	v_cmpx_le_u32_e64 v48, v15
	s_cbranch_execz .LBB404_58
; %bb.57:
	s_waitcnt lgkmcnt(1)
	v_add_co_u32 v16, vcc_lo, v17, v26
	v_add_co_ci_u32_e32 v18, vcc_lo, 0, v18, vcc_lo
	s_delay_alu instid0(VALU_DEP_2) | instskip(SKIP_1) | instid1(VALU_DEP_2)
	v_add_co_u32 v17, vcc_lo, 0, v16
	s_waitcnt lgkmcnt(0)
	v_add_co_ci_u32_e32 v18, vcc_lo, v20, v18, vcc_lo
.LBB404_58:
	s_or_b32 exec_lo, exec_lo, s11
	v_cmp_gt_u32_e32 vcc_lo, 28, v42
	v_add_nc_u32_e32 v50, 4, v42
	s_mov_b32 s11, exec_lo
	s_waitcnt lgkmcnt(0)
	v_cndmask_b32_e64 v20, 0, 1, vcc_lo
	s_delay_alu instid0(VALU_DEP_1) | instskip(NEXT) | instid1(VALU_DEP_1)
	v_lshlrev_b32_e32 v20, 2, v20
	v_add_lshl_u32 v49, v20, v42, 2
	ds_bpermute_b32 v26, v49, v16
	ds_bpermute_b32 v20, v49, v18
	v_cmpx_le_u32_e64 v50, v15
	;; [unrolled: 22-line block ×4, first 2 shown]
	s_cbranch_execz .LBB404_64
; %bb.63:
	s_waitcnt lgkmcnt(1)
	v_add_co_u32 v15, vcc_lo, v17, v20
	v_add_co_ci_u32_e32 v18, vcc_lo, 0, v18, vcc_lo
	s_delay_alu instid0(VALU_DEP_2) | instskip(SKIP_1) | instid1(VALU_DEP_2)
	v_add_co_u32 v17, vcc_lo, v15, 0
	s_waitcnt lgkmcnt(0)
	v_add_co_ci_u32_e32 v18, vcc_lo, v18, v16, vcc_lo
.LBB404_64:
	s_or_b32 exec_lo, exec_lo, s11
	v_mov_b32_e32 v26, 0
	s_branch .LBB404_66
.LBB404_65:                             ;   in Loop: Header=BB404_66 Depth=1
	s_or_b32 exec_lo, exec_lo, s11
	v_add_co_u32 v17, vcc_lo, v17, v15
	v_subrev_nc_u32_e32 v25, 32, v25
	v_add_co_ci_u32_e32 v18, vcc_lo, v18, v16, vcc_lo
.LBB404_66:                             ; =>This Loop Header: Depth=1
                                        ;     Child Loop BB404_69 Depth 2
                                        ;       Child Loop BB404_70 Depth 3
	v_and_b32_e32 v15, 0xff, v19
	s_delay_alu instid0(VALU_DEP_1) | instskip(SKIP_2) | instid1(VALU_DEP_1)
	v_cmp_ne_u16_e32 vcc_lo, 2, v15
	v_cndmask_b32_e64 v15, 0, 1, vcc_lo
	;;#ASMSTART
	;;#ASMEND
	v_cmp_ne_u32_e32 vcc_lo, 0, v15
	s_waitcnt lgkmcnt(0)
	v_dual_mov_b32 v15, v17 :: v_dual_mov_b32 v16, v18
	s_cmp_lg_u32 vcc_lo, exec_lo
	s_cbranch_scc1 .LBB404_83
; %bb.67:                               ;   in Loop: Header=BB404_66 Depth=1
	v_lshlrev_b64 v[17:18], 4, v[25:26]
	s_mov_b32 s11, exec_lo
	s_delay_alu instid0(VALU_DEP_1) | instskip(NEXT) | instid1(VALU_DEP_2)
	v_add_co_u32 v27, vcc_lo, s14, v17
	v_add_co_ci_u32_e32 v28, vcc_lo, s15, v18, vcc_lo
	;;#ASMSTART
	global_load_dwordx4 v[17:20], v[27:28] off glc	
s_waitcnt vmcnt(0)
	;;#ASMEND
	v_and_b32_e32 v20, 0xff, v18
	v_and_b32_e32 v55, 0xff00, v18
	v_or3_b32 v17, v17, 0, 0
	v_and_b32_e32 v56, 0xff000000, v18
	v_and_b32_e32 v18, 0xff0000, v18
	s_delay_alu instid0(VALU_DEP_4) | instskip(SKIP_2) | instid1(VALU_DEP_3)
	v_or3_b32 v20, 0, v20, v55
	v_and_b32_e32 v55, 0xff, v19
	v_or3_b32 v17, v17, 0, 0
	v_or3_b32 v18, v20, v18, v56
	s_delay_alu instid0(VALU_DEP_3)
	v_cmpx_eq_u16_e32 0, v55
	s_cbranch_execz .LBB404_73
; %bb.68:                               ;   in Loop: Header=BB404_66 Depth=1
	s_mov_b32 s17, 1
	s_mov_b32 s16, 0
	.p2align	6
.LBB404_69:                             ;   Parent Loop BB404_66 Depth=1
                                        ; =>  This Loop Header: Depth=2
                                        ;       Child Loop BB404_70 Depth 3
	s_max_u32 s18, s17, 1
.LBB404_70:                             ;   Parent Loop BB404_66 Depth=1
                                        ;     Parent Loop BB404_69 Depth=2
                                        ; =>    This Inner Loop Header: Depth=3
	s_delay_alu instid0(SALU_CYCLE_1)
	s_add_i32 s18, s18, -1
	s_sleep 1
	s_cmp_eq_u32 s18, 0
	s_cbranch_scc0 .LBB404_70
; %bb.71:                               ;   in Loop: Header=BB404_69 Depth=2
	;;#ASMSTART
	global_load_dwordx4 v[17:20], v[27:28] off glc	
s_waitcnt vmcnt(0)
	;;#ASMEND
	v_and_b32_e32 v20, 0xff, v19
	s_cmp_lt_u32 s17, 32
	s_cselect_b32 s18, -1, 0
	s_delay_alu instid0(SALU_CYCLE_1) | instskip(NEXT) | instid1(VALU_DEP_1)
	s_cmp_lg_u32 s18, 0
	v_cmp_ne_u16_e32 vcc_lo, 0, v20
	s_addc_u32 s17, s17, 0
	s_or_b32 s16, vcc_lo, s16
	s_delay_alu instid0(SALU_CYCLE_1)
	s_and_not1_b32 exec_lo, exec_lo, s16
	s_cbranch_execnz .LBB404_69
; %bb.72:                               ;   in Loop: Header=BB404_66 Depth=1
	s_or_b32 exec_lo, exec_lo, s16
.LBB404_73:                             ;   in Loop: Header=BB404_66 Depth=1
	s_delay_alu instid0(SALU_CYCLE_1)
	s_or_b32 exec_lo, exec_lo, s11
	v_dual_mov_b32 v27, v17 :: v_dual_and_b32 v20, 0xff, v19
	ds_bpermute_b32 v55, v45, v17
	ds_bpermute_b32 v28, v45, v18
	s_mov_b32 s11, exec_lo
	v_cmp_eq_u16_e32 vcc_lo, 2, v20
	v_and_or_b32 v20, vcc_lo, v46, 0x80000000
	s_delay_alu instid0(VALU_DEP_1) | instskip(NEXT) | instid1(VALU_DEP_1)
	v_ctz_i32_b32_e32 v20, v20
	v_cmpx_lt_u32_e64 v42, v20
	s_cbranch_execz .LBB404_75
; %bb.74:                               ;   in Loop: Header=BB404_66 Depth=1
	s_waitcnt lgkmcnt(1)
	v_add_co_u32 v27, vcc_lo, v17, v55
	v_add_co_ci_u32_e32 v18, vcc_lo, 0, v18, vcc_lo
	s_delay_alu instid0(VALU_DEP_2) | instskip(SKIP_1) | instid1(VALU_DEP_2)
	v_add_co_u32 v17, vcc_lo, 0, v27
	s_waitcnt lgkmcnt(0)
	v_add_co_ci_u32_e32 v18, vcc_lo, v28, v18, vcc_lo
.LBB404_75:                             ;   in Loop: Header=BB404_66 Depth=1
	s_or_b32 exec_lo, exec_lo, s11
	s_waitcnt lgkmcnt(1)
	ds_bpermute_b32 v55, v47, v27
	s_waitcnt lgkmcnt(1)
	ds_bpermute_b32 v28, v47, v18
	s_mov_b32 s11, exec_lo
	v_cmpx_le_u32_e64 v48, v20
	s_cbranch_execz .LBB404_77
; %bb.76:                               ;   in Loop: Header=BB404_66 Depth=1
	s_waitcnt lgkmcnt(1)
	v_add_co_u32 v27, vcc_lo, v17, v55
	v_add_co_ci_u32_e32 v18, vcc_lo, 0, v18, vcc_lo
	s_delay_alu instid0(VALU_DEP_2) | instskip(SKIP_1) | instid1(VALU_DEP_2)
	v_add_co_u32 v17, vcc_lo, 0, v27
	s_waitcnt lgkmcnt(0)
	v_add_co_ci_u32_e32 v18, vcc_lo, v28, v18, vcc_lo
.LBB404_77:                             ;   in Loop: Header=BB404_66 Depth=1
	s_or_b32 exec_lo, exec_lo, s11
	s_waitcnt lgkmcnt(1)
	ds_bpermute_b32 v55, v49, v27
	s_waitcnt lgkmcnt(1)
	ds_bpermute_b32 v28, v49, v18
	s_mov_b32 s11, exec_lo
	v_cmpx_le_u32_e64 v50, v20
	;; [unrolled: 17-line block ×3, first 2 shown]
	s_cbranch_execz .LBB404_81
; %bb.80:                               ;   in Loop: Header=BB404_66 Depth=1
	s_waitcnt lgkmcnt(1)
	v_add_co_u32 v27, vcc_lo, v17, v55
	v_add_co_ci_u32_e32 v18, vcc_lo, 0, v18, vcc_lo
	s_delay_alu instid0(VALU_DEP_2) | instskip(SKIP_1) | instid1(VALU_DEP_2)
	v_add_co_u32 v17, vcc_lo, 0, v27
	s_waitcnt lgkmcnt(0)
	v_add_co_ci_u32_e32 v18, vcc_lo, v28, v18, vcc_lo
.LBB404_81:                             ;   in Loop: Header=BB404_66 Depth=1
	s_or_b32 exec_lo, exec_lo, s11
	s_waitcnt lgkmcnt(0)
	ds_bpermute_b32 v28, v53, v27
	ds_bpermute_b32 v27, v53, v18
	s_mov_b32 s11, exec_lo
	v_cmpx_le_u32_e64 v54, v20
	s_cbranch_execz .LBB404_65
; %bb.82:                               ;   in Loop: Header=BB404_66 Depth=1
	s_waitcnt lgkmcnt(1)
	v_add_co_u32 v17, vcc_lo, v17, v28
	v_add_co_ci_u32_e32 v18, vcc_lo, 0, v18, vcc_lo
	s_delay_alu instid0(VALU_DEP_2) | instskip(SKIP_1) | instid1(VALU_DEP_2)
	v_add_co_u32 v17, vcc_lo, v17, 0
	s_waitcnt lgkmcnt(0)
	v_add_co_ci_u32_e32 v18, vcc_lo, v18, v27, vcc_lo
	s_branch .LBB404_65
.LBB404_83:                             ;   in Loop: Header=BB404_66 Depth=1
                                        ; implicit-def: $vgpr17_vgpr18
	s_cbranch_execz .LBB404_66
; %bb.84:
	s_and_saveexec_b32 s11, s1
	s_cbranch_execz .LBB404_86
; %bb.85:
	s_add_i32 s16, s9, 32
	s_mov_b32 s17, 0
	v_add_co_u32 v17, vcc_lo, v15, v13
	s_lshl_b64 s[16:17], s[16:17], 4
	v_dual_mov_b32 v19, 2 :: v_dual_mov_b32 v20, 0
	s_add_u32 s16, s14, s16
	s_addc_u32 s17, s15, s17
	v_add_co_ci_u32_e32 v18, vcc_lo, v16, v14, vcc_lo
	v_dual_mov_b32 v26, s17 :: v_dual_mov_b32 v25, s16
	;;#ASMSTART
	global_store_dwordx4 v[25:26], v[17:20] off	
s_waitcnt vmcnt(0)
	;;#ASMEND
	ds_store_b128 v20, v[13:16] offset:6144
.LBB404_86:
	s_or_b32 exec_lo, exec_lo, s11
	s_delay_alu instid0(SALU_CYCLE_1)
	s_and_b32 exec_lo, exec_lo, s2
	s_cbranch_execz .LBB404_88
; %bb.87:
	v_mov_b32_e32 v13, 0
	ds_store_b64 v13, v[15:16] offset:24
.LBB404_88:
	s_or_b32 exec_lo, exec_lo, s10
	v_mov_b32_e32 v15, 0
	s_waitcnt lgkmcnt(0)
	s_barrier
	buffer_gl0_inv
	v_cndmask_b32_e64 v16, v29, v23, s1
	ds_load_b64 v[13:14], v15 offset:24
	v_cndmask_b32_e64 v17, v30, v24, s1
	s_waitcnt lgkmcnt(0)
	s_barrier
	v_cndmask_b32_e64 v16, v16, 0, s2
	buffer_gl0_inv
	v_cndmask_b32_e64 v17, v17, 0, s2
	v_add_co_u32 v29, vcc_lo, v13, v16
	s_delay_alu instid0(VALU_DEP_2) | instskip(SKIP_3) | instid1(VALU_DEP_2)
	v_add_co_ci_u32_e32 v30, vcc_lo, v14, v17, vcc_lo
	ds_load_b128 v[13:16], v15 offset:6144
	v_add_co_u32 v27, vcc_lo, v29, v41
	v_add_co_ci_u32_e32 v28, vcc_lo, 0, v30, vcc_lo
	v_add_co_u32 v25, vcc_lo, v27, v40
	s_delay_alu instid0(VALU_DEP_2) | instskip(NEXT) | instid1(VALU_DEP_2)
	v_add_co_ci_u32_e32 v26, vcc_lo, 0, v28, vcc_lo
	v_add_co_u32 v23, vcc_lo, v25, v39
	s_delay_alu instid0(VALU_DEP_2) | instskip(NEXT) | instid1(VALU_DEP_2)
	;; [unrolled: 3-line block ×3, first 2 shown]
	v_add_co_ci_u32_e32 v20, vcc_lo, 0, v24, vcc_lo
	v_add_co_u32 v17, vcc_lo, v19, v37
	s_delay_alu instid0(VALU_DEP_2)
	v_add_co_ci_u32_e32 v18, vcc_lo, 0, v20, vcc_lo
.LBB404_89:
	s_waitcnt lgkmcnt(0)
	v_cmp_gt_u64_e32 vcc_lo, 0x81, v[13:14]
	s_mov_b32 s0, -1
	s_cbranch_vccnz .LBB404_117
.LBB404_90:
	s_and_b32 vcc_lo, exec_lo, s0
	s_cbranch_vccnz .LBB404_136
.LBB404_91:
	s_and_b32 s0, s2, s3
	s_delay_alu instid0(SALU_CYCLE_1)
	s_and_saveexec_b32 s1, s0
	s_cbranch_execnz .LBB404_152
.LBB404_92:
	s_nop 0
	s_sendmsg sendmsg(MSG_DEALLOC_VGPRS)
	s_endpgm
.LBB404_93:
                                        ; kill: def $vgpr13_vgpr14 killed $sgpr0_sgpr1 killed $exec
                                        ; implicit-def: $vgpr17_vgpr18
                                        ; implicit-def: $vgpr19_vgpr20
                                        ; implicit-def: $vgpr23_vgpr24
                                        ; implicit-def: $vgpr25_vgpr26
                                        ; implicit-def: $vgpr27_vgpr28
                                        ; implicit-def: $vgpr29_vgpr30
                                        ; implicit-def: $vgpr15_vgpr16
	s_and_b32 vcc_lo, exec_lo, s1
	s_cbranch_vccz .LBB404_89
; %bb.94:
	s_waitcnt lgkmcnt(0)
	v_dual_mov_b32 v14, 0 :: v_dual_mov_b32 v15, v21
	v_mov_b32_dpp v16, v21 row_shr:1 row_mask:0xf bank_mask:0xf
	s_delay_alu instid0(VALU_DEP_2)
	v_mov_b32_dpp v13, v14 row_shr:1 row_mask:0xf bank_mask:0xf
	s_and_saveexec_b32 s1, s0
; %bb.95:
	s_delay_alu instid0(VALU_DEP_2) | instskip(SKIP_1) | instid1(VALU_DEP_2)
	v_add_co_u32 v15, vcc_lo, v21, v16
	v_add_co_ci_u32_e32 v14, vcc_lo, 0, v22, vcc_lo
	v_add_co_u32 v21, vcc_lo, 0, v15
	s_delay_alu instid0(VALU_DEP_2) | instskip(NEXT) | instid1(VALU_DEP_1)
	v_add_co_ci_u32_e32 v22, vcc_lo, v13, v14, vcc_lo
	v_mov_b32_e32 v14, v22
; %bb.96:
	s_or_b32 exec_lo, exec_lo, s1
	v_mov_b32_dpp v13, v15 row_shr:2 row_mask:0xf bank_mask:0xf
	s_delay_alu instid0(VALU_DEP_2)
	v_mov_b32_dpp v16, v14 row_shr:2 row_mask:0xf bank_mask:0xf
	s_mov_b32 s0, exec_lo
	v_cmpx_lt_u32_e32 1, v44
; %bb.97:
	s_delay_alu instid0(VALU_DEP_3) | instskip(SKIP_1) | instid1(VALU_DEP_2)
	v_add_co_u32 v15, vcc_lo, v21, v13
	v_add_co_ci_u32_e32 v14, vcc_lo, 0, v22, vcc_lo
	v_add_co_u32 v13, vcc_lo, 0, v15
	s_delay_alu instid0(VALU_DEP_2) | instskip(NEXT) | instid1(VALU_DEP_1)
	v_add_co_ci_u32_e32 v14, vcc_lo, v16, v14, vcc_lo
	v_dual_mov_b32 v22, v14 :: v_dual_mov_b32 v21, v13
; %bb.98:
	s_or_b32 exec_lo, exec_lo, s0
	v_mov_b32_dpp v13, v15 row_shr:4 row_mask:0xf bank_mask:0xf
	v_mov_b32_dpp v16, v14 row_shr:4 row_mask:0xf bank_mask:0xf
	s_mov_b32 s0, exec_lo
	v_cmpx_lt_u32_e32 3, v44
; %bb.99:
	s_delay_alu instid0(VALU_DEP_3) | instskip(SKIP_1) | instid1(VALU_DEP_2)
	v_add_co_u32 v15, vcc_lo, v21, v13
	v_add_co_ci_u32_e32 v14, vcc_lo, 0, v22, vcc_lo
	v_add_co_u32 v13, vcc_lo, 0, v15
	s_delay_alu instid0(VALU_DEP_2) | instskip(NEXT) | instid1(VALU_DEP_1)
	v_add_co_ci_u32_e32 v14, vcc_lo, v16, v14, vcc_lo
	v_dual_mov_b32 v22, v14 :: v_dual_mov_b32 v21, v13
; %bb.100:
	s_or_b32 exec_lo, exec_lo, s0
	v_mov_b32_dpp v16, v15 row_shr:8 row_mask:0xf bank_mask:0xf
	v_mov_b32_dpp v13, v14 row_shr:8 row_mask:0xf bank_mask:0xf
	s_mov_b32 s0, exec_lo
	v_cmpx_lt_u32_e32 7, v44
; %bb.101:
	s_delay_alu instid0(VALU_DEP_3) | instskip(SKIP_1) | instid1(VALU_DEP_2)
	v_add_co_u32 v15, vcc_lo, v21, v16
	v_add_co_ci_u32_e32 v14, vcc_lo, 0, v22, vcc_lo
	v_add_co_u32 v21, vcc_lo, 0, v15
	s_delay_alu instid0(VALU_DEP_2) | instskip(NEXT) | instid1(VALU_DEP_1)
	v_add_co_ci_u32_e32 v22, vcc_lo, v13, v14, vcc_lo
	v_mov_b32_e32 v14, v22
; %bb.102:
	s_or_b32 exec_lo, exec_lo, s0
	ds_swizzle_b32 v15, v15 offset:swizzle(BROADCAST,32,15)
	ds_swizzle_b32 v13, v14 offset:swizzle(BROADCAST,32,15)
	v_and_b32_e32 v14, 16, v42
	s_mov_b32 s0, exec_lo
	s_delay_alu instid0(VALU_DEP_1)
	v_cmpx_ne_u32_e32 0, v14
	s_cbranch_execz .LBB404_104
; %bb.103:
	s_waitcnt lgkmcnt(1)
	v_add_co_u32 v14, vcc_lo, v21, v15
	v_add_co_ci_u32_e32 v15, vcc_lo, 0, v22, vcc_lo
	s_delay_alu instid0(VALU_DEP_2) | instskip(SKIP_1) | instid1(VALU_DEP_2)
	v_add_co_u32 v21, vcc_lo, v14, 0
	s_waitcnt lgkmcnt(0)
	v_add_co_ci_u32_e32 v22, vcc_lo, v15, v13, vcc_lo
.LBB404_104:
	s_or_b32 exec_lo, exec_lo, s0
	s_waitcnt lgkmcnt(0)
	v_or_b32_e32 v13, 31, v0
	v_lshrrev_b32_e32 v15, 5, v0
	s_mov_b32 s0, exec_lo
	s_delay_alu instid0(VALU_DEP_2)
	v_cmpx_eq_u32_e64 v13, v0
	s_cbranch_execz .LBB404_106
; %bb.105:
	s_delay_alu instid0(VALU_DEP_2)
	v_lshlrev_b32_e32 v13, 3, v15
	ds_store_b64 v13, v[21:22]
.LBB404_106:
	s_or_b32 exec_lo, exec_lo, s0
	s_delay_alu instid0(SALU_CYCLE_1)
	s_mov_b32 s0, exec_lo
	s_waitcnt lgkmcnt(0)
	s_barrier
	buffer_gl0_inv
	v_cmpx_gt_u32_e32 4, v0
	s_cbranch_execz .LBB404_112
; %bb.107:
	v_lshlrev_b32_e32 v13, 1, v0
	s_mov_b32 s1, exec_lo
	s_delay_alu instid0(VALU_DEP_1)
	v_add_nc_u32_e32 v16, v43, v13
	ds_load_b64 v[13:14], v16
	s_waitcnt lgkmcnt(0)
	v_dual_mov_b32 v18, v13 :: v_dual_and_b32 v17, 3, v42
	v_mov_b32_dpp v20, v13 row_shr:1 row_mask:0xf bank_mask:0xf
	v_mov_b32_dpp v19, v14 row_shr:1 row_mask:0xf bank_mask:0xf
	s_delay_alu instid0(VALU_DEP_3)
	v_cmpx_ne_u32_e32 0, v17
; %bb.108:
	s_delay_alu instid0(VALU_DEP_3) | instskip(SKIP_1) | instid1(VALU_DEP_2)
	v_add_co_u32 v18, vcc_lo, v13, v20
	v_add_co_ci_u32_e32 v14, vcc_lo, 0, v14, vcc_lo
	v_add_co_u32 v13, vcc_lo, 0, v18
	s_delay_alu instid0(VALU_DEP_2)
	v_add_co_ci_u32_e32 v14, vcc_lo, v19, v14, vcc_lo
; %bb.109:
	s_or_b32 exec_lo, exec_lo, s1
	v_mov_b32_dpp v19, v18 row_shr:2 row_mask:0xf bank_mask:0xf
	s_delay_alu instid0(VALU_DEP_2)
	v_mov_b32_dpp v18, v14 row_shr:2 row_mask:0xf bank_mask:0xf
	s_mov_b32 s1, exec_lo
	v_cmpx_lt_u32_e32 1, v17
; %bb.110:
	s_delay_alu instid0(VALU_DEP_3) | instskip(SKIP_1) | instid1(VALU_DEP_2)
	v_add_co_u32 v13, vcc_lo, v13, v19
	v_add_co_ci_u32_e32 v14, vcc_lo, 0, v14, vcc_lo
	v_add_co_u32 v13, vcc_lo, v13, 0
	s_delay_alu instid0(VALU_DEP_2)
	v_add_co_ci_u32_e32 v14, vcc_lo, v14, v18, vcc_lo
; %bb.111:
	s_or_b32 exec_lo, exec_lo, s1
	ds_store_b64 v16, v[13:14]
.LBB404_112:
	s_or_b32 exec_lo, exec_lo, s0
	v_mov_b32_e32 v17, 0
	v_mov_b32_e32 v18, 0
	s_mov_b32 s0, exec_lo
	s_waitcnt lgkmcnt(0)
	s_barrier
	buffer_gl0_inv
	v_cmpx_lt_u32_e32 31, v0
	s_cbranch_execz .LBB404_114
; %bb.113:
	v_lshl_add_u32 v13, v15, 3, -8
	ds_load_b64 v[17:18], v13
.LBB404_114:
	s_or_b32 exec_lo, exec_lo, s0
	v_dual_mov_b32 v16, 0 :: v_dual_add_nc_u32 v13, -1, v42
	s_delay_alu instid0(VALU_DEP_1) | instskip(SKIP_4) | instid1(VALU_DEP_3)
	v_cmp_gt_i32_e32 vcc_lo, 0, v13
	v_cndmask_b32_e32 v13, v13, v42, vcc_lo
	s_waitcnt lgkmcnt(0)
	v_add_co_u32 v14, vcc_lo, v17, v21
	v_add_co_ci_u32_e32 v15, vcc_lo, v18, v22, vcc_lo
	v_lshlrev_b32_e32 v13, 2, v13
	ds_bpermute_b32 v19, v13, v14
	ds_bpermute_b32 v20, v13, v15
	ds_load_b64 v[13:14], v16 offset:24
	s_and_saveexec_b32 s0, s2
	s_cbranch_execz .LBB404_116
; %bb.115:
	s_add_u32 s10, s14, 0x200
	s_addc_u32 s11, s15, 0
	s_delay_alu instid0(SALU_CYCLE_1)
	v_dual_mov_b32 v15, 2 :: v_dual_mov_b32 v22, s11
	v_mov_b32_e32 v21, s10
	s_waitcnt lgkmcnt(0)
	;;#ASMSTART
	global_store_dwordx4 v[21:22], v[13:16] off	
s_waitcnt vmcnt(0)
	;;#ASMEND
.LBB404_116:
	s_or_b32 exec_lo, exec_lo, s0
	v_cmp_eq_u32_e32 vcc_lo, 0, v42
	s_waitcnt lgkmcnt(0)
	s_barrier
	buffer_gl0_inv
	v_dual_cndmask_b32 v15, v19, v17 :: v_dual_cndmask_b32 v16, v20, v18
	s_delay_alu instid0(VALU_DEP_1) | instskip(NEXT) | instid1(VALU_DEP_2)
	v_cndmask_b32_e64 v29, v15, 0, s2
	v_cndmask_b32_e64 v30, v16, 0, s2
	v_mov_b32_e32 v15, 0
	v_mov_b32_e32 v16, 0
	s_delay_alu instid0(VALU_DEP_4) | instskip(NEXT) | instid1(VALU_DEP_4)
	v_add_co_u32 v27, vcc_lo, v29, v41
	v_add_co_ci_u32_e32 v28, vcc_lo, 0, v30, vcc_lo
	s_delay_alu instid0(VALU_DEP_2) | instskip(NEXT) | instid1(VALU_DEP_2)
	v_add_co_u32 v25, vcc_lo, v27, v40
	v_add_co_ci_u32_e32 v26, vcc_lo, 0, v28, vcc_lo
	s_delay_alu instid0(VALU_DEP_2) | instskip(NEXT) | instid1(VALU_DEP_2)
	;; [unrolled: 3-line block ×4, first 2 shown]
	v_add_co_u32 v17, vcc_lo, v19, v37
	v_add_co_ci_u32_e32 v18, vcc_lo, 0, v20, vcc_lo
	v_cmp_gt_u64_e32 vcc_lo, 0x81, v[13:14]
	s_mov_b32 s0, -1
	s_cbranch_vccz .LBB404_90
.LBB404_117:
	v_add_co_u32 v21, vcc_lo, v15, v13
	v_add_co_ci_u32_e32 v22, vcc_lo, v16, v14, vcc_lo
	s_delay_alu instid0(VALU_DEP_1) | instskip(SKIP_1) | instid1(SALU_CYCLE_1)
	v_cmp_lt_u64_e32 vcc_lo, v[29:30], v[21:22]
	s_or_b32 s1, s8, vcc_lo
	s_and_saveexec_b32 s0, s1
	s_cbranch_execz .LBB404_120
; %bb.118:
	v_and_b32_e32 v37, 1, v36
	s_delay_alu instid0(VALU_DEP_1)
	v_cmp_eq_u32_e32 vcc_lo, 1, v37
	s_and_b32 exec_lo, exec_lo, vcc_lo
	s_cbranch_execz .LBB404_120
; %bb.119:
	v_lshlrev_b64 v[37:38], 3, v[29:30]
	s_lshl_b64 s[10:11], s[6:7], 3
	s_delay_alu instid0(SALU_CYCLE_1) | instskip(SKIP_1) | instid1(VALU_DEP_1)
	s_add_u32 s1, s12, s10
	s_addc_u32 s9, s13, s11
	v_add_co_u32 v37, vcc_lo, s1, v37
	s_delay_alu instid0(VALU_DEP_2)
	v_add_co_ci_u32_e32 v38, vcc_lo, s9, v38, vcc_lo
	global_store_b64 v[37:38], v[9:10], off
.LBB404_120:
	s_or_b32 exec_lo, exec_lo, s0
	v_cmp_lt_u64_e32 vcc_lo, v[27:28], v[21:22]
	s_or_b32 s1, s8, vcc_lo
	s_delay_alu instid0(SALU_CYCLE_1)
	s_and_saveexec_b32 s0, s1
	s_cbranch_execz .LBB404_123
; %bb.121:
	v_and_b32_e32 v30, 1, v34
	s_delay_alu instid0(VALU_DEP_1)
	v_cmp_eq_u32_e32 vcc_lo, 1, v30
	s_and_b32 exec_lo, exec_lo, vcc_lo
	s_cbranch_execz .LBB404_123
; %bb.122:
	v_lshlrev_b64 v[37:38], 3, v[27:28]
	s_lshl_b64 s[10:11], s[6:7], 3
	s_delay_alu instid0(SALU_CYCLE_1) | instskip(SKIP_1) | instid1(VALU_DEP_1)
	s_add_u32 s1, s12, s10
	s_addc_u32 s9, s13, s11
	v_add_co_u32 v37, vcc_lo, s1, v37
	s_delay_alu instid0(VALU_DEP_2)
	v_add_co_ci_u32_e32 v38, vcc_lo, s9, v38, vcc_lo
	global_store_b64 v[37:38], v[11:12], off
.LBB404_123:
	s_or_b32 exec_lo, exec_lo, s0
	v_cmp_lt_u64_e32 vcc_lo, v[25:26], v[21:22]
	s_or_b32 s1, s8, vcc_lo
	s_delay_alu instid0(SALU_CYCLE_1)
	;; [unrolled: 23-line block ×5, first 2 shown]
	s_and_saveexec_b32 s0, s1
	s_cbranch_execz .LBB404_135
; %bb.133:
	v_and_b32_e32 v20, 1, v32
	s_delay_alu instid0(VALU_DEP_1)
	v_cmp_eq_u32_e32 vcc_lo, 1, v20
	s_and_b32 exec_lo, exec_lo, vcc_lo
	s_cbranch_execz .LBB404_135
; %bb.134:
	v_lshlrev_b64 v[20:21], 3, v[17:18]
	s_lshl_b64 s[8:9], s[6:7], 3
	s_delay_alu instid0(SALU_CYCLE_1) | instskip(SKIP_1) | instid1(VALU_DEP_1)
	s_add_u32 s1, s12, s8
	s_addc_u32 s8, s13, s9
	v_add_co_u32 v20, vcc_lo, s1, v20
	s_delay_alu instid0(VALU_DEP_2)
	v_add_co_ci_u32_e32 v21, vcc_lo, s8, v21, vcc_lo
	global_store_b64 v[20:21], v[3:4], off
.LBB404_135:
	s_or_b32 exec_lo, exec_lo, s0
	s_branch .LBB404_91
.LBB404_136:
	v_and_b32_e32 v18, 1, v36
	s_mov_b32 s0, exec_lo
	s_delay_alu instid0(VALU_DEP_1)
	v_cmpx_eq_u32_e32 1, v18
	s_cbranch_execz .LBB404_138
; %bb.137:
	v_sub_nc_u32_e32 v18, v29, v15
	s_delay_alu instid0(VALU_DEP_1)
	v_lshlrev_b32_e32 v18, 3, v18
	ds_store_b64 v18, v[9:10]
.LBB404_138:
	s_or_b32 exec_lo, exec_lo, s0
	v_and_b32_e32 v9, 1, v34
	s_mov_b32 s0, exec_lo
	s_delay_alu instid0(VALU_DEP_1)
	v_cmpx_eq_u32_e32 1, v9
	s_cbranch_execz .LBB404_140
; %bb.139:
	v_sub_nc_u32_e32 v9, v27, v15
	s_delay_alu instid0(VALU_DEP_1)
	v_lshlrev_b32_e32 v9, 3, v9
	ds_store_b64 v9, v[11:12]
.LBB404_140:
	s_or_b32 exec_lo, exec_lo, s0
	;; [unrolled: 12-line block ×6, first 2 shown]
	v_mov_b32_e32 v1, 0
	s_mov_b32 s1, exec_lo
	s_waitcnt lgkmcnt(0)
	s_waitcnt_vscnt null, 0x0
	s_barrier
	buffer_gl0_inv
	v_cmpx_gt_u64_e64 v[13:14], v[0:1]
	s_cbranch_execz .LBB404_151
; %bb.149:
	v_lshlrev_b64 v[4:5], 3, v[15:16]
	s_lshl_b64 s[8:9], s[6:7], 3
	v_dual_mov_b32 v3, v1 :: v_dual_mov_b32 v2, v0
	v_or_b32_e32 v0, 0x80, v0
	s_delay_alu instid0(VALU_DEP_3) | instskip(NEXT) | instid1(VALU_DEP_4)
	v_add_co_u32 v4, vcc_lo, s12, v4
	v_add_co_ci_u32_e32 v5, vcc_lo, s13, v5, vcc_lo
	s_delay_alu instid0(VALU_DEP_2) | instskip(NEXT) | instid1(VALU_DEP_2)
	v_add_co_u32 v4, vcc_lo, v4, s8
	v_add_co_ci_u32_e32 v5, vcc_lo, s9, v5, vcc_lo
	s_mov_b32 s8, 0
	.p2align	6
.LBB404_150:                            ; =>This Inner Loop Header: Depth=1
	v_lshlrev_b32_e32 v6, 3, v2
	v_lshlrev_b64 v[8:9], 3, v[2:3]
	v_mov_b32_e32 v3, v1
	v_cmp_le_u64_e32 vcc_lo, v[13:14], v[0:1]
	v_mov_b32_e32 v2, v0
	ds_load_b64 v[6:7], v6
	v_add_nc_u32_e32 v0, 0x80, v0
	v_add_co_u32 v8, s0, v4, v8
	s_delay_alu instid0(VALU_DEP_1)
	v_add_co_ci_u32_e64 v9, s0, v5, v9, s0
	s_or_b32 s8, vcc_lo, s8
	s_waitcnt lgkmcnt(0)
	global_store_b64 v[8:9], v[6:7], off
	s_and_not1_b32 exec_lo, exec_lo, s8
	s_cbranch_execnz .LBB404_150
.LBB404_151:
	s_or_b32 exec_lo, exec_lo, s1
	s_and_b32 s0, s2, s3
	s_delay_alu instid0(SALU_CYCLE_1)
	s_and_saveexec_b32 s1, s0
	s_cbranch_execz .LBB404_92
.LBB404_152:
	v_add_co_u32 v0, vcc_lo, v15, v13
	v_add_co_ci_u32_e32 v1, vcc_lo, v16, v14, vcc_lo
	v_mov_b32_e32 v2, 0
	s_delay_alu instid0(VALU_DEP_3) | instskip(NEXT) | instid1(VALU_DEP_3)
	v_add_co_u32 v0, vcc_lo, v0, s6
	v_add_co_ci_u32_e32 v1, vcc_lo, s7, v1, vcc_lo
	global_store_b64 v2, v[0:1], s[4:5]
	s_nop 0
	s_sendmsg sendmsg(MSG_DEALLOC_VGPRS)
	s_endpgm
	.section	.rodata,"a",@progbits
	.p2align	6, 0x0
	.amdhsa_kernel _ZN7rocprim17ROCPRIM_400000_NS6detail17trampoline_kernelINS0_14default_configENS1_25partition_config_selectorILNS1_17partition_subalgoE5ElNS0_10empty_typeEbEEZZNS1_14partition_implILS5_5ELb0ES3_mN6hipcub16HIPCUB_304000_NS21CountingInputIteratorIllEEPS6_NSA_22TransformInputIteratorIbN2at6native12_GLOBAL__N_19NonZeroOpIdEEPKdlEENS0_5tupleIJPlS6_EEENSN_IJSD_SD_EEES6_PiJS6_EEE10hipError_tPvRmT3_T4_T5_T6_T7_T9_mT8_P12ihipStream_tbDpT10_ENKUlT_T0_E_clISt17integral_constantIbLb1EES1B_EEDaS16_S17_EUlS16_E_NS1_11comp_targetILNS1_3genE9ELNS1_11target_archE1100ELNS1_3gpuE3ELNS1_3repE0EEENS1_30default_config_static_selectorELNS0_4arch9wavefront6targetE0EEEvT1_
		.amdhsa_group_segment_fixed_size 6160
		.amdhsa_private_segment_fixed_size 0
		.amdhsa_kernarg_size 136
		.amdhsa_user_sgpr_count 15
		.amdhsa_user_sgpr_dispatch_ptr 0
		.amdhsa_user_sgpr_queue_ptr 0
		.amdhsa_user_sgpr_kernarg_segment_ptr 1
		.amdhsa_user_sgpr_dispatch_id 0
		.amdhsa_user_sgpr_private_segment_size 0
		.amdhsa_wavefront_size32 1
		.amdhsa_uses_dynamic_stack 0
		.amdhsa_enable_private_segment 0
		.amdhsa_system_sgpr_workgroup_id_x 1
		.amdhsa_system_sgpr_workgroup_id_y 0
		.amdhsa_system_sgpr_workgroup_id_z 0
		.amdhsa_system_sgpr_workgroup_info 0
		.amdhsa_system_vgpr_workitem_id 0
		.amdhsa_next_free_vgpr 57
		.amdhsa_next_free_sgpr 24
		.amdhsa_reserve_vcc 1
		.amdhsa_float_round_mode_32 0
		.amdhsa_float_round_mode_16_64 0
		.amdhsa_float_denorm_mode_32 3
		.amdhsa_float_denorm_mode_16_64 3
		.amdhsa_dx10_clamp 1
		.amdhsa_ieee_mode 1
		.amdhsa_fp16_overflow 0
		.amdhsa_workgroup_processor_mode 1
		.amdhsa_memory_ordered 1
		.amdhsa_forward_progress 0
		.amdhsa_shared_vgpr_count 0
		.amdhsa_exception_fp_ieee_invalid_op 0
		.amdhsa_exception_fp_denorm_src 0
		.amdhsa_exception_fp_ieee_div_zero 0
		.amdhsa_exception_fp_ieee_overflow 0
		.amdhsa_exception_fp_ieee_underflow 0
		.amdhsa_exception_fp_ieee_inexact 0
		.amdhsa_exception_int_div_zero 0
	.end_amdhsa_kernel
	.section	.text._ZN7rocprim17ROCPRIM_400000_NS6detail17trampoline_kernelINS0_14default_configENS1_25partition_config_selectorILNS1_17partition_subalgoE5ElNS0_10empty_typeEbEEZZNS1_14partition_implILS5_5ELb0ES3_mN6hipcub16HIPCUB_304000_NS21CountingInputIteratorIllEEPS6_NSA_22TransformInputIteratorIbN2at6native12_GLOBAL__N_19NonZeroOpIdEEPKdlEENS0_5tupleIJPlS6_EEENSN_IJSD_SD_EEES6_PiJS6_EEE10hipError_tPvRmT3_T4_T5_T6_T7_T9_mT8_P12ihipStream_tbDpT10_ENKUlT_T0_E_clISt17integral_constantIbLb1EES1B_EEDaS16_S17_EUlS16_E_NS1_11comp_targetILNS1_3genE9ELNS1_11target_archE1100ELNS1_3gpuE3ELNS1_3repE0EEENS1_30default_config_static_selectorELNS0_4arch9wavefront6targetE0EEEvT1_,"axG",@progbits,_ZN7rocprim17ROCPRIM_400000_NS6detail17trampoline_kernelINS0_14default_configENS1_25partition_config_selectorILNS1_17partition_subalgoE5ElNS0_10empty_typeEbEEZZNS1_14partition_implILS5_5ELb0ES3_mN6hipcub16HIPCUB_304000_NS21CountingInputIteratorIllEEPS6_NSA_22TransformInputIteratorIbN2at6native12_GLOBAL__N_19NonZeroOpIdEEPKdlEENS0_5tupleIJPlS6_EEENSN_IJSD_SD_EEES6_PiJS6_EEE10hipError_tPvRmT3_T4_T5_T6_T7_T9_mT8_P12ihipStream_tbDpT10_ENKUlT_T0_E_clISt17integral_constantIbLb1EES1B_EEDaS16_S17_EUlS16_E_NS1_11comp_targetILNS1_3genE9ELNS1_11target_archE1100ELNS1_3gpuE3ELNS1_3repE0EEENS1_30default_config_static_selectorELNS0_4arch9wavefront6targetE0EEEvT1_,comdat
.Lfunc_end404:
	.size	_ZN7rocprim17ROCPRIM_400000_NS6detail17trampoline_kernelINS0_14default_configENS1_25partition_config_selectorILNS1_17partition_subalgoE5ElNS0_10empty_typeEbEEZZNS1_14partition_implILS5_5ELb0ES3_mN6hipcub16HIPCUB_304000_NS21CountingInputIteratorIllEEPS6_NSA_22TransformInputIteratorIbN2at6native12_GLOBAL__N_19NonZeroOpIdEEPKdlEENS0_5tupleIJPlS6_EEENSN_IJSD_SD_EEES6_PiJS6_EEE10hipError_tPvRmT3_T4_T5_T6_T7_T9_mT8_P12ihipStream_tbDpT10_ENKUlT_T0_E_clISt17integral_constantIbLb1EES1B_EEDaS16_S17_EUlS16_E_NS1_11comp_targetILNS1_3genE9ELNS1_11target_archE1100ELNS1_3gpuE3ELNS1_3repE0EEENS1_30default_config_static_selectorELNS0_4arch9wavefront6targetE0EEEvT1_, .Lfunc_end404-_ZN7rocprim17ROCPRIM_400000_NS6detail17trampoline_kernelINS0_14default_configENS1_25partition_config_selectorILNS1_17partition_subalgoE5ElNS0_10empty_typeEbEEZZNS1_14partition_implILS5_5ELb0ES3_mN6hipcub16HIPCUB_304000_NS21CountingInputIteratorIllEEPS6_NSA_22TransformInputIteratorIbN2at6native12_GLOBAL__N_19NonZeroOpIdEEPKdlEENS0_5tupleIJPlS6_EEENSN_IJSD_SD_EEES6_PiJS6_EEE10hipError_tPvRmT3_T4_T5_T6_T7_T9_mT8_P12ihipStream_tbDpT10_ENKUlT_T0_E_clISt17integral_constantIbLb1EES1B_EEDaS16_S17_EUlS16_E_NS1_11comp_targetILNS1_3genE9ELNS1_11target_archE1100ELNS1_3gpuE3ELNS1_3repE0EEENS1_30default_config_static_selectorELNS0_4arch9wavefront6targetE0EEEvT1_
                                        ; -- End function
	.section	.AMDGPU.csdata,"",@progbits
; Kernel info:
; codeLenInByte = 6656
; NumSgprs: 26
; NumVgprs: 57
; ScratchSize: 0
; MemoryBound: 0
; FloatMode: 240
; IeeeMode: 1
; LDSByteSize: 6160 bytes/workgroup (compile time only)
; SGPRBlocks: 3
; VGPRBlocks: 7
; NumSGPRsForWavesPerEU: 26
; NumVGPRsForWavesPerEU: 57
; Occupancy: 16
; WaveLimiterHint : 1
; COMPUTE_PGM_RSRC2:SCRATCH_EN: 0
; COMPUTE_PGM_RSRC2:USER_SGPR: 15
; COMPUTE_PGM_RSRC2:TRAP_HANDLER: 0
; COMPUTE_PGM_RSRC2:TGID_X_EN: 1
; COMPUTE_PGM_RSRC2:TGID_Y_EN: 0
; COMPUTE_PGM_RSRC2:TGID_Z_EN: 0
; COMPUTE_PGM_RSRC2:TIDIG_COMP_CNT: 0
	.section	.text._ZN7rocprim17ROCPRIM_400000_NS6detail17trampoline_kernelINS0_14default_configENS1_25partition_config_selectorILNS1_17partition_subalgoE5ElNS0_10empty_typeEbEEZZNS1_14partition_implILS5_5ELb0ES3_mN6hipcub16HIPCUB_304000_NS21CountingInputIteratorIllEEPS6_NSA_22TransformInputIteratorIbN2at6native12_GLOBAL__N_19NonZeroOpIdEEPKdlEENS0_5tupleIJPlS6_EEENSN_IJSD_SD_EEES6_PiJS6_EEE10hipError_tPvRmT3_T4_T5_T6_T7_T9_mT8_P12ihipStream_tbDpT10_ENKUlT_T0_E_clISt17integral_constantIbLb1EES1B_EEDaS16_S17_EUlS16_E_NS1_11comp_targetILNS1_3genE8ELNS1_11target_archE1030ELNS1_3gpuE2ELNS1_3repE0EEENS1_30default_config_static_selectorELNS0_4arch9wavefront6targetE0EEEvT1_,"axG",@progbits,_ZN7rocprim17ROCPRIM_400000_NS6detail17trampoline_kernelINS0_14default_configENS1_25partition_config_selectorILNS1_17partition_subalgoE5ElNS0_10empty_typeEbEEZZNS1_14partition_implILS5_5ELb0ES3_mN6hipcub16HIPCUB_304000_NS21CountingInputIteratorIllEEPS6_NSA_22TransformInputIteratorIbN2at6native12_GLOBAL__N_19NonZeroOpIdEEPKdlEENS0_5tupleIJPlS6_EEENSN_IJSD_SD_EEES6_PiJS6_EEE10hipError_tPvRmT3_T4_T5_T6_T7_T9_mT8_P12ihipStream_tbDpT10_ENKUlT_T0_E_clISt17integral_constantIbLb1EES1B_EEDaS16_S17_EUlS16_E_NS1_11comp_targetILNS1_3genE8ELNS1_11target_archE1030ELNS1_3gpuE2ELNS1_3repE0EEENS1_30default_config_static_selectorELNS0_4arch9wavefront6targetE0EEEvT1_,comdat
	.globl	_ZN7rocprim17ROCPRIM_400000_NS6detail17trampoline_kernelINS0_14default_configENS1_25partition_config_selectorILNS1_17partition_subalgoE5ElNS0_10empty_typeEbEEZZNS1_14partition_implILS5_5ELb0ES3_mN6hipcub16HIPCUB_304000_NS21CountingInputIteratorIllEEPS6_NSA_22TransformInputIteratorIbN2at6native12_GLOBAL__N_19NonZeroOpIdEEPKdlEENS0_5tupleIJPlS6_EEENSN_IJSD_SD_EEES6_PiJS6_EEE10hipError_tPvRmT3_T4_T5_T6_T7_T9_mT8_P12ihipStream_tbDpT10_ENKUlT_T0_E_clISt17integral_constantIbLb1EES1B_EEDaS16_S17_EUlS16_E_NS1_11comp_targetILNS1_3genE8ELNS1_11target_archE1030ELNS1_3gpuE2ELNS1_3repE0EEENS1_30default_config_static_selectorELNS0_4arch9wavefront6targetE0EEEvT1_ ; -- Begin function _ZN7rocprim17ROCPRIM_400000_NS6detail17trampoline_kernelINS0_14default_configENS1_25partition_config_selectorILNS1_17partition_subalgoE5ElNS0_10empty_typeEbEEZZNS1_14partition_implILS5_5ELb0ES3_mN6hipcub16HIPCUB_304000_NS21CountingInputIteratorIllEEPS6_NSA_22TransformInputIteratorIbN2at6native12_GLOBAL__N_19NonZeroOpIdEEPKdlEENS0_5tupleIJPlS6_EEENSN_IJSD_SD_EEES6_PiJS6_EEE10hipError_tPvRmT3_T4_T5_T6_T7_T9_mT8_P12ihipStream_tbDpT10_ENKUlT_T0_E_clISt17integral_constantIbLb1EES1B_EEDaS16_S17_EUlS16_E_NS1_11comp_targetILNS1_3genE8ELNS1_11target_archE1030ELNS1_3gpuE2ELNS1_3repE0EEENS1_30default_config_static_selectorELNS0_4arch9wavefront6targetE0EEEvT1_
	.p2align	8
	.type	_ZN7rocprim17ROCPRIM_400000_NS6detail17trampoline_kernelINS0_14default_configENS1_25partition_config_selectorILNS1_17partition_subalgoE5ElNS0_10empty_typeEbEEZZNS1_14partition_implILS5_5ELb0ES3_mN6hipcub16HIPCUB_304000_NS21CountingInputIteratorIllEEPS6_NSA_22TransformInputIteratorIbN2at6native12_GLOBAL__N_19NonZeroOpIdEEPKdlEENS0_5tupleIJPlS6_EEENSN_IJSD_SD_EEES6_PiJS6_EEE10hipError_tPvRmT3_T4_T5_T6_T7_T9_mT8_P12ihipStream_tbDpT10_ENKUlT_T0_E_clISt17integral_constantIbLb1EES1B_EEDaS16_S17_EUlS16_E_NS1_11comp_targetILNS1_3genE8ELNS1_11target_archE1030ELNS1_3gpuE2ELNS1_3repE0EEENS1_30default_config_static_selectorELNS0_4arch9wavefront6targetE0EEEvT1_,@function
_ZN7rocprim17ROCPRIM_400000_NS6detail17trampoline_kernelINS0_14default_configENS1_25partition_config_selectorILNS1_17partition_subalgoE5ElNS0_10empty_typeEbEEZZNS1_14partition_implILS5_5ELb0ES3_mN6hipcub16HIPCUB_304000_NS21CountingInputIteratorIllEEPS6_NSA_22TransformInputIteratorIbN2at6native12_GLOBAL__N_19NonZeroOpIdEEPKdlEENS0_5tupleIJPlS6_EEENSN_IJSD_SD_EEES6_PiJS6_EEE10hipError_tPvRmT3_T4_T5_T6_T7_T9_mT8_P12ihipStream_tbDpT10_ENKUlT_T0_E_clISt17integral_constantIbLb1EES1B_EEDaS16_S17_EUlS16_E_NS1_11comp_targetILNS1_3genE8ELNS1_11target_archE1030ELNS1_3gpuE2ELNS1_3repE0EEENS1_30default_config_static_selectorELNS0_4arch9wavefront6targetE0EEEvT1_: ; @_ZN7rocprim17ROCPRIM_400000_NS6detail17trampoline_kernelINS0_14default_configENS1_25partition_config_selectorILNS1_17partition_subalgoE5ElNS0_10empty_typeEbEEZZNS1_14partition_implILS5_5ELb0ES3_mN6hipcub16HIPCUB_304000_NS21CountingInputIteratorIllEEPS6_NSA_22TransformInputIteratorIbN2at6native12_GLOBAL__N_19NonZeroOpIdEEPKdlEENS0_5tupleIJPlS6_EEENSN_IJSD_SD_EEES6_PiJS6_EEE10hipError_tPvRmT3_T4_T5_T6_T7_T9_mT8_P12ihipStream_tbDpT10_ENKUlT_T0_E_clISt17integral_constantIbLb1EES1B_EEDaS16_S17_EUlS16_E_NS1_11comp_targetILNS1_3genE8ELNS1_11target_archE1030ELNS1_3gpuE2ELNS1_3repE0EEENS1_30default_config_static_selectorELNS0_4arch9wavefront6targetE0EEEvT1_
; %bb.0:
	.section	.rodata,"a",@progbits
	.p2align	6, 0x0
	.amdhsa_kernel _ZN7rocprim17ROCPRIM_400000_NS6detail17trampoline_kernelINS0_14default_configENS1_25partition_config_selectorILNS1_17partition_subalgoE5ElNS0_10empty_typeEbEEZZNS1_14partition_implILS5_5ELb0ES3_mN6hipcub16HIPCUB_304000_NS21CountingInputIteratorIllEEPS6_NSA_22TransformInputIteratorIbN2at6native12_GLOBAL__N_19NonZeroOpIdEEPKdlEENS0_5tupleIJPlS6_EEENSN_IJSD_SD_EEES6_PiJS6_EEE10hipError_tPvRmT3_T4_T5_T6_T7_T9_mT8_P12ihipStream_tbDpT10_ENKUlT_T0_E_clISt17integral_constantIbLb1EES1B_EEDaS16_S17_EUlS16_E_NS1_11comp_targetILNS1_3genE8ELNS1_11target_archE1030ELNS1_3gpuE2ELNS1_3repE0EEENS1_30default_config_static_selectorELNS0_4arch9wavefront6targetE0EEEvT1_
		.amdhsa_group_segment_fixed_size 0
		.amdhsa_private_segment_fixed_size 0
		.amdhsa_kernarg_size 136
		.amdhsa_user_sgpr_count 15
		.amdhsa_user_sgpr_dispatch_ptr 0
		.amdhsa_user_sgpr_queue_ptr 0
		.amdhsa_user_sgpr_kernarg_segment_ptr 1
		.amdhsa_user_sgpr_dispatch_id 0
		.amdhsa_user_sgpr_private_segment_size 0
		.amdhsa_wavefront_size32 1
		.amdhsa_uses_dynamic_stack 0
		.amdhsa_enable_private_segment 0
		.amdhsa_system_sgpr_workgroup_id_x 1
		.amdhsa_system_sgpr_workgroup_id_y 0
		.amdhsa_system_sgpr_workgroup_id_z 0
		.amdhsa_system_sgpr_workgroup_info 0
		.amdhsa_system_vgpr_workitem_id 0
		.amdhsa_next_free_vgpr 1
		.amdhsa_next_free_sgpr 1
		.amdhsa_reserve_vcc 0
		.amdhsa_float_round_mode_32 0
		.amdhsa_float_round_mode_16_64 0
		.amdhsa_float_denorm_mode_32 3
		.amdhsa_float_denorm_mode_16_64 3
		.amdhsa_dx10_clamp 1
		.amdhsa_ieee_mode 1
		.amdhsa_fp16_overflow 0
		.amdhsa_workgroup_processor_mode 1
		.amdhsa_memory_ordered 1
		.amdhsa_forward_progress 0
		.amdhsa_shared_vgpr_count 0
		.amdhsa_exception_fp_ieee_invalid_op 0
		.amdhsa_exception_fp_denorm_src 0
		.amdhsa_exception_fp_ieee_div_zero 0
		.amdhsa_exception_fp_ieee_overflow 0
		.amdhsa_exception_fp_ieee_underflow 0
		.amdhsa_exception_fp_ieee_inexact 0
		.amdhsa_exception_int_div_zero 0
	.end_amdhsa_kernel
	.section	.text._ZN7rocprim17ROCPRIM_400000_NS6detail17trampoline_kernelINS0_14default_configENS1_25partition_config_selectorILNS1_17partition_subalgoE5ElNS0_10empty_typeEbEEZZNS1_14partition_implILS5_5ELb0ES3_mN6hipcub16HIPCUB_304000_NS21CountingInputIteratorIllEEPS6_NSA_22TransformInputIteratorIbN2at6native12_GLOBAL__N_19NonZeroOpIdEEPKdlEENS0_5tupleIJPlS6_EEENSN_IJSD_SD_EEES6_PiJS6_EEE10hipError_tPvRmT3_T4_T5_T6_T7_T9_mT8_P12ihipStream_tbDpT10_ENKUlT_T0_E_clISt17integral_constantIbLb1EES1B_EEDaS16_S17_EUlS16_E_NS1_11comp_targetILNS1_3genE8ELNS1_11target_archE1030ELNS1_3gpuE2ELNS1_3repE0EEENS1_30default_config_static_selectorELNS0_4arch9wavefront6targetE0EEEvT1_,"axG",@progbits,_ZN7rocprim17ROCPRIM_400000_NS6detail17trampoline_kernelINS0_14default_configENS1_25partition_config_selectorILNS1_17partition_subalgoE5ElNS0_10empty_typeEbEEZZNS1_14partition_implILS5_5ELb0ES3_mN6hipcub16HIPCUB_304000_NS21CountingInputIteratorIllEEPS6_NSA_22TransformInputIteratorIbN2at6native12_GLOBAL__N_19NonZeroOpIdEEPKdlEENS0_5tupleIJPlS6_EEENSN_IJSD_SD_EEES6_PiJS6_EEE10hipError_tPvRmT3_T4_T5_T6_T7_T9_mT8_P12ihipStream_tbDpT10_ENKUlT_T0_E_clISt17integral_constantIbLb1EES1B_EEDaS16_S17_EUlS16_E_NS1_11comp_targetILNS1_3genE8ELNS1_11target_archE1030ELNS1_3gpuE2ELNS1_3repE0EEENS1_30default_config_static_selectorELNS0_4arch9wavefront6targetE0EEEvT1_,comdat
.Lfunc_end405:
	.size	_ZN7rocprim17ROCPRIM_400000_NS6detail17trampoline_kernelINS0_14default_configENS1_25partition_config_selectorILNS1_17partition_subalgoE5ElNS0_10empty_typeEbEEZZNS1_14partition_implILS5_5ELb0ES3_mN6hipcub16HIPCUB_304000_NS21CountingInputIteratorIllEEPS6_NSA_22TransformInputIteratorIbN2at6native12_GLOBAL__N_19NonZeroOpIdEEPKdlEENS0_5tupleIJPlS6_EEENSN_IJSD_SD_EEES6_PiJS6_EEE10hipError_tPvRmT3_T4_T5_T6_T7_T9_mT8_P12ihipStream_tbDpT10_ENKUlT_T0_E_clISt17integral_constantIbLb1EES1B_EEDaS16_S17_EUlS16_E_NS1_11comp_targetILNS1_3genE8ELNS1_11target_archE1030ELNS1_3gpuE2ELNS1_3repE0EEENS1_30default_config_static_selectorELNS0_4arch9wavefront6targetE0EEEvT1_, .Lfunc_end405-_ZN7rocprim17ROCPRIM_400000_NS6detail17trampoline_kernelINS0_14default_configENS1_25partition_config_selectorILNS1_17partition_subalgoE5ElNS0_10empty_typeEbEEZZNS1_14partition_implILS5_5ELb0ES3_mN6hipcub16HIPCUB_304000_NS21CountingInputIteratorIllEEPS6_NSA_22TransformInputIteratorIbN2at6native12_GLOBAL__N_19NonZeroOpIdEEPKdlEENS0_5tupleIJPlS6_EEENSN_IJSD_SD_EEES6_PiJS6_EEE10hipError_tPvRmT3_T4_T5_T6_T7_T9_mT8_P12ihipStream_tbDpT10_ENKUlT_T0_E_clISt17integral_constantIbLb1EES1B_EEDaS16_S17_EUlS16_E_NS1_11comp_targetILNS1_3genE8ELNS1_11target_archE1030ELNS1_3gpuE2ELNS1_3repE0EEENS1_30default_config_static_selectorELNS0_4arch9wavefront6targetE0EEEvT1_
                                        ; -- End function
	.section	.AMDGPU.csdata,"",@progbits
; Kernel info:
; codeLenInByte = 0
; NumSgprs: 0
; NumVgprs: 0
; ScratchSize: 0
; MemoryBound: 0
; FloatMode: 240
; IeeeMode: 1
; LDSByteSize: 0 bytes/workgroup (compile time only)
; SGPRBlocks: 0
; VGPRBlocks: 0
; NumSGPRsForWavesPerEU: 1
; NumVGPRsForWavesPerEU: 1
; Occupancy: 16
; WaveLimiterHint : 0
; COMPUTE_PGM_RSRC2:SCRATCH_EN: 0
; COMPUTE_PGM_RSRC2:USER_SGPR: 15
; COMPUTE_PGM_RSRC2:TRAP_HANDLER: 0
; COMPUTE_PGM_RSRC2:TGID_X_EN: 1
; COMPUTE_PGM_RSRC2:TGID_Y_EN: 0
; COMPUTE_PGM_RSRC2:TGID_Z_EN: 0
; COMPUTE_PGM_RSRC2:TIDIG_COMP_CNT: 0
	.section	.text._ZN7rocprim17ROCPRIM_400000_NS6detail17trampoline_kernelINS0_14default_configENS1_25partition_config_selectorILNS1_17partition_subalgoE5ElNS0_10empty_typeEbEEZZNS1_14partition_implILS5_5ELb0ES3_mN6hipcub16HIPCUB_304000_NS21CountingInputIteratorIllEEPS6_NSA_22TransformInputIteratorIbN2at6native12_GLOBAL__N_19NonZeroOpIdEEPKdlEENS0_5tupleIJPlS6_EEENSN_IJSD_SD_EEES6_PiJS6_EEE10hipError_tPvRmT3_T4_T5_T6_T7_T9_mT8_P12ihipStream_tbDpT10_ENKUlT_T0_E_clISt17integral_constantIbLb1EES1A_IbLb0EEEEDaS16_S17_EUlS16_E_NS1_11comp_targetILNS1_3genE0ELNS1_11target_archE4294967295ELNS1_3gpuE0ELNS1_3repE0EEENS1_30default_config_static_selectorELNS0_4arch9wavefront6targetE0EEEvT1_,"axG",@progbits,_ZN7rocprim17ROCPRIM_400000_NS6detail17trampoline_kernelINS0_14default_configENS1_25partition_config_selectorILNS1_17partition_subalgoE5ElNS0_10empty_typeEbEEZZNS1_14partition_implILS5_5ELb0ES3_mN6hipcub16HIPCUB_304000_NS21CountingInputIteratorIllEEPS6_NSA_22TransformInputIteratorIbN2at6native12_GLOBAL__N_19NonZeroOpIdEEPKdlEENS0_5tupleIJPlS6_EEENSN_IJSD_SD_EEES6_PiJS6_EEE10hipError_tPvRmT3_T4_T5_T6_T7_T9_mT8_P12ihipStream_tbDpT10_ENKUlT_T0_E_clISt17integral_constantIbLb1EES1A_IbLb0EEEEDaS16_S17_EUlS16_E_NS1_11comp_targetILNS1_3genE0ELNS1_11target_archE4294967295ELNS1_3gpuE0ELNS1_3repE0EEENS1_30default_config_static_selectorELNS0_4arch9wavefront6targetE0EEEvT1_,comdat
	.globl	_ZN7rocprim17ROCPRIM_400000_NS6detail17trampoline_kernelINS0_14default_configENS1_25partition_config_selectorILNS1_17partition_subalgoE5ElNS0_10empty_typeEbEEZZNS1_14partition_implILS5_5ELb0ES3_mN6hipcub16HIPCUB_304000_NS21CountingInputIteratorIllEEPS6_NSA_22TransformInputIteratorIbN2at6native12_GLOBAL__N_19NonZeroOpIdEEPKdlEENS0_5tupleIJPlS6_EEENSN_IJSD_SD_EEES6_PiJS6_EEE10hipError_tPvRmT3_T4_T5_T6_T7_T9_mT8_P12ihipStream_tbDpT10_ENKUlT_T0_E_clISt17integral_constantIbLb1EES1A_IbLb0EEEEDaS16_S17_EUlS16_E_NS1_11comp_targetILNS1_3genE0ELNS1_11target_archE4294967295ELNS1_3gpuE0ELNS1_3repE0EEENS1_30default_config_static_selectorELNS0_4arch9wavefront6targetE0EEEvT1_ ; -- Begin function _ZN7rocprim17ROCPRIM_400000_NS6detail17trampoline_kernelINS0_14default_configENS1_25partition_config_selectorILNS1_17partition_subalgoE5ElNS0_10empty_typeEbEEZZNS1_14partition_implILS5_5ELb0ES3_mN6hipcub16HIPCUB_304000_NS21CountingInputIteratorIllEEPS6_NSA_22TransformInputIteratorIbN2at6native12_GLOBAL__N_19NonZeroOpIdEEPKdlEENS0_5tupleIJPlS6_EEENSN_IJSD_SD_EEES6_PiJS6_EEE10hipError_tPvRmT3_T4_T5_T6_T7_T9_mT8_P12ihipStream_tbDpT10_ENKUlT_T0_E_clISt17integral_constantIbLb1EES1A_IbLb0EEEEDaS16_S17_EUlS16_E_NS1_11comp_targetILNS1_3genE0ELNS1_11target_archE4294967295ELNS1_3gpuE0ELNS1_3repE0EEENS1_30default_config_static_selectorELNS0_4arch9wavefront6targetE0EEEvT1_
	.p2align	8
	.type	_ZN7rocprim17ROCPRIM_400000_NS6detail17trampoline_kernelINS0_14default_configENS1_25partition_config_selectorILNS1_17partition_subalgoE5ElNS0_10empty_typeEbEEZZNS1_14partition_implILS5_5ELb0ES3_mN6hipcub16HIPCUB_304000_NS21CountingInputIteratorIllEEPS6_NSA_22TransformInputIteratorIbN2at6native12_GLOBAL__N_19NonZeroOpIdEEPKdlEENS0_5tupleIJPlS6_EEENSN_IJSD_SD_EEES6_PiJS6_EEE10hipError_tPvRmT3_T4_T5_T6_T7_T9_mT8_P12ihipStream_tbDpT10_ENKUlT_T0_E_clISt17integral_constantIbLb1EES1A_IbLb0EEEEDaS16_S17_EUlS16_E_NS1_11comp_targetILNS1_3genE0ELNS1_11target_archE4294967295ELNS1_3gpuE0ELNS1_3repE0EEENS1_30default_config_static_selectorELNS0_4arch9wavefront6targetE0EEEvT1_,@function
_ZN7rocprim17ROCPRIM_400000_NS6detail17trampoline_kernelINS0_14default_configENS1_25partition_config_selectorILNS1_17partition_subalgoE5ElNS0_10empty_typeEbEEZZNS1_14partition_implILS5_5ELb0ES3_mN6hipcub16HIPCUB_304000_NS21CountingInputIteratorIllEEPS6_NSA_22TransformInputIteratorIbN2at6native12_GLOBAL__N_19NonZeroOpIdEEPKdlEENS0_5tupleIJPlS6_EEENSN_IJSD_SD_EEES6_PiJS6_EEE10hipError_tPvRmT3_T4_T5_T6_T7_T9_mT8_P12ihipStream_tbDpT10_ENKUlT_T0_E_clISt17integral_constantIbLb1EES1A_IbLb0EEEEDaS16_S17_EUlS16_E_NS1_11comp_targetILNS1_3genE0ELNS1_11target_archE4294967295ELNS1_3gpuE0ELNS1_3repE0EEENS1_30default_config_static_selectorELNS0_4arch9wavefront6targetE0EEEvT1_: ; @_ZN7rocprim17ROCPRIM_400000_NS6detail17trampoline_kernelINS0_14default_configENS1_25partition_config_selectorILNS1_17partition_subalgoE5ElNS0_10empty_typeEbEEZZNS1_14partition_implILS5_5ELb0ES3_mN6hipcub16HIPCUB_304000_NS21CountingInputIteratorIllEEPS6_NSA_22TransformInputIteratorIbN2at6native12_GLOBAL__N_19NonZeroOpIdEEPKdlEENS0_5tupleIJPlS6_EEENSN_IJSD_SD_EEES6_PiJS6_EEE10hipError_tPvRmT3_T4_T5_T6_T7_T9_mT8_P12ihipStream_tbDpT10_ENKUlT_T0_E_clISt17integral_constantIbLb1EES1A_IbLb0EEEEDaS16_S17_EUlS16_E_NS1_11comp_targetILNS1_3genE0ELNS1_11target_archE4294967295ELNS1_3gpuE0ELNS1_3repE0EEENS1_30default_config_static_selectorELNS0_4arch9wavefront6targetE0EEEvT1_
; %bb.0:
	.section	.rodata,"a",@progbits
	.p2align	6, 0x0
	.amdhsa_kernel _ZN7rocprim17ROCPRIM_400000_NS6detail17trampoline_kernelINS0_14default_configENS1_25partition_config_selectorILNS1_17partition_subalgoE5ElNS0_10empty_typeEbEEZZNS1_14partition_implILS5_5ELb0ES3_mN6hipcub16HIPCUB_304000_NS21CountingInputIteratorIllEEPS6_NSA_22TransformInputIteratorIbN2at6native12_GLOBAL__N_19NonZeroOpIdEEPKdlEENS0_5tupleIJPlS6_EEENSN_IJSD_SD_EEES6_PiJS6_EEE10hipError_tPvRmT3_T4_T5_T6_T7_T9_mT8_P12ihipStream_tbDpT10_ENKUlT_T0_E_clISt17integral_constantIbLb1EES1A_IbLb0EEEEDaS16_S17_EUlS16_E_NS1_11comp_targetILNS1_3genE0ELNS1_11target_archE4294967295ELNS1_3gpuE0ELNS1_3repE0EEENS1_30default_config_static_selectorELNS0_4arch9wavefront6targetE0EEEvT1_
		.amdhsa_group_segment_fixed_size 0
		.amdhsa_private_segment_fixed_size 0
		.amdhsa_kernarg_size 120
		.amdhsa_user_sgpr_count 15
		.amdhsa_user_sgpr_dispatch_ptr 0
		.amdhsa_user_sgpr_queue_ptr 0
		.amdhsa_user_sgpr_kernarg_segment_ptr 1
		.amdhsa_user_sgpr_dispatch_id 0
		.amdhsa_user_sgpr_private_segment_size 0
		.amdhsa_wavefront_size32 1
		.amdhsa_uses_dynamic_stack 0
		.amdhsa_enable_private_segment 0
		.amdhsa_system_sgpr_workgroup_id_x 1
		.amdhsa_system_sgpr_workgroup_id_y 0
		.amdhsa_system_sgpr_workgroup_id_z 0
		.amdhsa_system_sgpr_workgroup_info 0
		.amdhsa_system_vgpr_workitem_id 0
		.amdhsa_next_free_vgpr 1
		.amdhsa_next_free_sgpr 1
		.amdhsa_reserve_vcc 0
		.amdhsa_float_round_mode_32 0
		.amdhsa_float_round_mode_16_64 0
		.amdhsa_float_denorm_mode_32 3
		.amdhsa_float_denorm_mode_16_64 3
		.amdhsa_dx10_clamp 1
		.amdhsa_ieee_mode 1
		.amdhsa_fp16_overflow 0
		.amdhsa_workgroup_processor_mode 1
		.amdhsa_memory_ordered 1
		.amdhsa_forward_progress 0
		.amdhsa_shared_vgpr_count 0
		.amdhsa_exception_fp_ieee_invalid_op 0
		.amdhsa_exception_fp_denorm_src 0
		.amdhsa_exception_fp_ieee_div_zero 0
		.amdhsa_exception_fp_ieee_overflow 0
		.amdhsa_exception_fp_ieee_underflow 0
		.amdhsa_exception_fp_ieee_inexact 0
		.amdhsa_exception_int_div_zero 0
	.end_amdhsa_kernel
	.section	.text._ZN7rocprim17ROCPRIM_400000_NS6detail17trampoline_kernelINS0_14default_configENS1_25partition_config_selectorILNS1_17partition_subalgoE5ElNS0_10empty_typeEbEEZZNS1_14partition_implILS5_5ELb0ES3_mN6hipcub16HIPCUB_304000_NS21CountingInputIteratorIllEEPS6_NSA_22TransformInputIteratorIbN2at6native12_GLOBAL__N_19NonZeroOpIdEEPKdlEENS0_5tupleIJPlS6_EEENSN_IJSD_SD_EEES6_PiJS6_EEE10hipError_tPvRmT3_T4_T5_T6_T7_T9_mT8_P12ihipStream_tbDpT10_ENKUlT_T0_E_clISt17integral_constantIbLb1EES1A_IbLb0EEEEDaS16_S17_EUlS16_E_NS1_11comp_targetILNS1_3genE0ELNS1_11target_archE4294967295ELNS1_3gpuE0ELNS1_3repE0EEENS1_30default_config_static_selectorELNS0_4arch9wavefront6targetE0EEEvT1_,"axG",@progbits,_ZN7rocprim17ROCPRIM_400000_NS6detail17trampoline_kernelINS0_14default_configENS1_25partition_config_selectorILNS1_17partition_subalgoE5ElNS0_10empty_typeEbEEZZNS1_14partition_implILS5_5ELb0ES3_mN6hipcub16HIPCUB_304000_NS21CountingInputIteratorIllEEPS6_NSA_22TransformInputIteratorIbN2at6native12_GLOBAL__N_19NonZeroOpIdEEPKdlEENS0_5tupleIJPlS6_EEENSN_IJSD_SD_EEES6_PiJS6_EEE10hipError_tPvRmT3_T4_T5_T6_T7_T9_mT8_P12ihipStream_tbDpT10_ENKUlT_T0_E_clISt17integral_constantIbLb1EES1A_IbLb0EEEEDaS16_S17_EUlS16_E_NS1_11comp_targetILNS1_3genE0ELNS1_11target_archE4294967295ELNS1_3gpuE0ELNS1_3repE0EEENS1_30default_config_static_selectorELNS0_4arch9wavefront6targetE0EEEvT1_,comdat
.Lfunc_end406:
	.size	_ZN7rocprim17ROCPRIM_400000_NS6detail17trampoline_kernelINS0_14default_configENS1_25partition_config_selectorILNS1_17partition_subalgoE5ElNS0_10empty_typeEbEEZZNS1_14partition_implILS5_5ELb0ES3_mN6hipcub16HIPCUB_304000_NS21CountingInputIteratorIllEEPS6_NSA_22TransformInputIteratorIbN2at6native12_GLOBAL__N_19NonZeroOpIdEEPKdlEENS0_5tupleIJPlS6_EEENSN_IJSD_SD_EEES6_PiJS6_EEE10hipError_tPvRmT3_T4_T5_T6_T7_T9_mT8_P12ihipStream_tbDpT10_ENKUlT_T0_E_clISt17integral_constantIbLb1EES1A_IbLb0EEEEDaS16_S17_EUlS16_E_NS1_11comp_targetILNS1_3genE0ELNS1_11target_archE4294967295ELNS1_3gpuE0ELNS1_3repE0EEENS1_30default_config_static_selectorELNS0_4arch9wavefront6targetE0EEEvT1_, .Lfunc_end406-_ZN7rocprim17ROCPRIM_400000_NS6detail17trampoline_kernelINS0_14default_configENS1_25partition_config_selectorILNS1_17partition_subalgoE5ElNS0_10empty_typeEbEEZZNS1_14partition_implILS5_5ELb0ES3_mN6hipcub16HIPCUB_304000_NS21CountingInputIteratorIllEEPS6_NSA_22TransformInputIteratorIbN2at6native12_GLOBAL__N_19NonZeroOpIdEEPKdlEENS0_5tupleIJPlS6_EEENSN_IJSD_SD_EEES6_PiJS6_EEE10hipError_tPvRmT3_T4_T5_T6_T7_T9_mT8_P12ihipStream_tbDpT10_ENKUlT_T0_E_clISt17integral_constantIbLb1EES1A_IbLb0EEEEDaS16_S17_EUlS16_E_NS1_11comp_targetILNS1_3genE0ELNS1_11target_archE4294967295ELNS1_3gpuE0ELNS1_3repE0EEENS1_30default_config_static_selectorELNS0_4arch9wavefront6targetE0EEEvT1_
                                        ; -- End function
	.section	.AMDGPU.csdata,"",@progbits
; Kernel info:
; codeLenInByte = 0
; NumSgprs: 0
; NumVgprs: 0
; ScratchSize: 0
; MemoryBound: 0
; FloatMode: 240
; IeeeMode: 1
; LDSByteSize: 0 bytes/workgroup (compile time only)
; SGPRBlocks: 0
; VGPRBlocks: 0
; NumSGPRsForWavesPerEU: 1
; NumVGPRsForWavesPerEU: 1
; Occupancy: 16
; WaveLimiterHint : 0
; COMPUTE_PGM_RSRC2:SCRATCH_EN: 0
; COMPUTE_PGM_RSRC2:USER_SGPR: 15
; COMPUTE_PGM_RSRC2:TRAP_HANDLER: 0
; COMPUTE_PGM_RSRC2:TGID_X_EN: 1
; COMPUTE_PGM_RSRC2:TGID_Y_EN: 0
; COMPUTE_PGM_RSRC2:TGID_Z_EN: 0
; COMPUTE_PGM_RSRC2:TIDIG_COMP_CNT: 0
	.section	.text._ZN7rocprim17ROCPRIM_400000_NS6detail17trampoline_kernelINS0_14default_configENS1_25partition_config_selectorILNS1_17partition_subalgoE5ElNS0_10empty_typeEbEEZZNS1_14partition_implILS5_5ELb0ES3_mN6hipcub16HIPCUB_304000_NS21CountingInputIteratorIllEEPS6_NSA_22TransformInputIteratorIbN2at6native12_GLOBAL__N_19NonZeroOpIdEEPKdlEENS0_5tupleIJPlS6_EEENSN_IJSD_SD_EEES6_PiJS6_EEE10hipError_tPvRmT3_T4_T5_T6_T7_T9_mT8_P12ihipStream_tbDpT10_ENKUlT_T0_E_clISt17integral_constantIbLb1EES1A_IbLb0EEEEDaS16_S17_EUlS16_E_NS1_11comp_targetILNS1_3genE5ELNS1_11target_archE942ELNS1_3gpuE9ELNS1_3repE0EEENS1_30default_config_static_selectorELNS0_4arch9wavefront6targetE0EEEvT1_,"axG",@progbits,_ZN7rocprim17ROCPRIM_400000_NS6detail17trampoline_kernelINS0_14default_configENS1_25partition_config_selectorILNS1_17partition_subalgoE5ElNS0_10empty_typeEbEEZZNS1_14partition_implILS5_5ELb0ES3_mN6hipcub16HIPCUB_304000_NS21CountingInputIteratorIllEEPS6_NSA_22TransformInputIteratorIbN2at6native12_GLOBAL__N_19NonZeroOpIdEEPKdlEENS0_5tupleIJPlS6_EEENSN_IJSD_SD_EEES6_PiJS6_EEE10hipError_tPvRmT3_T4_T5_T6_T7_T9_mT8_P12ihipStream_tbDpT10_ENKUlT_T0_E_clISt17integral_constantIbLb1EES1A_IbLb0EEEEDaS16_S17_EUlS16_E_NS1_11comp_targetILNS1_3genE5ELNS1_11target_archE942ELNS1_3gpuE9ELNS1_3repE0EEENS1_30default_config_static_selectorELNS0_4arch9wavefront6targetE0EEEvT1_,comdat
	.globl	_ZN7rocprim17ROCPRIM_400000_NS6detail17trampoline_kernelINS0_14default_configENS1_25partition_config_selectorILNS1_17partition_subalgoE5ElNS0_10empty_typeEbEEZZNS1_14partition_implILS5_5ELb0ES3_mN6hipcub16HIPCUB_304000_NS21CountingInputIteratorIllEEPS6_NSA_22TransformInputIteratorIbN2at6native12_GLOBAL__N_19NonZeroOpIdEEPKdlEENS0_5tupleIJPlS6_EEENSN_IJSD_SD_EEES6_PiJS6_EEE10hipError_tPvRmT3_T4_T5_T6_T7_T9_mT8_P12ihipStream_tbDpT10_ENKUlT_T0_E_clISt17integral_constantIbLb1EES1A_IbLb0EEEEDaS16_S17_EUlS16_E_NS1_11comp_targetILNS1_3genE5ELNS1_11target_archE942ELNS1_3gpuE9ELNS1_3repE0EEENS1_30default_config_static_selectorELNS0_4arch9wavefront6targetE0EEEvT1_ ; -- Begin function _ZN7rocprim17ROCPRIM_400000_NS6detail17trampoline_kernelINS0_14default_configENS1_25partition_config_selectorILNS1_17partition_subalgoE5ElNS0_10empty_typeEbEEZZNS1_14partition_implILS5_5ELb0ES3_mN6hipcub16HIPCUB_304000_NS21CountingInputIteratorIllEEPS6_NSA_22TransformInputIteratorIbN2at6native12_GLOBAL__N_19NonZeroOpIdEEPKdlEENS0_5tupleIJPlS6_EEENSN_IJSD_SD_EEES6_PiJS6_EEE10hipError_tPvRmT3_T4_T5_T6_T7_T9_mT8_P12ihipStream_tbDpT10_ENKUlT_T0_E_clISt17integral_constantIbLb1EES1A_IbLb0EEEEDaS16_S17_EUlS16_E_NS1_11comp_targetILNS1_3genE5ELNS1_11target_archE942ELNS1_3gpuE9ELNS1_3repE0EEENS1_30default_config_static_selectorELNS0_4arch9wavefront6targetE0EEEvT1_
	.p2align	8
	.type	_ZN7rocprim17ROCPRIM_400000_NS6detail17trampoline_kernelINS0_14default_configENS1_25partition_config_selectorILNS1_17partition_subalgoE5ElNS0_10empty_typeEbEEZZNS1_14partition_implILS5_5ELb0ES3_mN6hipcub16HIPCUB_304000_NS21CountingInputIteratorIllEEPS6_NSA_22TransformInputIteratorIbN2at6native12_GLOBAL__N_19NonZeroOpIdEEPKdlEENS0_5tupleIJPlS6_EEENSN_IJSD_SD_EEES6_PiJS6_EEE10hipError_tPvRmT3_T4_T5_T6_T7_T9_mT8_P12ihipStream_tbDpT10_ENKUlT_T0_E_clISt17integral_constantIbLb1EES1A_IbLb0EEEEDaS16_S17_EUlS16_E_NS1_11comp_targetILNS1_3genE5ELNS1_11target_archE942ELNS1_3gpuE9ELNS1_3repE0EEENS1_30default_config_static_selectorELNS0_4arch9wavefront6targetE0EEEvT1_,@function
_ZN7rocprim17ROCPRIM_400000_NS6detail17trampoline_kernelINS0_14default_configENS1_25partition_config_selectorILNS1_17partition_subalgoE5ElNS0_10empty_typeEbEEZZNS1_14partition_implILS5_5ELb0ES3_mN6hipcub16HIPCUB_304000_NS21CountingInputIteratorIllEEPS6_NSA_22TransformInputIteratorIbN2at6native12_GLOBAL__N_19NonZeroOpIdEEPKdlEENS0_5tupleIJPlS6_EEENSN_IJSD_SD_EEES6_PiJS6_EEE10hipError_tPvRmT3_T4_T5_T6_T7_T9_mT8_P12ihipStream_tbDpT10_ENKUlT_T0_E_clISt17integral_constantIbLb1EES1A_IbLb0EEEEDaS16_S17_EUlS16_E_NS1_11comp_targetILNS1_3genE5ELNS1_11target_archE942ELNS1_3gpuE9ELNS1_3repE0EEENS1_30default_config_static_selectorELNS0_4arch9wavefront6targetE0EEEvT1_: ; @_ZN7rocprim17ROCPRIM_400000_NS6detail17trampoline_kernelINS0_14default_configENS1_25partition_config_selectorILNS1_17partition_subalgoE5ElNS0_10empty_typeEbEEZZNS1_14partition_implILS5_5ELb0ES3_mN6hipcub16HIPCUB_304000_NS21CountingInputIteratorIllEEPS6_NSA_22TransformInputIteratorIbN2at6native12_GLOBAL__N_19NonZeroOpIdEEPKdlEENS0_5tupleIJPlS6_EEENSN_IJSD_SD_EEES6_PiJS6_EEE10hipError_tPvRmT3_T4_T5_T6_T7_T9_mT8_P12ihipStream_tbDpT10_ENKUlT_T0_E_clISt17integral_constantIbLb1EES1A_IbLb0EEEEDaS16_S17_EUlS16_E_NS1_11comp_targetILNS1_3genE5ELNS1_11target_archE942ELNS1_3gpuE9ELNS1_3repE0EEENS1_30default_config_static_selectorELNS0_4arch9wavefront6targetE0EEEvT1_
; %bb.0:
	.section	.rodata,"a",@progbits
	.p2align	6, 0x0
	.amdhsa_kernel _ZN7rocprim17ROCPRIM_400000_NS6detail17trampoline_kernelINS0_14default_configENS1_25partition_config_selectorILNS1_17partition_subalgoE5ElNS0_10empty_typeEbEEZZNS1_14partition_implILS5_5ELb0ES3_mN6hipcub16HIPCUB_304000_NS21CountingInputIteratorIllEEPS6_NSA_22TransformInputIteratorIbN2at6native12_GLOBAL__N_19NonZeroOpIdEEPKdlEENS0_5tupleIJPlS6_EEENSN_IJSD_SD_EEES6_PiJS6_EEE10hipError_tPvRmT3_T4_T5_T6_T7_T9_mT8_P12ihipStream_tbDpT10_ENKUlT_T0_E_clISt17integral_constantIbLb1EES1A_IbLb0EEEEDaS16_S17_EUlS16_E_NS1_11comp_targetILNS1_3genE5ELNS1_11target_archE942ELNS1_3gpuE9ELNS1_3repE0EEENS1_30default_config_static_selectorELNS0_4arch9wavefront6targetE0EEEvT1_
		.amdhsa_group_segment_fixed_size 0
		.amdhsa_private_segment_fixed_size 0
		.amdhsa_kernarg_size 120
		.amdhsa_user_sgpr_count 15
		.amdhsa_user_sgpr_dispatch_ptr 0
		.amdhsa_user_sgpr_queue_ptr 0
		.amdhsa_user_sgpr_kernarg_segment_ptr 1
		.amdhsa_user_sgpr_dispatch_id 0
		.amdhsa_user_sgpr_private_segment_size 0
		.amdhsa_wavefront_size32 1
		.amdhsa_uses_dynamic_stack 0
		.amdhsa_enable_private_segment 0
		.amdhsa_system_sgpr_workgroup_id_x 1
		.amdhsa_system_sgpr_workgroup_id_y 0
		.amdhsa_system_sgpr_workgroup_id_z 0
		.amdhsa_system_sgpr_workgroup_info 0
		.amdhsa_system_vgpr_workitem_id 0
		.amdhsa_next_free_vgpr 1
		.amdhsa_next_free_sgpr 1
		.amdhsa_reserve_vcc 0
		.amdhsa_float_round_mode_32 0
		.amdhsa_float_round_mode_16_64 0
		.amdhsa_float_denorm_mode_32 3
		.amdhsa_float_denorm_mode_16_64 3
		.amdhsa_dx10_clamp 1
		.amdhsa_ieee_mode 1
		.amdhsa_fp16_overflow 0
		.amdhsa_workgroup_processor_mode 1
		.amdhsa_memory_ordered 1
		.amdhsa_forward_progress 0
		.amdhsa_shared_vgpr_count 0
		.amdhsa_exception_fp_ieee_invalid_op 0
		.amdhsa_exception_fp_denorm_src 0
		.amdhsa_exception_fp_ieee_div_zero 0
		.amdhsa_exception_fp_ieee_overflow 0
		.amdhsa_exception_fp_ieee_underflow 0
		.amdhsa_exception_fp_ieee_inexact 0
		.amdhsa_exception_int_div_zero 0
	.end_amdhsa_kernel
	.section	.text._ZN7rocprim17ROCPRIM_400000_NS6detail17trampoline_kernelINS0_14default_configENS1_25partition_config_selectorILNS1_17partition_subalgoE5ElNS0_10empty_typeEbEEZZNS1_14partition_implILS5_5ELb0ES3_mN6hipcub16HIPCUB_304000_NS21CountingInputIteratorIllEEPS6_NSA_22TransformInputIteratorIbN2at6native12_GLOBAL__N_19NonZeroOpIdEEPKdlEENS0_5tupleIJPlS6_EEENSN_IJSD_SD_EEES6_PiJS6_EEE10hipError_tPvRmT3_T4_T5_T6_T7_T9_mT8_P12ihipStream_tbDpT10_ENKUlT_T0_E_clISt17integral_constantIbLb1EES1A_IbLb0EEEEDaS16_S17_EUlS16_E_NS1_11comp_targetILNS1_3genE5ELNS1_11target_archE942ELNS1_3gpuE9ELNS1_3repE0EEENS1_30default_config_static_selectorELNS0_4arch9wavefront6targetE0EEEvT1_,"axG",@progbits,_ZN7rocprim17ROCPRIM_400000_NS6detail17trampoline_kernelINS0_14default_configENS1_25partition_config_selectorILNS1_17partition_subalgoE5ElNS0_10empty_typeEbEEZZNS1_14partition_implILS5_5ELb0ES3_mN6hipcub16HIPCUB_304000_NS21CountingInputIteratorIllEEPS6_NSA_22TransformInputIteratorIbN2at6native12_GLOBAL__N_19NonZeroOpIdEEPKdlEENS0_5tupleIJPlS6_EEENSN_IJSD_SD_EEES6_PiJS6_EEE10hipError_tPvRmT3_T4_T5_T6_T7_T9_mT8_P12ihipStream_tbDpT10_ENKUlT_T0_E_clISt17integral_constantIbLb1EES1A_IbLb0EEEEDaS16_S17_EUlS16_E_NS1_11comp_targetILNS1_3genE5ELNS1_11target_archE942ELNS1_3gpuE9ELNS1_3repE0EEENS1_30default_config_static_selectorELNS0_4arch9wavefront6targetE0EEEvT1_,comdat
.Lfunc_end407:
	.size	_ZN7rocprim17ROCPRIM_400000_NS6detail17trampoline_kernelINS0_14default_configENS1_25partition_config_selectorILNS1_17partition_subalgoE5ElNS0_10empty_typeEbEEZZNS1_14partition_implILS5_5ELb0ES3_mN6hipcub16HIPCUB_304000_NS21CountingInputIteratorIllEEPS6_NSA_22TransformInputIteratorIbN2at6native12_GLOBAL__N_19NonZeroOpIdEEPKdlEENS0_5tupleIJPlS6_EEENSN_IJSD_SD_EEES6_PiJS6_EEE10hipError_tPvRmT3_T4_T5_T6_T7_T9_mT8_P12ihipStream_tbDpT10_ENKUlT_T0_E_clISt17integral_constantIbLb1EES1A_IbLb0EEEEDaS16_S17_EUlS16_E_NS1_11comp_targetILNS1_3genE5ELNS1_11target_archE942ELNS1_3gpuE9ELNS1_3repE0EEENS1_30default_config_static_selectorELNS0_4arch9wavefront6targetE0EEEvT1_, .Lfunc_end407-_ZN7rocprim17ROCPRIM_400000_NS6detail17trampoline_kernelINS0_14default_configENS1_25partition_config_selectorILNS1_17partition_subalgoE5ElNS0_10empty_typeEbEEZZNS1_14partition_implILS5_5ELb0ES3_mN6hipcub16HIPCUB_304000_NS21CountingInputIteratorIllEEPS6_NSA_22TransformInputIteratorIbN2at6native12_GLOBAL__N_19NonZeroOpIdEEPKdlEENS0_5tupleIJPlS6_EEENSN_IJSD_SD_EEES6_PiJS6_EEE10hipError_tPvRmT3_T4_T5_T6_T7_T9_mT8_P12ihipStream_tbDpT10_ENKUlT_T0_E_clISt17integral_constantIbLb1EES1A_IbLb0EEEEDaS16_S17_EUlS16_E_NS1_11comp_targetILNS1_3genE5ELNS1_11target_archE942ELNS1_3gpuE9ELNS1_3repE0EEENS1_30default_config_static_selectorELNS0_4arch9wavefront6targetE0EEEvT1_
                                        ; -- End function
	.section	.AMDGPU.csdata,"",@progbits
; Kernel info:
; codeLenInByte = 0
; NumSgprs: 0
; NumVgprs: 0
; ScratchSize: 0
; MemoryBound: 0
; FloatMode: 240
; IeeeMode: 1
; LDSByteSize: 0 bytes/workgroup (compile time only)
; SGPRBlocks: 0
; VGPRBlocks: 0
; NumSGPRsForWavesPerEU: 1
; NumVGPRsForWavesPerEU: 1
; Occupancy: 16
; WaveLimiterHint : 0
; COMPUTE_PGM_RSRC2:SCRATCH_EN: 0
; COMPUTE_PGM_RSRC2:USER_SGPR: 15
; COMPUTE_PGM_RSRC2:TRAP_HANDLER: 0
; COMPUTE_PGM_RSRC2:TGID_X_EN: 1
; COMPUTE_PGM_RSRC2:TGID_Y_EN: 0
; COMPUTE_PGM_RSRC2:TGID_Z_EN: 0
; COMPUTE_PGM_RSRC2:TIDIG_COMP_CNT: 0
	.section	.text._ZN7rocprim17ROCPRIM_400000_NS6detail17trampoline_kernelINS0_14default_configENS1_25partition_config_selectorILNS1_17partition_subalgoE5ElNS0_10empty_typeEbEEZZNS1_14partition_implILS5_5ELb0ES3_mN6hipcub16HIPCUB_304000_NS21CountingInputIteratorIllEEPS6_NSA_22TransformInputIteratorIbN2at6native12_GLOBAL__N_19NonZeroOpIdEEPKdlEENS0_5tupleIJPlS6_EEENSN_IJSD_SD_EEES6_PiJS6_EEE10hipError_tPvRmT3_T4_T5_T6_T7_T9_mT8_P12ihipStream_tbDpT10_ENKUlT_T0_E_clISt17integral_constantIbLb1EES1A_IbLb0EEEEDaS16_S17_EUlS16_E_NS1_11comp_targetILNS1_3genE4ELNS1_11target_archE910ELNS1_3gpuE8ELNS1_3repE0EEENS1_30default_config_static_selectorELNS0_4arch9wavefront6targetE0EEEvT1_,"axG",@progbits,_ZN7rocprim17ROCPRIM_400000_NS6detail17trampoline_kernelINS0_14default_configENS1_25partition_config_selectorILNS1_17partition_subalgoE5ElNS0_10empty_typeEbEEZZNS1_14partition_implILS5_5ELb0ES3_mN6hipcub16HIPCUB_304000_NS21CountingInputIteratorIllEEPS6_NSA_22TransformInputIteratorIbN2at6native12_GLOBAL__N_19NonZeroOpIdEEPKdlEENS0_5tupleIJPlS6_EEENSN_IJSD_SD_EEES6_PiJS6_EEE10hipError_tPvRmT3_T4_T5_T6_T7_T9_mT8_P12ihipStream_tbDpT10_ENKUlT_T0_E_clISt17integral_constantIbLb1EES1A_IbLb0EEEEDaS16_S17_EUlS16_E_NS1_11comp_targetILNS1_3genE4ELNS1_11target_archE910ELNS1_3gpuE8ELNS1_3repE0EEENS1_30default_config_static_selectorELNS0_4arch9wavefront6targetE0EEEvT1_,comdat
	.globl	_ZN7rocprim17ROCPRIM_400000_NS6detail17trampoline_kernelINS0_14default_configENS1_25partition_config_selectorILNS1_17partition_subalgoE5ElNS0_10empty_typeEbEEZZNS1_14partition_implILS5_5ELb0ES3_mN6hipcub16HIPCUB_304000_NS21CountingInputIteratorIllEEPS6_NSA_22TransformInputIteratorIbN2at6native12_GLOBAL__N_19NonZeroOpIdEEPKdlEENS0_5tupleIJPlS6_EEENSN_IJSD_SD_EEES6_PiJS6_EEE10hipError_tPvRmT3_T4_T5_T6_T7_T9_mT8_P12ihipStream_tbDpT10_ENKUlT_T0_E_clISt17integral_constantIbLb1EES1A_IbLb0EEEEDaS16_S17_EUlS16_E_NS1_11comp_targetILNS1_3genE4ELNS1_11target_archE910ELNS1_3gpuE8ELNS1_3repE0EEENS1_30default_config_static_selectorELNS0_4arch9wavefront6targetE0EEEvT1_ ; -- Begin function _ZN7rocprim17ROCPRIM_400000_NS6detail17trampoline_kernelINS0_14default_configENS1_25partition_config_selectorILNS1_17partition_subalgoE5ElNS0_10empty_typeEbEEZZNS1_14partition_implILS5_5ELb0ES3_mN6hipcub16HIPCUB_304000_NS21CountingInputIteratorIllEEPS6_NSA_22TransformInputIteratorIbN2at6native12_GLOBAL__N_19NonZeroOpIdEEPKdlEENS0_5tupleIJPlS6_EEENSN_IJSD_SD_EEES6_PiJS6_EEE10hipError_tPvRmT3_T4_T5_T6_T7_T9_mT8_P12ihipStream_tbDpT10_ENKUlT_T0_E_clISt17integral_constantIbLb1EES1A_IbLb0EEEEDaS16_S17_EUlS16_E_NS1_11comp_targetILNS1_3genE4ELNS1_11target_archE910ELNS1_3gpuE8ELNS1_3repE0EEENS1_30default_config_static_selectorELNS0_4arch9wavefront6targetE0EEEvT1_
	.p2align	8
	.type	_ZN7rocprim17ROCPRIM_400000_NS6detail17trampoline_kernelINS0_14default_configENS1_25partition_config_selectorILNS1_17partition_subalgoE5ElNS0_10empty_typeEbEEZZNS1_14partition_implILS5_5ELb0ES3_mN6hipcub16HIPCUB_304000_NS21CountingInputIteratorIllEEPS6_NSA_22TransformInputIteratorIbN2at6native12_GLOBAL__N_19NonZeroOpIdEEPKdlEENS0_5tupleIJPlS6_EEENSN_IJSD_SD_EEES6_PiJS6_EEE10hipError_tPvRmT3_T4_T5_T6_T7_T9_mT8_P12ihipStream_tbDpT10_ENKUlT_T0_E_clISt17integral_constantIbLb1EES1A_IbLb0EEEEDaS16_S17_EUlS16_E_NS1_11comp_targetILNS1_3genE4ELNS1_11target_archE910ELNS1_3gpuE8ELNS1_3repE0EEENS1_30default_config_static_selectorELNS0_4arch9wavefront6targetE0EEEvT1_,@function
_ZN7rocprim17ROCPRIM_400000_NS6detail17trampoline_kernelINS0_14default_configENS1_25partition_config_selectorILNS1_17partition_subalgoE5ElNS0_10empty_typeEbEEZZNS1_14partition_implILS5_5ELb0ES3_mN6hipcub16HIPCUB_304000_NS21CountingInputIteratorIllEEPS6_NSA_22TransformInputIteratorIbN2at6native12_GLOBAL__N_19NonZeroOpIdEEPKdlEENS0_5tupleIJPlS6_EEENSN_IJSD_SD_EEES6_PiJS6_EEE10hipError_tPvRmT3_T4_T5_T6_T7_T9_mT8_P12ihipStream_tbDpT10_ENKUlT_T0_E_clISt17integral_constantIbLb1EES1A_IbLb0EEEEDaS16_S17_EUlS16_E_NS1_11comp_targetILNS1_3genE4ELNS1_11target_archE910ELNS1_3gpuE8ELNS1_3repE0EEENS1_30default_config_static_selectorELNS0_4arch9wavefront6targetE0EEEvT1_: ; @_ZN7rocprim17ROCPRIM_400000_NS6detail17trampoline_kernelINS0_14default_configENS1_25partition_config_selectorILNS1_17partition_subalgoE5ElNS0_10empty_typeEbEEZZNS1_14partition_implILS5_5ELb0ES3_mN6hipcub16HIPCUB_304000_NS21CountingInputIteratorIllEEPS6_NSA_22TransformInputIteratorIbN2at6native12_GLOBAL__N_19NonZeroOpIdEEPKdlEENS0_5tupleIJPlS6_EEENSN_IJSD_SD_EEES6_PiJS6_EEE10hipError_tPvRmT3_T4_T5_T6_T7_T9_mT8_P12ihipStream_tbDpT10_ENKUlT_T0_E_clISt17integral_constantIbLb1EES1A_IbLb0EEEEDaS16_S17_EUlS16_E_NS1_11comp_targetILNS1_3genE4ELNS1_11target_archE910ELNS1_3gpuE8ELNS1_3repE0EEENS1_30default_config_static_selectorELNS0_4arch9wavefront6targetE0EEEvT1_
; %bb.0:
	.section	.rodata,"a",@progbits
	.p2align	6, 0x0
	.amdhsa_kernel _ZN7rocprim17ROCPRIM_400000_NS6detail17trampoline_kernelINS0_14default_configENS1_25partition_config_selectorILNS1_17partition_subalgoE5ElNS0_10empty_typeEbEEZZNS1_14partition_implILS5_5ELb0ES3_mN6hipcub16HIPCUB_304000_NS21CountingInputIteratorIllEEPS6_NSA_22TransformInputIteratorIbN2at6native12_GLOBAL__N_19NonZeroOpIdEEPKdlEENS0_5tupleIJPlS6_EEENSN_IJSD_SD_EEES6_PiJS6_EEE10hipError_tPvRmT3_T4_T5_T6_T7_T9_mT8_P12ihipStream_tbDpT10_ENKUlT_T0_E_clISt17integral_constantIbLb1EES1A_IbLb0EEEEDaS16_S17_EUlS16_E_NS1_11comp_targetILNS1_3genE4ELNS1_11target_archE910ELNS1_3gpuE8ELNS1_3repE0EEENS1_30default_config_static_selectorELNS0_4arch9wavefront6targetE0EEEvT1_
		.amdhsa_group_segment_fixed_size 0
		.amdhsa_private_segment_fixed_size 0
		.amdhsa_kernarg_size 120
		.amdhsa_user_sgpr_count 15
		.amdhsa_user_sgpr_dispatch_ptr 0
		.amdhsa_user_sgpr_queue_ptr 0
		.amdhsa_user_sgpr_kernarg_segment_ptr 1
		.amdhsa_user_sgpr_dispatch_id 0
		.amdhsa_user_sgpr_private_segment_size 0
		.amdhsa_wavefront_size32 1
		.amdhsa_uses_dynamic_stack 0
		.amdhsa_enable_private_segment 0
		.amdhsa_system_sgpr_workgroup_id_x 1
		.amdhsa_system_sgpr_workgroup_id_y 0
		.amdhsa_system_sgpr_workgroup_id_z 0
		.amdhsa_system_sgpr_workgroup_info 0
		.amdhsa_system_vgpr_workitem_id 0
		.amdhsa_next_free_vgpr 1
		.amdhsa_next_free_sgpr 1
		.amdhsa_reserve_vcc 0
		.amdhsa_float_round_mode_32 0
		.amdhsa_float_round_mode_16_64 0
		.amdhsa_float_denorm_mode_32 3
		.amdhsa_float_denorm_mode_16_64 3
		.amdhsa_dx10_clamp 1
		.amdhsa_ieee_mode 1
		.amdhsa_fp16_overflow 0
		.amdhsa_workgroup_processor_mode 1
		.amdhsa_memory_ordered 1
		.amdhsa_forward_progress 0
		.amdhsa_shared_vgpr_count 0
		.amdhsa_exception_fp_ieee_invalid_op 0
		.amdhsa_exception_fp_denorm_src 0
		.amdhsa_exception_fp_ieee_div_zero 0
		.amdhsa_exception_fp_ieee_overflow 0
		.amdhsa_exception_fp_ieee_underflow 0
		.amdhsa_exception_fp_ieee_inexact 0
		.amdhsa_exception_int_div_zero 0
	.end_amdhsa_kernel
	.section	.text._ZN7rocprim17ROCPRIM_400000_NS6detail17trampoline_kernelINS0_14default_configENS1_25partition_config_selectorILNS1_17partition_subalgoE5ElNS0_10empty_typeEbEEZZNS1_14partition_implILS5_5ELb0ES3_mN6hipcub16HIPCUB_304000_NS21CountingInputIteratorIllEEPS6_NSA_22TransformInputIteratorIbN2at6native12_GLOBAL__N_19NonZeroOpIdEEPKdlEENS0_5tupleIJPlS6_EEENSN_IJSD_SD_EEES6_PiJS6_EEE10hipError_tPvRmT3_T4_T5_T6_T7_T9_mT8_P12ihipStream_tbDpT10_ENKUlT_T0_E_clISt17integral_constantIbLb1EES1A_IbLb0EEEEDaS16_S17_EUlS16_E_NS1_11comp_targetILNS1_3genE4ELNS1_11target_archE910ELNS1_3gpuE8ELNS1_3repE0EEENS1_30default_config_static_selectorELNS0_4arch9wavefront6targetE0EEEvT1_,"axG",@progbits,_ZN7rocprim17ROCPRIM_400000_NS6detail17trampoline_kernelINS0_14default_configENS1_25partition_config_selectorILNS1_17partition_subalgoE5ElNS0_10empty_typeEbEEZZNS1_14partition_implILS5_5ELb0ES3_mN6hipcub16HIPCUB_304000_NS21CountingInputIteratorIllEEPS6_NSA_22TransformInputIteratorIbN2at6native12_GLOBAL__N_19NonZeroOpIdEEPKdlEENS0_5tupleIJPlS6_EEENSN_IJSD_SD_EEES6_PiJS6_EEE10hipError_tPvRmT3_T4_T5_T6_T7_T9_mT8_P12ihipStream_tbDpT10_ENKUlT_T0_E_clISt17integral_constantIbLb1EES1A_IbLb0EEEEDaS16_S17_EUlS16_E_NS1_11comp_targetILNS1_3genE4ELNS1_11target_archE910ELNS1_3gpuE8ELNS1_3repE0EEENS1_30default_config_static_selectorELNS0_4arch9wavefront6targetE0EEEvT1_,comdat
.Lfunc_end408:
	.size	_ZN7rocprim17ROCPRIM_400000_NS6detail17trampoline_kernelINS0_14default_configENS1_25partition_config_selectorILNS1_17partition_subalgoE5ElNS0_10empty_typeEbEEZZNS1_14partition_implILS5_5ELb0ES3_mN6hipcub16HIPCUB_304000_NS21CountingInputIteratorIllEEPS6_NSA_22TransformInputIteratorIbN2at6native12_GLOBAL__N_19NonZeroOpIdEEPKdlEENS0_5tupleIJPlS6_EEENSN_IJSD_SD_EEES6_PiJS6_EEE10hipError_tPvRmT3_T4_T5_T6_T7_T9_mT8_P12ihipStream_tbDpT10_ENKUlT_T0_E_clISt17integral_constantIbLb1EES1A_IbLb0EEEEDaS16_S17_EUlS16_E_NS1_11comp_targetILNS1_3genE4ELNS1_11target_archE910ELNS1_3gpuE8ELNS1_3repE0EEENS1_30default_config_static_selectorELNS0_4arch9wavefront6targetE0EEEvT1_, .Lfunc_end408-_ZN7rocprim17ROCPRIM_400000_NS6detail17trampoline_kernelINS0_14default_configENS1_25partition_config_selectorILNS1_17partition_subalgoE5ElNS0_10empty_typeEbEEZZNS1_14partition_implILS5_5ELb0ES3_mN6hipcub16HIPCUB_304000_NS21CountingInputIteratorIllEEPS6_NSA_22TransformInputIteratorIbN2at6native12_GLOBAL__N_19NonZeroOpIdEEPKdlEENS0_5tupleIJPlS6_EEENSN_IJSD_SD_EEES6_PiJS6_EEE10hipError_tPvRmT3_T4_T5_T6_T7_T9_mT8_P12ihipStream_tbDpT10_ENKUlT_T0_E_clISt17integral_constantIbLb1EES1A_IbLb0EEEEDaS16_S17_EUlS16_E_NS1_11comp_targetILNS1_3genE4ELNS1_11target_archE910ELNS1_3gpuE8ELNS1_3repE0EEENS1_30default_config_static_selectorELNS0_4arch9wavefront6targetE0EEEvT1_
                                        ; -- End function
	.section	.AMDGPU.csdata,"",@progbits
; Kernel info:
; codeLenInByte = 0
; NumSgprs: 0
; NumVgprs: 0
; ScratchSize: 0
; MemoryBound: 0
; FloatMode: 240
; IeeeMode: 1
; LDSByteSize: 0 bytes/workgroup (compile time only)
; SGPRBlocks: 0
; VGPRBlocks: 0
; NumSGPRsForWavesPerEU: 1
; NumVGPRsForWavesPerEU: 1
; Occupancy: 15
; WaveLimiterHint : 0
; COMPUTE_PGM_RSRC2:SCRATCH_EN: 0
; COMPUTE_PGM_RSRC2:USER_SGPR: 15
; COMPUTE_PGM_RSRC2:TRAP_HANDLER: 0
; COMPUTE_PGM_RSRC2:TGID_X_EN: 1
; COMPUTE_PGM_RSRC2:TGID_Y_EN: 0
; COMPUTE_PGM_RSRC2:TGID_Z_EN: 0
; COMPUTE_PGM_RSRC2:TIDIG_COMP_CNT: 0
	.section	.text._ZN7rocprim17ROCPRIM_400000_NS6detail17trampoline_kernelINS0_14default_configENS1_25partition_config_selectorILNS1_17partition_subalgoE5ElNS0_10empty_typeEbEEZZNS1_14partition_implILS5_5ELb0ES3_mN6hipcub16HIPCUB_304000_NS21CountingInputIteratorIllEEPS6_NSA_22TransformInputIteratorIbN2at6native12_GLOBAL__N_19NonZeroOpIdEEPKdlEENS0_5tupleIJPlS6_EEENSN_IJSD_SD_EEES6_PiJS6_EEE10hipError_tPvRmT3_T4_T5_T6_T7_T9_mT8_P12ihipStream_tbDpT10_ENKUlT_T0_E_clISt17integral_constantIbLb1EES1A_IbLb0EEEEDaS16_S17_EUlS16_E_NS1_11comp_targetILNS1_3genE3ELNS1_11target_archE908ELNS1_3gpuE7ELNS1_3repE0EEENS1_30default_config_static_selectorELNS0_4arch9wavefront6targetE0EEEvT1_,"axG",@progbits,_ZN7rocprim17ROCPRIM_400000_NS6detail17trampoline_kernelINS0_14default_configENS1_25partition_config_selectorILNS1_17partition_subalgoE5ElNS0_10empty_typeEbEEZZNS1_14partition_implILS5_5ELb0ES3_mN6hipcub16HIPCUB_304000_NS21CountingInputIteratorIllEEPS6_NSA_22TransformInputIteratorIbN2at6native12_GLOBAL__N_19NonZeroOpIdEEPKdlEENS0_5tupleIJPlS6_EEENSN_IJSD_SD_EEES6_PiJS6_EEE10hipError_tPvRmT3_T4_T5_T6_T7_T9_mT8_P12ihipStream_tbDpT10_ENKUlT_T0_E_clISt17integral_constantIbLb1EES1A_IbLb0EEEEDaS16_S17_EUlS16_E_NS1_11comp_targetILNS1_3genE3ELNS1_11target_archE908ELNS1_3gpuE7ELNS1_3repE0EEENS1_30default_config_static_selectorELNS0_4arch9wavefront6targetE0EEEvT1_,comdat
	.globl	_ZN7rocprim17ROCPRIM_400000_NS6detail17trampoline_kernelINS0_14default_configENS1_25partition_config_selectorILNS1_17partition_subalgoE5ElNS0_10empty_typeEbEEZZNS1_14partition_implILS5_5ELb0ES3_mN6hipcub16HIPCUB_304000_NS21CountingInputIteratorIllEEPS6_NSA_22TransformInputIteratorIbN2at6native12_GLOBAL__N_19NonZeroOpIdEEPKdlEENS0_5tupleIJPlS6_EEENSN_IJSD_SD_EEES6_PiJS6_EEE10hipError_tPvRmT3_T4_T5_T6_T7_T9_mT8_P12ihipStream_tbDpT10_ENKUlT_T0_E_clISt17integral_constantIbLb1EES1A_IbLb0EEEEDaS16_S17_EUlS16_E_NS1_11comp_targetILNS1_3genE3ELNS1_11target_archE908ELNS1_3gpuE7ELNS1_3repE0EEENS1_30default_config_static_selectorELNS0_4arch9wavefront6targetE0EEEvT1_ ; -- Begin function _ZN7rocprim17ROCPRIM_400000_NS6detail17trampoline_kernelINS0_14default_configENS1_25partition_config_selectorILNS1_17partition_subalgoE5ElNS0_10empty_typeEbEEZZNS1_14partition_implILS5_5ELb0ES3_mN6hipcub16HIPCUB_304000_NS21CountingInputIteratorIllEEPS6_NSA_22TransformInputIteratorIbN2at6native12_GLOBAL__N_19NonZeroOpIdEEPKdlEENS0_5tupleIJPlS6_EEENSN_IJSD_SD_EEES6_PiJS6_EEE10hipError_tPvRmT3_T4_T5_T6_T7_T9_mT8_P12ihipStream_tbDpT10_ENKUlT_T0_E_clISt17integral_constantIbLb1EES1A_IbLb0EEEEDaS16_S17_EUlS16_E_NS1_11comp_targetILNS1_3genE3ELNS1_11target_archE908ELNS1_3gpuE7ELNS1_3repE0EEENS1_30default_config_static_selectorELNS0_4arch9wavefront6targetE0EEEvT1_
	.p2align	8
	.type	_ZN7rocprim17ROCPRIM_400000_NS6detail17trampoline_kernelINS0_14default_configENS1_25partition_config_selectorILNS1_17partition_subalgoE5ElNS0_10empty_typeEbEEZZNS1_14partition_implILS5_5ELb0ES3_mN6hipcub16HIPCUB_304000_NS21CountingInputIteratorIllEEPS6_NSA_22TransformInputIteratorIbN2at6native12_GLOBAL__N_19NonZeroOpIdEEPKdlEENS0_5tupleIJPlS6_EEENSN_IJSD_SD_EEES6_PiJS6_EEE10hipError_tPvRmT3_T4_T5_T6_T7_T9_mT8_P12ihipStream_tbDpT10_ENKUlT_T0_E_clISt17integral_constantIbLb1EES1A_IbLb0EEEEDaS16_S17_EUlS16_E_NS1_11comp_targetILNS1_3genE3ELNS1_11target_archE908ELNS1_3gpuE7ELNS1_3repE0EEENS1_30default_config_static_selectorELNS0_4arch9wavefront6targetE0EEEvT1_,@function
_ZN7rocprim17ROCPRIM_400000_NS6detail17trampoline_kernelINS0_14default_configENS1_25partition_config_selectorILNS1_17partition_subalgoE5ElNS0_10empty_typeEbEEZZNS1_14partition_implILS5_5ELb0ES3_mN6hipcub16HIPCUB_304000_NS21CountingInputIteratorIllEEPS6_NSA_22TransformInputIteratorIbN2at6native12_GLOBAL__N_19NonZeroOpIdEEPKdlEENS0_5tupleIJPlS6_EEENSN_IJSD_SD_EEES6_PiJS6_EEE10hipError_tPvRmT3_T4_T5_T6_T7_T9_mT8_P12ihipStream_tbDpT10_ENKUlT_T0_E_clISt17integral_constantIbLb1EES1A_IbLb0EEEEDaS16_S17_EUlS16_E_NS1_11comp_targetILNS1_3genE3ELNS1_11target_archE908ELNS1_3gpuE7ELNS1_3repE0EEENS1_30default_config_static_selectorELNS0_4arch9wavefront6targetE0EEEvT1_: ; @_ZN7rocprim17ROCPRIM_400000_NS6detail17trampoline_kernelINS0_14default_configENS1_25partition_config_selectorILNS1_17partition_subalgoE5ElNS0_10empty_typeEbEEZZNS1_14partition_implILS5_5ELb0ES3_mN6hipcub16HIPCUB_304000_NS21CountingInputIteratorIllEEPS6_NSA_22TransformInputIteratorIbN2at6native12_GLOBAL__N_19NonZeroOpIdEEPKdlEENS0_5tupleIJPlS6_EEENSN_IJSD_SD_EEES6_PiJS6_EEE10hipError_tPvRmT3_T4_T5_T6_T7_T9_mT8_P12ihipStream_tbDpT10_ENKUlT_T0_E_clISt17integral_constantIbLb1EES1A_IbLb0EEEEDaS16_S17_EUlS16_E_NS1_11comp_targetILNS1_3genE3ELNS1_11target_archE908ELNS1_3gpuE7ELNS1_3repE0EEENS1_30default_config_static_selectorELNS0_4arch9wavefront6targetE0EEEvT1_
; %bb.0:
	.section	.rodata,"a",@progbits
	.p2align	6, 0x0
	.amdhsa_kernel _ZN7rocprim17ROCPRIM_400000_NS6detail17trampoline_kernelINS0_14default_configENS1_25partition_config_selectorILNS1_17partition_subalgoE5ElNS0_10empty_typeEbEEZZNS1_14partition_implILS5_5ELb0ES3_mN6hipcub16HIPCUB_304000_NS21CountingInputIteratorIllEEPS6_NSA_22TransformInputIteratorIbN2at6native12_GLOBAL__N_19NonZeroOpIdEEPKdlEENS0_5tupleIJPlS6_EEENSN_IJSD_SD_EEES6_PiJS6_EEE10hipError_tPvRmT3_T4_T5_T6_T7_T9_mT8_P12ihipStream_tbDpT10_ENKUlT_T0_E_clISt17integral_constantIbLb1EES1A_IbLb0EEEEDaS16_S17_EUlS16_E_NS1_11comp_targetILNS1_3genE3ELNS1_11target_archE908ELNS1_3gpuE7ELNS1_3repE0EEENS1_30default_config_static_selectorELNS0_4arch9wavefront6targetE0EEEvT1_
		.amdhsa_group_segment_fixed_size 0
		.amdhsa_private_segment_fixed_size 0
		.amdhsa_kernarg_size 120
		.amdhsa_user_sgpr_count 15
		.amdhsa_user_sgpr_dispatch_ptr 0
		.amdhsa_user_sgpr_queue_ptr 0
		.amdhsa_user_sgpr_kernarg_segment_ptr 1
		.amdhsa_user_sgpr_dispatch_id 0
		.amdhsa_user_sgpr_private_segment_size 0
		.amdhsa_wavefront_size32 1
		.amdhsa_uses_dynamic_stack 0
		.amdhsa_enable_private_segment 0
		.amdhsa_system_sgpr_workgroup_id_x 1
		.amdhsa_system_sgpr_workgroup_id_y 0
		.amdhsa_system_sgpr_workgroup_id_z 0
		.amdhsa_system_sgpr_workgroup_info 0
		.amdhsa_system_vgpr_workitem_id 0
		.amdhsa_next_free_vgpr 1
		.amdhsa_next_free_sgpr 1
		.amdhsa_reserve_vcc 0
		.amdhsa_float_round_mode_32 0
		.amdhsa_float_round_mode_16_64 0
		.amdhsa_float_denorm_mode_32 3
		.amdhsa_float_denorm_mode_16_64 3
		.amdhsa_dx10_clamp 1
		.amdhsa_ieee_mode 1
		.amdhsa_fp16_overflow 0
		.amdhsa_workgroup_processor_mode 1
		.amdhsa_memory_ordered 1
		.amdhsa_forward_progress 0
		.amdhsa_shared_vgpr_count 0
		.amdhsa_exception_fp_ieee_invalid_op 0
		.amdhsa_exception_fp_denorm_src 0
		.amdhsa_exception_fp_ieee_div_zero 0
		.amdhsa_exception_fp_ieee_overflow 0
		.amdhsa_exception_fp_ieee_underflow 0
		.amdhsa_exception_fp_ieee_inexact 0
		.amdhsa_exception_int_div_zero 0
	.end_amdhsa_kernel
	.section	.text._ZN7rocprim17ROCPRIM_400000_NS6detail17trampoline_kernelINS0_14default_configENS1_25partition_config_selectorILNS1_17partition_subalgoE5ElNS0_10empty_typeEbEEZZNS1_14partition_implILS5_5ELb0ES3_mN6hipcub16HIPCUB_304000_NS21CountingInputIteratorIllEEPS6_NSA_22TransformInputIteratorIbN2at6native12_GLOBAL__N_19NonZeroOpIdEEPKdlEENS0_5tupleIJPlS6_EEENSN_IJSD_SD_EEES6_PiJS6_EEE10hipError_tPvRmT3_T4_T5_T6_T7_T9_mT8_P12ihipStream_tbDpT10_ENKUlT_T0_E_clISt17integral_constantIbLb1EES1A_IbLb0EEEEDaS16_S17_EUlS16_E_NS1_11comp_targetILNS1_3genE3ELNS1_11target_archE908ELNS1_3gpuE7ELNS1_3repE0EEENS1_30default_config_static_selectorELNS0_4arch9wavefront6targetE0EEEvT1_,"axG",@progbits,_ZN7rocprim17ROCPRIM_400000_NS6detail17trampoline_kernelINS0_14default_configENS1_25partition_config_selectorILNS1_17partition_subalgoE5ElNS0_10empty_typeEbEEZZNS1_14partition_implILS5_5ELb0ES3_mN6hipcub16HIPCUB_304000_NS21CountingInputIteratorIllEEPS6_NSA_22TransformInputIteratorIbN2at6native12_GLOBAL__N_19NonZeroOpIdEEPKdlEENS0_5tupleIJPlS6_EEENSN_IJSD_SD_EEES6_PiJS6_EEE10hipError_tPvRmT3_T4_T5_T6_T7_T9_mT8_P12ihipStream_tbDpT10_ENKUlT_T0_E_clISt17integral_constantIbLb1EES1A_IbLb0EEEEDaS16_S17_EUlS16_E_NS1_11comp_targetILNS1_3genE3ELNS1_11target_archE908ELNS1_3gpuE7ELNS1_3repE0EEENS1_30default_config_static_selectorELNS0_4arch9wavefront6targetE0EEEvT1_,comdat
.Lfunc_end409:
	.size	_ZN7rocprim17ROCPRIM_400000_NS6detail17trampoline_kernelINS0_14default_configENS1_25partition_config_selectorILNS1_17partition_subalgoE5ElNS0_10empty_typeEbEEZZNS1_14partition_implILS5_5ELb0ES3_mN6hipcub16HIPCUB_304000_NS21CountingInputIteratorIllEEPS6_NSA_22TransformInputIteratorIbN2at6native12_GLOBAL__N_19NonZeroOpIdEEPKdlEENS0_5tupleIJPlS6_EEENSN_IJSD_SD_EEES6_PiJS6_EEE10hipError_tPvRmT3_T4_T5_T6_T7_T9_mT8_P12ihipStream_tbDpT10_ENKUlT_T0_E_clISt17integral_constantIbLb1EES1A_IbLb0EEEEDaS16_S17_EUlS16_E_NS1_11comp_targetILNS1_3genE3ELNS1_11target_archE908ELNS1_3gpuE7ELNS1_3repE0EEENS1_30default_config_static_selectorELNS0_4arch9wavefront6targetE0EEEvT1_, .Lfunc_end409-_ZN7rocprim17ROCPRIM_400000_NS6detail17trampoline_kernelINS0_14default_configENS1_25partition_config_selectorILNS1_17partition_subalgoE5ElNS0_10empty_typeEbEEZZNS1_14partition_implILS5_5ELb0ES3_mN6hipcub16HIPCUB_304000_NS21CountingInputIteratorIllEEPS6_NSA_22TransformInputIteratorIbN2at6native12_GLOBAL__N_19NonZeroOpIdEEPKdlEENS0_5tupleIJPlS6_EEENSN_IJSD_SD_EEES6_PiJS6_EEE10hipError_tPvRmT3_T4_T5_T6_T7_T9_mT8_P12ihipStream_tbDpT10_ENKUlT_T0_E_clISt17integral_constantIbLb1EES1A_IbLb0EEEEDaS16_S17_EUlS16_E_NS1_11comp_targetILNS1_3genE3ELNS1_11target_archE908ELNS1_3gpuE7ELNS1_3repE0EEENS1_30default_config_static_selectorELNS0_4arch9wavefront6targetE0EEEvT1_
                                        ; -- End function
	.section	.AMDGPU.csdata,"",@progbits
; Kernel info:
; codeLenInByte = 0
; NumSgprs: 0
; NumVgprs: 0
; ScratchSize: 0
; MemoryBound: 0
; FloatMode: 240
; IeeeMode: 1
; LDSByteSize: 0 bytes/workgroup (compile time only)
; SGPRBlocks: 0
; VGPRBlocks: 0
; NumSGPRsForWavesPerEU: 1
; NumVGPRsForWavesPerEU: 1
; Occupancy: 16
; WaveLimiterHint : 0
; COMPUTE_PGM_RSRC2:SCRATCH_EN: 0
; COMPUTE_PGM_RSRC2:USER_SGPR: 15
; COMPUTE_PGM_RSRC2:TRAP_HANDLER: 0
; COMPUTE_PGM_RSRC2:TGID_X_EN: 1
; COMPUTE_PGM_RSRC2:TGID_Y_EN: 0
; COMPUTE_PGM_RSRC2:TGID_Z_EN: 0
; COMPUTE_PGM_RSRC2:TIDIG_COMP_CNT: 0
	.section	.text._ZN7rocprim17ROCPRIM_400000_NS6detail17trampoline_kernelINS0_14default_configENS1_25partition_config_selectorILNS1_17partition_subalgoE5ElNS0_10empty_typeEbEEZZNS1_14partition_implILS5_5ELb0ES3_mN6hipcub16HIPCUB_304000_NS21CountingInputIteratorIllEEPS6_NSA_22TransformInputIteratorIbN2at6native12_GLOBAL__N_19NonZeroOpIdEEPKdlEENS0_5tupleIJPlS6_EEENSN_IJSD_SD_EEES6_PiJS6_EEE10hipError_tPvRmT3_T4_T5_T6_T7_T9_mT8_P12ihipStream_tbDpT10_ENKUlT_T0_E_clISt17integral_constantIbLb1EES1A_IbLb0EEEEDaS16_S17_EUlS16_E_NS1_11comp_targetILNS1_3genE2ELNS1_11target_archE906ELNS1_3gpuE6ELNS1_3repE0EEENS1_30default_config_static_selectorELNS0_4arch9wavefront6targetE0EEEvT1_,"axG",@progbits,_ZN7rocprim17ROCPRIM_400000_NS6detail17trampoline_kernelINS0_14default_configENS1_25partition_config_selectorILNS1_17partition_subalgoE5ElNS0_10empty_typeEbEEZZNS1_14partition_implILS5_5ELb0ES3_mN6hipcub16HIPCUB_304000_NS21CountingInputIteratorIllEEPS6_NSA_22TransformInputIteratorIbN2at6native12_GLOBAL__N_19NonZeroOpIdEEPKdlEENS0_5tupleIJPlS6_EEENSN_IJSD_SD_EEES6_PiJS6_EEE10hipError_tPvRmT3_T4_T5_T6_T7_T9_mT8_P12ihipStream_tbDpT10_ENKUlT_T0_E_clISt17integral_constantIbLb1EES1A_IbLb0EEEEDaS16_S17_EUlS16_E_NS1_11comp_targetILNS1_3genE2ELNS1_11target_archE906ELNS1_3gpuE6ELNS1_3repE0EEENS1_30default_config_static_selectorELNS0_4arch9wavefront6targetE0EEEvT1_,comdat
	.globl	_ZN7rocprim17ROCPRIM_400000_NS6detail17trampoline_kernelINS0_14default_configENS1_25partition_config_selectorILNS1_17partition_subalgoE5ElNS0_10empty_typeEbEEZZNS1_14partition_implILS5_5ELb0ES3_mN6hipcub16HIPCUB_304000_NS21CountingInputIteratorIllEEPS6_NSA_22TransformInputIteratorIbN2at6native12_GLOBAL__N_19NonZeroOpIdEEPKdlEENS0_5tupleIJPlS6_EEENSN_IJSD_SD_EEES6_PiJS6_EEE10hipError_tPvRmT3_T4_T5_T6_T7_T9_mT8_P12ihipStream_tbDpT10_ENKUlT_T0_E_clISt17integral_constantIbLb1EES1A_IbLb0EEEEDaS16_S17_EUlS16_E_NS1_11comp_targetILNS1_3genE2ELNS1_11target_archE906ELNS1_3gpuE6ELNS1_3repE0EEENS1_30default_config_static_selectorELNS0_4arch9wavefront6targetE0EEEvT1_ ; -- Begin function _ZN7rocprim17ROCPRIM_400000_NS6detail17trampoline_kernelINS0_14default_configENS1_25partition_config_selectorILNS1_17partition_subalgoE5ElNS0_10empty_typeEbEEZZNS1_14partition_implILS5_5ELb0ES3_mN6hipcub16HIPCUB_304000_NS21CountingInputIteratorIllEEPS6_NSA_22TransformInputIteratorIbN2at6native12_GLOBAL__N_19NonZeroOpIdEEPKdlEENS0_5tupleIJPlS6_EEENSN_IJSD_SD_EEES6_PiJS6_EEE10hipError_tPvRmT3_T4_T5_T6_T7_T9_mT8_P12ihipStream_tbDpT10_ENKUlT_T0_E_clISt17integral_constantIbLb1EES1A_IbLb0EEEEDaS16_S17_EUlS16_E_NS1_11comp_targetILNS1_3genE2ELNS1_11target_archE906ELNS1_3gpuE6ELNS1_3repE0EEENS1_30default_config_static_selectorELNS0_4arch9wavefront6targetE0EEEvT1_
	.p2align	8
	.type	_ZN7rocprim17ROCPRIM_400000_NS6detail17trampoline_kernelINS0_14default_configENS1_25partition_config_selectorILNS1_17partition_subalgoE5ElNS0_10empty_typeEbEEZZNS1_14partition_implILS5_5ELb0ES3_mN6hipcub16HIPCUB_304000_NS21CountingInputIteratorIllEEPS6_NSA_22TransformInputIteratorIbN2at6native12_GLOBAL__N_19NonZeroOpIdEEPKdlEENS0_5tupleIJPlS6_EEENSN_IJSD_SD_EEES6_PiJS6_EEE10hipError_tPvRmT3_T4_T5_T6_T7_T9_mT8_P12ihipStream_tbDpT10_ENKUlT_T0_E_clISt17integral_constantIbLb1EES1A_IbLb0EEEEDaS16_S17_EUlS16_E_NS1_11comp_targetILNS1_3genE2ELNS1_11target_archE906ELNS1_3gpuE6ELNS1_3repE0EEENS1_30default_config_static_selectorELNS0_4arch9wavefront6targetE0EEEvT1_,@function
_ZN7rocprim17ROCPRIM_400000_NS6detail17trampoline_kernelINS0_14default_configENS1_25partition_config_selectorILNS1_17partition_subalgoE5ElNS0_10empty_typeEbEEZZNS1_14partition_implILS5_5ELb0ES3_mN6hipcub16HIPCUB_304000_NS21CountingInputIteratorIllEEPS6_NSA_22TransformInputIteratorIbN2at6native12_GLOBAL__N_19NonZeroOpIdEEPKdlEENS0_5tupleIJPlS6_EEENSN_IJSD_SD_EEES6_PiJS6_EEE10hipError_tPvRmT3_T4_T5_T6_T7_T9_mT8_P12ihipStream_tbDpT10_ENKUlT_T0_E_clISt17integral_constantIbLb1EES1A_IbLb0EEEEDaS16_S17_EUlS16_E_NS1_11comp_targetILNS1_3genE2ELNS1_11target_archE906ELNS1_3gpuE6ELNS1_3repE0EEENS1_30default_config_static_selectorELNS0_4arch9wavefront6targetE0EEEvT1_: ; @_ZN7rocprim17ROCPRIM_400000_NS6detail17trampoline_kernelINS0_14default_configENS1_25partition_config_selectorILNS1_17partition_subalgoE5ElNS0_10empty_typeEbEEZZNS1_14partition_implILS5_5ELb0ES3_mN6hipcub16HIPCUB_304000_NS21CountingInputIteratorIllEEPS6_NSA_22TransformInputIteratorIbN2at6native12_GLOBAL__N_19NonZeroOpIdEEPKdlEENS0_5tupleIJPlS6_EEENSN_IJSD_SD_EEES6_PiJS6_EEE10hipError_tPvRmT3_T4_T5_T6_T7_T9_mT8_P12ihipStream_tbDpT10_ENKUlT_T0_E_clISt17integral_constantIbLb1EES1A_IbLb0EEEEDaS16_S17_EUlS16_E_NS1_11comp_targetILNS1_3genE2ELNS1_11target_archE906ELNS1_3gpuE6ELNS1_3repE0EEENS1_30default_config_static_selectorELNS0_4arch9wavefront6targetE0EEEvT1_
; %bb.0:
	.section	.rodata,"a",@progbits
	.p2align	6, 0x0
	.amdhsa_kernel _ZN7rocprim17ROCPRIM_400000_NS6detail17trampoline_kernelINS0_14default_configENS1_25partition_config_selectorILNS1_17partition_subalgoE5ElNS0_10empty_typeEbEEZZNS1_14partition_implILS5_5ELb0ES3_mN6hipcub16HIPCUB_304000_NS21CountingInputIteratorIllEEPS6_NSA_22TransformInputIteratorIbN2at6native12_GLOBAL__N_19NonZeroOpIdEEPKdlEENS0_5tupleIJPlS6_EEENSN_IJSD_SD_EEES6_PiJS6_EEE10hipError_tPvRmT3_T4_T5_T6_T7_T9_mT8_P12ihipStream_tbDpT10_ENKUlT_T0_E_clISt17integral_constantIbLb1EES1A_IbLb0EEEEDaS16_S17_EUlS16_E_NS1_11comp_targetILNS1_3genE2ELNS1_11target_archE906ELNS1_3gpuE6ELNS1_3repE0EEENS1_30default_config_static_selectorELNS0_4arch9wavefront6targetE0EEEvT1_
		.amdhsa_group_segment_fixed_size 0
		.amdhsa_private_segment_fixed_size 0
		.amdhsa_kernarg_size 120
		.amdhsa_user_sgpr_count 15
		.amdhsa_user_sgpr_dispatch_ptr 0
		.amdhsa_user_sgpr_queue_ptr 0
		.amdhsa_user_sgpr_kernarg_segment_ptr 1
		.amdhsa_user_sgpr_dispatch_id 0
		.amdhsa_user_sgpr_private_segment_size 0
		.amdhsa_wavefront_size32 1
		.amdhsa_uses_dynamic_stack 0
		.amdhsa_enable_private_segment 0
		.amdhsa_system_sgpr_workgroup_id_x 1
		.amdhsa_system_sgpr_workgroup_id_y 0
		.amdhsa_system_sgpr_workgroup_id_z 0
		.amdhsa_system_sgpr_workgroup_info 0
		.amdhsa_system_vgpr_workitem_id 0
		.amdhsa_next_free_vgpr 1
		.amdhsa_next_free_sgpr 1
		.amdhsa_reserve_vcc 0
		.amdhsa_float_round_mode_32 0
		.amdhsa_float_round_mode_16_64 0
		.amdhsa_float_denorm_mode_32 3
		.amdhsa_float_denorm_mode_16_64 3
		.amdhsa_dx10_clamp 1
		.amdhsa_ieee_mode 1
		.amdhsa_fp16_overflow 0
		.amdhsa_workgroup_processor_mode 1
		.amdhsa_memory_ordered 1
		.amdhsa_forward_progress 0
		.amdhsa_shared_vgpr_count 0
		.amdhsa_exception_fp_ieee_invalid_op 0
		.amdhsa_exception_fp_denorm_src 0
		.amdhsa_exception_fp_ieee_div_zero 0
		.amdhsa_exception_fp_ieee_overflow 0
		.amdhsa_exception_fp_ieee_underflow 0
		.amdhsa_exception_fp_ieee_inexact 0
		.amdhsa_exception_int_div_zero 0
	.end_amdhsa_kernel
	.section	.text._ZN7rocprim17ROCPRIM_400000_NS6detail17trampoline_kernelINS0_14default_configENS1_25partition_config_selectorILNS1_17partition_subalgoE5ElNS0_10empty_typeEbEEZZNS1_14partition_implILS5_5ELb0ES3_mN6hipcub16HIPCUB_304000_NS21CountingInputIteratorIllEEPS6_NSA_22TransformInputIteratorIbN2at6native12_GLOBAL__N_19NonZeroOpIdEEPKdlEENS0_5tupleIJPlS6_EEENSN_IJSD_SD_EEES6_PiJS6_EEE10hipError_tPvRmT3_T4_T5_T6_T7_T9_mT8_P12ihipStream_tbDpT10_ENKUlT_T0_E_clISt17integral_constantIbLb1EES1A_IbLb0EEEEDaS16_S17_EUlS16_E_NS1_11comp_targetILNS1_3genE2ELNS1_11target_archE906ELNS1_3gpuE6ELNS1_3repE0EEENS1_30default_config_static_selectorELNS0_4arch9wavefront6targetE0EEEvT1_,"axG",@progbits,_ZN7rocprim17ROCPRIM_400000_NS6detail17trampoline_kernelINS0_14default_configENS1_25partition_config_selectorILNS1_17partition_subalgoE5ElNS0_10empty_typeEbEEZZNS1_14partition_implILS5_5ELb0ES3_mN6hipcub16HIPCUB_304000_NS21CountingInputIteratorIllEEPS6_NSA_22TransformInputIteratorIbN2at6native12_GLOBAL__N_19NonZeroOpIdEEPKdlEENS0_5tupleIJPlS6_EEENSN_IJSD_SD_EEES6_PiJS6_EEE10hipError_tPvRmT3_T4_T5_T6_T7_T9_mT8_P12ihipStream_tbDpT10_ENKUlT_T0_E_clISt17integral_constantIbLb1EES1A_IbLb0EEEEDaS16_S17_EUlS16_E_NS1_11comp_targetILNS1_3genE2ELNS1_11target_archE906ELNS1_3gpuE6ELNS1_3repE0EEENS1_30default_config_static_selectorELNS0_4arch9wavefront6targetE0EEEvT1_,comdat
.Lfunc_end410:
	.size	_ZN7rocprim17ROCPRIM_400000_NS6detail17trampoline_kernelINS0_14default_configENS1_25partition_config_selectorILNS1_17partition_subalgoE5ElNS0_10empty_typeEbEEZZNS1_14partition_implILS5_5ELb0ES3_mN6hipcub16HIPCUB_304000_NS21CountingInputIteratorIllEEPS6_NSA_22TransformInputIteratorIbN2at6native12_GLOBAL__N_19NonZeroOpIdEEPKdlEENS0_5tupleIJPlS6_EEENSN_IJSD_SD_EEES6_PiJS6_EEE10hipError_tPvRmT3_T4_T5_T6_T7_T9_mT8_P12ihipStream_tbDpT10_ENKUlT_T0_E_clISt17integral_constantIbLb1EES1A_IbLb0EEEEDaS16_S17_EUlS16_E_NS1_11comp_targetILNS1_3genE2ELNS1_11target_archE906ELNS1_3gpuE6ELNS1_3repE0EEENS1_30default_config_static_selectorELNS0_4arch9wavefront6targetE0EEEvT1_, .Lfunc_end410-_ZN7rocprim17ROCPRIM_400000_NS6detail17trampoline_kernelINS0_14default_configENS1_25partition_config_selectorILNS1_17partition_subalgoE5ElNS0_10empty_typeEbEEZZNS1_14partition_implILS5_5ELb0ES3_mN6hipcub16HIPCUB_304000_NS21CountingInputIteratorIllEEPS6_NSA_22TransformInputIteratorIbN2at6native12_GLOBAL__N_19NonZeroOpIdEEPKdlEENS0_5tupleIJPlS6_EEENSN_IJSD_SD_EEES6_PiJS6_EEE10hipError_tPvRmT3_T4_T5_T6_T7_T9_mT8_P12ihipStream_tbDpT10_ENKUlT_T0_E_clISt17integral_constantIbLb1EES1A_IbLb0EEEEDaS16_S17_EUlS16_E_NS1_11comp_targetILNS1_3genE2ELNS1_11target_archE906ELNS1_3gpuE6ELNS1_3repE0EEENS1_30default_config_static_selectorELNS0_4arch9wavefront6targetE0EEEvT1_
                                        ; -- End function
	.section	.AMDGPU.csdata,"",@progbits
; Kernel info:
; codeLenInByte = 0
; NumSgprs: 0
; NumVgprs: 0
; ScratchSize: 0
; MemoryBound: 0
; FloatMode: 240
; IeeeMode: 1
; LDSByteSize: 0 bytes/workgroup (compile time only)
; SGPRBlocks: 0
; VGPRBlocks: 0
; NumSGPRsForWavesPerEU: 1
; NumVGPRsForWavesPerEU: 1
; Occupancy: 16
; WaveLimiterHint : 0
; COMPUTE_PGM_RSRC2:SCRATCH_EN: 0
; COMPUTE_PGM_RSRC2:USER_SGPR: 15
; COMPUTE_PGM_RSRC2:TRAP_HANDLER: 0
; COMPUTE_PGM_RSRC2:TGID_X_EN: 1
; COMPUTE_PGM_RSRC2:TGID_Y_EN: 0
; COMPUTE_PGM_RSRC2:TGID_Z_EN: 0
; COMPUTE_PGM_RSRC2:TIDIG_COMP_CNT: 0
	.section	.text._ZN7rocprim17ROCPRIM_400000_NS6detail17trampoline_kernelINS0_14default_configENS1_25partition_config_selectorILNS1_17partition_subalgoE5ElNS0_10empty_typeEbEEZZNS1_14partition_implILS5_5ELb0ES3_mN6hipcub16HIPCUB_304000_NS21CountingInputIteratorIllEEPS6_NSA_22TransformInputIteratorIbN2at6native12_GLOBAL__N_19NonZeroOpIdEEPKdlEENS0_5tupleIJPlS6_EEENSN_IJSD_SD_EEES6_PiJS6_EEE10hipError_tPvRmT3_T4_T5_T6_T7_T9_mT8_P12ihipStream_tbDpT10_ENKUlT_T0_E_clISt17integral_constantIbLb1EES1A_IbLb0EEEEDaS16_S17_EUlS16_E_NS1_11comp_targetILNS1_3genE10ELNS1_11target_archE1200ELNS1_3gpuE4ELNS1_3repE0EEENS1_30default_config_static_selectorELNS0_4arch9wavefront6targetE0EEEvT1_,"axG",@progbits,_ZN7rocprim17ROCPRIM_400000_NS6detail17trampoline_kernelINS0_14default_configENS1_25partition_config_selectorILNS1_17partition_subalgoE5ElNS0_10empty_typeEbEEZZNS1_14partition_implILS5_5ELb0ES3_mN6hipcub16HIPCUB_304000_NS21CountingInputIteratorIllEEPS6_NSA_22TransformInputIteratorIbN2at6native12_GLOBAL__N_19NonZeroOpIdEEPKdlEENS0_5tupleIJPlS6_EEENSN_IJSD_SD_EEES6_PiJS6_EEE10hipError_tPvRmT3_T4_T5_T6_T7_T9_mT8_P12ihipStream_tbDpT10_ENKUlT_T0_E_clISt17integral_constantIbLb1EES1A_IbLb0EEEEDaS16_S17_EUlS16_E_NS1_11comp_targetILNS1_3genE10ELNS1_11target_archE1200ELNS1_3gpuE4ELNS1_3repE0EEENS1_30default_config_static_selectorELNS0_4arch9wavefront6targetE0EEEvT1_,comdat
	.globl	_ZN7rocprim17ROCPRIM_400000_NS6detail17trampoline_kernelINS0_14default_configENS1_25partition_config_selectorILNS1_17partition_subalgoE5ElNS0_10empty_typeEbEEZZNS1_14partition_implILS5_5ELb0ES3_mN6hipcub16HIPCUB_304000_NS21CountingInputIteratorIllEEPS6_NSA_22TransformInputIteratorIbN2at6native12_GLOBAL__N_19NonZeroOpIdEEPKdlEENS0_5tupleIJPlS6_EEENSN_IJSD_SD_EEES6_PiJS6_EEE10hipError_tPvRmT3_T4_T5_T6_T7_T9_mT8_P12ihipStream_tbDpT10_ENKUlT_T0_E_clISt17integral_constantIbLb1EES1A_IbLb0EEEEDaS16_S17_EUlS16_E_NS1_11comp_targetILNS1_3genE10ELNS1_11target_archE1200ELNS1_3gpuE4ELNS1_3repE0EEENS1_30default_config_static_selectorELNS0_4arch9wavefront6targetE0EEEvT1_ ; -- Begin function _ZN7rocprim17ROCPRIM_400000_NS6detail17trampoline_kernelINS0_14default_configENS1_25partition_config_selectorILNS1_17partition_subalgoE5ElNS0_10empty_typeEbEEZZNS1_14partition_implILS5_5ELb0ES3_mN6hipcub16HIPCUB_304000_NS21CountingInputIteratorIllEEPS6_NSA_22TransformInputIteratorIbN2at6native12_GLOBAL__N_19NonZeroOpIdEEPKdlEENS0_5tupleIJPlS6_EEENSN_IJSD_SD_EEES6_PiJS6_EEE10hipError_tPvRmT3_T4_T5_T6_T7_T9_mT8_P12ihipStream_tbDpT10_ENKUlT_T0_E_clISt17integral_constantIbLb1EES1A_IbLb0EEEEDaS16_S17_EUlS16_E_NS1_11comp_targetILNS1_3genE10ELNS1_11target_archE1200ELNS1_3gpuE4ELNS1_3repE0EEENS1_30default_config_static_selectorELNS0_4arch9wavefront6targetE0EEEvT1_
	.p2align	8
	.type	_ZN7rocprim17ROCPRIM_400000_NS6detail17trampoline_kernelINS0_14default_configENS1_25partition_config_selectorILNS1_17partition_subalgoE5ElNS0_10empty_typeEbEEZZNS1_14partition_implILS5_5ELb0ES3_mN6hipcub16HIPCUB_304000_NS21CountingInputIteratorIllEEPS6_NSA_22TransformInputIteratorIbN2at6native12_GLOBAL__N_19NonZeroOpIdEEPKdlEENS0_5tupleIJPlS6_EEENSN_IJSD_SD_EEES6_PiJS6_EEE10hipError_tPvRmT3_T4_T5_T6_T7_T9_mT8_P12ihipStream_tbDpT10_ENKUlT_T0_E_clISt17integral_constantIbLb1EES1A_IbLb0EEEEDaS16_S17_EUlS16_E_NS1_11comp_targetILNS1_3genE10ELNS1_11target_archE1200ELNS1_3gpuE4ELNS1_3repE0EEENS1_30default_config_static_selectorELNS0_4arch9wavefront6targetE0EEEvT1_,@function
_ZN7rocprim17ROCPRIM_400000_NS6detail17trampoline_kernelINS0_14default_configENS1_25partition_config_selectorILNS1_17partition_subalgoE5ElNS0_10empty_typeEbEEZZNS1_14partition_implILS5_5ELb0ES3_mN6hipcub16HIPCUB_304000_NS21CountingInputIteratorIllEEPS6_NSA_22TransformInputIteratorIbN2at6native12_GLOBAL__N_19NonZeroOpIdEEPKdlEENS0_5tupleIJPlS6_EEENSN_IJSD_SD_EEES6_PiJS6_EEE10hipError_tPvRmT3_T4_T5_T6_T7_T9_mT8_P12ihipStream_tbDpT10_ENKUlT_T0_E_clISt17integral_constantIbLb1EES1A_IbLb0EEEEDaS16_S17_EUlS16_E_NS1_11comp_targetILNS1_3genE10ELNS1_11target_archE1200ELNS1_3gpuE4ELNS1_3repE0EEENS1_30default_config_static_selectorELNS0_4arch9wavefront6targetE0EEEvT1_: ; @_ZN7rocprim17ROCPRIM_400000_NS6detail17trampoline_kernelINS0_14default_configENS1_25partition_config_selectorILNS1_17partition_subalgoE5ElNS0_10empty_typeEbEEZZNS1_14partition_implILS5_5ELb0ES3_mN6hipcub16HIPCUB_304000_NS21CountingInputIteratorIllEEPS6_NSA_22TransformInputIteratorIbN2at6native12_GLOBAL__N_19NonZeroOpIdEEPKdlEENS0_5tupleIJPlS6_EEENSN_IJSD_SD_EEES6_PiJS6_EEE10hipError_tPvRmT3_T4_T5_T6_T7_T9_mT8_P12ihipStream_tbDpT10_ENKUlT_T0_E_clISt17integral_constantIbLb1EES1A_IbLb0EEEEDaS16_S17_EUlS16_E_NS1_11comp_targetILNS1_3genE10ELNS1_11target_archE1200ELNS1_3gpuE4ELNS1_3repE0EEENS1_30default_config_static_selectorELNS0_4arch9wavefront6targetE0EEEvT1_
; %bb.0:
	.section	.rodata,"a",@progbits
	.p2align	6, 0x0
	.amdhsa_kernel _ZN7rocprim17ROCPRIM_400000_NS6detail17trampoline_kernelINS0_14default_configENS1_25partition_config_selectorILNS1_17partition_subalgoE5ElNS0_10empty_typeEbEEZZNS1_14partition_implILS5_5ELb0ES3_mN6hipcub16HIPCUB_304000_NS21CountingInputIteratorIllEEPS6_NSA_22TransformInputIteratorIbN2at6native12_GLOBAL__N_19NonZeroOpIdEEPKdlEENS0_5tupleIJPlS6_EEENSN_IJSD_SD_EEES6_PiJS6_EEE10hipError_tPvRmT3_T4_T5_T6_T7_T9_mT8_P12ihipStream_tbDpT10_ENKUlT_T0_E_clISt17integral_constantIbLb1EES1A_IbLb0EEEEDaS16_S17_EUlS16_E_NS1_11comp_targetILNS1_3genE10ELNS1_11target_archE1200ELNS1_3gpuE4ELNS1_3repE0EEENS1_30default_config_static_selectorELNS0_4arch9wavefront6targetE0EEEvT1_
		.amdhsa_group_segment_fixed_size 0
		.amdhsa_private_segment_fixed_size 0
		.amdhsa_kernarg_size 120
		.amdhsa_user_sgpr_count 15
		.amdhsa_user_sgpr_dispatch_ptr 0
		.amdhsa_user_sgpr_queue_ptr 0
		.amdhsa_user_sgpr_kernarg_segment_ptr 1
		.amdhsa_user_sgpr_dispatch_id 0
		.amdhsa_user_sgpr_private_segment_size 0
		.amdhsa_wavefront_size32 1
		.amdhsa_uses_dynamic_stack 0
		.amdhsa_enable_private_segment 0
		.amdhsa_system_sgpr_workgroup_id_x 1
		.amdhsa_system_sgpr_workgroup_id_y 0
		.amdhsa_system_sgpr_workgroup_id_z 0
		.amdhsa_system_sgpr_workgroup_info 0
		.amdhsa_system_vgpr_workitem_id 0
		.amdhsa_next_free_vgpr 1
		.amdhsa_next_free_sgpr 1
		.amdhsa_reserve_vcc 0
		.amdhsa_float_round_mode_32 0
		.amdhsa_float_round_mode_16_64 0
		.amdhsa_float_denorm_mode_32 3
		.amdhsa_float_denorm_mode_16_64 3
		.amdhsa_dx10_clamp 1
		.amdhsa_ieee_mode 1
		.amdhsa_fp16_overflow 0
		.amdhsa_workgroup_processor_mode 1
		.amdhsa_memory_ordered 1
		.amdhsa_forward_progress 0
		.amdhsa_shared_vgpr_count 0
		.amdhsa_exception_fp_ieee_invalid_op 0
		.amdhsa_exception_fp_denorm_src 0
		.amdhsa_exception_fp_ieee_div_zero 0
		.amdhsa_exception_fp_ieee_overflow 0
		.amdhsa_exception_fp_ieee_underflow 0
		.amdhsa_exception_fp_ieee_inexact 0
		.amdhsa_exception_int_div_zero 0
	.end_amdhsa_kernel
	.section	.text._ZN7rocprim17ROCPRIM_400000_NS6detail17trampoline_kernelINS0_14default_configENS1_25partition_config_selectorILNS1_17partition_subalgoE5ElNS0_10empty_typeEbEEZZNS1_14partition_implILS5_5ELb0ES3_mN6hipcub16HIPCUB_304000_NS21CountingInputIteratorIllEEPS6_NSA_22TransformInputIteratorIbN2at6native12_GLOBAL__N_19NonZeroOpIdEEPKdlEENS0_5tupleIJPlS6_EEENSN_IJSD_SD_EEES6_PiJS6_EEE10hipError_tPvRmT3_T4_T5_T6_T7_T9_mT8_P12ihipStream_tbDpT10_ENKUlT_T0_E_clISt17integral_constantIbLb1EES1A_IbLb0EEEEDaS16_S17_EUlS16_E_NS1_11comp_targetILNS1_3genE10ELNS1_11target_archE1200ELNS1_3gpuE4ELNS1_3repE0EEENS1_30default_config_static_selectorELNS0_4arch9wavefront6targetE0EEEvT1_,"axG",@progbits,_ZN7rocprim17ROCPRIM_400000_NS6detail17trampoline_kernelINS0_14default_configENS1_25partition_config_selectorILNS1_17partition_subalgoE5ElNS0_10empty_typeEbEEZZNS1_14partition_implILS5_5ELb0ES3_mN6hipcub16HIPCUB_304000_NS21CountingInputIteratorIllEEPS6_NSA_22TransformInputIteratorIbN2at6native12_GLOBAL__N_19NonZeroOpIdEEPKdlEENS0_5tupleIJPlS6_EEENSN_IJSD_SD_EEES6_PiJS6_EEE10hipError_tPvRmT3_T4_T5_T6_T7_T9_mT8_P12ihipStream_tbDpT10_ENKUlT_T0_E_clISt17integral_constantIbLb1EES1A_IbLb0EEEEDaS16_S17_EUlS16_E_NS1_11comp_targetILNS1_3genE10ELNS1_11target_archE1200ELNS1_3gpuE4ELNS1_3repE0EEENS1_30default_config_static_selectorELNS0_4arch9wavefront6targetE0EEEvT1_,comdat
.Lfunc_end411:
	.size	_ZN7rocprim17ROCPRIM_400000_NS6detail17trampoline_kernelINS0_14default_configENS1_25partition_config_selectorILNS1_17partition_subalgoE5ElNS0_10empty_typeEbEEZZNS1_14partition_implILS5_5ELb0ES3_mN6hipcub16HIPCUB_304000_NS21CountingInputIteratorIllEEPS6_NSA_22TransformInputIteratorIbN2at6native12_GLOBAL__N_19NonZeroOpIdEEPKdlEENS0_5tupleIJPlS6_EEENSN_IJSD_SD_EEES6_PiJS6_EEE10hipError_tPvRmT3_T4_T5_T6_T7_T9_mT8_P12ihipStream_tbDpT10_ENKUlT_T0_E_clISt17integral_constantIbLb1EES1A_IbLb0EEEEDaS16_S17_EUlS16_E_NS1_11comp_targetILNS1_3genE10ELNS1_11target_archE1200ELNS1_3gpuE4ELNS1_3repE0EEENS1_30default_config_static_selectorELNS0_4arch9wavefront6targetE0EEEvT1_, .Lfunc_end411-_ZN7rocprim17ROCPRIM_400000_NS6detail17trampoline_kernelINS0_14default_configENS1_25partition_config_selectorILNS1_17partition_subalgoE5ElNS0_10empty_typeEbEEZZNS1_14partition_implILS5_5ELb0ES3_mN6hipcub16HIPCUB_304000_NS21CountingInputIteratorIllEEPS6_NSA_22TransformInputIteratorIbN2at6native12_GLOBAL__N_19NonZeroOpIdEEPKdlEENS0_5tupleIJPlS6_EEENSN_IJSD_SD_EEES6_PiJS6_EEE10hipError_tPvRmT3_T4_T5_T6_T7_T9_mT8_P12ihipStream_tbDpT10_ENKUlT_T0_E_clISt17integral_constantIbLb1EES1A_IbLb0EEEEDaS16_S17_EUlS16_E_NS1_11comp_targetILNS1_3genE10ELNS1_11target_archE1200ELNS1_3gpuE4ELNS1_3repE0EEENS1_30default_config_static_selectorELNS0_4arch9wavefront6targetE0EEEvT1_
                                        ; -- End function
	.section	.AMDGPU.csdata,"",@progbits
; Kernel info:
; codeLenInByte = 0
; NumSgprs: 0
; NumVgprs: 0
; ScratchSize: 0
; MemoryBound: 0
; FloatMode: 240
; IeeeMode: 1
; LDSByteSize: 0 bytes/workgroup (compile time only)
; SGPRBlocks: 0
; VGPRBlocks: 0
; NumSGPRsForWavesPerEU: 1
; NumVGPRsForWavesPerEU: 1
; Occupancy: 16
; WaveLimiterHint : 0
; COMPUTE_PGM_RSRC2:SCRATCH_EN: 0
; COMPUTE_PGM_RSRC2:USER_SGPR: 15
; COMPUTE_PGM_RSRC2:TRAP_HANDLER: 0
; COMPUTE_PGM_RSRC2:TGID_X_EN: 1
; COMPUTE_PGM_RSRC2:TGID_Y_EN: 0
; COMPUTE_PGM_RSRC2:TGID_Z_EN: 0
; COMPUTE_PGM_RSRC2:TIDIG_COMP_CNT: 0
	.section	.text._ZN7rocprim17ROCPRIM_400000_NS6detail17trampoline_kernelINS0_14default_configENS1_25partition_config_selectorILNS1_17partition_subalgoE5ElNS0_10empty_typeEbEEZZNS1_14partition_implILS5_5ELb0ES3_mN6hipcub16HIPCUB_304000_NS21CountingInputIteratorIllEEPS6_NSA_22TransformInputIteratorIbN2at6native12_GLOBAL__N_19NonZeroOpIdEEPKdlEENS0_5tupleIJPlS6_EEENSN_IJSD_SD_EEES6_PiJS6_EEE10hipError_tPvRmT3_T4_T5_T6_T7_T9_mT8_P12ihipStream_tbDpT10_ENKUlT_T0_E_clISt17integral_constantIbLb1EES1A_IbLb0EEEEDaS16_S17_EUlS16_E_NS1_11comp_targetILNS1_3genE9ELNS1_11target_archE1100ELNS1_3gpuE3ELNS1_3repE0EEENS1_30default_config_static_selectorELNS0_4arch9wavefront6targetE0EEEvT1_,"axG",@progbits,_ZN7rocprim17ROCPRIM_400000_NS6detail17trampoline_kernelINS0_14default_configENS1_25partition_config_selectorILNS1_17partition_subalgoE5ElNS0_10empty_typeEbEEZZNS1_14partition_implILS5_5ELb0ES3_mN6hipcub16HIPCUB_304000_NS21CountingInputIteratorIllEEPS6_NSA_22TransformInputIteratorIbN2at6native12_GLOBAL__N_19NonZeroOpIdEEPKdlEENS0_5tupleIJPlS6_EEENSN_IJSD_SD_EEES6_PiJS6_EEE10hipError_tPvRmT3_T4_T5_T6_T7_T9_mT8_P12ihipStream_tbDpT10_ENKUlT_T0_E_clISt17integral_constantIbLb1EES1A_IbLb0EEEEDaS16_S17_EUlS16_E_NS1_11comp_targetILNS1_3genE9ELNS1_11target_archE1100ELNS1_3gpuE3ELNS1_3repE0EEENS1_30default_config_static_selectorELNS0_4arch9wavefront6targetE0EEEvT1_,comdat
	.globl	_ZN7rocprim17ROCPRIM_400000_NS6detail17trampoline_kernelINS0_14default_configENS1_25partition_config_selectorILNS1_17partition_subalgoE5ElNS0_10empty_typeEbEEZZNS1_14partition_implILS5_5ELb0ES3_mN6hipcub16HIPCUB_304000_NS21CountingInputIteratorIllEEPS6_NSA_22TransformInputIteratorIbN2at6native12_GLOBAL__N_19NonZeroOpIdEEPKdlEENS0_5tupleIJPlS6_EEENSN_IJSD_SD_EEES6_PiJS6_EEE10hipError_tPvRmT3_T4_T5_T6_T7_T9_mT8_P12ihipStream_tbDpT10_ENKUlT_T0_E_clISt17integral_constantIbLb1EES1A_IbLb0EEEEDaS16_S17_EUlS16_E_NS1_11comp_targetILNS1_3genE9ELNS1_11target_archE1100ELNS1_3gpuE3ELNS1_3repE0EEENS1_30default_config_static_selectorELNS0_4arch9wavefront6targetE0EEEvT1_ ; -- Begin function _ZN7rocprim17ROCPRIM_400000_NS6detail17trampoline_kernelINS0_14default_configENS1_25partition_config_selectorILNS1_17partition_subalgoE5ElNS0_10empty_typeEbEEZZNS1_14partition_implILS5_5ELb0ES3_mN6hipcub16HIPCUB_304000_NS21CountingInputIteratorIllEEPS6_NSA_22TransformInputIteratorIbN2at6native12_GLOBAL__N_19NonZeroOpIdEEPKdlEENS0_5tupleIJPlS6_EEENSN_IJSD_SD_EEES6_PiJS6_EEE10hipError_tPvRmT3_T4_T5_T6_T7_T9_mT8_P12ihipStream_tbDpT10_ENKUlT_T0_E_clISt17integral_constantIbLb1EES1A_IbLb0EEEEDaS16_S17_EUlS16_E_NS1_11comp_targetILNS1_3genE9ELNS1_11target_archE1100ELNS1_3gpuE3ELNS1_3repE0EEENS1_30default_config_static_selectorELNS0_4arch9wavefront6targetE0EEEvT1_
	.p2align	8
	.type	_ZN7rocprim17ROCPRIM_400000_NS6detail17trampoline_kernelINS0_14default_configENS1_25partition_config_selectorILNS1_17partition_subalgoE5ElNS0_10empty_typeEbEEZZNS1_14partition_implILS5_5ELb0ES3_mN6hipcub16HIPCUB_304000_NS21CountingInputIteratorIllEEPS6_NSA_22TransformInputIteratorIbN2at6native12_GLOBAL__N_19NonZeroOpIdEEPKdlEENS0_5tupleIJPlS6_EEENSN_IJSD_SD_EEES6_PiJS6_EEE10hipError_tPvRmT3_T4_T5_T6_T7_T9_mT8_P12ihipStream_tbDpT10_ENKUlT_T0_E_clISt17integral_constantIbLb1EES1A_IbLb0EEEEDaS16_S17_EUlS16_E_NS1_11comp_targetILNS1_3genE9ELNS1_11target_archE1100ELNS1_3gpuE3ELNS1_3repE0EEENS1_30default_config_static_selectorELNS0_4arch9wavefront6targetE0EEEvT1_,@function
_ZN7rocprim17ROCPRIM_400000_NS6detail17trampoline_kernelINS0_14default_configENS1_25partition_config_selectorILNS1_17partition_subalgoE5ElNS0_10empty_typeEbEEZZNS1_14partition_implILS5_5ELb0ES3_mN6hipcub16HIPCUB_304000_NS21CountingInputIteratorIllEEPS6_NSA_22TransformInputIteratorIbN2at6native12_GLOBAL__N_19NonZeroOpIdEEPKdlEENS0_5tupleIJPlS6_EEENSN_IJSD_SD_EEES6_PiJS6_EEE10hipError_tPvRmT3_T4_T5_T6_T7_T9_mT8_P12ihipStream_tbDpT10_ENKUlT_T0_E_clISt17integral_constantIbLb1EES1A_IbLb0EEEEDaS16_S17_EUlS16_E_NS1_11comp_targetILNS1_3genE9ELNS1_11target_archE1100ELNS1_3gpuE3ELNS1_3repE0EEENS1_30default_config_static_selectorELNS0_4arch9wavefront6targetE0EEEvT1_: ; @_ZN7rocprim17ROCPRIM_400000_NS6detail17trampoline_kernelINS0_14default_configENS1_25partition_config_selectorILNS1_17partition_subalgoE5ElNS0_10empty_typeEbEEZZNS1_14partition_implILS5_5ELb0ES3_mN6hipcub16HIPCUB_304000_NS21CountingInputIteratorIllEEPS6_NSA_22TransformInputIteratorIbN2at6native12_GLOBAL__N_19NonZeroOpIdEEPKdlEENS0_5tupleIJPlS6_EEENSN_IJSD_SD_EEES6_PiJS6_EEE10hipError_tPvRmT3_T4_T5_T6_T7_T9_mT8_P12ihipStream_tbDpT10_ENKUlT_T0_E_clISt17integral_constantIbLb1EES1A_IbLb0EEEEDaS16_S17_EUlS16_E_NS1_11comp_targetILNS1_3genE9ELNS1_11target_archE1100ELNS1_3gpuE3ELNS1_3repE0EEENS1_30default_config_static_selectorELNS0_4arch9wavefront6targetE0EEEvT1_
; %bb.0:
	s_clause 0x4
	s_load_b128 s[8:11], s[0:1], 0x8
	s_load_b128 s[4:7], s[0:1], 0x48
	s_load_b32 s14, s[0:1], 0x70
	s_load_b64 s[2:3], s[0:1], 0x58
	s_load_b64 s[12:13], s[0:1], 0x20
	s_waitcnt lgkmcnt(0)
	s_add_u32 s18, s10, s8
	s_load_b64 s[6:7], s[6:7], 0x0
	s_mul_i32 s17, s14, 0x300
	s_addc_u32 s19, s11, s9
	s_add_i32 s14, s14, -1
	s_add_u32 s8, s10, s17
	s_addc_u32 s9, s11, 0
	s_cmp_eq_u32 s15, s14
	v_cmp_ge_u64_e64 s3, s[8:9], s[2:3]
	s_cselect_b32 s14, -1, 0
	s_mul_i32 s8, s15, 0x300
	s_mov_b32 s9, 0
	s_delay_alu instid0(VALU_DEP_1) | instskip(NEXT) | instid1(SALU_CYCLE_1)
	s_and_b32 s3, s14, s3
	s_xor_b32 s16, s3, -1
	s_mov_b32 s3, -1
	s_and_b32 vcc_lo, exec_lo, s16
	s_cbranch_vccz .LBB412_2
; %bb.1:
	s_add_u32 s3, s18, s8
	s_addc_u32 s20, s19, 0
	v_add_co_u32 v1, s3, s3, v0
	s_delay_alu instid0(VALU_DEP_1) | instskip(SKIP_1) | instid1(VALU_DEP_3)
	v_add_co_ci_u32_e64 v2, null, s20, 0, s3
	v_lshlrev_b32_e32 v13, 3, v0
	v_add_co_u32 v3, vcc_lo, 0x80, v1
	s_delay_alu instid0(VALU_DEP_3)
	v_add_co_ci_u32_e32 v4, vcc_lo, 0, v2, vcc_lo
	v_add_co_u32 v5, vcc_lo, 0x100, v1
	v_add_co_ci_u32_e32 v6, vcc_lo, 0, v2, vcc_lo
	v_add_co_u32 v7, vcc_lo, 0x180, v1
	;; [unrolled: 2-line block ×4, first 2 shown]
	v_add_co_ci_u32_e32 v12, vcc_lo, 0, v2, vcc_lo
	ds_store_2addr_stride64_b64 v13, v[1:2], v[3:4] offset1:2
	ds_store_2addr_stride64_b64 v13, v[5:6], v[7:8] offset0:4 offset1:6
	ds_store_2addr_stride64_b64 v13, v[9:10], v[11:12] offset0:8 offset1:10
	s_waitcnt lgkmcnt(0)
	s_mov_b32 s3, s9
	s_barrier
.LBB412_2:
	v_or_b32_e32 v17, 0x100, v0
	v_or_b32_e32 v16, 0x180, v0
	;; [unrolled: 1-line block ×4, first 2 shown]
	s_and_not1_b32 vcc_lo, exec_lo, s3
	s_cbranch_vccnz .LBB412_4
; %bb.3:
	v_or_b32_e32 v3, 0x80, v0
	s_add_u32 s3, s18, s8
	s_addc_u32 s18, s19, 0
	v_add_co_u32 v1, s19, s3, v0
	s_delay_alu instid0(VALU_DEP_1) | instskip(SKIP_1) | instid1(VALU_DEP_1)
	v_add_co_ci_u32_e64 v2, null, s18, 0, s19
	v_add_co_u32 v3, s19, s3, v3
	v_add_co_ci_u32_e64 v4, null, s18, 0, s19
	v_add_co_u32 v5, s19, s3, v17
	s_delay_alu instid0(VALU_DEP_1) | instskip(SKIP_1) | instid1(VALU_DEP_1)
	v_add_co_ci_u32_e64 v6, null, s18, 0, s19
	v_add_co_u32 v7, s19, s3, v16
	v_add_co_ci_u32_e64 v8, null, s18, 0, s19
	v_add_co_u32 v9, s19, s3, v14
	v_lshlrev_b32_e32 v15, 3, v0
	v_add_co_u32 v11, s3, s3, v13
	v_add_co_ci_u32_e64 v10, null, s18, 0, s19
	v_add_co_ci_u32_e64 v12, null, s18, 0, s3
	ds_store_2addr_stride64_b64 v15, v[1:2], v[3:4] offset1:2
	ds_store_2addr_stride64_b64 v15, v[5:6], v[7:8] offset0:4 offset1:6
	ds_store_2addr_stride64_b64 v15, v[9:10], v[11:12] offset0:8 offset1:10
	s_waitcnt lgkmcnt(0)
	s_barrier
.LBB412_4:
	v_mul_u32_u24_e32 v1, 6, v0
	s_waitcnt lgkmcnt(0)
	buffer_gl0_inv
	s_lshl_b64 s[18:19], s[10:11], 3
	s_delay_alu instid0(SALU_CYCLE_1)
	s_add_u32 s3, s12, s18
	v_lshlrev_b32_e32 v15, 3, v1
	s_addc_u32 s11, s13, s19
	s_lshl_b64 s[8:9], s[8:9], 3
	ds_load_b128 v[9:12], v15
	ds_load_b128 v[5:8], v15 offset:16
	ds_load_b128 v[1:4], v15 offset:32
	s_add_u32 s12, s3, s8
	s_addc_u32 s13, s11, s9
	s_and_b32 vcc_lo, exec_lo, s16
	s_mov_b32 s3, -1
	s_waitcnt lgkmcnt(0)
	s_barrier
	buffer_gl0_inv
	s_cbranch_vccz .LBB412_6
; %bb.5:
	v_lshlrev_b32_e32 v26, 3, v0
	s_clause 0x1
	global_load_b64 v[18:19], v26, s[12:13]
	global_load_b64 v[20:21], v26, s[12:13] offset:1024
	v_add_co_u32 v22, s3, s12, v26
	s_delay_alu instid0(VALU_DEP_1) | instskip(SKIP_1) | instid1(VALU_DEP_2)
	v_add_co_ci_u32_e64 v23, null, s13, 0, s3
	s_mov_b32 s3, 0
	v_add_co_u32 v22, vcc_lo, 0x1000, v22
	s_delay_alu instid0(VALU_DEP_2)
	v_add_co_ci_u32_e32 v23, vcc_lo, 0, v23, vcc_lo
	s_clause 0x3
	global_load_b64 v[24:25], v26, s[12:13] offset:2048
	global_load_b64 v[26:27], v26, s[12:13] offset:3072
	global_load_b64 v[28:29], v[22:23], off
	global_load_b64 v[22:23], v[22:23], off offset:1024
	s_waitcnt vmcnt(5)
	v_cmp_neq_f64_e32 vcc_lo, 0, v[18:19]
	v_cndmask_b32_e64 v18, 0, 1, vcc_lo
	s_waitcnt vmcnt(4)
	v_cmp_neq_f64_e32 vcc_lo, 0, v[20:21]
	v_cndmask_b32_e64 v19, 0, 1, vcc_lo
	;; [unrolled: 3-line block ×6, first 2 shown]
	ds_store_b8 v0, v18
	ds_store_b8 v0, v19 offset:128
	ds_store_b8 v0, v20 offset:256
	;; [unrolled: 1-line block ×5, first 2 shown]
	s_waitcnt lgkmcnt(0)
	s_barrier
.LBB412_6:
	s_load_b64 s[8:9], s[0:1], 0x68
	s_and_not1_b32 vcc_lo, exec_lo, s3
	s_cbranch_vccnz .LBB412_20
; %bb.7:
	s_add_i32 s17, s17, s10
	v_dual_mov_b32 v18, 0 :: v_dual_mov_b32 v19, 0
	s_sub_i32 s2, s2, s17
	s_mov_b32 s3, exec_lo
	s_addk_i32 s2, 0x300
	s_delay_alu instid0(SALU_CYCLE_1)
	v_cmpx_gt_u32_e64 s2, v0
	s_cbranch_execz .LBB412_9
; %bb.8:
	v_lshlrev_b32_e32 v19, 3, v0
	global_load_b64 v[19:20], v19, s[12:13]
	s_waitcnt vmcnt(0)
	v_cmp_neq_f64_e32 vcc_lo, 0, v[19:20]
	v_cndmask_b32_e64 v19, 0, 1, vcc_lo
.LBB412_9:
	s_or_b32 exec_lo, exec_lo, s3
	v_or_b32_e32 v20, 0x80, v0
	s_mov_b32 s3, exec_lo
	s_delay_alu instid0(VALU_DEP_1)
	v_cmpx_gt_u32_e64 s2, v20
	s_cbranch_execz .LBB412_11
; %bb.10:
	v_lshlrev_b32_e32 v18, 3, v0
	global_load_b64 v[20:21], v18, s[12:13] offset:1024
	s_waitcnt vmcnt(0)
	v_cmp_neq_f64_e32 vcc_lo, 0, v[20:21]
	v_cndmask_b32_e64 v18, 0, 1, vcc_lo
.LBB412_11:
	s_or_b32 exec_lo, exec_lo, s3
	v_cmp_gt_u32_e32 vcc_lo, s2, v17
	v_dual_mov_b32 v17, 0 :: v_dual_mov_b32 v20, 0
	s_and_saveexec_b32 s3, vcc_lo
	s_cbranch_execz .LBB412_13
; %bb.12:
	v_lshlrev_b32_e32 v20, 3, v0
	global_load_b64 v[20:21], v20, s[12:13] offset:2048
	s_waitcnt vmcnt(0)
	v_cmp_neq_f64_e32 vcc_lo, 0, v[20:21]
	v_cndmask_b32_e64 v20, 0, 1, vcc_lo
.LBB412_13:
	s_or_b32 exec_lo, exec_lo, s3
	s_delay_alu instid0(SALU_CYCLE_1)
	s_mov_b32 s3, exec_lo
	v_cmpx_gt_u32_e64 s2, v16
	s_cbranch_execz .LBB412_15
; %bb.14:
	v_lshlrev_b32_e32 v16, 3, v0
	global_load_b64 v[16:17], v16, s[12:13] offset:3072
	s_waitcnt vmcnt(0)
	v_cmp_neq_f64_e32 vcc_lo, 0, v[16:17]
	v_cndmask_b32_e64 v17, 0, 1, vcc_lo
.LBB412_15:
	s_or_b32 exec_lo, exec_lo, s3
	v_dual_mov_b32 v16, 0 :: v_dual_mov_b32 v21, 0
	s_mov_b32 s3, exec_lo
	v_cmpx_gt_u32_e64 s2, v14
	s_cbranch_execz .LBB412_17
; %bb.16:
	v_lshlrev_b32_e32 v14, 3, v14
	global_load_b64 v[21:22], v14, s[12:13]
	s_waitcnt vmcnt(0)
	v_cmp_neq_f64_e32 vcc_lo, 0, v[21:22]
	v_cndmask_b32_e64 v21, 0, 1, vcc_lo
.LBB412_17:
	s_or_b32 exec_lo, exec_lo, s3
	v_cmp_gt_u32_e32 vcc_lo, s2, v13
	s_and_saveexec_b32 s2, vcc_lo
	s_cbranch_execz .LBB412_19
; %bb.18:
	v_lshlrev_b32_e32 v13, 3, v13
	global_load_b64 v[13:14], v13, s[12:13]
	s_waitcnt vmcnt(0)
	v_cmp_neq_f64_e32 vcc_lo, 0, v[13:14]
	v_cndmask_b32_e64 v16, 0, 1, vcc_lo
.LBB412_19:
	s_or_b32 exec_lo, exec_lo, s2
	ds_store_b8 v0, v19
	ds_store_b8 v0, v18 offset:128
	ds_store_b8 v0, v20 offset:256
	ds_store_b8 v0, v17 offset:384
	ds_store_b8 v0, v21 offset:512
	ds_store_b8 v0, v16 offset:640
	s_waitcnt lgkmcnt(0)
	s_barrier
.LBB412_20:
	v_mad_i32_i24 v43, 0xffffffd6, v0, v15
	s_waitcnt lgkmcnt(0)
	buffer_gl0_inv
	v_mbcnt_lo_u32_b32 v42, -1, 0
	s_cmp_lg_u32 s15, 0
	s_mov_b32 s3, -1
	ds_load_u16 v36, v43
	ds_load_u16 v33, v43 offset:2
	ds_load_u16 v31, v43 offset:4
	v_mov_b32_e32 v14, 0
	v_and_b32_e32 v44, 15, v42
	s_waitcnt lgkmcnt(0)
	s_barrier
	buffer_gl0_inv
	v_and_b32_e32 v41, 0xff, v36
	v_lshrrev_b16 v34, 8, v36
	v_lshrrev_b16 v35, 8, v33
	v_and_b32_e32 v39, 0xff, v33
	v_lshrrev_b16 v32, 8, v31
	v_and_b32_e32 v37, 0xff, v31
	v_and_b32_e32 v40, 0xffff, v34
	;; [unrolled: 1-line block ×3, first 2 shown]
	s_delay_alu instid0(VALU_DEP_4) | instskip(NEXT) | instid1(VALU_DEP_3)
	v_and_b32_e32 v16, 0xffff, v32
	v_add_co_u32 v13, s2, v40, v41
	s_delay_alu instid0(VALU_DEP_1) | instskip(SKIP_1) | instid1(VALU_DEP_3)
	v_add_co_ci_u32_e64 v15, null, 0, 0, s2
	v_cmp_ne_u32_e64 s2, 0, v44
	v_add_co_u32 v13, vcc_lo, v13, v39
	s_delay_alu instid0(VALU_DEP_3) | instskip(NEXT) | instid1(VALU_DEP_2)
	v_add_co_ci_u32_e32 v15, vcc_lo, 0, v15, vcc_lo
	v_add_co_u32 v13, vcc_lo, v13, v38
	s_delay_alu instid0(VALU_DEP_2) | instskip(NEXT) | instid1(VALU_DEP_2)
	v_add_co_ci_u32_e32 v15, vcc_lo, 0, v15, vcc_lo
	v_add_co_u32 v13, vcc_lo, v13, v37
	s_delay_alu instid0(VALU_DEP_2) | instskip(NEXT) | instid1(VALU_DEP_2)
	v_add_co_ci_u32_e32 v15, vcc_lo, 0, v15, vcc_lo
	v_add_co_u32 v21, vcc_lo, v13, v16
	s_delay_alu instid0(VALU_DEP_2)
	v_add_co_ci_u32_e32 v22, vcc_lo, 0, v15, vcc_lo
	s_cbranch_scc0 .LBB412_89
; %bb.21:
	s_delay_alu instid0(VALU_DEP_2)
	v_mov_b32_e32 v15, v21
	v_mov_b32_dpp v13, v21 row_shr:1 row_mask:0xf bank_mask:0xf
	v_mov_b32_dpp v18, v14 row_shr:1 row_mask:0xf bank_mask:0xf
	v_dual_mov_b32 v17, v21 :: v_dual_mov_b32 v16, v22
	s_and_saveexec_b32 s3, s2
; %bb.22:
	s_delay_alu instid0(VALU_DEP_3) | instskip(SKIP_1) | instid1(VALU_DEP_2)
	v_add_co_u32 v17, vcc_lo, v21, v13
	v_add_co_ci_u32_e32 v14, vcc_lo, 0, v22, vcc_lo
	v_add_co_u32 v13, vcc_lo, 0, v17
	s_delay_alu instid0(VALU_DEP_2) | instskip(NEXT) | instid1(VALU_DEP_1)
	v_add_co_ci_u32_e32 v14, vcc_lo, v18, v14, vcc_lo
	v_dual_mov_b32 v16, v14 :: v_dual_mov_b32 v15, v13
; %bb.23:
	s_or_b32 exec_lo, exec_lo, s3
	v_mov_b32_dpp v13, v17 row_shr:2 row_mask:0xf bank_mask:0xf
	v_mov_b32_dpp v18, v14 row_shr:2 row_mask:0xf bank_mask:0xf
	s_mov_b32 s3, exec_lo
	v_cmpx_lt_u32_e32 1, v44
; %bb.24:
	s_delay_alu instid0(VALU_DEP_3) | instskip(SKIP_1) | instid1(VALU_DEP_2)
	v_add_co_u32 v17, vcc_lo, v15, v13
	v_add_co_ci_u32_e32 v14, vcc_lo, 0, v16, vcc_lo
	v_add_co_u32 v13, vcc_lo, 0, v17
	s_delay_alu instid0(VALU_DEP_2) | instskip(NEXT) | instid1(VALU_DEP_1)
	v_add_co_ci_u32_e32 v14, vcc_lo, v18, v14, vcc_lo
	v_dual_mov_b32 v16, v14 :: v_dual_mov_b32 v15, v13
; %bb.25:
	s_or_b32 exec_lo, exec_lo, s3
	v_mov_b32_dpp v13, v17 row_shr:4 row_mask:0xf bank_mask:0xf
	v_mov_b32_dpp v18, v14 row_shr:4 row_mask:0xf bank_mask:0xf
	s_mov_b32 s3, exec_lo
	v_cmpx_lt_u32_e32 3, v44
	;; [unrolled: 14-line block ×3, first 2 shown]
; %bb.28:
	s_delay_alu instid0(VALU_DEP_3) | instskip(SKIP_1) | instid1(VALU_DEP_2)
	v_add_co_u32 v17, vcc_lo, v15, v18
	v_add_co_ci_u32_e32 v14, vcc_lo, 0, v16, vcc_lo
	v_add_co_u32 v15, vcc_lo, 0, v17
	s_delay_alu instid0(VALU_DEP_2) | instskip(NEXT) | instid1(VALU_DEP_1)
	v_add_co_ci_u32_e32 v16, vcc_lo, v13, v14, vcc_lo
	v_mov_b32_e32 v14, v16
; %bb.29:
	s_or_b32 exec_lo, exec_lo, s3
	ds_swizzle_b32 v13, v17 offset:swizzle(BROADCAST,32,15)
	ds_swizzle_b32 v18, v14 offset:swizzle(BROADCAST,32,15)
	v_and_b32_e32 v19, 16, v42
	s_mov_b32 s3, exec_lo
	s_delay_alu instid0(VALU_DEP_1)
	v_cmpx_ne_u32_e32 0, v19
	s_cbranch_execz .LBB412_31
; %bb.30:
	s_waitcnt lgkmcnt(1)
	v_add_co_u32 v17, vcc_lo, v15, v13
	v_add_co_ci_u32_e32 v14, vcc_lo, 0, v16, vcc_lo
	s_delay_alu instid0(VALU_DEP_2) | instskip(SKIP_1) | instid1(VALU_DEP_2)
	v_add_co_u32 v13, vcc_lo, 0, v17
	s_waitcnt lgkmcnt(0)
	v_add_co_ci_u32_e32 v14, vcc_lo, v18, v14, vcc_lo
	s_delay_alu instid0(VALU_DEP_1)
	v_dual_mov_b32 v16, v14 :: v_dual_mov_b32 v15, v13
.LBB412_31:
	s_or_b32 exec_lo, exec_lo, s3
	s_waitcnt lgkmcnt(0)
	v_or_b32_e32 v18, 31, v0
	v_lshrrev_b32_e32 v13, 5, v0
	s_mov_b32 s3, exec_lo
	s_delay_alu instid0(VALU_DEP_2)
	v_cmpx_eq_u32_e64 v18, v0
	s_cbranch_execz .LBB412_33
; %bb.32:
	s_delay_alu instid0(VALU_DEP_2)
	v_lshlrev_b32_e32 v18, 3, v13
	ds_store_b64 v18, v[15:16]
.LBB412_33:
	s_or_b32 exec_lo, exec_lo, s3
	s_delay_alu instid0(SALU_CYCLE_1)
	s_mov_b32 s3, exec_lo
	s_waitcnt lgkmcnt(0)
	s_barrier
	buffer_gl0_inv
	v_cmpx_gt_u32_e32 4, v0
	s_cbranch_execz .LBB412_39
; %bb.34:
	v_lshlrev_b32_e32 v18, 3, v0
	s_mov_b32 s10, exec_lo
	ds_load_b64 v[15:16], v18
	s_waitcnt lgkmcnt(0)
	v_dual_mov_b32 v20, v15 :: v_dual_and_b32 v19, 3, v42
	v_mov_b32_dpp v24, v15 row_shr:1 row_mask:0xf bank_mask:0xf
	v_mov_b32_dpp v23, v16 row_shr:1 row_mask:0xf bank_mask:0xf
	s_delay_alu instid0(VALU_DEP_3)
	v_cmpx_ne_u32_e32 0, v19
; %bb.35:
	s_delay_alu instid0(VALU_DEP_3) | instskip(SKIP_1) | instid1(VALU_DEP_2)
	v_add_co_u32 v20, vcc_lo, v15, v24
	v_add_co_ci_u32_e32 v16, vcc_lo, 0, v16, vcc_lo
	v_add_co_u32 v15, vcc_lo, 0, v20
	s_delay_alu instid0(VALU_DEP_2)
	v_add_co_ci_u32_e32 v16, vcc_lo, v23, v16, vcc_lo
; %bb.36:
	s_or_b32 exec_lo, exec_lo, s10
	v_mov_b32_dpp v23, v20 row_shr:2 row_mask:0xf bank_mask:0xf
	s_delay_alu instid0(VALU_DEP_2)
	v_mov_b32_dpp v20, v16 row_shr:2 row_mask:0xf bank_mask:0xf
	s_mov_b32 s10, exec_lo
	v_cmpx_lt_u32_e32 1, v19
; %bb.37:
	s_delay_alu instid0(VALU_DEP_3) | instskip(SKIP_1) | instid1(VALU_DEP_2)
	v_add_co_u32 v15, vcc_lo, v15, v23
	v_add_co_ci_u32_e32 v16, vcc_lo, 0, v16, vcc_lo
	v_add_co_u32 v15, vcc_lo, v15, 0
	s_delay_alu instid0(VALU_DEP_2)
	v_add_co_ci_u32_e32 v16, vcc_lo, v16, v20, vcc_lo
; %bb.38:
	s_or_b32 exec_lo, exec_lo, s10
	ds_store_b64 v18, v[15:16]
.LBB412_39:
	s_or_b32 exec_lo, exec_lo, s3
	v_cmp_gt_u32_e32 vcc_lo, 32, v0
	s_mov_b32 s10, exec_lo
	s_waitcnt lgkmcnt(0)
	s_barrier
	buffer_gl0_inv
                                        ; implicit-def: $vgpr23_vgpr24
	v_cmpx_lt_u32_e32 31, v0
	s_cbranch_execz .LBB412_41
; %bb.40:
	v_lshl_add_u32 v13, v13, 3, -8
	ds_load_b64 v[23:24], v13
	s_waitcnt lgkmcnt(0)
	v_add_co_u32 v17, s3, v17, v23
	s_delay_alu instid0(VALU_DEP_1)
	v_add_co_ci_u32_e64 v14, s3, v14, v24, s3
.LBB412_41:
	s_or_b32 exec_lo, exec_lo, s10
	v_add_nc_u32_e32 v13, -1, v42
	s_delay_alu instid0(VALU_DEP_1) | instskip(NEXT) | instid1(VALU_DEP_1)
	v_cmp_gt_i32_e64 s3, 0, v13
	v_cndmask_b32_e64 v13, v13, v42, s3
	v_cmp_eq_u32_e64 s3, 0, v42
	s_delay_alu instid0(VALU_DEP_2)
	v_lshlrev_b32_e32 v13, 2, v13
	ds_bpermute_b32 v29, v13, v17
	ds_bpermute_b32 v30, v13, v14
	s_and_saveexec_b32 s10, vcc_lo
	s_cbranch_execz .LBB412_84
; %bb.42:
	v_mov_b32_e32 v16, 0
	ds_load_b64 v[13:14], v16 offset:24
	s_and_saveexec_b32 s11, s3
	s_cbranch_execz .LBB412_44
; %bb.43:
	s_add_i32 s12, s15, 32
	s_mov_b32 s13, 0
	s_delay_alu instid0(SALU_CYCLE_1) | instskip(NEXT) | instid1(SALU_CYCLE_1)
	s_lshl_b64 s[12:13], s[12:13], 4
	s_add_u32 s12, s8, s12
	s_addc_u32 s13, s9, s13
	s_delay_alu instid0(SALU_CYCLE_1)
	v_dual_mov_b32 v15, 1 :: v_dual_mov_b32 v18, s13
	v_mov_b32_e32 v17, s12
	s_waitcnt lgkmcnt(0)
	;;#ASMSTART
	global_store_dwordx4 v[17:18], v[13:16] off	
s_waitcnt vmcnt(0)
	;;#ASMEND
.LBB412_44:
	s_or_b32 exec_lo, exec_lo, s11
	v_xad_u32 v25, v42, -1, s15
	s_mov_b32 s12, 0
	s_mov_b32 s11, exec_lo
	s_delay_alu instid0(VALU_DEP_1) | instskip(NEXT) | instid1(VALU_DEP_1)
	v_add_nc_u32_e32 v15, 32, v25
	v_lshlrev_b64 v[15:16], 4, v[15:16]
	s_delay_alu instid0(VALU_DEP_1) | instskip(NEXT) | instid1(VALU_DEP_2)
	v_add_co_u32 v15, vcc_lo, s8, v15
	v_add_co_ci_u32_e32 v16, vcc_lo, s9, v16, vcc_lo
	;;#ASMSTART
	global_load_dwordx4 v[17:20], v[15:16] off glc	
s_waitcnt vmcnt(0)
	;;#ASMEND
	v_and_b32_e32 v20, 0xff, v18
	v_and_b32_e32 v26, 0xff00, v18
	v_or3_b32 v17, v17, 0, 0
	v_and_b32_e32 v27, 0xff000000, v18
	v_and_b32_e32 v18, 0xff0000, v18
	s_delay_alu instid0(VALU_DEP_4) | instskip(SKIP_2) | instid1(VALU_DEP_3)
	v_or3_b32 v20, 0, v20, v26
	v_and_b32_e32 v26, 0xff, v19
	v_or3_b32 v17, v17, 0, 0
	v_or3_b32 v18, v20, v18, v27
	s_delay_alu instid0(VALU_DEP_3)
	v_cmpx_eq_u16_e32 0, v26
	s_cbranch_execz .LBB412_50
; %bb.45:
	s_mov_b32 s13, 1
	.p2align	6
.LBB412_46:                             ; =>This Loop Header: Depth=1
                                        ;     Child Loop BB412_47 Depth 2
	s_delay_alu instid0(SALU_CYCLE_1)
	s_max_u32 s17, s13, 1
.LBB412_47:                             ;   Parent Loop BB412_46 Depth=1
                                        ; =>  This Inner Loop Header: Depth=2
	s_delay_alu instid0(SALU_CYCLE_1)
	s_add_i32 s17, s17, -1
	s_sleep 1
	s_cmp_eq_u32 s17, 0
	s_cbranch_scc0 .LBB412_47
; %bb.48:                               ;   in Loop: Header=BB412_46 Depth=1
	;;#ASMSTART
	global_load_dwordx4 v[17:20], v[15:16] off glc	
s_waitcnt vmcnt(0)
	;;#ASMEND
	v_and_b32_e32 v20, 0xff, v19
	s_cmp_lt_u32 s13, 32
	s_cselect_b32 s17, -1, 0
	s_delay_alu instid0(SALU_CYCLE_1) | instskip(NEXT) | instid1(VALU_DEP_1)
	s_cmp_lg_u32 s17, 0
	v_cmp_ne_u16_e32 vcc_lo, 0, v20
	s_addc_u32 s13, s13, 0
	s_or_b32 s12, vcc_lo, s12
	s_delay_alu instid0(SALU_CYCLE_1)
	s_and_not1_b32 exec_lo, exec_lo, s12
	s_cbranch_execnz .LBB412_46
; %bb.49:
	s_or_b32 exec_lo, exec_lo, s12
.LBB412_50:
	s_delay_alu instid0(SALU_CYCLE_1)
	s_or_b32 exec_lo, exec_lo, s11
	v_cmp_ne_u32_e32 vcc_lo, 31, v42
	v_and_b32_e32 v16, 0xff, v19
	v_lshlrev_b32_e64 v46, v42, -1
	s_mov_b32 s11, exec_lo
	v_add_co_ci_u32_e32 v15, vcc_lo, 0, v42, vcc_lo
	s_delay_alu instid0(VALU_DEP_3) | instskip(NEXT) | instid1(VALU_DEP_2)
	v_cmp_eq_u16_e32 vcc_lo, 2, v16
	v_dual_mov_b32 v16, v17 :: v_dual_lshlrev_b32 v45, 2, v15
	v_and_or_b32 v15, vcc_lo, v46, 0x80000000
	ds_bpermute_b32 v26, v45, v17
	ds_bpermute_b32 v20, v45, v18
	v_ctz_i32_b32_e32 v15, v15
	s_delay_alu instid0(VALU_DEP_1)
	v_cmpx_lt_u32_e64 v42, v15
	s_cbranch_execz .LBB412_52
; %bb.51:
	s_waitcnt lgkmcnt(1)
	v_add_co_u32 v16, vcc_lo, v17, v26
	v_add_co_ci_u32_e32 v18, vcc_lo, 0, v18, vcc_lo
	s_delay_alu instid0(VALU_DEP_2) | instskip(SKIP_1) | instid1(VALU_DEP_2)
	v_add_co_u32 v17, vcc_lo, 0, v16
	s_waitcnt lgkmcnt(0)
	v_add_co_ci_u32_e32 v18, vcc_lo, v20, v18, vcc_lo
.LBB412_52:
	s_or_b32 exec_lo, exec_lo, s11
	v_cmp_gt_u32_e32 vcc_lo, 30, v42
	v_add_nc_u32_e32 v48, 2, v42
	s_mov_b32 s11, exec_lo
	s_waitcnt lgkmcnt(0)
	v_cndmask_b32_e64 v20, 0, 1, vcc_lo
	s_delay_alu instid0(VALU_DEP_1) | instskip(NEXT) | instid1(VALU_DEP_1)
	v_lshlrev_b32_e32 v20, 1, v20
	v_add_lshl_u32 v47, v20, v42, 2
	ds_bpermute_b32 v26, v47, v16
	ds_bpermute_b32 v20, v47, v18
	v_cmpx_le_u32_e64 v48, v15
	s_cbranch_execz .LBB412_54
; %bb.53:
	s_waitcnt lgkmcnt(1)
	v_add_co_u32 v16, vcc_lo, v17, v26
	v_add_co_ci_u32_e32 v18, vcc_lo, 0, v18, vcc_lo
	s_delay_alu instid0(VALU_DEP_2) | instskip(SKIP_1) | instid1(VALU_DEP_2)
	v_add_co_u32 v17, vcc_lo, 0, v16
	s_waitcnt lgkmcnt(0)
	v_add_co_ci_u32_e32 v18, vcc_lo, v20, v18, vcc_lo
.LBB412_54:
	s_or_b32 exec_lo, exec_lo, s11
	v_cmp_gt_u32_e32 vcc_lo, 28, v42
	v_add_nc_u32_e32 v50, 4, v42
	s_mov_b32 s11, exec_lo
	s_waitcnt lgkmcnt(0)
	v_cndmask_b32_e64 v20, 0, 1, vcc_lo
	s_delay_alu instid0(VALU_DEP_1) | instskip(NEXT) | instid1(VALU_DEP_1)
	v_lshlrev_b32_e32 v20, 2, v20
	v_add_lshl_u32 v49, v20, v42, 2
	ds_bpermute_b32 v26, v49, v16
	ds_bpermute_b32 v20, v49, v18
	v_cmpx_le_u32_e64 v50, v15
	;; [unrolled: 22-line block ×4, first 2 shown]
	s_cbranch_execz .LBB412_60
; %bb.59:
	s_waitcnt lgkmcnt(1)
	v_add_co_u32 v15, vcc_lo, v17, v20
	v_add_co_ci_u32_e32 v18, vcc_lo, 0, v18, vcc_lo
	s_delay_alu instid0(VALU_DEP_2) | instskip(SKIP_1) | instid1(VALU_DEP_2)
	v_add_co_u32 v17, vcc_lo, v15, 0
	s_waitcnt lgkmcnt(0)
	v_add_co_ci_u32_e32 v18, vcc_lo, v18, v16, vcc_lo
.LBB412_60:
	s_or_b32 exec_lo, exec_lo, s11
	v_mov_b32_e32 v26, 0
	s_branch .LBB412_62
.LBB412_61:                             ;   in Loop: Header=BB412_62 Depth=1
	s_or_b32 exec_lo, exec_lo, s11
	v_add_co_u32 v17, vcc_lo, v17, v15
	v_subrev_nc_u32_e32 v25, 32, v25
	v_add_co_ci_u32_e32 v18, vcc_lo, v18, v16, vcc_lo
.LBB412_62:                             ; =>This Loop Header: Depth=1
                                        ;     Child Loop BB412_65 Depth 2
                                        ;       Child Loop BB412_66 Depth 3
	v_and_b32_e32 v15, 0xff, v19
	s_delay_alu instid0(VALU_DEP_1) | instskip(SKIP_2) | instid1(VALU_DEP_1)
	v_cmp_ne_u16_e32 vcc_lo, 2, v15
	v_cndmask_b32_e64 v15, 0, 1, vcc_lo
	;;#ASMSTART
	;;#ASMEND
	v_cmp_ne_u32_e32 vcc_lo, 0, v15
	s_waitcnt lgkmcnt(0)
	v_dual_mov_b32 v15, v17 :: v_dual_mov_b32 v16, v18
	s_cmp_lg_u32 vcc_lo, exec_lo
	s_cbranch_scc1 .LBB412_79
; %bb.63:                               ;   in Loop: Header=BB412_62 Depth=1
	v_lshlrev_b64 v[17:18], 4, v[25:26]
	s_mov_b32 s11, exec_lo
	s_delay_alu instid0(VALU_DEP_1) | instskip(NEXT) | instid1(VALU_DEP_2)
	v_add_co_u32 v27, vcc_lo, s8, v17
	v_add_co_ci_u32_e32 v28, vcc_lo, s9, v18, vcc_lo
	;;#ASMSTART
	global_load_dwordx4 v[17:20], v[27:28] off glc	
s_waitcnt vmcnt(0)
	;;#ASMEND
	v_and_b32_e32 v20, 0xff, v18
	v_and_b32_e32 v55, 0xff00, v18
	v_or3_b32 v17, v17, 0, 0
	v_and_b32_e32 v56, 0xff000000, v18
	v_and_b32_e32 v18, 0xff0000, v18
	s_delay_alu instid0(VALU_DEP_4) | instskip(SKIP_2) | instid1(VALU_DEP_3)
	v_or3_b32 v20, 0, v20, v55
	v_and_b32_e32 v55, 0xff, v19
	v_or3_b32 v17, v17, 0, 0
	v_or3_b32 v18, v20, v18, v56
	s_delay_alu instid0(VALU_DEP_3)
	v_cmpx_eq_u16_e32 0, v55
	s_cbranch_execz .LBB412_69
; %bb.64:                               ;   in Loop: Header=BB412_62 Depth=1
	s_mov_b32 s13, 1
	s_mov_b32 s12, 0
	.p2align	6
.LBB412_65:                             ;   Parent Loop BB412_62 Depth=1
                                        ; =>  This Loop Header: Depth=2
                                        ;       Child Loop BB412_66 Depth 3
	s_max_u32 s17, s13, 1
.LBB412_66:                             ;   Parent Loop BB412_62 Depth=1
                                        ;     Parent Loop BB412_65 Depth=2
                                        ; =>    This Inner Loop Header: Depth=3
	s_delay_alu instid0(SALU_CYCLE_1)
	s_add_i32 s17, s17, -1
	s_sleep 1
	s_cmp_eq_u32 s17, 0
	s_cbranch_scc0 .LBB412_66
; %bb.67:                               ;   in Loop: Header=BB412_65 Depth=2
	;;#ASMSTART
	global_load_dwordx4 v[17:20], v[27:28] off glc	
s_waitcnt vmcnt(0)
	;;#ASMEND
	v_and_b32_e32 v20, 0xff, v19
	s_cmp_lt_u32 s13, 32
	s_cselect_b32 s17, -1, 0
	s_delay_alu instid0(SALU_CYCLE_1) | instskip(NEXT) | instid1(VALU_DEP_1)
	s_cmp_lg_u32 s17, 0
	v_cmp_ne_u16_e32 vcc_lo, 0, v20
	s_addc_u32 s13, s13, 0
	s_or_b32 s12, vcc_lo, s12
	s_delay_alu instid0(SALU_CYCLE_1)
	s_and_not1_b32 exec_lo, exec_lo, s12
	s_cbranch_execnz .LBB412_65
; %bb.68:                               ;   in Loop: Header=BB412_62 Depth=1
	s_or_b32 exec_lo, exec_lo, s12
.LBB412_69:                             ;   in Loop: Header=BB412_62 Depth=1
	s_delay_alu instid0(SALU_CYCLE_1)
	s_or_b32 exec_lo, exec_lo, s11
	v_dual_mov_b32 v27, v17 :: v_dual_and_b32 v20, 0xff, v19
	ds_bpermute_b32 v55, v45, v17
	ds_bpermute_b32 v28, v45, v18
	s_mov_b32 s11, exec_lo
	v_cmp_eq_u16_e32 vcc_lo, 2, v20
	v_and_or_b32 v20, vcc_lo, v46, 0x80000000
	s_delay_alu instid0(VALU_DEP_1) | instskip(NEXT) | instid1(VALU_DEP_1)
	v_ctz_i32_b32_e32 v20, v20
	v_cmpx_lt_u32_e64 v42, v20
	s_cbranch_execz .LBB412_71
; %bb.70:                               ;   in Loop: Header=BB412_62 Depth=1
	s_waitcnt lgkmcnt(1)
	v_add_co_u32 v27, vcc_lo, v17, v55
	v_add_co_ci_u32_e32 v18, vcc_lo, 0, v18, vcc_lo
	s_delay_alu instid0(VALU_DEP_2) | instskip(SKIP_1) | instid1(VALU_DEP_2)
	v_add_co_u32 v17, vcc_lo, 0, v27
	s_waitcnt lgkmcnt(0)
	v_add_co_ci_u32_e32 v18, vcc_lo, v28, v18, vcc_lo
.LBB412_71:                             ;   in Loop: Header=BB412_62 Depth=1
	s_or_b32 exec_lo, exec_lo, s11
	s_waitcnt lgkmcnt(1)
	ds_bpermute_b32 v55, v47, v27
	s_waitcnt lgkmcnt(1)
	ds_bpermute_b32 v28, v47, v18
	s_mov_b32 s11, exec_lo
	v_cmpx_le_u32_e64 v48, v20
	s_cbranch_execz .LBB412_73
; %bb.72:                               ;   in Loop: Header=BB412_62 Depth=1
	s_waitcnt lgkmcnt(1)
	v_add_co_u32 v27, vcc_lo, v17, v55
	v_add_co_ci_u32_e32 v18, vcc_lo, 0, v18, vcc_lo
	s_delay_alu instid0(VALU_DEP_2) | instskip(SKIP_1) | instid1(VALU_DEP_2)
	v_add_co_u32 v17, vcc_lo, 0, v27
	s_waitcnt lgkmcnt(0)
	v_add_co_ci_u32_e32 v18, vcc_lo, v28, v18, vcc_lo
.LBB412_73:                             ;   in Loop: Header=BB412_62 Depth=1
	s_or_b32 exec_lo, exec_lo, s11
	s_waitcnt lgkmcnt(1)
	ds_bpermute_b32 v55, v49, v27
	s_waitcnt lgkmcnt(1)
	ds_bpermute_b32 v28, v49, v18
	s_mov_b32 s11, exec_lo
	v_cmpx_le_u32_e64 v50, v20
	;; [unrolled: 17-line block ×3, first 2 shown]
	s_cbranch_execz .LBB412_77
; %bb.76:                               ;   in Loop: Header=BB412_62 Depth=1
	s_waitcnt lgkmcnt(1)
	v_add_co_u32 v27, vcc_lo, v17, v55
	v_add_co_ci_u32_e32 v18, vcc_lo, 0, v18, vcc_lo
	s_delay_alu instid0(VALU_DEP_2) | instskip(SKIP_1) | instid1(VALU_DEP_2)
	v_add_co_u32 v17, vcc_lo, 0, v27
	s_waitcnt lgkmcnt(0)
	v_add_co_ci_u32_e32 v18, vcc_lo, v28, v18, vcc_lo
.LBB412_77:                             ;   in Loop: Header=BB412_62 Depth=1
	s_or_b32 exec_lo, exec_lo, s11
	s_waitcnt lgkmcnt(0)
	ds_bpermute_b32 v28, v53, v27
	ds_bpermute_b32 v27, v53, v18
	s_mov_b32 s11, exec_lo
	v_cmpx_le_u32_e64 v54, v20
	s_cbranch_execz .LBB412_61
; %bb.78:                               ;   in Loop: Header=BB412_62 Depth=1
	s_waitcnt lgkmcnt(1)
	v_add_co_u32 v17, vcc_lo, v17, v28
	v_add_co_ci_u32_e32 v18, vcc_lo, 0, v18, vcc_lo
	s_delay_alu instid0(VALU_DEP_2) | instskip(SKIP_1) | instid1(VALU_DEP_2)
	v_add_co_u32 v17, vcc_lo, v17, 0
	s_waitcnt lgkmcnt(0)
	v_add_co_ci_u32_e32 v18, vcc_lo, v18, v27, vcc_lo
	s_branch .LBB412_61
.LBB412_79:                             ;   in Loop: Header=BB412_62 Depth=1
                                        ; implicit-def: $vgpr17_vgpr18
	s_cbranch_execz .LBB412_62
; %bb.80:
	s_and_saveexec_b32 s11, s3
	s_cbranch_execz .LBB412_82
; %bb.81:
	s_add_i32 s12, s15, 32
	s_mov_b32 s13, 0
	v_add_co_u32 v17, vcc_lo, v15, v13
	s_lshl_b64 s[12:13], s[12:13], 4
	v_dual_mov_b32 v19, 2 :: v_dual_mov_b32 v20, 0
	s_add_u32 s12, s8, s12
	s_addc_u32 s13, s9, s13
	v_add_co_ci_u32_e32 v18, vcc_lo, v16, v14, vcc_lo
	v_dual_mov_b32 v26, s13 :: v_dual_mov_b32 v25, s12
	;;#ASMSTART
	global_store_dwordx4 v[25:26], v[17:20] off	
s_waitcnt vmcnt(0)
	;;#ASMEND
	ds_store_b128 v20, v[13:16] offset:6144
.LBB412_82:
	s_or_b32 exec_lo, exec_lo, s11
	v_cmp_eq_u32_e32 vcc_lo, 0, v0
	s_and_b32 exec_lo, exec_lo, vcc_lo
	s_cbranch_execz .LBB412_84
; %bb.83:
	v_mov_b32_e32 v13, 0
	ds_store_b64 v13, v[15:16] offset:24
.LBB412_84:
	s_or_b32 exec_lo, exec_lo, s10
	s_waitcnt lgkmcnt(1)
	v_cndmask_b32_e64 v16, v29, v23, s3
	v_cmp_ne_u32_e32 vcc_lo, 0, v0
	v_mov_b32_e32 v15, 0
	s_waitcnt lgkmcnt(0)
	s_barrier
	buffer_gl0_inv
	v_cndmask_b32_e32 v16, 0, v16, vcc_lo
	ds_load_b64 v[13:14], v15 offset:24
	v_cndmask_b32_e64 v17, v30, v24, s3
	s_waitcnt lgkmcnt(0)
	s_barrier
	buffer_gl0_inv
	v_cndmask_b32_e32 v17, 0, v17, vcc_lo
	v_add_co_u32 v29, vcc_lo, v13, v16
	s_delay_alu instid0(VALU_DEP_2) | instskip(SKIP_3) | instid1(VALU_DEP_2)
	v_add_co_ci_u32_e32 v30, vcc_lo, v14, v17, vcc_lo
	ds_load_b128 v[13:16], v15 offset:6144
	v_add_co_u32 v27, vcc_lo, v29, v41
	v_add_co_ci_u32_e32 v28, vcc_lo, 0, v30, vcc_lo
	v_add_co_u32 v25, vcc_lo, v27, v40
	s_delay_alu instid0(VALU_DEP_2) | instskip(NEXT) | instid1(VALU_DEP_2)
	v_add_co_ci_u32_e32 v26, vcc_lo, 0, v28, vcc_lo
	v_add_co_u32 v23, vcc_lo, v25, v39
	s_delay_alu instid0(VALU_DEP_2) | instskip(NEXT) | instid1(VALU_DEP_2)
	;; [unrolled: 3-line block ×3, first 2 shown]
	v_add_co_ci_u32_e32 v20, vcc_lo, 0, v24, vcc_lo
	v_add_co_u32 v17, vcc_lo, v19, v37
	s_delay_alu instid0(VALU_DEP_2)
	v_add_co_ci_u32_e32 v18, vcc_lo, 0, v20, vcc_lo
	s_load_b64 s[10:11], s[0:1], 0x30
.LBB412_85:
	s_waitcnt lgkmcnt(0)
	v_cmp_gt_u64_e32 vcc_lo, 0x81, v[13:14]
	s_mov_b32 s0, -1
	s_cbranch_vccnz .LBB412_113
.LBB412_86:
	s_and_b32 vcc_lo, exec_lo, s0
	s_cbranch_vccnz .LBB412_132
.LBB412_87:
	v_cmp_eq_u32_e32 vcc_lo, 0, v0
	s_and_b32 s0, vcc_lo, s14
	s_delay_alu instid0(SALU_CYCLE_1)
	s_and_saveexec_b32 s1, s0
	s_cbranch_execnz .LBB412_148
.LBB412_88:
	s_nop 0
	s_sendmsg sendmsg(MSG_DEALLOC_VGPRS)
	s_endpgm
.LBB412_89:
                                        ; kill: def $vgpr13_vgpr14 killed $sgpr0_sgpr1 killed $exec
                                        ; implicit-def: $vgpr17_vgpr18
                                        ; implicit-def: $vgpr19_vgpr20
                                        ; implicit-def: $vgpr23_vgpr24
                                        ; implicit-def: $vgpr25_vgpr26
                                        ; implicit-def: $vgpr27_vgpr28
                                        ; implicit-def: $vgpr29_vgpr30
                                        ; implicit-def: $vgpr15_vgpr16
	s_load_b64 s[10:11], s[0:1], 0x30
	s_and_b32 vcc_lo, exec_lo, s3
	s_cbranch_vccz .LBB412_85
; %bb.90:
	s_waitcnt lgkmcnt(0)
	v_dual_mov_b32 v14, 0 :: v_dual_mov_b32 v15, v21
	v_mov_b32_dpp v16, v21 row_shr:1 row_mask:0xf bank_mask:0xf
	s_delay_alu instid0(VALU_DEP_2)
	v_mov_b32_dpp v13, v14 row_shr:1 row_mask:0xf bank_mask:0xf
	s_and_saveexec_b32 s0, s2
; %bb.91:
	s_delay_alu instid0(VALU_DEP_2) | instskip(SKIP_1) | instid1(VALU_DEP_2)
	v_add_co_u32 v15, vcc_lo, v21, v16
	v_add_co_ci_u32_e32 v14, vcc_lo, 0, v22, vcc_lo
	v_add_co_u32 v21, vcc_lo, 0, v15
	s_delay_alu instid0(VALU_DEP_2) | instskip(NEXT) | instid1(VALU_DEP_1)
	v_add_co_ci_u32_e32 v22, vcc_lo, v13, v14, vcc_lo
	v_mov_b32_e32 v14, v22
; %bb.92:
	s_or_b32 exec_lo, exec_lo, s0
	v_mov_b32_dpp v13, v15 row_shr:2 row_mask:0xf bank_mask:0xf
	s_delay_alu instid0(VALU_DEP_2)
	v_mov_b32_dpp v16, v14 row_shr:2 row_mask:0xf bank_mask:0xf
	s_mov_b32 s0, exec_lo
	v_cmpx_lt_u32_e32 1, v44
; %bb.93:
	s_delay_alu instid0(VALU_DEP_3) | instskip(SKIP_1) | instid1(VALU_DEP_2)
	v_add_co_u32 v15, vcc_lo, v21, v13
	v_add_co_ci_u32_e32 v14, vcc_lo, 0, v22, vcc_lo
	v_add_co_u32 v13, vcc_lo, 0, v15
	s_delay_alu instid0(VALU_DEP_2) | instskip(NEXT) | instid1(VALU_DEP_1)
	v_add_co_ci_u32_e32 v14, vcc_lo, v16, v14, vcc_lo
	v_dual_mov_b32 v22, v14 :: v_dual_mov_b32 v21, v13
; %bb.94:
	s_or_b32 exec_lo, exec_lo, s0
	v_mov_b32_dpp v13, v15 row_shr:4 row_mask:0xf bank_mask:0xf
	v_mov_b32_dpp v16, v14 row_shr:4 row_mask:0xf bank_mask:0xf
	s_mov_b32 s0, exec_lo
	v_cmpx_lt_u32_e32 3, v44
; %bb.95:
	s_delay_alu instid0(VALU_DEP_3) | instskip(SKIP_1) | instid1(VALU_DEP_2)
	v_add_co_u32 v15, vcc_lo, v21, v13
	v_add_co_ci_u32_e32 v14, vcc_lo, 0, v22, vcc_lo
	v_add_co_u32 v13, vcc_lo, 0, v15
	s_delay_alu instid0(VALU_DEP_2) | instskip(NEXT) | instid1(VALU_DEP_1)
	v_add_co_ci_u32_e32 v14, vcc_lo, v16, v14, vcc_lo
	v_dual_mov_b32 v22, v14 :: v_dual_mov_b32 v21, v13
; %bb.96:
	s_or_b32 exec_lo, exec_lo, s0
	v_mov_b32_dpp v16, v15 row_shr:8 row_mask:0xf bank_mask:0xf
	v_mov_b32_dpp v13, v14 row_shr:8 row_mask:0xf bank_mask:0xf
	s_mov_b32 s0, exec_lo
	v_cmpx_lt_u32_e32 7, v44
; %bb.97:
	s_delay_alu instid0(VALU_DEP_3) | instskip(SKIP_1) | instid1(VALU_DEP_2)
	v_add_co_u32 v15, vcc_lo, v21, v16
	v_add_co_ci_u32_e32 v14, vcc_lo, 0, v22, vcc_lo
	v_add_co_u32 v21, vcc_lo, 0, v15
	s_delay_alu instid0(VALU_DEP_2) | instskip(NEXT) | instid1(VALU_DEP_1)
	v_add_co_ci_u32_e32 v22, vcc_lo, v13, v14, vcc_lo
	v_mov_b32_e32 v14, v22
; %bb.98:
	s_or_b32 exec_lo, exec_lo, s0
	ds_swizzle_b32 v15, v15 offset:swizzle(BROADCAST,32,15)
	ds_swizzle_b32 v13, v14 offset:swizzle(BROADCAST,32,15)
	v_and_b32_e32 v14, 16, v42
	s_mov_b32 s0, exec_lo
	s_delay_alu instid0(VALU_DEP_1)
	v_cmpx_ne_u32_e32 0, v14
	s_cbranch_execz .LBB412_100
; %bb.99:
	s_waitcnt lgkmcnt(1)
	v_add_co_u32 v14, vcc_lo, v21, v15
	v_add_co_ci_u32_e32 v15, vcc_lo, 0, v22, vcc_lo
	s_delay_alu instid0(VALU_DEP_2) | instskip(SKIP_1) | instid1(VALU_DEP_2)
	v_add_co_u32 v21, vcc_lo, v14, 0
	s_waitcnt lgkmcnt(0)
	v_add_co_ci_u32_e32 v22, vcc_lo, v15, v13, vcc_lo
.LBB412_100:
	s_or_b32 exec_lo, exec_lo, s0
	s_waitcnt lgkmcnt(0)
	v_or_b32_e32 v13, 31, v0
	v_lshrrev_b32_e32 v15, 5, v0
	s_mov_b32 s0, exec_lo
	s_delay_alu instid0(VALU_DEP_2)
	v_cmpx_eq_u32_e64 v13, v0
	s_cbranch_execz .LBB412_102
; %bb.101:
	s_delay_alu instid0(VALU_DEP_2)
	v_lshlrev_b32_e32 v13, 3, v15
	ds_store_b64 v13, v[21:22]
.LBB412_102:
	s_or_b32 exec_lo, exec_lo, s0
	s_delay_alu instid0(SALU_CYCLE_1)
	s_mov_b32 s0, exec_lo
	s_waitcnt lgkmcnt(0)
	s_barrier
	buffer_gl0_inv
	v_cmpx_gt_u32_e32 4, v0
	s_cbranch_execz .LBB412_108
; %bb.103:
	v_lshlrev_b32_e32 v13, 1, v0
	s_mov_b32 s1, exec_lo
	s_delay_alu instid0(VALU_DEP_1)
	v_add_nc_u32_e32 v16, v43, v13
	ds_load_b64 v[13:14], v16
	s_waitcnt lgkmcnt(0)
	v_dual_mov_b32 v18, v13 :: v_dual_and_b32 v17, 3, v42
	v_mov_b32_dpp v20, v13 row_shr:1 row_mask:0xf bank_mask:0xf
	v_mov_b32_dpp v19, v14 row_shr:1 row_mask:0xf bank_mask:0xf
	s_delay_alu instid0(VALU_DEP_3)
	v_cmpx_ne_u32_e32 0, v17
; %bb.104:
	s_delay_alu instid0(VALU_DEP_3) | instskip(SKIP_1) | instid1(VALU_DEP_2)
	v_add_co_u32 v18, vcc_lo, v13, v20
	v_add_co_ci_u32_e32 v14, vcc_lo, 0, v14, vcc_lo
	v_add_co_u32 v13, vcc_lo, 0, v18
	s_delay_alu instid0(VALU_DEP_2)
	v_add_co_ci_u32_e32 v14, vcc_lo, v19, v14, vcc_lo
; %bb.105:
	s_or_b32 exec_lo, exec_lo, s1
	v_mov_b32_dpp v19, v18 row_shr:2 row_mask:0xf bank_mask:0xf
	s_delay_alu instid0(VALU_DEP_2)
	v_mov_b32_dpp v18, v14 row_shr:2 row_mask:0xf bank_mask:0xf
	s_mov_b32 s1, exec_lo
	v_cmpx_lt_u32_e32 1, v17
; %bb.106:
	s_delay_alu instid0(VALU_DEP_3) | instskip(SKIP_1) | instid1(VALU_DEP_2)
	v_add_co_u32 v13, vcc_lo, v13, v19
	v_add_co_ci_u32_e32 v14, vcc_lo, 0, v14, vcc_lo
	v_add_co_u32 v13, vcc_lo, v13, 0
	s_delay_alu instid0(VALU_DEP_2)
	v_add_co_ci_u32_e32 v14, vcc_lo, v14, v18, vcc_lo
; %bb.107:
	s_or_b32 exec_lo, exec_lo, s1
	ds_store_b64 v16, v[13:14]
.LBB412_108:
	s_or_b32 exec_lo, exec_lo, s0
	v_mov_b32_e32 v17, 0
	v_mov_b32_e32 v18, 0
	s_mov_b32 s0, exec_lo
	s_waitcnt lgkmcnt(0)
	s_barrier
	buffer_gl0_inv
	v_cmpx_lt_u32_e32 31, v0
	s_cbranch_execz .LBB412_110
; %bb.109:
	v_lshl_add_u32 v13, v15, 3, -8
	ds_load_b64 v[17:18], v13
.LBB412_110:
	s_or_b32 exec_lo, exec_lo, s0
	v_dual_mov_b32 v16, 0 :: v_dual_add_nc_u32 v13, -1, v42
	s_delay_alu instid0(VALU_DEP_1) | instskip(SKIP_4) | instid1(VALU_DEP_3)
	v_cmp_gt_i32_e32 vcc_lo, 0, v13
	v_cndmask_b32_e32 v13, v13, v42, vcc_lo
	s_waitcnt lgkmcnt(0)
	v_add_co_u32 v14, vcc_lo, v17, v21
	v_add_co_ci_u32_e32 v15, vcc_lo, v18, v22, vcc_lo
	v_lshlrev_b32_e32 v13, 2, v13
	v_cmp_eq_u32_e32 vcc_lo, 0, v0
	ds_bpermute_b32 v19, v13, v14
	ds_bpermute_b32 v20, v13, v15
	ds_load_b64 v[13:14], v16 offset:24
	s_and_saveexec_b32 s0, vcc_lo
	s_cbranch_execz .LBB412_112
; %bb.111:
	s_add_u32 s2, s8, 0x200
	s_addc_u32 s3, s9, 0
	s_delay_alu instid0(SALU_CYCLE_1)
	v_dual_mov_b32 v15, 2 :: v_dual_mov_b32 v22, s3
	v_mov_b32_e32 v21, s2
	s_waitcnt lgkmcnt(0)
	;;#ASMSTART
	global_store_dwordx4 v[21:22], v[13:16] off	
s_waitcnt vmcnt(0)
	;;#ASMEND
.LBB412_112:
	s_or_b32 exec_lo, exec_lo, s0
	v_cmp_eq_u32_e64 s0, 0, v42
	s_waitcnt lgkmcnt(0)
	s_barrier
	buffer_gl0_inv
	v_cndmask_b32_e64 v15, v19, v17, s0
	v_cndmask_b32_e64 v16, v20, v18, s0
	s_delay_alu instid0(VALU_DEP_2) | instskip(NEXT) | instid1(VALU_DEP_2)
	v_cndmask_b32_e64 v29, v15, 0, vcc_lo
	v_cndmask_b32_e64 v30, v16, 0, vcc_lo
	v_mov_b32_e32 v15, 0
	v_mov_b32_e32 v16, 0
	s_delay_alu instid0(VALU_DEP_4) | instskip(NEXT) | instid1(VALU_DEP_4)
	v_add_co_u32 v27, vcc_lo, v29, v41
	v_add_co_ci_u32_e32 v28, vcc_lo, 0, v30, vcc_lo
	s_delay_alu instid0(VALU_DEP_2) | instskip(NEXT) | instid1(VALU_DEP_2)
	v_add_co_u32 v25, vcc_lo, v27, v40
	v_add_co_ci_u32_e32 v26, vcc_lo, 0, v28, vcc_lo
	s_delay_alu instid0(VALU_DEP_2) | instskip(NEXT) | instid1(VALU_DEP_2)
	;; [unrolled: 3-line block ×4, first 2 shown]
	v_add_co_u32 v17, vcc_lo, v19, v37
	v_add_co_ci_u32_e32 v18, vcc_lo, 0, v20, vcc_lo
	v_cmp_gt_u64_e32 vcc_lo, 0x81, v[13:14]
	s_mov_b32 s0, -1
	s_cbranch_vccz .LBB412_86
.LBB412_113:
	v_add_co_u32 v21, vcc_lo, v15, v13
	v_add_co_ci_u32_e32 v22, vcc_lo, v16, v14, vcc_lo
	s_delay_alu instid0(VALU_DEP_1) | instskip(SKIP_1) | instid1(SALU_CYCLE_1)
	v_cmp_lt_u64_e32 vcc_lo, v[29:30], v[21:22]
	s_or_b32 s1, s16, vcc_lo
	s_and_saveexec_b32 s0, s1
	s_cbranch_execz .LBB412_116
; %bb.114:
	v_and_b32_e32 v37, 1, v36
	s_delay_alu instid0(VALU_DEP_1)
	v_cmp_eq_u32_e32 vcc_lo, 1, v37
	s_and_b32 exec_lo, exec_lo, vcc_lo
	s_cbranch_execz .LBB412_116
; %bb.115:
	v_lshlrev_b64 v[37:38], 3, v[29:30]
	s_lshl_b64 s[2:3], s[6:7], 3
	s_delay_alu instid0(SALU_CYCLE_1) | instskip(SKIP_1) | instid1(VALU_DEP_1)
	s_add_u32 s1, s10, s2
	s_addc_u32 s2, s11, s3
	v_add_co_u32 v37, vcc_lo, s1, v37
	s_delay_alu instid0(VALU_DEP_2)
	v_add_co_ci_u32_e32 v38, vcc_lo, s2, v38, vcc_lo
	global_store_b64 v[37:38], v[9:10], off
.LBB412_116:
	s_or_b32 exec_lo, exec_lo, s0
	v_cmp_lt_u64_e32 vcc_lo, v[27:28], v[21:22]
	s_or_b32 s1, s16, vcc_lo
	s_delay_alu instid0(SALU_CYCLE_1)
	s_and_saveexec_b32 s0, s1
	s_cbranch_execz .LBB412_119
; %bb.117:
	v_and_b32_e32 v30, 1, v34
	s_delay_alu instid0(VALU_DEP_1)
	v_cmp_eq_u32_e32 vcc_lo, 1, v30
	s_and_b32 exec_lo, exec_lo, vcc_lo
	s_cbranch_execz .LBB412_119
; %bb.118:
	v_lshlrev_b64 v[37:38], 3, v[27:28]
	s_lshl_b64 s[2:3], s[6:7], 3
	s_delay_alu instid0(SALU_CYCLE_1) | instskip(SKIP_1) | instid1(VALU_DEP_1)
	s_add_u32 s1, s10, s2
	s_addc_u32 s2, s11, s3
	v_add_co_u32 v37, vcc_lo, s1, v37
	s_delay_alu instid0(VALU_DEP_2)
	v_add_co_ci_u32_e32 v38, vcc_lo, s2, v38, vcc_lo
	global_store_b64 v[37:38], v[11:12], off
.LBB412_119:
	s_or_b32 exec_lo, exec_lo, s0
	v_cmp_lt_u64_e32 vcc_lo, v[25:26], v[21:22]
	s_or_b32 s1, s16, vcc_lo
	s_delay_alu instid0(SALU_CYCLE_1)
	;; [unrolled: 23-line block ×5, first 2 shown]
	s_and_saveexec_b32 s0, s1
	s_cbranch_execz .LBB412_131
; %bb.129:
	v_and_b32_e32 v20, 1, v32
	s_delay_alu instid0(VALU_DEP_1)
	v_cmp_eq_u32_e32 vcc_lo, 1, v20
	s_and_b32 exec_lo, exec_lo, vcc_lo
	s_cbranch_execz .LBB412_131
; %bb.130:
	v_lshlrev_b64 v[20:21], 3, v[17:18]
	s_lshl_b64 s[2:3], s[6:7], 3
	s_delay_alu instid0(SALU_CYCLE_1) | instskip(SKIP_1) | instid1(VALU_DEP_1)
	s_add_u32 s1, s10, s2
	s_addc_u32 s2, s11, s3
	v_add_co_u32 v20, vcc_lo, s1, v20
	s_delay_alu instid0(VALU_DEP_2)
	v_add_co_ci_u32_e32 v21, vcc_lo, s2, v21, vcc_lo
	global_store_b64 v[20:21], v[3:4], off
.LBB412_131:
	s_or_b32 exec_lo, exec_lo, s0
	s_branch .LBB412_87
.LBB412_132:
	v_and_b32_e32 v18, 1, v36
	s_mov_b32 s0, exec_lo
	s_delay_alu instid0(VALU_DEP_1)
	v_cmpx_eq_u32_e32 1, v18
	s_cbranch_execz .LBB412_134
; %bb.133:
	v_sub_nc_u32_e32 v18, v29, v15
	s_delay_alu instid0(VALU_DEP_1)
	v_lshlrev_b32_e32 v18, 3, v18
	ds_store_b64 v18, v[9:10]
.LBB412_134:
	s_or_b32 exec_lo, exec_lo, s0
	v_and_b32_e32 v9, 1, v34
	s_mov_b32 s0, exec_lo
	s_delay_alu instid0(VALU_DEP_1)
	v_cmpx_eq_u32_e32 1, v9
	s_cbranch_execz .LBB412_136
; %bb.135:
	v_sub_nc_u32_e32 v9, v27, v15
	s_delay_alu instid0(VALU_DEP_1)
	v_lshlrev_b32_e32 v9, 3, v9
	ds_store_b64 v9, v[11:12]
.LBB412_136:
	s_or_b32 exec_lo, exec_lo, s0
	;; [unrolled: 12-line block ×6, first 2 shown]
	v_mov_b32_e32 v3, 0
	s_mov_b32 s1, exec_lo
	s_waitcnt lgkmcnt(0)
	s_waitcnt_vscnt null, 0x0
	s_barrier
	buffer_gl0_inv
	v_mov_b32_e32 v1, v3
	s_delay_alu instid0(VALU_DEP_1)
	v_cmpx_gt_u64_e64 v[13:14], v[0:1]
	s_cbranch_execz .LBB412_147
; %bb.145:
	v_lshlrev_b64 v[4:5], 3, v[15:16]
	s_lshl_b64 s[2:3], s[6:7], 3
	v_or_b32_e32 v2, 0x80, v0
	s_delay_alu instid0(VALU_DEP_2) | instskip(NEXT) | instid1(VALU_DEP_3)
	v_add_co_u32 v4, vcc_lo, s10, v4
	v_add_co_ci_u32_e32 v5, vcc_lo, s11, v5, vcc_lo
	s_delay_alu instid0(VALU_DEP_2) | instskip(NEXT) | instid1(VALU_DEP_2)
	v_add_co_u32 v6, vcc_lo, v4, s2
	v_add_co_ci_u32_e32 v7, vcc_lo, s3, v5, vcc_lo
	v_dual_mov_b32 v5, v1 :: v_dual_mov_b32 v4, v0
	s_mov_b32 s2, 0
	.p2align	6
.LBB412_146:                            ; =>This Inner Loop Header: Depth=1
	s_delay_alu instid0(VALU_DEP_1) | instskip(NEXT) | instid1(VALU_DEP_2)
	v_lshlrev_b32_e32 v1, 3, v4
	v_lshlrev_b64 v[10:11], 3, v[4:5]
	v_dual_mov_b32 v5, v3 :: v_dual_mov_b32 v4, v2
	v_cmp_le_u64_e32 vcc_lo, v[13:14], v[2:3]
	v_add_nc_u32_e32 v2, 0x80, v2
	ds_load_b64 v[8:9], v1
	v_add_co_u32 v10, s0, v6, v10
	s_delay_alu instid0(VALU_DEP_1)
	v_add_co_ci_u32_e64 v11, s0, v7, v11, s0
	s_or_b32 s2, vcc_lo, s2
	s_waitcnt lgkmcnt(0)
	global_store_b64 v[10:11], v[8:9], off
	s_and_not1_b32 exec_lo, exec_lo, s2
	s_cbranch_execnz .LBB412_146
.LBB412_147:
	s_or_b32 exec_lo, exec_lo, s1
	v_cmp_eq_u32_e32 vcc_lo, 0, v0
	s_and_b32 s0, vcc_lo, s14
	s_delay_alu instid0(SALU_CYCLE_1)
	s_and_saveexec_b32 s1, s0
	s_cbranch_execz .LBB412_88
.LBB412_148:
	v_add_co_u32 v0, vcc_lo, v15, v13
	v_add_co_ci_u32_e32 v1, vcc_lo, v16, v14, vcc_lo
	v_mov_b32_e32 v2, 0
	s_delay_alu instid0(VALU_DEP_3) | instskip(NEXT) | instid1(VALU_DEP_3)
	v_add_co_u32 v0, vcc_lo, v0, s6
	v_add_co_ci_u32_e32 v1, vcc_lo, s7, v1, vcc_lo
	global_store_b64 v2, v[0:1], s[4:5]
	s_nop 0
	s_sendmsg sendmsg(MSG_DEALLOC_VGPRS)
	s_endpgm
	.section	.rodata,"a",@progbits
	.p2align	6, 0x0
	.amdhsa_kernel _ZN7rocprim17ROCPRIM_400000_NS6detail17trampoline_kernelINS0_14default_configENS1_25partition_config_selectorILNS1_17partition_subalgoE5ElNS0_10empty_typeEbEEZZNS1_14partition_implILS5_5ELb0ES3_mN6hipcub16HIPCUB_304000_NS21CountingInputIteratorIllEEPS6_NSA_22TransformInputIteratorIbN2at6native12_GLOBAL__N_19NonZeroOpIdEEPKdlEENS0_5tupleIJPlS6_EEENSN_IJSD_SD_EEES6_PiJS6_EEE10hipError_tPvRmT3_T4_T5_T6_T7_T9_mT8_P12ihipStream_tbDpT10_ENKUlT_T0_E_clISt17integral_constantIbLb1EES1A_IbLb0EEEEDaS16_S17_EUlS16_E_NS1_11comp_targetILNS1_3genE9ELNS1_11target_archE1100ELNS1_3gpuE3ELNS1_3repE0EEENS1_30default_config_static_selectorELNS0_4arch9wavefront6targetE0EEEvT1_
		.amdhsa_group_segment_fixed_size 6160
		.amdhsa_private_segment_fixed_size 0
		.amdhsa_kernarg_size 120
		.amdhsa_user_sgpr_count 15
		.amdhsa_user_sgpr_dispatch_ptr 0
		.amdhsa_user_sgpr_queue_ptr 0
		.amdhsa_user_sgpr_kernarg_segment_ptr 1
		.amdhsa_user_sgpr_dispatch_id 0
		.amdhsa_user_sgpr_private_segment_size 0
		.amdhsa_wavefront_size32 1
		.amdhsa_uses_dynamic_stack 0
		.amdhsa_enable_private_segment 0
		.amdhsa_system_sgpr_workgroup_id_x 1
		.amdhsa_system_sgpr_workgroup_id_y 0
		.amdhsa_system_sgpr_workgroup_id_z 0
		.amdhsa_system_sgpr_workgroup_info 0
		.amdhsa_system_vgpr_workitem_id 0
		.amdhsa_next_free_vgpr 57
		.amdhsa_next_free_sgpr 21
		.amdhsa_reserve_vcc 1
		.amdhsa_float_round_mode_32 0
		.amdhsa_float_round_mode_16_64 0
		.amdhsa_float_denorm_mode_32 3
		.amdhsa_float_denorm_mode_16_64 3
		.amdhsa_dx10_clamp 1
		.amdhsa_ieee_mode 1
		.amdhsa_fp16_overflow 0
		.amdhsa_workgroup_processor_mode 1
		.amdhsa_memory_ordered 1
		.amdhsa_forward_progress 0
		.amdhsa_shared_vgpr_count 0
		.amdhsa_exception_fp_ieee_invalid_op 0
		.amdhsa_exception_fp_denorm_src 0
		.amdhsa_exception_fp_ieee_div_zero 0
		.amdhsa_exception_fp_ieee_overflow 0
		.amdhsa_exception_fp_ieee_underflow 0
		.amdhsa_exception_fp_ieee_inexact 0
		.amdhsa_exception_int_div_zero 0
	.end_amdhsa_kernel
	.section	.text._ZN7rocprim17ROCPRIM_400000_NS6detail17trampoline_kernelINS0_14default_configENS1_25partition_config_selectorILNS1_17partition_subalgoE5ElNS0_10empty_typeEbEEZZNS1_14partition_implILS5_5ELb0ES3_mN6hipcub16HIPCUB_304000_NS21CountingInputIteratorIllEEPS6_NSA_22TransformInputIteratorIbN2at6native12_GLOBAL__N_19NonZeroOpIdEEPKdlEENS0_5tupleIJPlS6_EEENSN_IJSD_SD_EEES6_PiJS6_EEE10hipError_tPvRmT3_T4_T5_T6_T7_T9_mT8_P12ihipStream_tbDpT10_ENKUlT_T0_E_clISt17integral_constantIbLb1EES1A_IbLb0EEEEDaS16_S17_EUlS16_E_NS1_11comp_targetILNS1_3genE9ELNS1_11target_archE1100ELNS1_3gpuE3ELNS1_3repE0EEENS1_30default_config_static_selectorELNS0_4arch9wavefront6targetE0EEEvT1_,"axG",@progbits,_ZN7rocprim17ROCPRIM_400000_NS6detail17trampoline_kernelINS0_14default_configENS1_25partition_config_selectorILNS1_17partition_subalgoE5ElNS0_10empty_typeEbEEZZNS1_14partition_implILS5_5ELb0ES3_mN6hipcub16HIPCUB_304000_NS21CountingInputIteratorIllEEPS6_NSA_22TransformInputIteratorIbN2at6native12_GLOBAL__N_19NonZeroOpIdEEPKdlEENS0_5tupleIJPlS6_EEENSN_IJSD_SD_EEES6_PiJS6_EEE10hipError_tPvRmT3_T4_T5_T6_T7_T9_mT8_P12ihipStream_tbDpT10_ENKUlT_T0_E_clISt17integral_constantIbLb1EES1A_IbLb0EEEEDaS16_S17_EUlS16_E_NS1_11comp_targetILNS1_3genE9ELNS1_11target_archE1100ELNS1_3gpuE3ELNS1_3repE0EEENS1_30default_config_static_selectorELNS0_4arch9wavefront6targetE0EEEvT1_,comdat
.Lfunc_end412:
	.size	_ZN7rocprim17ROCPRIM_400000_NS6detail17trampoline_kernelINS0_14default_configENS1_25partition_config_selectorILNS1_17partition_subalgoE5ElNS0_10empty_typeEbEEZZNS1_14partition_implILS5_5ELb0ES3_mN6hipcub16HIPCUB_304000_NS21CountingInputIteratorIllEEPS6_NSA_22TransformInputIteratorIbN2at6native12_GLOBAL__N_19NonZeroOpIdEEPKdlEENS0_5tupleIJPlS6_EEENSN_IJSD_SD_EEES6_PiJS6_EEE10hipError_tPvRmT3_T4_T5_T6_T7_T9_mT8_P12ihipStream_tbDpT10_ENKUlT_T0_E_clISt17integral_constantIbLb1EES1A_IbLb0EEEEDaS16_S17_EUlS16_E_NS1_11comp_targetILNS1_3genE9ELNS1_11target_archE1100ELNS1_3gpuE3ELNS1_3repE0EEENS1_30default_config_static_selectorELNS0_4arch9wavefront6targetE0EEEvT1_, .Lfunc_end412-_ZN7rocprim17ROCPRIM_400000_NS6detail17trampoline_kernelINS0_14default_configENS1_25partition_config_selectorILNS1_17partition_subalgoE5ElNS0_10empty_typeEbEEZZNS1_14partition_implILS5_5ELb0ES3_mN6hipcub16HIPCUB_304000_NS21CountingInputIteratorIllEEPS6_NSA_22TransformInputIteratorIbN2at6native12_GLOBAL__N_19NonZeroOpIdEEPKdlEENS0_5tupleIJPlS6_EEENSN_IJSD_SD_EEES6_PiJS6_EEE10hipError_tPvRmT3_T4_T5_T6_T7_T9_mT8_P12ihipStream_tbDpT10_ENKUlT_T0_E_clISt17integral_constantIbLb1EES1A_IbLb0EEEEDaS16_S17_EUlS16_E_NS1_11comp_targetILNS1_3genE9ELNS1_11target_archE1100ELNS1_3gpuE3ELNS1_3repE0EEENS1_30default_config_static_selectorELNS0_4arch9wavefront6targetE0EEEvT1_
                                        ; -- End function
	.section	.AMDGPU.csdata,"",@progbits
; Kernel info:
; codeLenInByte = 6524
; NumSgprs: 23
; NumVgprs: 57
; ScratchSize: 0
; MemoryBound: 0
; FloatMode: 240
; IeeeMode: 1
; LDSByteSize: 6160 bytes/workgroup (compile time only)
; SGPRBlocks: 2
; VGPRBlocks: 7
; NumSGPRsForWavesPerEU: 23
; NumVGPRsForWavesPerEU: 57
; Occupancy: 16
; WaveLimiterHint : 1
; COMPUTE_PGM_RSRC2:SCRATCH_EN: 0
; COMPUTE_PGM_RSRC2:USER_SGPR: 15
; COMPUTE_PGM_RSRC2:TRAP_HANDLER: 0
; COMPUTE_PGM_RSRC2:TGID_X_EN: 1
; COMPUTE_PGM_RSRC2:TGID_Y_EN: 0
; COMPUTE_PGM_RSRC2:TGID_Z_EN: 0
; COMPUTE_PGM_RSRC2:TIDIG_COMP_CNT: 0
	.section	.text._ZN7rocprim17ROCPRIM_400000_NS6detail17trampoline_kernelINS0_14default_configENS1_25partition_config_selectorILNS1_17partition_subalgoE5ElNS0_10empty_typeEbEEZZNS1_14partition_implILS5_5ELb0ES3_mN6hipcub16HIPCUB_304000_NS21CountingInputIteratorIllEEPS6_NSA_22TransformInputIteratorIbN2at6native12_GLOBAL__N_19NonZeroOpIdEEPKdlEENS0_5tupleIJPlS6_EEENSN_IJSD_SD_EEES6_PiJS6_EEE10hipError_tPvRmT3_T4_T5_T6_T7_T9_mT8_P12ihipStream_tbDpT10_ENKUlT_T0_E_clISt17integral_constantIbLb1EES1A_IbLb0EEEEDaS16_S17_EUlS16_E_NS1_11comp_targetILNS1_3genE8ELNS1_11target_archE1030ELNS1_3gpuE2ELNS1_3repE0EEENS1_30default_config_static_selectorELNS0_4arch9wavefront6targetE0EEEvT1_,"axG",@progbits,_ZN7rocprim17ROCPRIM_400000_NS6detail17trampoline_kernelINS0_14default_configENS1_25partition_config_selectorILNS1_17partition_subalgoE5ElNS0_10empty_typeEbEEZZNS1_14partition_implILS5_5ELb0ES3_mN6hipcub16HIPCUB_304000_NS21CountingInputIteratorIllEEPS6_NSA_22TransformInputIteratorIbN2at6native12_GLOBAL__N_19NonZeroOpIdEEPKdlEENS0_5tupleIJPlS6_EEENSN_IJSD_SD_EEES6_PiJS6_EEE10hipError_tPvRmT3_T4_T5_T6_T7_T9_mT8_P12ihipStream_tbDpT10_ENKUlT_T0_E_clISt17integral_constantIbLb1EES1A_IbLb0EEEEDaS16_S17_EUlS16_E_NS1_11comp_targetILNS1_3genE8ELNS1_11target_archE1030ELNS1_3gpuE2ELNS1_3repE0EEENS1_30default_config_static_selectorELNS0_4arch9wavefront6targetE0EEEvT1_,comdat
	.globl	_ZN7rocprim17ROCPRIM_400000_NS6detail17trampoline_kernelINS0_14default_configENS1_25partition_config_selectorILNS1_17partition_subalgoE5ElNS0_10empty_typeEbEEZZNS1_14partition_implILS5_5ELb0ES3_mN6hipcub16HIPCUB_304000_NS21CountingInputIteratorIllEEPS6_NSA_22TransformInputIteratorIbN2at6native12_GLOBAL__N_19NonZeroOpIdEEPKdlEENS0_5tupleIJPlS6_EEENSN_IJSD_SD_EEES6_PiJS6_EEE10hipError_tPvRmT3_T4_T5_T6_T7_T9_mT8_P12ihipStream_tbDpT10_ENKUlT_T0_E_clISt17integral_constantIbLb1EES1A_IbLb0EEEEDaS16_S17_EUlS16_E_NS1_11comp_targetILNS1_3genE8ELNS1_11target_archE1030ELNS1_3gpuE2ELNS1_3repE0EEENS1_30default_config_static_selectorELNS0_4arch9wavefront6targetE0EEEvT1_ ; -- Begin function _ZN7rocprim17ROCPRIM_400000_NS6detail17trampoline_kernelINS0_14default_configENS1_25partition_config_selectorILNS1_17partition_subalgoE5ElNS0_10empty_typeEbEEZZNS1_14partition_implILS5_5ELb0ES3_mN6hipcub16HIPCUB_304000_NS21CountingInputIteratorIllEEPS6_NSA_22TransformInputIteratorIbN2at6native12_GLOBAL__N_19NonZeroOpIdEEPKdlEENS0_5tupleIJPlS6_EEENSN_IJSD_SD_EEES6_PiJS6_EEE10hipError_tPvRmT3_T4_T5_T6_T7_T9_mT8_P12ihipStream_tbDpT10_ENKUlT_T0_E_clISt17integral_constantIbLb1EES1A_IbLb0EEEEDaS16_S17_EUlS16_E_NS1_11comp_targetILNS1_3genE8ELNS1_11target_archE1030ELNS1_3gpuE2ELNS1_3repE0EEENS1_30default_config_static_selectorELNS0_4arch9wavefront6targetE0EEEvT1_
	.p2align	8
	.type	_ZN7rocprim17ROCPRIM_400000_NS6detail17trampoline_kernelINS0_14default_configENS1_25partition_config_selectorILNS1_17partition_subalgoE5ElNS0_10empty_typeEbEEZZNS1_14partition_implILS5_5ELb0ES3_mN6hipcub16HIPCUB_304000_NS21CountingInputIteratorIllEEPS6_NSA_22TransformInputIteratorIbN2at6native12_GLOBAL__N_19NonZeroOpIdEEPKdlEENS0_5tupleIJPlS6_EEENSN_IJSD_SD_EEES6_PiJS6_EEE10hipError_tPvRmT3_T4_T5_T6_T7_T9_mT8_P12ihipStream_tbDpT10_ENKUlT_T0_E_clISt17integral_constantIbLb1EES1A_IbLb0EEEEDaS16_S17_EUlS16_E_NS1_11comp_targetILNS1_3genE8ELNS1_11target_archE1030ELNS1_3gpuE2ELNS1_3repE0EEENS1_30default_config_static_selectorELNS0_4arch9wavefront6targetE0EEEvT1_,@function
_ZN7rocprim17ROCPRIM_400000_NS6detail17trampoline_kernelINS0_14default_configENS1_25partition_config_selectorILNS1_17partition_subalgoE5ElNS0_10empty_typeEbEEZZNS1_14partition_implILS5_5ELb0ES3_mN6hipcub16HIPCUB_304000_NS21CountingInputIteratorIllEEPS6_NSA_22TransformInputIteratorIbN2at6native12_GLOBAL__N_19NonZeroOpIdEEPKdlEENS0_5tupleIJPlS6_EEENSN_IJSD_SD_EEES6_PiJS6_EEE10hipError_tPvRmT3_T4_T5_T6_T7_T9_mT8_P12ihipStream_tbDpT10_ENKUlT_T0_E_clISt17integral_constantIbLb1EES1A_IbLb0EEEEDaS16_S17_EUlS16_E_NS1_11comp_targetILNS1_3genE8ELNS1_11target_archE1030ELNS1_3gpuE2ELNS1_3repE0EEENS1_30default_config_static_selectorELNS0_4arch9wavefront6targetE0EEEvT1_: ; @_ZN7rocprim17ROCPRIM_400000_NS6detail17trampoline_kernelINS0_14default_configENS1_25partition_config_selectorILNS1_17partition_subalgoE5ElNS0_10empty_typeEbEEZZNS1_14partition_implILS5_5ELb0ES3_mN6hipcub16HIPCUB_304000_NS21CountingInputIteratorIllEEPS6_NSA_22TransformInputIteratorIbN2at6native12_GLOBAL__N_19NonZeroOpIdEEPKdlEENS0_5tupleIJPlS6_EEENSN_IJSD_SD_EEES6_PiJS6_EEE10hipError_tPvRmT3_T4_T5_T6_T7_T9_mT8_P12ihipStream_tbDpT10_ENKUlT_T0_E_clISt17integral_constantIbLb1EES1A_IbLb0EEEEDaS16_S17_EUlS16_E_NS1_11comp_targetILNS1_3genE8ELNS1_11target_archE1030ELNS1_3gpuE2ELNS1_3repE0EEENS1_30default_config_static_selectorELNS0_4arch9wavefront6targetE0EEEvT1_
; %bb.0:
	.section	.rodata,"a",@progbits
	.p2align	6, 0x0
	.amdhsa_kernel _ZN7rocprim17ROCPRIM_400000_NS6detail17trampoline_kernelINS0_14default_configENS1_25partition_config_selectorILNS1_17partition_subalgoE5ElNS0_10empty_typeEbEEZZNS1_14partition_implILS5_5ELb0ES3_mN6hipcub16HIPCUB_304000_NS21CountingInputIteratorIllEEPS6_NSA_22TransformInputIteratorIbN2at6native12_GLOBAL__N_19NonZeroOpIdEEPKdlEENS0_5tupleIJPlS6_EEENSN_IJSD_SD_EEES6_PiJS6_EEE10hipError_tPvRmT3_T4_T5_T6_T7_T9_mT8_P12ihipStream_tbDpT10_ENKUlT_T0_E_clISt17integral_constantIbLb1EES1A_IbLb0EEEEDaS16_S17_EUlS16_E_NS1_11comp_targetILNS1_3genE8ELNS1_11target_archE1030ELNS1_3gpuE2ELNS1_3repE0EEENS1_30default_config_static_selectorELNS0_4arch9wavefront6targetE0EEEvT1_
		.amdhsa_group_segment_fixed_size 0
		.amdhsa_private_segment_fixed_size 0
		.amdhsa_kernarg_size 120
		.amdhsa_user_sgpr_count 15
		.amdhsa_user_sgpr_dispatch_ptr 0
		.amdhsa_user_sgpr_queue_ptr 0
		.amdhsa_user_sgpr_kernarg_segment_ptr 1
		.amdhsa_user_sgpr_dispatch_id 0
		.amdhsa_user_sgpr_private_segment_size 0
		.amdhsa_wavefront_size32 1
		.amdhsa_uses_dynamic_stack 0
		.amdhsa_enable_private_segment 0
		.amdhsa_system_sgpr_workgroup_id_x 1
		.amdhsa_system_sgpr_workgroup_id_y 0
		.amdhsa_system_sgpr_workgroup_id_z 0
		.amdhsa_system_sgpr_workgroup_info 0
		.amdhsa_system_vgpr_workitem_id 0
		.amdhsa_next_free_vgpr 1
		.amdhsa_next_free_sgpr 1
		.amdhsa_reserve_vcc 0
		.amdhsa_float_round_mode_32 0
		.amdhsa_float_round_mode_16_64 0
		.amdhsa_float_denorm_mode_32 3
		.amdhsa_float_denorm_mode_16_64 3
		.amdhsa_dx10_clamp 1
		.amdhsa_ieee_mode 1
		.amdhsa_fp16_overflow 0
		.amdhsa_workgroup_processor_mode 1
		.amdhsa_memory_ordered 1
		.amdhsa_forward_progress 0
		.amdhsa_shared_vgpr_count 0
		.amdhsa_exception_fp_ieee_invalid_op 0
		.amdhsa_exception_fp_denorm_src 0
		.amdhsa_exception_fp_ieee_div_zero 0
		.amdhsa_exception_fp_ieee_overflow 0
		.amdhsa_exception_fp_ieee_underflow 0
		.amdhsa_exception_fp_ieee_inexact 0
		.amdhsa_exception_int_div_zero 0
	.end_amdhsa_kernel
	.section	.text._ZN7rocprim17ROCPRIM_400000_NS6detail17trampoline_kernelINS0_14default_configENS1_25partition_config_selectorILNS1_17partition_subalgoE5ElNS0_10empty_typeEbEEZZNS1_14partition_implILS5_5ELb0ES3_mN6hipcub16HIPCUB_304000_NS21CountingInputIteratorIllEEPS6_NSA_22TransformInputIteratorIbN2at6native12_GLOBAL__N_19NonZeroOpIdEEPKdlEENS0_5tupleIJPlS6_EEENSN_IJSD_SD_EEES6_PiJS6_EEE10hipError_tPvRmT3_T4_T5_T6_T7_T9_mT8_P12ihipStream_tbDpT10_ENKUlT_T0_E_clISt17integral_constantIbLb1EES1A_IbLb0EEEEDaS16_S17_EUlS16_E_NS1_11comp_targetILNS1_3genE8ELNS1_11target_archE1030ELNS1_3gpuE2ELNS1_3repE0EEENS1_30default_config_static_selectorELNS0_4arch9wavefront6targetE0EEEvT1_,"axG",@progbits,_ZN7rocprim17ROCPRIM_400000_NS6detail17trampoline_kernelINS0_14default_configENS1_25partition_config_selectorILNS1_17partition_subalgoE5ElNS0_10empty_typeEbEEZZNS1_14partition_implILS5_5ELb0ES3_mN6hipcub16HIPCUB_304000_NS21CountingInputIteratorIllEEPS6_NSA_22TransformInputIteratorIbN2at6native12_GLOBAL__N_19NonZeroOpIdEEPKdlEENS0_5tupleIJPlS6_EEENSN_IJSD_SD_EEES6_PiJS6_EEE10hipError_tPvRmT3_T4_T5_T6_T7_T9_mT8_P12ihipStream_tbDpT10_ENKUlT_T0_E_clISt17integral_constantIbLb1EES1A_IbLb0EEEEDaS16_S17_EUlS16_E_NS1_11comp_targetILNS1_3genE8ELNS1_11target_archE1030ELNS1_3gpuE2ELNS1_3repE0EEENS1_30default_config_static_selectorELNS0_4arch9wavefront6targetE0EEEvT1_,comdat
.Lfunc_end413:
	.size	_ZN7rocprim17ROCPRIM_400000_NS6detail17trampoline_kernelINS0_14default_configENS1_25partition_config_selectorILNS1_17partition_subalgoE5ElNS0_10empty_typeEbEEZZNS1_14partition_implILS5_5ELb0ES3_mN6hipcub16HIPCUB_304000_NS21CountingInputIteratorIllEEPS6_NSA_22TransformInputIteratorIbN2at6native12_GLOBAL__N_19NonZeroOpIdEEPKdlEENS0_5tupleIJPlS6_EEENSN_IJSD_SD_EEES6_PiJS6_EEE10hipError_tPvRmT3_T4_T5_T6_T7_T9_mT8_P12ihipStream_tbDpT10_ENKUlT_T0_E_clISt17integral_constantIbLb1EES1A_IbLb0EEEEDaS16_S17_EUlS16_E_NS1_11comp_targetILNS1_3genE8ELNS1_11target_archE1030ELNS1_3gpuE2ELNS1_3repE0EEENS1_30default_config_static_selectorELNS0_4arch9wavefront6targetE0EEEvT1_, .Lfunc_end413-_ZN7rocprim17ROCPRIM_400000_NS6detail17trampoline_kernelINS0_14default_configENS1_25partition_config_selectorILNS1_17partition_subalgoE5ElNS0_10empty_typeEbEEZZNS1_14partition_implILS5_5ELb0ES3_mN6hipcub16HIPCUB_304000_NS21CountingInputIteratorIllEEPS6_NSA_22TransformInputIteratorIbN2at6native12_GLOBAL__N_19NonZeroOpIdEEPKdlEENS0_5tupleIJPlS6_EEENSN_IJSD_SD_EEES6_PiJS6_EEE10hipError_tPvRmT3_T4_T5_T6_T7_T9_mT8_P12ihipStream_tbDpT10_ENKUlT_T0_E_clISt17integral_constantIbLb1EES1A_IbLb0EEEEDaS16_S17_EUlS16_E_NS1_11comp_targetILNS1_3genE8ELNS1_11target_archE1030ELNS1_3gpuE2ELNS1_3repE0EEENS1_30default_config_static_selectorELNS0_4arch9wavefront6targetE0EEEvT1_
                                        ; -- End function
	.section	.AMDGPU.csdata,"",@progbits
; Kernel info:
; codeLenInByte = 0
; NumSgprs: 0
; NumVgprs: 0
; ScratchSize: 0
; MemoryBound: 0
; FloatMode: 240
; IeeeMode: 1
; LDSByteSize: 0 bytes/workgroup (compile time only)
; SGPRBlocks: 0
; VGPRBlocks: 0
; NumSGPRsForWavesPerEU: 1
; NumVGPRsForWavesPerEU: 1
; Occupancy: 16
; WaveLimiterHint : 0
; COMPUTE_PGM_RSRC2:SCRATCH_EN: 0
; COMPUTE_PGM_RSRC2:USER_SGPR: 15
; COMPUTE_PGM_RSRC2:TRAP_HANDLER: 0
; COMPUTE_PGM_RSRC2:TGID_X_EN: 1
; COMPUTE_PGM_RSRC2:TGID_Y_EN: 0
; COMPUTE_PGM_RSRC2:TGID_Z_EN: 0
; COMPUTE_PGM_RSRC2:TIDIG_COMP_CNT: 0
	.section	.text._ZN7rocprim17ROCPRIM_400000_NS6detail17trampoline_kernelINS0_14default_configENS1_25partition_config_selectorILNS1_17partition_subalgoE5ElNS0_10empty_typeEbEEZZNS1_14partition_implILS5_5ELb0ES3_mN6hipcub16HIPCUB_304000_NS21CountingInputIteratorIllEEPS6_NSA_22TransformInputIteratorIbN2at6native12_GLOBAL__N_19NonZeroOpIdEEPKdlEENS0_5tupleIJPlS6_EEENSN_IJSD_SD_EEES6_PiJS6_EEE10hipError_tPvRmT3_T4_T5_T6_T7_T9_mT8_P12ihipStream_tbDpT10_ENKUlT_T0_E_clISt17integral_constantIbLb0EES1A_IbLb1EEEEDaS16_S17_EUlS16_E_NS1_11comp_targetILNS1_3genE0ELNS1_11target_archE4294967295ELNS1_3gpuE0ELNS1_3repE0EEENS1_30default_config_static_selectorELNS0_4arch9wavefront6targetE0EEEvT1_,"axG",@progbits,_ZN7rocprim17ROCPRIM_400000_NS6detail17trampoline_kernelINS0_14default_configENS1_25partition_config_selectorILNS1_17partition_subalgoE5ElNS0_10empty_typeEbEEZZNS1_14partition_implILS5_5ELb0ES3_mN6hipcub16HIPCUB_304000_NS21CountingInputIteratorIllEEPS6_NSA_22TransformInputIteratorIbN2at6native12_GLOBAL__N_19NonZeroOpIdEEPKdlEENS0_5tupleIJPlS6_EEENSN_IJSD_SD_EEES6_PiJS6_EEE10hipError_tPvRmT3_T4_T5_T6_T7_T9_mT8_P12ihipStream_tbDpT10_ENKUlT_T0_E_clISt17integral_constantIbLb0EES1A_IbLb1EEEEDaS16_S17_EUlS16_E_NS1_11comp_targetILNS1_3genE0ELNS1_11target_archE4294967295ELNS1_3gpuE0ELNS1_3repE0EEENS1_30default_config_static_selectorELNS0_4arch9wavefront6targetE0EEEvT1_,comdat
	.globl	_ZN7rocprim17ROCPRIM_400000_NS6detail17trampoline_kernelINS0_14default_configENS1_25partition_config_selectorILNS1_17partition_subalgoE5ElNS0_10empty_typeEbEEZZNS1_14partition_implILS5_5ELb0ES3_mN6hipcub16HIPCUB_304000_NS21CountingInputIteratorIllEEPS6_NSA_22TransformInputIteratorIbN2at6native12_GLOBAL__N_19NonZeroOpIdEEPKdlEENS0_5tupleIJPlS6_EEENSN_IJSD_SD_EEES6_PiJS6_EEE10hipError_tPvRmT3_T4_T5_T6_T7_T9_mT8_P12ihipStream_tbDpT10_ENKUlT_T0_E_clISt17integral_constantIbLb0EES1A_IbLb1EEEEDaS16_S17_EUlS16_E_NS1_11comp_targetILNS1_3genE0ELNS1_11target_archE4294967295ELNS1_3gpuE0ELNS1_3repE0EEENS1_30default_config_static_selectorELNS0_4arch9wavefront6targetE0EEEvT1_ ; -- Begin function _ZN7rocprim17ROCPRIM_400000_NS6detail17trampoline_kernelINS0_14default_configENS1_25partition_config_selectorILNS1_17partition_subalgoE5ElNS0_10empty_typeEbEEZZNS1_14partition_implILS5_5ELb0ES3_mN6hipcub16HIPCUB_304000_NS21CountingInputIteratorIllEEPS6_NSA_22TransformInputIteratorIbN2at6native12_GLOBAL__N_19NonZeroOpIdEEPKdlEENS0_5tupleIJPlS6_EEENSN_IJSD_SD_EEES6_PiJS6_EEE10hipError_tPvRmT3_T4_T5_T6_T7_T9_mT8_P12ihipStream_tbDpT10_ENKUlT_T0_E_clISt17integral_constantIbLb0EES1A_IbLb1EEEEDaS16_S17_EUlS16_E_NS1_11comp_targetILNS1_3genE0ELNS1_11target_archE4294967295ELNS1_3gpuE0ELNS1_3repE0EEENS1_30default_config_static_selectorELNS0_4arch9wavefront6targetE0EEEvT1_
	.p2align	8
	.type	_ZN7rocprim17ROCPRIM_400000_NS6detail17trampoline_kernelINS0_14default_configENS1_25partition_config_selectorILNS1_17partition_subalgoE5ElNS0_10empty_typeEbEEZZNS1_14partition_implILS5_5ELb0ES3_mN6hipcub16HIPCUB_304000_NS21CountingInputIteratorIllEEPS6_NSA_22TransformInputIteratorIbN2at6native12_GLOBAL__N_19NonZeroOpIdEEPKdlEENS0_5tupleIJPlS6_EEENSN_IJSD_SD_EEES6_PiJS6_EEE10hipError_tPvRmT3_T4_T5_T6_T7_T9_mT8_P12ihipStream_tbDpT10_ENKUlT_T0_E_clISt17integral_constantIbLb0EES1A_IbLb1EEEEDaS16_S17_EUlS16_E_NS1_11comp_targetILNS1_3genE0ELNS1_11target_archE4294967295ELNS1_3gpuE0ELNS1_3repE0EEENS1_30default_config_static_selectorELNS0_4arch9wavefront6targetE0EEEvT1_,@function
_ZN7rocprim17ROCPRIM_400000_NS6detail17trampoline_kernelINS0_14default_configENS1_25partition_config_selectorILNS1_17partition_subalgoE5ElNS0_10empty_typeEbEEZZNS1_14partition_implILS5_5ELb0ES3_mN6hipcub16HIPCUB_304000_NS21CountingInputIteratorIllEEPS6_NSA_22TransformInputIteratorIbN2at6native12_GLOBAL__N_19NonZeroOpIdEEPKdlEENS0_5tupleIJPlS6_EEENSN_IJSD_SD_EEES6_PiJS6_EEE10hipError_tPvRmT3_T4_T5_T6_T7_T9_mT8_P12ihipStream_tbDpT10_ENKUlT_T0_E_clISt17integral_constantIbLb0EES1A_IbLb1EEEEDaS16_S17_EUlS16_E_NS1_11comp_targetILNS1_3genE0ELNS1_11target_archE4294967295ELNS1_3gpuE0ELNS1_3repE0EEENS1_30default_config_static_selectorELNS0_4arch9wavefront6targetE0EEEvT1_: ; @_ZN7rocprim17ROCPRIM_400000_NS6detail17trampoline_kernelINS0_14default_configENS1_25partition_config_selectorILNS1_17partition_subalgoE5ElNS0_10empty_typeEbEEZZNS1_14partition_implILS5_5ELb0ES3_mN6hipcub16HIPCUB_304000_NS21CountingInputIteratorIllEEPS6_NSA_22TransformInputIteratorIbN2at6native12_GLOBAL__N_19NonZeroOpIdEEPKdlEENS0_5tupleIJPlS6_EEENSN_IJSD_SD_EEES6_PiJS6_EEE10hipError_tPvRmT3_T4_T5_T6_T7_T9_mT8_P12ihipStream_tbDpT10_ENKUlT_T0_E_clISt17integral_constantIbLb0EES1A_IbLb1EEEEDaS16_S17_EUlS16_E_NS1_11comp_targetILNS1_3genE0ELNS1_11target_archE4294967295ELNS1_3gpuE0ELNS1_3repE0EEENS1_30default_config_static_selectorELNS0_4arch9wavefront6targetE0EEEvT1_
; %bb.0:
	.section	.rodata,"a",@progbits
	.p2align	6, 0x0
	.amdhsa_kernel _ZN7rocprim17ROCPRIM_400000_NS6detail17trampoline_kernelINS0_14default_configENS1_25partition_config_selectorILNS1_17partition_subalgoE5ElNS0_10empty_typeEbEEZZNS1_14partition_implILS5_5ELb0ES3_mN6hipcub16HIPCUB_304000_NS21CountingInputIteratorIllEEPS6_NSA_22TransformInputIteratorIbN2at6native12_GLOBAL__N_19NonZeroOpIdEEPKdlEENS0_5tupleIJPlS6_EEENSN_IJSD_SD_EEES6_PiJS6_EEE10hipError_tPvRmT3_T4_T5_T6_T7_T9_mT8_P12ihipStream_tbDpT10_ENKUlT_T0_E_clISt17integral_constantIbLb0EES1A_IbLb1EEEEDaS16_S17_EUlS16_E_NS1_11comp_targetILNS1_3genE0ELNS1_11target_archE4294967295ELNS1_3gpuE0ELNS1_3repE0EEENS1_30default_config_static_selectorELNS0_4arch9wavefront6targetE0EEEvT1_
		.amdhsa_group_segment_fixed_size 0
		.amdhsa_private_segment_fixed_size 0
		.amdhsa_kernarg_size 136
		.amdhsa_user_sgpr_count 15
		.amdhsa_user_sgpr_dispatch_ptr 0
		.amdhsa_user_sgpr_queue_ptr 0
		.amdhsa_user_sgpr_kernarg_segment_ptr 1
		.amdhsa_user_sgpr_dispatch_id 0
		.amdhsa_user_sgpr_private_segment_size 0
		.amdhsa_wavefront_size32 1
		.amdhsa_uses_dynamic_stack 0
		.amdhsa_enable_private_segment 0
		.amdhsa_system_sgpr_workgroup_id_x 1
		.amdhsa_system_sgpr_workgroup_id_y 0
		.amdhsa_system_sgpr_workgroup_id_z 0
		.amdhsa_system_sgpr_workgroup_info 0
		.amdhsa_system_vgpr_workitem_id 0
		.amdhsa_next_free_vgpr 1
		.amdhsa_next_free_sgpr 1
		.amdhsa_reserve_vcc 0
		.amdhsa_float_round_mode_32 0
		.amdhsa_float_round_mode_16_64 0
		.amdhsa_float_denorm_mode_32 3
		.amdhsa_float_denorm_mode_16_64 3
		.amdhsa_dx10_clamp 1
		.amdhsa_ieee_mode 1
		.amdhsa_fp16_overflow 0
		.amdhsa_workgroup_processor_mode 1
		.amdhsa_memory_ordered 1
		.amdhsa_forward_progress 0
		.amdhsa_shared_vgpr_count 0
		.amdhsa_exception_fp_ieee_invalid_op 0
		.amdhsa_exception_fp_denorm_src 0
		.amdhsa_exception_fp_ieee_div_zero 0
		.amdhsa_exception_fp_ieee_overflow 0
		.amdhsa_exception_fp_ieee_underflow 0
		.amdhsa_exception_fp_ieee_inexact 0
		.amdhsa_exception_int_div_zero 0
	.end_amdhsa_kernel
	.section	.text._ZN7rocprim17ROCPRIM_400000_NS6detail17trampoline_kernelINS0_14default_configENS1_25partition_config_selectorILNS1_17partition_subalgoE5ElNS0_10empty_typeEbEEZZNS1_14partition_implILS5_5ELb0ES3_mN6hipcub16HIPCUB_304000_NS21CountingInputIteratorIllEEPS6_NSA_22TransformInputIteratorIbN2at6native12_GLOBAL__N_19NonZeroOpIdEEPKdlEENS0_5tupleIJPlS6_EEENSN_IJSD_SD_EEES6_PiJS6_EEE10hipError_tPvRmT3_T4_T5_T6_T7_T9_mT8_P12ihipStream_tbDpT10_ENKUlT_T0_E_clISt17integral_constantIbLb0EES1A_IbLb1EEEEDaS16_S17_EUlS16_E_NS1_11comp_targetILNS1_3genE0ELNS1_11target_archE4294967295ELNS1_3gpuE0ELNS1_3repE0EEENS1_30default_config_static_selectorELNS0_4arch9wavefront6targetE0EEEvT1_,"axG",@progbits,_ZN7rocprim17ROCPRIM_400000_NS6detail17trampoline_kernelINS0_14default_configENS1_25partition_config_selectorILNS1_17partition_subalgoE5ElNS0_10empty_typeEbEEZZNS1_14partition_implILS5_5ELb0ES3_mN6hipcub16HIPCUB_304000_NS21CountingInputIteratorIllEEPS6_NSA_22TransformInputIteratorIbN2at6native12_GLOBAL__N_19NonZeroOpIdEEPKdlEENS0_5tupleIJPlS6_EEENSN_IJSD_SD_EEES6_PiJS6_EEE10hipError_tPvRmT3_T4_T5_T6_T7_T9_mT8_P12ihipStream_tbDpT10_ENKUlT_T0_E_clISt17integral_constantIbLb0EES1A_IbLb1EEEEDaS16_S17_EUlS16_E_NS1_11comp_targetILNS1_3genE0ELNS1_11target_archE4294967295ELNS1_3gpuE0ELNS1_3repE0EEENS1_30default_config_static_selectorELNS0_4arch9wavefront6targetE0EEEvT1_,comdat
.Lfunc_end414:
	.size	_ZN7rocprim17ROCPRIM_400000_NS6detail17trampoline_kernelINS0_14default_configENS1_25partition_config_selectorILNS1_17partition_subalgoE5ElNS0_10empty_typeEbEEZZNS1_14partition_implILS5_5ELb0ES3_mN6hipcub16HIPCUB_304000_NS21CountingInputIteratorIllEEPS6_NSA_22TransformInputIteratorIbN2at6native12_GLOBAL__N_19NonZeroOpIdEEPKdlEENS0_5tupleIJPlS6_EEENSN_IJSD_SD_EEES6_PiJS6_EEE10hipError_tPvRmT3_T4_T5_T6_T7_T9_mT8_P12ihipStream_tbDpT10_ENKUlT_T0_E_clISt17integral_constantIbLb0EES1A_IbLb1EEEEDaS16_S17_EUlS16_E_NS1_11comp_targetILNS1_3genE0ELNS1_11target_archE4294967295ELNS1_3gpuE0ELNS1_3repE0EEENS1_30default_config_static_selectorELNS0_4arch9wavefront6targetE0EEEvT1_, .Lfunc_end414-_ZN7rocprim17ROCPRIM_400000_NS6detail17trampoline_kernelINS0_14default_configENS1_25partition_config_selectorILNS1_17partition_subalgoE5ElNS0_10empty_typeEbEEZZNS1_14partition_implILS5_5ELb0ES3_mN6hipcub16HIPCUB_304000_NS21CountingInputIteratorIllEEPS6_NSA_22TransformInputIteratorIbN2at6native12_GLOBAL__N_19NonZeroOpIdEEPKdlEENS0_5tupleIJPlS6_EEENSN_IJSD_SD_EEES6_PiJS6_EEE10hipError_tPvRmT3_T4_T5_T6_T7_T9_mT8_P12ihipStream_tbDpT10_ENKUlT_T0_E_clISt17integral_constantIbLb0EES1A_IbLb1EEEEDaS16_S17_EUlS16_E_NS1_11comp_targetILNS1_3genE0ELNS1_11target_archE4294967295ELNS1_3gpuE0ELNS1_3repE0EEENS1_30default_config_static_selectorELNS0_4arch9wavefront6targetE0EEEvT1_
                                        ; -- End function
	.section	.AMDGPU.csdata,"",@progbits
; Kernel info:
; codeLenInByte = 0
; NumSgprs: 0
; NumVgprs: 0
; ScratchSize: 0
; MemoryBound: 0
; FloatMode: 240
; IeeeMode: 1
; LDSByteSize: 0 bytes/workgroup (compile time only)
; SGPRBlocks: 0
; VGPRBlocks: 0
; NumSGPRsForWavesPerEU: 1
; NumVGPRsForWavesPerEU: 1
; Occupancy: 16
; WaveLimiterHint : 0
; COMPUTE_PGM_RSRC2:SCRATCH_EN: 0
; COMPUTE_PGM_RSRC2:USER_SGPR: 15
; COMPUTE_PGM_RSRC2:TRAP_HANDLER: 0
; COMPUTE_PGM_RSRC2:TGID_X_EN: 1
; COMPUTE_PGM_RSRC2:TGID_Y_EN: 0
; COMPUTE_PGM_RSRC2:TGID_Z_EN: 0
; COMPUTE_PGM_RSRC2:TIDIG_COMP_CNT: 0
	.section	.text._ZN7rocprim17ROCPRIM_400000_NS6detail17trampoline_kernelINS0_14default_configENS1_25partition_config_selectorILNS1_17partition_subalgoE5ElNS0_10empty_typeEbEEZZNS1_14partition_implILS5_5ELb0ES3_mN6hipcub16HIPCUB_304000_NS21CountingInputIteratorIllEEPS6_NSA_22TransformInputIteratorIbN2at6native12_GLOBAL__N_19NonZeroOpIdEEPKdlEENS0_5tupleIJPlS6_EEENSN_IJSD_SD_EEES6_PiJS6_EEE10hipError_tPvRmT3_T4_T5_T6_T7_T9_mT8_P12ihipStream_tbDpT10_ENKUlT_T0_E_clISt17integral_constantIbLb0EES1A_IbLb1EEEEDaS16_S17_EUlS16_E_NS1_11comp_targetILNS1_3genE5ELNS1_11target_archE942ELNS1_3gpuE9ELNS1_3repE0EEENS1_30default_config_static_selectorELNS0_4arch9wavefront6targetE0EEEvT1_,"axG",@progbits,_ZN7rocprim17ROCPRIM_400000_NS6detail17trampoline_kernelINS0_14default_configENS1_25partition_config_selectorILNS1_17partition_subalgoE5ElNS0_10empty_typeEbEEZZNS1_14partition_implILS5_5ELb0ES3_mN6hipcub16HIPCUB_304000_NS21CountingInputIteratorIllEEPS6_NSA_22TransformInputIteratorIbN2at6native12_GLOBAL__N_19NonZeroOpIdEEPKdlEENS0_5tupleIJPlS6_EEENSN_IJSD_SD_EEES6_PiJS6_EEE10hipError_tPvRmT3_T4_T5_T6_T7_T9_mT8_P12ihipStream_tbDpT10_ENKUlT_T0_E_clISt17integral_constantIbLb0EES1A_IbLb1EEEEDaS16_S17_EUlS16_E_NS1_11comp_targetILNS1_3genE5ELNS1_11target_archE942ELNS1_3gpuE9ELNS1_3repE0EEENS1_30default_config_static_selectorELNS0_4arch9wavefront6targetE0EEEvT1_,comdat
	.globl	_ZN7rocprim17ROCPRIM_400000_NS6detail17trampoline_kernelINS0_14default_configENS1_25partition_config_selectorILNS1_17partition_subalgoE5ElNS0_10empty_typeEbEEZZNS1_14partition_implILS5_5ELb0ES3_mN6hipcub16HIPCUB_304000_NS21CountingInputIteratorIllEEPS6_NSA_22TransformInputIteratorIbN2at6native12_GLOBAL__N_19NonZeroOpIdEEPKdlEENS0_5tupleIJPlS6_EEENSN_IJSD_SD_EEES6_PiJS6_EEE10hipError_tPvRmT3_T4_T5_T6_T7_T9_mT8_P12ihipStream_tbDpT10_ENKUlT_T0_E_clISt17integral_constantIbLb0EES1A_IbLb1EEEEDaS16_S17_EUlS16_E_NS1_11comp_targetILNS1_3genE5ELNS1_11target_archE942ELNS1_3gpuE9ELNS1_3repE0EEENS1_30default_config_static_selectorELNS0_4arch9wavefront6targetE0EEEvT1_ ; -- Begin function _ZN7rocprim17ROCPRIM_400000_NS6detail17trampoline_kernelINS0_14default_configENS1_25partition_config_selectorILNS1_17partition_subalgoE5ElNS0_10empty_typeEbEEZZNS1_14partition_implILS5_5ELb0ES3_mN6hipcub16HIPCUB_304000_NS21CountingInputIteratorIllEEPS6_NSA_22TransformInputIteratorIbN2at6native12_GLOBAL__N_19NonZeroOpIdEEPKdlEENS0_5tupleIJPlS6_EEENSN_IJSD_SD_EEES6_PiJS6_EEE10hipError_tPvRmT3_T4_T5_T6_T7_T9_mT8_P12ihipStream_tbDpT10_ENKUlT_T0_E_clISt17integral_constantIbLb0EES1A_IbLb1EEEEDaS16_S17_EUlS16_E_NS1_11comp_targetILNS1_3genE5ELNS1_11target_archE942ELNS1_3gpuE9ELNS1_3repE0EEENS1_30default_config_static_selectorELNS0_4arch9wavefront6targetE0EEEvT1_
	.p2align	8
	.type	_ZN7rocprim17ROCPRIM_400000_NS6detail17trampoline_kernelINS0_14default_configENS1_25partition_config_selectorILNS1_17partition_subalgoE5ElNS0_10empty_typeEbEEZZNS1_14partition_implILS5_5ELb0ES3_mN6hipcub16HIPCUB_304000_NS21CountingInputIteratorIllEEPS6_NSA_22TransformInputIteratorIbN2at6native12_GLOBAL__N_19NonZeroOpIdEEPKdlEENS0_5tupleIJPlS6_EEENSN_IJSD_SD_EEES6_PiJS6_EEE10hipError_tPvRmT3_T4_T5_T6_T7_T9_mT8_P12ihipStream_tbDpT10_ENKUlT_T0_E_clISt17integral_constantIbLb0EES1A_IbLb1EEEEDaS16_S17_EUlS16_E_NS1_11comp_targetILNS1_3genE5ELNS1_11target_archE942ELNS1_3gpuE9ELNS1_3repE0EEENS1_30default_config_static_selectorELNS0_4arch9wavefront6targetE0EEEvT1_,@function
_ZN7rocprim17ROCPRIM_400000_NS6detail17trampoline_kernelINS0_14default_configENS1_25partition_config_selectorILNS1_17partition_subalgoE5ElNS0_10empty_typeEbEEZZNS1_14partition_implILS5_5ELb0ES3_mN6hipcub16HIPCUB_304000_NS21CountingInputIteratorIllEEPS6_NSA_22TransformInputIteratorIbN2at6native12_GLOBAL__N_19NonZeroOpIdEEPKdlEENS0_5tupleIJPlS6_EEENSN_IJSD_SD_EEES6_PiJS6_EEE10hipError_tPvRmT3_T4_T5_T6_T7_T9_mT8_P12ihipStream_tbDpT10_ENKUlT_T0_E_clISt17integral_constantIbLb0EES1A_IbLb1EEEEDaS16_S17_EUlS16_E_NS1_11comp_targetILNS1_3genE5ELNS1_11target_archE942ELNS1_3gpuE9ELNS1_3repE0EEENS1_30default_config_static_selectorELNS0_4arch9wavefront6targetE0EEEvT1_: ; @_ZN7rocprim17ROCPRIM_400000_NS6detail17trampoline_kernelINS0_14default_configENS1_25partition_config_selectorILNS1_17partition_subalgoE5ElNS0_10empty_typeEbEEZZNS1_14partition_implILS5_5ELb0ES3_mN6hipcub16HIPCUB_304000_NS21CountingInputIteratorIllEEPS6_NSA_22TransformInputIteratorIbN2at6native12_GLOBAL__N_19NonZeroOpIdEEPKdlEENS0_5tupleIJPlS6_EEENSN_IJSD_SD_EEES6_PiJS6_EEE10hipError_tPvRmT3_T4_T5_T6_T7_T9_mT8_P12ihipStream_tbDpT10_ENKUlT_T0_E_clISt17integral_constantIbLb0EES1A_IbLb1EEEEDaS16_S17_EUlS16_E_NS1_11comp_targetILNS1_3genE5ELNS1_11target_archE942ELNS1_3gpuE9ELNS1_3repE0EEENS1_30default_config_static_selectorELNS0_4arch9wavefront6targetE0EEEvT1_
; %bb.0:
	.section	.rodata,"a",@progbits
	.p2align	6, 0x0
	.amdhsa_kernel _ZN7rocprim17ROCPRIM_400000_NS6detail17trampoline_kernelINS0_14default_configENS1_25partition_config_selectorILNS1_17partition_subalgoE5ElNS0_10empty_typeEbEEZZNS1_14partition_implILS5_5ELb0ES3_mN6hipcub16HIPCUB_304000_NS21CountingInputIteratorIllEEPS6_NSA_22TransformInputIteratorIbN2at6native12_GLOBAL__N_19NonZeroOpIdEEPKdlEENS0_5tupleIJPlS6_EEENSN_IJSD_SD_EEES6_PiJS6_EEE10hipError_tPvRmT3_T4_T5_T6_T7_T9_mT8_P12ihipStream_tbDpT10_ENKUlT_T0_E_clISt17integral_constantIbLb0EES1A_IbLb1EEEEDaS16_S17_EUlS16_E_NS1_11comp_targetILNS1_3genE5ELNS1_11target_archE942ELNS1_3gpuE9ELNS1_3repE0EEENS1_30default_config_static_selectorELNS0_4arch9wavefront6targetE0EEEvT1_
		.amdhsa_group_segment_fixed_size 0
		.amdhsa_private_segment_fixed_size 0
		.amdhsa_kernarg_size 136
		.amdhsa_user_sgpr_count 15
		.amdhsa_user_sgpr_dispatch_ptr 0
		.amdhsa_user_sgpr_queue_ptr 0
		.amdhsa_user_sgpr_kernarg_segment_ptr 1
		.amdhsa_user_sgpr_dispatch_id 0
		.amdhsa_user_sgpr_private_segment_size 0
		.amdhsa_wavefront_size32 1
		.amdhsa_uses_dynamic_stack 0
		.amdhsa_enable_private_segment 0
		.amdhsa_system_sgpr_workgroup_id_x 1
		.amdhsa_system_sgpr_workgroup_id_y 0
		.amdhsa_system_sgpr_workgroup_id_z 0
		.amdhsa_system_sgpr_workgroup_info 0
		.amdhsa_system_vgpr_workitem_id 0
		.amdhsa_next_free_vgpr 1
		.amdhsa_next_free_sgpr 1
		.amdhsa_reserve_vcc 0
		.amdhsa_float_round_mode_32 0
		.amdhsa_float_round_mode_16_64 0
		.amdhsa_float_denorm_mode_32 3
		.amdhsa_float_denorm_mode_16_64 3
		.amdhsa_dx10_clamp 1
		.amdhsa_ieee_mode 1
		.amdhsa_fp16_overflow 0
		.amdhsa_workgroup_processor_mode 1
		.amdhsa_memory_ordered 1
		.amdhsa_forward_progress 0
		.amdhsa_shared_vgpr_count 0
		.amdhsa_exception_fp_ieee_invalid_op 0
		.amdhsa_exception_fp_denorm_src 0
		.amdhsa_exception_fp_ieee_div_zero 0
		.amdhsa_exception_fp_ieee_overflow 0
		.amdhsa_exception_fp_ieee_underflow 0
		.amdhsa_exception_fp_ieee_inexact 0
		.amdhsa_exception_int_div_zero 0
	.end_amdhsa_kernel
	.section	.text._ZN7rocprim17ROCPRIM_400000_NS6detail17trampoline_kernelINS0_14default_configENS1_25partition_config_selectorILNS1_17partition_subalgoE5ElNS0_10empty_typeEbEEZZNS1_14partition_implILS5_5ELb0ES3_mN6hipcub16HIPCUB_304000_NS21CountingInputIteratorIllEEPS6_NSA_22TransformInputIteratorIbN2at6native12_GLOBAL__N_19NonZeroOpIdEEPKdlEENS0_5tupleIJPlS6_EEENSN_IJSD_SD_EEES6_PiJS6_EEE10hipError_tPvRmT3_T4_T5_T6_T7_T9_mT8_P12ihipStream_tbDpT10_ENKUlT_T0_E_clISt17integral_constantIbLb0EES1A_IbLb1EEEEDaS16_S17_EUlS16_E_NS1_11comp_targetILNS1_3genE5ELNS1_11target_archE942ELNS1_3gpuE9ELNS1_3repE0EEENS1_30default_config_static_selectorELNS0_4arch9wavefront6targetE0EEEvT1_,"axG",@progbits,_ZN7rocprim17ROCPRIM_400000_NS6detail17trampoline_kernelINS0_14default_configENS1_25partition_config_selectorILNS1_17partition_subalgoE5ElNS0_10empty_typeEbEEZZNS1_14partition_implILS5_5ELb0ES3_mN6hipcub16HIPCUB_304000_NS21CountingInputIteratorIllEEPS6_NSA_22TransformInputIteratorIbN2at6native12_GLOBAL__N_19NonZeroOpIdEEPKdlEENS0_5tupleIJPlS6_EEENSN_IJSD_SD_EEES6_PiJS6_EEE10hipError_tPvRmT3_T4_T5_T6_T7_T9_mT8_P12ihipStream_tbDpT10_ENKUlT_T0_E_clISt17integral_constantIbLb0EES1A_IbLb1EEEEDaS16_S17_EUlS16_E_NS1_11comp_targetILNS1_3genE5ELNS1_11target_archE942ELNS1_3gpuE9ELNS1_3repE0EEENS1_30default_config_static_selectorELNS0_4arch9wavefront6targetE0EEEvT1_,comdat
.Lfunc_end415:
	.size	_ZN7rocprim17ROCPRIM_400000_NS6detail17trampoline_kernelINS0_14default_configENS1_25partition_config_selectorILNS1_17partition_subalgoE5ElNS0_10empty_typeEbEEZZNS1_14partition_implILS5_5ELb0ES3_mN6hipcub16HIPCUB_304000_NS21CountingInputIteratorIllEEPS6_NSA_22TransformInputIteratorIbN2at6native12_GLOBAL__N_19NonZeroOpIdEEPKdlEENS0_5tupleIJPlS6_EEENSN_IJSD_SD_EEES6_PiJS6_EEE10hipError_tPvRmT3_T4_T5_T6_T7_T9_mT8_P12ihipStream_tbDpT10_ENKUlT_T0_E_clISt17integral_constantIbLb0EES1A_IbLb1EEEEDaS16_S17_EUlS16_E_NS1_11comp_targetILNS1_3genE5ELNS1_11target_archE942ELNS1_3gpuE9ELNS1_3repE0EEENS1_30default_config_static_selectorELNS0_4arch9wavefront6targetE0EEEvT1_, .Lfunc_end415-_ZN7rocprim17ROCPRIM_400000_NS6detail17trampoline_kernelINS0_14default_configENS1_25partition_config_selectorILNS1_17partition_subalgoE5ElNS0_10empty_typeEbEEZZNS1_14partition_implILS5_5ELb0ES3_mN6hipcub16HIPCUB_304000_NS21CountingInputIteratorIllEEPS6_NSA_22TransformInputIteratorIbN2at6native12_GLOBAL__N_19NonZeroOpIdEEPKdlEENS0_5tupleIJPlS6_EEENSN_IJSD_SD_EEES6_PiJS6_EEE10hipError_tPvRmT3_T4_T5_T6_T7_T9_mT8_P12ihipStream_tbDpT10_ENKUlT_T0_E_clISt17integral_constantIbLb0EES1A_IbLb1EEEEDaS16_S17_EUlS16_E_NS1_11comp_targetILNS1_3genE5ELNS1_11target_archE942ELNS1_3gpuE9ELNS1_3repE0EEENS1_30default_config_static_selectorELNS0_4arch9wavefront6targetE0EEEvT1_
                                        ; -- End function
	.section	.AMDGPU.csdata,"",@progbits
; Kernel info:
; codeLenInByte = 0
; NumSgprs: 0
; NumVgprs: 0
; ScratchSize: 0
; MemoryBound: 0
; FloatMode: 240
; IeeeMode: 1
; LDSByteSize: 0 bytes/workgroup (compile time only)
; SGPRBlocks: 0
; VGPRBlocks: 0
; NumSGPRsForWavesPerEU: 1
; NumVGPRsForWavesPerEU: 1
; Occupancy: 16
; WaveLimiterHint : 0
; COMPUTE_PGM_RSRC2:SCRATCH_EN: 0
; COMPUTE_PGM_RSRC2:USER_SGPR: 15
; COMPUTE_PGM_RSRC2:TRAP_HANDLER: 0
; COMPUTE_PGM_RSRC2:TGID_X_EN: 1
; COMPUTE_PGM_RSRC2:TGID_Y_EN: 0
; COMPUTE_PGM_RSRC2:TGID_Z_EN: 0
; COMPUTE_PGM_RSRC2:TIDIG_COMP_CNT: 0
	.section	.text._ZN7rocprim17ROCPRIM_400000_NS6detail17trampoline_kernelINS0_14default_configENS1_25partition_config_selectorILNS1_17partition_subalgoE5ElNS0_10empty_typeEbEEZZNS1_14partition_implILS5_5ELb0ES3_mN6hipcub16HIPCUB_304000_NS21CountingInputIteratorIllEEPS6_NSA_22TransformInputIteratorIbN2at6native12_GLOBAL__N_19NonZeroOpIdEEPKdlEENS0_5tupleIJPlS6_EEENSN_IJSD_SD_EEES6_PiJS6_EEE10hipError_tPvRmT3_T4_T5_T6_T7_T9_mT8_P12ihipStream_tbDpT10_ENKUlT_T0_E_clISt17integral_constantIbLb0EES1A_IbLb1EEEEDaS16_S17_EUlS16_E_NS1_11comp_targetILNS1_3genE4ELNS1_11target_archE910ELNS1_3gpuE8ELNS1_3repE0EEENS1_30default_config_static_selectorELNS0_4arch9wavefront6targetE0EEEvT1_,"axG",@progbits,_ZN7rocprim17ROCPRIM_400000_NS6detail17trampoline_kernelINS0_14default_configENS1_25partition_config_selectorILNS1_17partition_subalgoE5ElNS0_10empty_typeEbEEZZNS1_14partition_implILS5_5ELb0ES3_mN6hipcub16HIPCUB_304000_NS21CountingInputIteratorIllEEPS6_NSA_22TransformInputIteratorIbN2at6native12_GLOBAL__N_19NonZeroOpIdEEPKdlEENS0_5tupleIJPlS6_EEENSN_IJSD_SD_EEES6_PiJS6_EEE10hipError_tPvRmT3_T4_T5_T6_T7_T9_mT8_P12ihipStream_tbDpT10_ENKUlT_T0_E_clISt17integral_constantIbLb0EES1A_IbLb1EEEEDaS16_S17_EUlS16_E_NS1_11comp_targetILNS1_3genE4ELNS1_11target_archE910ELNS1_3gpuE8ELNS1_3repE0EEENS1_30default_config_static_selectorELNS0_4arch9wavefront6targetE0EEEvT1_,comdat
	.globl	_ZN7rocprim17ROCPRIM_400000_NS6detail17trampoline_kernelINS0_14default_configENS1_25partition_config_selectorILNS1_17partition_subalgoE5ElNS0_10empty_typeEbEEZZNS1_14partition_implILS5_5ELb0ES3_mN6hipcub16HIPCUB_304000_NS21CountingInputIteratorIllEEPS6_NSA_22TransformInputIteratorIbN2at6native12_GLOBAL__N_19NonZeroOpIdEEPKdlEENS0_5tupleIJPlS6_EEENSN_IJSD_SD_EEES6_PiJS6_EEE10hipError_tPvRmT3_T4_T5_T6_T7_T9_mT8_P12ihipStream_tbDpT10_ENKUlT_T0_E_clISt17integral_constantIbLb0EES1A_IbLb1EEEEDaS16_S17_EUlS16_E_NS1_11comp_targetILNS1_3genE4ELNS1_11target_archE910ELNS1_3gpuE8ELNS1_3repE0EEENS1_30default_config_static_selectorELNS0_4arch9wavefront6targetE0EEEvT1_ ; -- Begin function _ZN7rocprim17ROCPRIM_400000_NS6detail17trampoline_kernelINS0_14default_configENS1_25partition_config_selectorILNS1_17partition_subalgoE5ElNS0_10empty_typeEbEEZZNS1_14partition_implILS5_5ELb0ES3_mN6hipcub16HIPCUB_304000_NS21CountingInputIteratorIllEEPS6_NSA_22TransformInputIteratorIbN2at6native12_GLOBAL__N_19NonZeroOpIdEEPKdlEENS0_5tupleIJPlS6_EEENSN_IJSD_SD_EEES6_PiJS6_EEE10hipError_tPvRmT3_T4_T5_T6_T7_T9_mT8_P12ihipStream_tbDpT10_ENKUlT_T0_E_clISt17integral_constantIbLb0EES1A_IbLb1EEEEDaS16_S17_EUlS16_E_NS1_11comp_targetILNS1_3genE4ELNS1_11target_archE910ELNS1_3gpuE8ELNS1_3repE0EEENS1_30default_config_static_selectorELNS0_4arch9wavefront6targetE0EEEvT1_
	.p2align	8
	.type	_ZN7rocprim17ROCPRIM_400000_NS6detail17trampoline_kernelINS0_14default_configENS1_25partition_config_selectorILNS1_17partition_subalgoE5ElNS0_10empty_typeEbEEZZNS1_14partition_implILS5_5ELb0ES3_mN6hipcub16HIPCUB_304000_NS21CountingInputIteratorIllEEPS6_NSA_22TransformInputIteratorIbN2at6native12_GLOBAL__N_19NonZeroOpIdEEPKdlEENS0_5tupleIJPlS6_EEENSN_IJSD_SD_EEES6_PiJS6_EEE10hipError_tPvRmT3_T4_T5_T6_T7_T9_mT8_P12ihipStream_tbDpT10_ENKUlT_T0_E_clISt17integral_constantIbLb0EES1A_IbLb1EEEEDaS16_S17_EUlS16_E_NS1_11comp_targetILNS1_3genE4ELNS1_11target_archE910ELNS1_3gpuE8ELNS1_3repE0EEENS1_30default_config_static_selectorELNS0_4arch9wavefront6targetE0EEEvT1_,@function
_ZN7rocprim17ROCPRIM_400000_NS6detail17trampoline_kernelINS0_14default_configENS1_25partition_config_selectorILNS1_17partition_subalgoE5ElNS0_10empty_typeEbEEZZNS1_14partition_implILS5_5ELb0ES3_mN6hipcub16HIPCUB_304000_NS21CountingInputIteratorIllEEPS6_NSA_22TransformInputIteratorIbN2at6native12_GLOBAL__N_19NonZeroOpIdEEPKdlEENS0_5tupleIJPlS6_EEENSN_IJSD_SD_EEES6_PiJS6_EEE10hipError_tPvRmT3_T4_T5_T6_T7_T9_mT8_P12ihipStream_tbDpT10_ENKUlT_T0_E_clISt17integral_constantIbLb0EES1A_IbLb1EEEEDaS16_S17_EUlS16_E_NS1_11comp_targetILNS1_3genE4ELNS1_11target_archE910ELNS1_3gpuE8ELNS1_3repE0EEENS1_30default_config_static_selectorELNS0_4arch9wavefront6targetE0EEEvT1_: ; @_ZN7rocprim17ROCPRIM_400000_NS6detail17trampoline_kernelINS0_14default_configENS1_25partition_config_selectorILNS1_17partition_subalgoE5ElNS0_10empty_typeEbEEZZNS1_14partition_implILS5_5ELb0ES3_mN6hipcub16HIPCUB_304000_NS21CountingInputIteratorIllEEPS6_NSA_22TransformInputIteratorIbN2at6native12_GLOBAL__N_19NonZeroOpIdEEPKdlEENS0_5tupleIJPlS6_EEENSN_IJSD_SD_EEES6_PiJS6_EEE10hipError_tPvRmT3_T4_T5_T6_T7_T9_mT8_P12ihipStream_tbDpT10_ENKUlT_T0_E_clISt17integral_constantIbLb0EES1A_IbLb1EEEEDaS16_S17_EUlS16_E_NS1_11comp_targetILNS1_3genE4ELNS1_11target_archE910ELNS1_3gpuE8ELNS1_3repE0EEENS1_30default_config_static_selectorELNS0_4arch9wavefront6targetE0EEEvT1_
; %bb.0:
	.section	.rodata,"a",@progbits
	.p2align	6, 0x0
	.amdhsa_kernel _ZN7rocprim17ROCPRIM_400000_NS6detail17trampoline_kernelINS0_14default_configENS1_25partition_config_selectorILNS1_17partition_subalgoE5ElNS0_10empty_typeEbEEZZNS1_14partition_implILS5_5ELb0ES3_mN6hipcub16HIPCUB_304000_NS21CountingInputIteratorIllEEPS6_NSA_22TransformInputIteratorIbN2at6native12_GLOBAL__N_19NonZeroOpIdEEPKdlEENS0_5tupleIJPlS6_EEENSN_IJSD_SD_EEES6_PiJS6_EEE10hipError_tPvRmT3_T4_T5_T6_T7_T9_mT8_P12ihipStream_tbDpT10_ENKUlT_T0_E_clISt17integral_constantIbLb0EES1A_IbLb1EEEEDaS16_S17_EUlS16_E_NS1_11comp_targetILNS1_3genE4ELNS1_11target_archE910ELNS1_3gpuE8ELNS1_3repE0EEENS1_30default_config_static_selectorELNS0_4arch9wavefront6targetE0EEEvT1_
		.amdhsa_group_segment_fixed_size 0
		.amdhsa_private_segment_fixed_size 0
		.amdhsa_kernarg_size 136
		.amdhsa_user_sgpr_count 15
		.amdhsa_user_sgpr_dispatch_ptr 0
		.amdhsa_user_sgpr_queue_ptr 0
		.amdhsa_user_sgpr_kernarg_segment_ptr 1
		.amdhsa_user_sgpr_dispatch_id 0
		.amdhsa_user_sgpr_private_segment_size 0
		.amdhsa_wavefront_size32 1
		.amdhsa_uses_dynamic_stack 0
		.amdhsa_enable_private_segment 0
		.amdhsa_system_sgpr_workgroup_id_x 1
		.amdhsa_system_sgpr_workgroup_id_y 0
		.amdhsa_system_sgpr_workgroup_id_z 0
		.amdhsa_system_sgpr_workgroup_info 0
		.amdhsa_system_vgpr_workitem_id 0
		.amdhsa_next_free_vgpr 1
		.amdhsa_next_free_sgpr 1
		.amdhsa_reserve_vcc 0
		.amdhsa_float_round_mode_32 0
		.amdhsa_float_round_mode_16_64 0
		.amdhsa_float_denorm_mode_32 3
		.amdhsa_float_denorm_mode_16_64 3
		.amdhsa_dx10_clamp 1
		.amdhsa_ieee_mode 1
		.amdhsa_fp16_overflow 0
		.amdhsa_workgroup_processor_mode 1
		.amdhsa_memory_ordered 1
		.amdhsa_forward_progress 0
		.amdhsa_shared_vgpr_count 0
		.amdhsa_exception_fp_ieee_invalid_op 0
		.amdhsa_exception_fp_denorm_src 0
		.amdhsa_exception_fp_ieee_div_zero 0
		.amdhsa_exception_fp_ieee_overflow 0
		.amdhsa_exception_fp_ieee_underflow 0
		.amdhsa_exception_fp_ieee_inexact 0
		.amdhsa_exception_int_div_zero 0
	.end_amdhsa_kernel
	.section	.text._ZN7rocprim17ROCPRIM_400000_NS6detail17trampoline_kernelINS0_14default_configENS1_25partition_config_selectorILNS1_17partition_subalgoE5ElNS0_10empty_typeEbEEZZNS1_14partition_implILS5_5ELb0ES3_mN6hipcub16HIPCUB_304000_NS21CountingInputIteratorIllEEPS6_NSA_22TransformInputIteratorIbN2at6native12_GLOBAL__N_19NonZeroOpIdEEPKdlEENS0_5tupleIJPlS6_EEENSN_IJSD_SD_EEES6_PiJS6_EEE10hipError_tPvRmT3_T4_T5_T6_T7_T9_mT8_P12ihipStream_tbDpT10_ENKUlT_T0_E_clISt17integral_constantIbLb0EES1A_IbLb1EEEEDaS16_S17_EUlS16_E_NS1_11comp_targetILNS1_3genE4ELNS1_11target_archE910ELNS1_3gpuE8ELNS1_3repE0EEENS1_30default_config_static_selectorELNS0_4arch9wavefront6targetE0EEEvT1_,"axG",@progbits,_ZN7rocprim17ROCPRIM_400000_NS6detail17trampoline_kernelINS0_14default_configENS1_25partition_config_selectorILNS1_17partition_subalgoE5ElNS0_10empty_typeEbEEZZNS1_14partition_implILS5_5ELb0ES3_mN6hipcub16HIPCUB_304000_NS21CountingInputIteratorIllEEPS6_NSA_22TransformInputIteratorIbN2at6native12_GLOBAL__N_19NonZeroOpIdEEPKdlEENS0_5tupleIJPlS6_EEENSN_IJSD_SD_EEES6_PiJS6_EEE10hipError_tPvRmT3_T4_T5_T6_T7_T9_mT8_P12ihipStream_tbDpT10_ENKUlT_T0_E_clISt17integral_constantIbLb0EES1A_IbLb1EEEEDaS16_S17_EUlS16_E_NS1_11comp_targetILNS1_3genE4ELNS1_11target_archE910ELNS1_3gpuE8ELNS1_3repE0EEENS1_30default_config_static_selectorELNS0_4arch9wavefront6targetE0EEEvT1_,comdat
.Lfunc_end416:
	.size	_ZN7rocprim17ROCPRIM_400000_NS6detail17trampoline_kernelINS0_14default_configENS1_25partition_config_selectorILNS1_17partition_subalgoE5ElNS0_10empty_typeEbEEZZNS1_14partition_implILS5_5ELb0ES3_mN6hipcub16HIPCUB_304000_NS21CountingInputIteratorIllEEPS6_NSA_22TransformInputIteratorIbN2at6native12_GLOBAL__N_19NonZeroOpIdEEPKdlEENS0_5tupleIJPlS6_EEENSN_IJSD_SD_EEES6_PiJS6_EEE10hipError_tPvRmT3_T4_T5_T6_T7_T9_mT8_P12ihipStream_tbDpT10_ENKUlT_T0_E_clISt17integral_constantIbLb0EES1A_IbLb1EEEEDaS16_S17_EUlS16_E_NS1_11comp_targetILNS1_3genE4ELNS1_11target_archE910ELNS1_3gpuE8ELNS1_3repE0EEENS1_30default_config_static_selectorELNS0_4arch9wavefront6targetE0EEEvT1_, .Lfunc_end416-_ZN7rocprim17ROCPRIM_400000_NS6detail17trampoline_kernelINS0_14default_configENS1_25partition_config_selectorILNS1_17partition_subalgoE5ElNS0_10empty_typeEbEEZZNS1_14partition_implILS5_5ELb0ES3_mN6hipcub16HIPCUB_304000_NS21CountingInputIteratorIllEEPS6_NSA_22TransformInputIteratorIbN2at6native12_GLOBAL__N_19NonZeroOpIdEEPKdlEENS0_5tupleIJPlS6_EEENSN_IJSD_SD_EEES6_PiJS6_EEE10hipError_tPvRmT3_T4_T5_T6_T7_T9_mT8_P12ihipStream_tbDpT10_ENKUlT_T0_E_clISt17integral_constantIbLb0EES1A_IbLb1EEEEDaS16_S17_EUlS16_E_NS1_11comp_targetILNS1_3genE4ELNS1_11target_archE910ELNS1_3gpuE8ELNS1_3repE0EEENS1_30default_config_static_selectorELNS0_4arch9wavefront6targetE0EEEvT1_
                                        ; -- End function
	.section	.AMDGPU.csdata,"",@progbits
; Kernel info:
; codeLenInByte = 0
; NumSgprs: 0
; NumVgprs: 0
; ScratchSize: 0
; MemoryBound: 0
; FloatMode: 240
; IeeeMode: 1
; LDSByteSize: 0 bytes/workgroup (compile time only)
; SGPRBlocks: 0
; VGPRBlocks: 0
; NumSGPRsForWavesPerEU: 1
; NumVGPRsForWavesPerEU: 1
; Occupancy: 15
; WaveLimiterHint : 0
; COMPUTE_PGM_RSRC2:SCRATCH_EN: 0
; COMPUTE_PGM_RSRC2:USER_SGPR: 15
; COMPUTE_PGM_RSRC2:TRAP_HANDLER: 0
; COMPUTE_PGM_RSRC2:TGID_X_EN: 1
; COMPUTE_PGM_RSRC2:TGID_Y_EN: 0
; COMPUTE_PGM_RSRC2:TGID_Z_EN: 0
; COMPUTE_PGM_RSRC2:TIDIG_COMP_CNT: 0
	.section	.text._ZN7rocprim17ROCPRIM_400000_NS6detail17trampoline_kernelINS0_14default_configENS1_25partition_config_selectorILNS1_17partition_subalgoE5ElNS0_10empty_typeEbEEZZNS1_14partition_implILS5_5ELb0ES3_mN6hipcub16HIPCUB_304000_NS21CountingInputIteratorIllEEPS6_NSA_22TransformInputIteratorIbN2at6native12_GLOBAL__N_19NonZeroOpIdEEPKdlEENS0_5tupleIJPlS6_EEENSN_IJSD_SD_EEES6_PiJS6_EEE10hipError_tPvRmT3_T4_T5_T6_T7_T9_mT8_P12ihipStream_tbDpT10_ENKUlT_T0_E_clISt17integral_constantIbLb0EES1A_IbLb1EEEEDaS16_S17_EUlS16_E_NS1_11comp_targetILNS1_3genE3ELNS1_11target_archE908ELNS1_3gpuE7ELNS1_3repE0EEENS1_30default_config_static_selectorELNS0_4arch9wavefront6targetE0EEEvT1_,"axG",@progbits,_ZN7rocprim17ROCPRIM_400000_NS6detail17trampoline_kernelINS0_14default_configENS1_25partition_config_selectorILNS1_17partition_subalgoE5ElNS0_10empty_typeEbEEZZNS1_14partition_implILS5_5ELb0ES3_mN6hipcub16HIPCUB_304000_NS21CountingInputIteratorIllEEPS6_NSA_22TransformInputIteratorIbN2at6native12_GLOBAL__N_19NonZeroOpIdEEPKdlEENS0_5tupleIJPlS6_EEENSN_IJSD_SD_EEES6_PiJS6_EEE10hipError_tPvRmT3_T4_T5_T6_T7_T9_mT8_P12ihipStream_tbDpT10_ENKUlT_T0_E_clISt17integral_constantIbLb0EES1A_IbLb1EEEEDaS16_S17_EUlS16_E_NS1_11comp_targetILNS1_3genE3ELNS1_11target_archE908ELNS1_3gpuE7ELNS1_3repE0EEENS1_30default_config_static_selectorELNS0_4arch9wavefront6targetE0EEEvT1_,comdat
	.globl	_ZN7rocprim17ROCPRIM_400000_NS6detail17trampoline_kernelINS0_14default_configENS1_25partition_config_selectorILNS1_17partition_subalgoE5ElNS0_10empty_typeEbEEZZNS1_14partition_implILS5_5ELb0ES3_mN6hipcub16HIPCUB_304000_NS21CountingInputIteratorIllEEPS6_NSA_22TransformInputIteratorIbN2at6native12_GLOBAL__N_19NonZeroOpIdEEPKdlEENS0_5tupleIJPlS6_EEENSN_IJSD_SD_EEES6_PiJS6_EEE10hipError_tPvRmT3_T4_T5_T6_T7_T9_mT8_P12ihipStream_tbDpT10_ENKUlT_T0_E_clISt17integral_constantIbLb0EES1A_IbLb1EEEEDaS16_S17_EUlS16_E_NS1_11comp_targetILNS1_3genE3ELNS1_11target_archE908ELNS1_3gpuE7ELNS1_3repE0EEENS1_30default_config_static_selectorELNS0_4arch9wavefront6targetE0EEEvT1_ ; -- Begin function _ZN7rocprim17ROCPRIM_400000_NS6detail17trampoline_kernelINS0_14default_configENS1_25partition_config_selectorILNS1_17partition_subalgoE5ElNS0_10empty_typeEbEEZZNS1_14partition_implILS5_5ELb0ES3_mN6hipcub16HIPCUB_304000_NS21CountingInputIteratorIllEEPS6_NSA_22TransformInputIteratorIbN2at6native12_GLOBAL__N_19NonZeroOpIdEEPKdlEENS0_5tupleIJPlS6_EEENSN_IJSD_SD_EEES6_PiJS6_EEE10hipError_tPvRmT3_T4_T5_T6_T7_T9_mT8_P12ihipStream_tbDpT10_ENKUlT_T0_E_clISt17integral_constantIbLb0EES1A_IbLb1EEEEDaS16_S17_EUlS16_E_NS1_11comp_targetILNS1_3genE3ELNS1_11target_archE908ELNS1_3gpuE7ELNS1_3repE0EEENS1_30default_config_static_selectorELNS0_4arch9wavefront6targetE0EEEvT1_
	.p2align	8
	.type	_ZN7rocprim17ROCPRIM_400000_NS6detail17trampoline_kernelINS0_14default_configENS1_25partition_config_selectorILNS1_17partition_subalgoE5ElNS0_10empty_typeEbEEZZNS1_14partition_implILS5_5ELb0ES3_mN6hipcub16HIPCUB_304000_NS21CountingInputIteratorIllEEPS6_NSA_22TransformInputIteratorIbN2at6native12_GLOBAL__N_19NonZeroOpIdEEPKdlEENS0_5tupleIJPlS6_EEENSN_IJSD_SD_EEES6_PiJS6_EEE10hipError_tPvRmT3_T4_T5_T6_T7_T9_mT8_P12ihipStream_tbDpT10_ENKUlT_T0_E_clISt17integral_constantIbLb0EES1A_IbLb1EEEEDaS16_S17_EUlS16_E_NS1_11comp_targetILNS1_3genE3ELNS1_11target_archE908ELNS1_3gpuE7ELNS1_3repE0EEENS1_30default_config_static_selectorELNS0_4arch9wavefront6targetE0EEEvT1_,@function
_ZN7rocprim17ROCPRIM_400000_NS6detail17trampoline_kernelINS0_14default_configENS1_25partition_config_selectorILNS1_17partition_subalgoE5ElNS0_10empty_typeEbEEZZNS1_14partition_implILS5_5ELb0ES3_mN6hipcub16HIPCUB_304000_NS21CountingInputIteratorIllEEPS6_NSA_22TransformInputIteratorIbN2at6native12_GLOBAL__N_19NonZeroOpIdEEPKdlEENS0_5tupleIJPlS6_EEENSN_IJSD_SD_EEES6_PiJS6_EEE10hipError_tPvRmT3_T4_T5_T6_T7_T9_mT8_P12ihipStream_tbDpT10_ENKUlT_T0_E_clISt17integral_constantIbLb0EES1A_IbLb1EEEEDaS16_S17_EUlS16_E_NS1_11comp_targetILNS1_3genE3ELNS1_11target_archE908ELNS1_3gpuE7ELNS1_3repE0EEENS1_30default_config_static_selectorELNS0_4arch9wavefront6targetE0EEEvT1_: ; @_ZN7rocprim17ROCPRIM_400000_NS6detail17trampoline_kernelINS0_14default_configENS1_25partition_config_selectorILNS1_17partition_subalgoE5ElNS0_10empty_typeEbEEZZNS1_14partition_implILS5_5ELb0ES3_mN6hipcub16HIPCUB_304000_NS21CountingInputIteratorIllEEPS6_NSA_22TransformInputIteratorIbN2at6native12_GLOBAL__N_19NonZeroOpIdEEPKdlEENS0_5tupleIJPlS6_EEENSN_IJSD_SD_EEES6_PiJS6_EEE10hipError_tPvRmT3_T4_T5_T6_T7_T9_mT8_P12ihipStream_tbDpT10_ENKUlT_T0_E_clISt17integral_constantIbLb0EES1A_IbLb1EEEEDaS16_S17_EUlS16_E_NS1_11comp_targetILNS1_3genE3ELNS1_11target_archE908ELNS1_3gpuE7ELNS1_3repE0EEENS1_30default_config_static_selectorELNS0_4arch9wavefront6targetE0EEEvT1_
; %bb.0:
	.section	.rodata,"a",@progbits
	.p2align	6, 0x0
	.amdhsa_kernel _ZN7rocprim17ROCPRIM_400000_NS6detail17trampoline_kernelINS0_14default_configENS1_25partition_config_selectorILNS1_17partition_subalgoE5ElNS0_10empty_typeEbEEZZNS1_14partition_implILS5_5ELb0ES3_mN6hipcub16HIPCUB_304000_NS21CountingInputIteratorIllEEPS6_NSA_22TransformInputIteratorIbN2at6native12_GLOBAL__N_19NonZeroOpIdEEPKdlEENS0_5tupleIJPlS6_EEENSN_IJSD_SD_EEES6_PiJS6_EEE10hipError_tPvRmT3_T4_T5_T6_T7_T9_mT8_P12ihipStream_tbDpT10_ENKUlT_T0_E_clISt17integral_constantIbLb0EES1A_IbLb1EEEEDaS16_S17_EUlS16_E_NS1_11comp_targetILNS1_3genE3ELNS1_11target_archE908ELNS1_3gpuE7ELNS1_3repE0EEENS1_30default_config_static_selectorELNS0_4arch9wavefront6targetE0EEEvT1_
		.amdhsa_group_segment_fixed_size 0
		.amdhsa_private_segment_fixed_size 0
		.amdhsa_kernarg_size 136
		.amdhsa_user_sgpr_count 15
		.amdhsa_user_sgpr_dispatch_ptr 0
		.amdhsa_user_sgpr_queue_ptr 0
		.amdhsa_user_sgpr_kernarg_segment_ptr 1
		.amdhsa_user_sgpr_dispatch_id 0
		.amdhsa_user_sgpr_private_segment_size 0
		.amdhsa_wavefront_size32 1
		.amdhsa_uses_dynamic_stack 0
		.amdhsa_enable_private_segment 0
		.amdhsa_system_sgpr_workgroup_id_x 1
		.amdhsa_system_sgpr_workgroup_id_y 0
		.amdhsa_system_sgpr_workgroup_id_z 0
		.amdhsa_system_sgpr_workgroup_info 0
		.amdhsa_system_vgpr_workitem_id 0
		.amdhsa_next_free_vgpr 1
		.amdhsa_next_free_sgpr 1
		.amdhsa_reserve_vcc 0
		.amdhsa_float_round_mode_32 0
		.amdhsa_float_round_mode_16_64 0
		.amdhsa_float_denorm_mode_32 3
		.amdhsa_float_denorm_mode_16_64 3
		.amdhsa_dx10_clamp 1
		.amdhsa_ieee_mode 1
		.amdhsa_fp16_overflow 0
		.amdhsa_workgroup_processor_mode 1
		.amdhsa_memory_ordered 1
		.amdhsa_forward_progress 0
		.amdhsa_shared_vgpr_count 0
		.amdhsa_exception_fp_ieee_invalid_op 0
		.amdhsa_exception_fp_denorm_src 0
		.amdhsa_exception_fp_ieee_div_zero 0
		.amdhsa_exception_fp_ieee_overflow 0
		.amdhsa_exception_fp_ieee_underflow 0
		.amdhsa_exception_fp_ieee_inexact 0
		.amdhsa_exception_int_div_zero 0
	.end_amdhsa_kernel
	.section	.text._ZN7rocprim17ROCPRIM_400000_NS6detail17trampoline_kernelINS0_14default_configENS1_25partition_config_selectorILNS1_17partition_subalgoE5ElNS0_10empty_typeEbEEZZNS1_14partition_implILS5_5ELb0ES3_mN6hipcub16HIPCUB_304000_NS21CountingInputIteratorIllEEPS6_NSA_22TransformInputIteratorIbN2at6native12_GLOBAL__N_19NonZeroOpIdEEPKdlEENS0_5tupleIJPlS6_EEENSN_IJSD_SD_EEES6_PiJS6_EEE10hipError_tPvRmT3_T4_T5_T6_T7_T9_mT8_P12ihipStream_tbDpT10_ENKUlT_T0_E_clISt17integral_constantIbLb0EES1A_IbLb1EEEEDaS16_S17_EUlS16_E_NS1_11comp_targetILNS1_3genE3ELNS1_11target_archE908ELNS1_3gpuE7ELNS1_3repE0EEENS1_30default_config_static_selectorELNS0_4arch9wavefront6targetE0EEEvT1_,"axG",@progbits,_ZN7rocprim17ROCPRIM_400000_NS6detail17trampoline_kernelINS0_14default_configENS1_25partition_config_selectorILNS1_17partition_subalgoE5ElNS0_10empty_typeEbEEZZNS1_14partition_implILS5_5ELb0ES3_mN6hipcub16HIPCUB_304000_NS21CountingInputIteratorIllEEPS6_NSA_22TransformInputIteratorIbN2at6native12_GLOBAL__N_19NonZeroOpIdEEPKdlEENS0_5tupleIJPlS6_EEENSN_IJSD_SD_EEES6_PiJS6_EEE10hipError_tPvRmT3_T4_T5_T6_T7_T9_mT8_P12ihipStream_tbDpT10_ENKUlT_T0_E_clISt17integral_constantIbLb0EES1A_IbLb1EEEEDaS16_S17_EUlS16_E_NS1_11comp_targetILNS1_3genE3ELNS1_11target_archE908ELNS1_3gpuE7ELNS1_3repE0EEENS1_30default_config_static_selectorELNS0_4arch9wavefront6targetE0EEEvT1_,comdat
.Lfunc_end417:
	.size	_ZN7rocprim17ROCPRIM_400000_NS6detail17trampoline_kernelINS0_14default_configENS1_25partition_config_selectorILNS1_17partition_subalgoE5ElNS0_10empty_typeEbEEZZNS1_14partition_implILS5_5ELb0ES3_mN6hipcub16HIPCUB_304000_NS21CountingInputIteratorIllEEPS6_NSA_22TransformInputIteratorIbN2at6native12_GLOBAL__N_19NonZeroOpIdEEPKdlEENS0_5tupleIJPlS6_EEENSN_IJSD_SD_EEES6_PiJS6_EEE10hipError_tPvRmT3_T4_T5_T6_T7_T9_mT8_P12ihipStream_tbDpT10_ENKUlT_T0_E_clISt17integral_constantIbLb0EES1A_IbLb1EEEEDaS16_S17_EUlS16_E_NS1_11comp_targetILNS1_3genE3ELNS1_11target_archE908ELNS1_3gpuE7ELNS1_3repE0EEENS1_30default_config_static_selectorELNS0_4arch9wavefront6targetE0EEEvT1_, .Lfunc_end417-_ZN7rocprim17ROCPRIM_400000_NS6detail17trampoline_kernelINS0_14default_configENS1_25partition_config_selectorILNS1_17partition_subalgoE5ElNS0_10empty_typeEbEEZZNS1_14partition_implILS5_5ELb0ES3_mN6hipcub16HIPCUB_304000_NS21CountingInputIteratorIllEEPS6_NSA_22TransformInputIteratorIbN2at6native12_GLOBAL__N_19NonZeroOpIdEEPKdlEENS0_5tupleIJPlS6_EEENSN_IJSD_SD_EEES6_PiJS6_EEE10hipError_tPvRmT3_T4_T5_T6_T7_T9_mT8_P12ihipStream_tbDpT10_ENKUlT_T0_E_clISt17integral_constantIbLb0EES1A_IbLb1EEEEDaS16_S17_EUlS16_E_NS1_11comp_targetILNS1_3genE3ELNS1_11target_archE908ELNS1_3gpuE7ELNS1_3repE0EEENS1_30default_config_static_selectorELNS0_4arch9wavefront6targetE0EEEvT1_
                                        ; -- End function
	.section	.AMDGPU.csdata,"",@progbits
; Kernel info:
; codeLenInByte = 0
; NumSgprs: 0
; NumVgprs: 0
; ScratchSize: 0
; MemoryBound: 0
; FloatMode: 240
; IeeeMode: 1
; LDSByteSize: 0 bytes/workgroup (compile time only)
; SGPRBlocks: 0
; VGPRBlocks: 0
; NumSGPRsForWavesPerEU: 1
; NumVGPRsForWavesPerEU: 1
; Occupancy: 16
; WaveLimiterHint : 0
; COMPUTE_PGM_RSRC2:SCRATCH_EN: 0
; COMPUTE_PGM_RSRC2:USER_SGPR: 15
; COMPUTE_PGM_RSRC2:TRAP_HANDLER: 0
; COMPUTE_PGM_RSRC2:TGID_X_EN: 1
; COMPUTE_PGM_RSRC2:TGID_Y_EN: 0
; COMPUTE_PGM_RSRC2:TGID_Z_EN: 0
; COMPUTE_PGM_RSRC2:TIDIG_COMP_CNT: 0
	.section	.text._ZN7rocprim17ROCPRIM_400000_NS6detail17trampoline_kernelINS0_14default_configENS1_25partition_config_selectorILNS1_17partition_subalgoE5ElNS0_10empty_typeEbEEZZNS1_14partition_implILS5_5ELb0ES3_mN6hipcub16HIPCUB_304000_NS21CountingInputIteratorIllEEPS6_NSA_22TransformInputIteratorIbN2at6native12_GLOBAL__N_19NonZeroOpIdEEPKdlEENS0_5tupleIJPlS6_EEENSN_IJSD_SD_EEES6_PiJS6_EEE10hipError_tPvRmT3_T4_T5_T6_T7_T9_mT8_P12ihipStream_tbDpT10_ENKUlT_T0_E_clISt17integral_constantIbLb0EES1A_IbLb1EEEEDaS16_S17_EUlS16_E_NS1_11comp_targetILNS1_3genE2ELNS1_11target_archE906ELNS1_3gpuE6ELNS1_3repE0EEENS1_30default_config_static_selectorELNS0_4arch9wavefront6targetE0EEEvT1_,"axG",@progbits,_ZN7rocprim17ROCPRIM_400000_NS6detail17trampoline_kernelINS0_14default_configENS1_25partition_config_selectorILNS1_17partition_subalgoE5ElNS0_10empty_typeEbEEZZNS1_14partition_implILS5_5ELb0ES3_mN6hipcub16HIPCUB_304000_NS21CountingInputIteratorIllEEPS6_NSA_22TransformInputIteratorIbN2at6native12_GLOBAL__N_19NonZeroOpIdEEPKdlEENS0_5tupleIJPlS6_EEENSN_IJSD_SD_EEES6_PiJS6_EEE10hipError_tPvRmT3_T4_T5_T6_T7_T9_mT8_P12ihipStream_tbDpT10_ENKUlT_T0_E_clISt17integral_constantIbLb0EES1A_IbLb1EEEEDaS16_S17_EUlS16_E_NS1_11comp_targetILNS1_3genE2ELNS1_11target_archE906ELNS1_3gpuE6ELNS1_3repE0EEENS1_30default_config_static_selectorELNS0_4arch9wavefront6targetE0EEEvT1_,comdat
	.globl	_ZN7rocprim17ROCPRIM_400000_NS6detail17trampoline_kernelINS0_14default_configENS1_25partition_config_selectorILNS1_17partition_subalgoE5ElNS0_10empty_typeEbEEZZNS1_14partition_implILS5_5ELb0ES3_mN6hipcub16HIPCUB_304000_NS21CountingInputIteratorIllEEPS6_NSA_22TransformInputIteratorIbN2at6native12_GLOBAL__N_19NonZeroOpIdEEPKdlEENS0_5tupleIJPlS6_EEENSN_IJSD_SD_EEES6_PiJS6_EEE10hipError_tPvRmT3_T4_T5_T6_T7_T9_mT8_P12ihipStream_tbDpT10_ENKUlT_T0_E_clISt17integral_constantIbLb0EES1A_IbLb1EEEEDaS16_S17_EUlS16_E_NS1_11comp_targetILNS1_3genE2ELNS1_11target_archE906ELNS1_3gpuE6ELNS1_3repE0EEENS1_30default_config_static_selectorELNS0_4arch9wavefront6targetE0EEEvT1_ ; -- Begin function _ZN7rocprim17ROCPRIM_400000_NS6detail17trampoline_kernelINS0_14default_configENS1_25partition_config_selectorILNS1_17partition_subalgoE5ElNS0_10empty_typeEbEEZZNS1_14partition_implILS5_5ELb0ES3_mN6hipcub16HIPCUB_304000_NS21CountingInputIteratorIllEEPS6_NSA_22TransformInputIteratorIbN2at6native12_GLOBAL__N_19NonZeroOpIdEEPKdlEENS0_5tupleIJPlS6_EEENSN_IJSD_SD_EEES6_PiJS6_EEE10hipError_tPvRmT3_T4_T5_T6_T7_T9_mT8_P12ihipStream_tbDpT10_ENKUlT_T0_E_clISt17integral_constantIbLb0EES1A_IbLb1EEEEDaS16_S17_EUlS16_E_NS1_11comp_targetILNS1_3genE2ELNS1_11target_archE906ELNS1_3gpuE6ELNS1_3repE0EEENS1_30default_config_static_selectorELNS0_4arch9wavefront6targetE0EEEvT1_
	.p2align	8
	.type	_ZN7rocprim17ROCPRIM_400000_NS6detail17trampoline_kernelINS0_14default_configENS1_25partition_config_selectorILNS1_17partition_subalgoE5ElNS0_10empty_typeEbEEZZNS1_14partition_implILS5_5ELb0ES3_mN6hipcub16HIPCUB_304000_NS21CountingInputIteratorIllEEPS6_NSA_22TransformInputIteratorIbN2at6native12_GLOBAL__N_19NonZeroOpIdEEPKdlEENS0_5tupleIJPlS6_EEENSN_IJSD_SD_EEES6_PiJS6_EEE10hipError_tPvRmT3_T4_T5_T6_T7_T9_mT8_P12ihipStream_tbDpT10_ENKUlT_T0_E_clISt17integral_constantIbLb0EES1A_IbLb1EEEEDaS16_S17_EUlS16_E_NS1_11comp_targetILNS1_3genE2ELNS1_11target_archE906ELNS1_3gpuE6ELNS1_3repE0EEENS1_30default_config_static_selectorELNS0_4arch9wavefront6targetE0EEEvT1_,@function
_ZN7rocprim17ROCPRIM_400000_NS6detail17trampoline_kernelINS0_14default_configENS1_25partition_config_selectorILNS1_17partition_subalgoE5ElNS0_10empty_typeEbEEZZNS1_14partition_implILS5_5ELb0ES3_mN6hipcub16HIPCUB_304000_NS21CountingInputIteratorIllEEPS6_NSA_22TransformInputIteratorIbN2at6native12_GLOBAL__N_19NonZeroOpIdEEPKdlEENS0_5tupleIJPlS6_EEENSN_IJSD_SD_EEES6_PiJS6_EEE10hipError_tPvRmT3_T4_T5_T6_T7_T9_mT8_P12ihipStream_tbDpT10_ENKUlT_T0_E_clISt17integral_constantIbLb0EES1A_IbLb1EEEEDaS16_S17_EUlS16_E_NS1_11comp_targetILNS1_3genE2ELNS1_11target_archE906ELNS1_3gpuE6ELNS1_3repE0EEENS1_30default_config_static_selectorELNS0_4arch9wavefront6targetE0EEEvT1_: ; @_ZN7rocprim17ROCPRIM_400000_NS6detail17trampoline_kernelINS0_14default_configENS1_25partition_config_selectorILNS1_17partition_subalgoE5ElNS0_10empty_typeEbEEZZNS1_14partition_implILS5_5ELb0ES3_mN6hipcub16HIPCUB_304000_NS21CountingInputIteratorIllEEPS6_NSA_22TransformInputIteratorIbN2at6native12_GLOBAL__N_19NonZeroOpIdEEPKdlEENS0_5tupleIJPlS6_EEENSN_IJSD_SD_EEES6_PiJS6_EEE10hipError_tPvRmT3_T4_T5_T6_T7_T9_mT8_P12ihipStream_tbDpT10_ENKUlT_T0_E_clISt17integral_constantIbLb0EES1A_IbLb1EEEEDaS16_S17_EUlS16_E_NS1_11comp_targetILNS1_3genE2ELNS1_11target_archE906ELNS1_3gpuE6ELNS1_3repE0EEENS1_30default_config_static_selectorELNS0_4arch9wavefront6targetE0EEEvT1_
; %bb.0:
	.section	.rodata,"a",@progbits
	.p2align	6, 0x0
	.amdhsa_kernel _ZN7rocprim17ROCPRIM_400000_NS6detail17trampoline_kernelINS0_14default_configENS1_25partition_config_selectorILNS1_17partition_subalgoE5ElNS0_10empty_typeEbEEZZNS1_14partition_implILS5_5ELb0ES3_mN6hipcub16HIPCUB_304000_NS21CountingInputIteratorIllEEPS6_NSA_22TransformInputIteratorIbN2at6native12_GLOBAL__N_19NonZeroOpIdEEPKdlEENS0_5tupleIJPlS6_EEENSN_IJSD_SD_EEES6_PiJS6_EEE10hipError_tPvRmT3_T4_T5_T6_T7_T9_mT8_P12ihipStream_tbDpT10_ENKUlT_T0_E_clISt17integral_constantIbLb0EES1A_IbLb1EEEEDaS16_S17_EUlS16_E_NS1_11comp_targetILNS1_3genE2ELNS1_11target_archE906ELNS1_3gpuE6ELNS1_3repE0EEENS1_30default_config_static_selectorELNS0_4arch9wavefront6targetE0EEEvT1_
		.amdhsa_group_segment_fixed_size 0
		.amdhsa_private_segment_fixed_size 0
		.amdhsa_kernarg_size 136
		.amdhsa_user_sgpr_count 15
		.amdhsa_user_sgpr_dispatch_ptr 0
		.amdhsa_user_sgpr_queue_ptr 0
		.amdhsa_user_sgpr_kernarg_segment_ptr 1
		.amdhsa_user_sgpr_dispatch_id 0
		.amdhsa_user_sgpr_private_segment_size 0
		.amdhsa_wavefront_size32 1
		.amdhsa_uses_dynamic_stack 0
		.amdhsa_enable_private_segment 0
		.amdhsa_system_sgpr_workgroup_id_x 1
		.amdhsa_system_sgpr_workgroup_id_y 0
		.amdhsa_system_sgpr_workgroup_id_z 0
		.amdhsa_system_sgpr_workgroup_info 0
		.amdhsa_system_vgpr_workitem_id 0
		.amdhsa_next_free_vgpr 1
		.amdhsa_next_free_sgpr 1
		.amdhsa_reserve_vcc 0
		.amdhsa_float_round_mode_32 0
		.amdhsa_float_round_mode_16_64 0
		.amdhsa_float_denorm_mode_32 3
		.amdhsa_float_denorm_mode_16_64 3
		.amdhsa_dx10_clamp 1
		.amdhsa_ieee_mode 1
		.amdhsa_fp16_overflow 0
		.amdhsa_workgroup_processor_mode 1
		.amdhsa_memory_ordered 1
		.amdhsa_forward_progress 0
		.amdhsa_shared_vgpr_count 0
		.amdhsa_exception_fp_ieee_invalid_op 0
		.amdhsa_exception_fp_denorm_src 0
		.amdhsa_exception_fp_ieee_div_zero 0
		.amdhsa_exception_fp_ieee_overflow 0
		.amdhsa_exception_fp_ieee_underflow 0
		.amdhsa_exception_fp_ieee_inexact 0
		.amdhsa_exception_int_div_zero 0
	.end_amdhsa_kernel
	.section	.text._ZN7rocprim17ROCPRIM_400000_NS6detail17trampoline_kernelINS0_14default_configENS1_25partition_config_selectorILNS1_17partition_subalgoE5ElNS0_10empty_typeEbEEZZNS1_14partition_implILS5_5ELb0ES3_mN6hipcub16HIPCUB_304000_NS21CountingInputIteratorIllEEPS6_NSA_22TransformInputIteratorIbN2at6native12_GLOBAL__N_19NonZeroOpIdEEPKdlEENS0_5tupleIJPlS6_EEENSN_IJSD_SD_EEES6_PiJS6_EEE10hipError_tPvRmT3_T4_T5_T6_T7_T9_mT8_P12ihipStream_tbDpT10_ENKUlT_T0_E_clISt17integral_constantIbLb0EES1A_IbLb1EEEEDaS16_S17_EUlS16_E_NS1_11comp_targetILNS1_3genE2ELNS1_11target_archE906ELNS1_3gpuE6ELNS1_3repE0EEENS1_30default_config_static_selectorELNS0_4arch9wavefront6targetE0EEEvT1_,"axG",@progbits,_ZN7rocprim17ROCPRIM_400000_NS6detail17trampoline_kernelINS0_14default_configENS1_25partition_config_selectorILNS1_17partition_subalgoE5ElNS0_10empty_typeEbEEZZNS1_14partition_implILS5_5ELb0ES3_mN6hipcub16HIPCUB_304000_NS21CountingInputIteratorIllEEPS6_NSA_22TransformInputIteratorIbN2at6native12_GLOBAL__N_19NonZeroOpIdEEPKdlEENS0_5tupleIJPlS6_EEENSN_IJSD_SD_EEES6_PiJS6_EEE10hipError_tPvRmT3_T4_T5_T6_T7_T9_mT8_P12ihipStream_tbDpT10_ENKUlT_T0_E_clISt17integral_constantIbLb0EES1A_IbLb1EEEEDaS16_S17_EUlS16_E_NS1_11comp_targetILNS1_3genE2ELNS1_11target_archE906ELNS1_3gpuE6ELNS1_3repE0EEENS1_30default_config_static_selectorELNS0_4arch9wavefront6targetE0EEEvT1_,comdat
.Lfunc_end418:
	.size	_ZN7rocprim17ROCPRIM_400000_NS6detail17trampoline_kernelINS0_14default_configENS1_25partition_config_selectorILNS1_17partition_subalgoE5ElNS0_10empty_typeEbEEZZNS1_14partition_implILS5_5ELb0ES3_mN6hipcub16HIPCUB_304000_NS21CountingInputIteratorIllEEPS6_NSA_22TransformInputIteratorIbN2at6native12_GLOBAL__N_19NonZeroOpIdEEPKdlEENS0_5tupleIJPlS6_EEENSN_IJSD_SD_EEES6_PiJS6_EEE10hipError_tPvRmT3_T4_T5_T6_T7_T9_mT8_P12ihipStream_tbDpT10_ENKUlT_T0_E_clISt17integral_constantIbLb0EES1A_IbLb1EEEEDaS16_S17_EUlS16_E_NS1_11comp_targetILNS1_3genE2ELNS1_11target_archE906ELNS1_3gpuE6ELNS1_3repE0EEENS1_30default_config_static_selectorELNS0_4arch9wavefront6targetE0EEEvT1_, .Lfunc_end418-_ZN7rocprim17ROCPRIM_400000_NS6detail17trampoline_kernelINS0_14default_configENS1_25partition_config_selectorILNS1_17partition_subalgoE5ElNS0_10empty_typeEbEEZZNS1_14partition_implILS5_5ELb0ES3_mN6hipcub16HIPCUB_304000_NS21CountingInputIteratorIllEEPS6_NSA_22TransformInputIteratorIbN2at6native12_GLOBAL__N_19NonZeroOpIdEEPKdlEENS0_5tupleIJPlS6_EEENSN_IJSD_SD_EEES6_PiJS6_EEE10hipError_tPvRmT3_T4_T5_T6_T7_T9_mT8_P12ihipStream_tbDpT10_ENKUlT_T0_E_clISt17integral_constantIbLb0EES1A_IbLb1EEEEDaS16_S17_EUlS16_E_NS1_11comp_targetILNS1_3genE2ELNS1_11target_archE906ELNS1_3gpuE6ELNS1_3repE0EEENS1_30default_config_static_selectorELNS0_4arch9wavefront6targetE0EEEvT1_
                                        ; -- End function
	.section	.AMDGPU.csdata,"",@progbits
; Kernel info:
; codeLenInByte = 0
; NumSgprs: 0
; NumVgprs: 0
; ScratchSize: 0
; MemoryBound: 0
; FloatMode: 240
; IeeeMode: 1
; LDSByteSize: 0 bytes/workgroup (compile time only)
; SGPRBlocks: 0
; VGPRBlocks: 0
; NumSGPRsForWavesPerEU: 1
; NumVGPRsForWavesPerEU: 1
; Occupancy: 16
; WaveLimiterHint : 0
; COMPUTE_PGM_RSRC2:SCRATCH_EN: 0
; COMPUTE_PGM_RSRC2:USER_SGPR: 15
; COMPUTE_PGM_RSRC2:TRAP_HANDLER: 0
; COMPUTE_PGM_RSRC2:TGID_X_EN: 1
; COMPUTE_PGM_RSRC2:TGID_Y_EN: 0
; COMPUTE_PGM_RSRC2:TGID_Z_EN: 0
; COMPUTE_PGM_RSRC2:TIDIG_COMP_CNT: 0
	.section	.text._ZN7rocprim17ROCPRIM_400000_NS6detail17trampoline_kernelINS0_14default_configENS1_25partition_config_selectorILNS1_17partition_subalgoE5ElNS0_10empty_typeEbEEZZNS1_14partition_implILS5_5ELb0ES3_mN6hipcub16HIPCUB_304000_NS21CountingInputIteratorIllEEPS6_NSA_22TransformInputIteratorIbN2at6native12_GLOBAL__N_19NonZeroOpIdEEPKdlEENS0_5tupleIJPlS6_EEENSN_IJSD_SD_EEES6_PiJS6_EEE10hipError_tPvRmT3_T4_T5_T6_T7_T9_mT8_P12ihipStream_tbDpT10_ENKUlT_T0_E_clISt17integral_constantIbLb0EES1A_IbLb1EEEEDaS16_S17_EUlS16_E_NS1_11comp_targetILNS1_3genE10ELNS1_11target_archE1200ELNS1_3gpuE4ELNS1_3repE0EEENS1_30default_config_static_selectorELNS0_4arch9wavefront6targetE0EEEvT1_,"axG",@progbits,_ZN7rocprim17ROCPRIM_400000_NS6detail17trampoline_kernelINS0_14default_configENS1_25partition_config_selectorILNS1_17partition_subalgoE5ElNS0_10empty_typeEbEEZZNS1_14partition_implILS5_5ELb0ES3_mN6hipcub16HIPCUB_304000_NS21CountingInputIteratorIllEEPS6_NSA_22TransformInputIteratorIbN2at6native12_GLOBAL__N_19NonZeroOpIdEEPKdlEENS0_5tupleIJPlS6_EEENSN_IJSD_SD_EEES6_PiJS6_EEE10hipError_tPvRmT3_T4_T5_T6_T7_T9_mT8_P12ihipStream_tbDpT10_ENKUlT_T0_E_clISt17integral_constantIbLb0EES1A_IbLb1EEEEDaS16_S17_EUlS16_E_NS1_11comp_targetILNS1_3genE10ELNS1_11target_archE1200ELNS1_3gpuE4ELNS1_3repE0EEENS1_30default_config_static_selectorELNS0_4arch9wavefront6targetE0EEEvT1_,comdat
	.globl	_ZN7rocprim17ROCPRIM_400000_NS6detail17trampoline_kernelINS0_14default_configENS1_25partition_config_selectorILNS1_17partition_subalgoE5ElNS0_10empty_typeEbEEZZNS1_14partition_implILS5_5ELb0ES3_mN6hipcub16HIPCUB_304000_NS21CountingInputIteratorIllEEPS6_NSA_22TransformInputIteratorIbN2at6native12_GLOBAL__N_19NonZeroOpIdEEPKdlEENS0_5tupleIJPlS6_EEENSN_IJSD_SD_EEES6_PiJS6_EEE10hipError_tPvRmT3_T4_T5_T6_T7_T9_mT8_P12ihipStream_tbDpT10_ENKUlT_T0_E_clISt17integral_constantIbLb0EES1A_IbLb1EEEEDaS16_S17_EUlS16_E_NS1_11comp_targetILNS1_3genE10ELNS1_11target_archE1200ELNS1_3gpuE4ELNS1_3repE0EEENS1_30default_config_static_selectorELNS0_4arch9wavefront6targetE0EEEvT1_ ; -- Begin function _ZN7rocprim17ROCPRIM_400000_NS6detail17trampoline_kernelINS0_14default_configENS1_25partition_config_selectorILNS1_17partition_subalgoE5ElNS0_10empty_typeEbEEZZNS1_14partition_implILS5_5ELb0ES3_mN6hipcub16HIPCUB_304000_NS21CountingInputIteratorIllEEPS6_NSA_22TransformInputIteratorIbN2at6native12_GLOBAL__N_19NonZeroOpIdEEPKdlEENS0_5tupleIJPlS6_EEENSN_IJSD_SD_EEES6_PiJS6_EEE10hipError_tPvRmT3_T4_T5_T6_T7_T9_mT8_P12ihipStream_tbDpT10_ENKUlT_T0_E_clISt17integral_constantIbLb0EES1A_IbLb1EEEEDaS16_S17_EUlS16_E_NS1_11comp_targetILNS1_3genE10ELNS1_11target_archE1200ELNS1_3gpuE4ELNS1_3repE0EEENS1_30default_config_static_selectorELNS0_4arch9wavefront6targetE0EEEvT1_
	.p2align	8
	.type	_ZN7rocprim17ROCPRIM_400000_NS6detail17trampoline_kernelINS0_14default_configENS1_25partition_config_selectorILNS1_17partition_subalgoE5ElNS0_10empty_typeEbEEZZNS1_14partition_implILS5_5ELb0ES3_mN6hipcub16HIPCUB_304000_NS21CountingInputIteratorIllEEPS6_NSA_22TransformInputIteratorIbN2at6native12_GLOBAL__N_19NonZeroOpIdEEPKdlEENS0_5tupleIJPlS6_EEENSN_IJSD_SD_EEES6_PiJS6_EEE10hipError_tPvRmT3_T4_T5_T6_T7_T9_mT8_P12ihipStream_tbDpT10_ENKUlT_T0_E_clISt17integral_constantIbLb0EES1A_IbLb1EEEEDaS16_S17_EUlS16_E_NS1_11comp_targetILNS1_3genE10ELNS1_11target_archE1200ELNS1_3gpuE4ELNS1_3repE0EEENS1_30default_config_static_selectorELNS0_4arch9wavefront6targetE0EEEvT1_,@function
_ZN7rocprim17ROCPRIM_400000_NS6detail17trampoline_kernelINS0_14default_configENS1_25partition_config_selectorILNS1_17partition_subalgoE5ElNS0_10empty_typeEbEEZZNS1_14partition_implILS5_5ELb0ES3_mN6hipcub16HIPCUB_304000_NS21CountingInputIteratorIllEEPS6_NSA_22TransformInputIteratorIbN2at6native12_GLOBAL__N_19NonZeroOpIdEEPKdlEENS0_5tupleIJPlS6_EEENSN_IJSD_SD_EEES6_PiJS6_EEE10hipError_tPvRmT3_T4_T5_T6_T7_T9_mT8_P12ihipStream_tbDpT10_ENKUlT_T0_E_clISt17integral_constantIbLb0EES1A_IbLb1EEEEDaS16_S17_EUlS16_E_NS1_11comp_targetILNS1_3genE10ELNS1_11target_archE1200ELNS1_3gpuE4ELNS1_3repE0EEENS1_30default_config_static_selectorELNS0_4arch9wavefront6targetE0EEEvT1_: ; @_ZN7rocprim17ROCPRIM_400000_NS6detail17trampoline_kernelINS0_14default_configENS1_25partition_config_selectorILNS1_17partition_subalgoE5ElNS0_10empty_typeEbEEZZNS1_14partition_implILS5_5ELb0ES3_mN6hipcub16HIPCUB_304000_NS21CountingInputIteratorIllEEPS6_NSA_22TransformInputIteratorIbN2at6native12_GLOBAL__N_19NonZeroOpIdEEPKdlEENS0_5tupleIJPlS6_EEENSN_IJSD_SD_EEES6_PiJS6_EEE10hipError_tPvRmT3_T4_T5_T6_T7_T9_mT8_P12ihipStream_tbDpT10_ENKUlT_T0_E_clISt17integral_constantIbLb0EES1A_IbLb1EEEEDaS16_S17_EUlS16_E_NS1_11comp_targetILNS1_3genE10ELNS1_11target_archE1200ELNS1_3gpuE4ELNS1_3repE0EEENS1_30default_config_static_selectorELNS0_4arch9wavefront6targetE0EEEvT1_
; %bb.0:
	.section	.rodata,"a",@progbits
	.p2align	6, 0x0
	.amdhsa_kernel _ZN7rocprim17ROCPRIM_400000_NS6detail17trampoline_kernelINS0_14default_configENS1_25partition_config_selectorILNS1_17partition_subalgoE5ElNS0_10empty_typeEbEEZZNS1_14partition_implILS5_5ELb0ES3_mN6hipcub16HIPCUB_304000_NS21CountingInputIteratorIllEEPS6_NSA_22TransformInputIteratorIbN2at6native12_GLOBAL__N_19NonZeroOpIdEEPKdlEENS0_5tupleIJPlS6_EEENSN_IJSD_SD_EEES6_PiJS6_EEE10hipError_tPvRmT3_T4_T5_T6_T7_T9_mT8_P12ihipStream_tbDpT10_ENKUlT_T0_E_clISt17integral_constantIbLb0EES1A_IbLb1EEEEDaS16_S17_EUlS16_E_NS1_11comp_targetILNS1_3genE10ELNS1_11target_archE1200ELNS1_3gpuE4ELNS1_3repE0EEENS1_30default_config_static_selectorELNS0_4arch9wavefront6targetE0EEEvT1_
		.amdhsa_group_segment_fixed_size 0
		.amdhsa_private_segment_fixed_size 0
		.amdhsa_kernarg_size 136
		.amdhsa_user_sgpr_count 15
		.amdhsa_user_sgpr_dispatch_ptr 0
		.amdhsa_user_sgpr_queue_ptr 0
		.amdhsa_user_sgpr_kernarg_segment_ptr 1
		.amdhsa_user_sgpr_dispatch_id 0
		.amdhsa_user_sgpr_private_segment_size 0
		.amdhsa_wavefront_size32 1
		.amdhsa_uses_dynamic_stack 0
		.amdhsa_enable_private_segment 0
		.amdhsa_system_sgpr_workgroup_id_x 1
		.amdhsa_system_sgpr_workgroup_id_y 0
		.amdhsa_system_sgpr_workgroup_id_z 0
		.amdhsa_system_sgpr_workgroup_info 0
		.amdhsa_system_vgpr_workitem_id 0
		.amdhsa_next_free_vgpr 1
		.amdhsa_next_free_sgpr 1
		.amdhsa_reserve_vcc 0
		.amdhsa_float_round_mode_32 0
		.amdhsa_float_round_mode_16_64 0
		.amdhsa_float_denorm_mode_32 3
		.amdhsa_float_denorm_mode_16_64 3
		.amdhsa_dx10_clamp 1
		.amdhsa_ieee_mode 1
		.amdhsa_fp16_overflow 0
		.amdhsa_workgroup_processor_mode 1
		.amdhsa_memory_ordered 1
		.amdhsa_forward_progress 0
		.amdhsa_shared_vgpr_count 0
		.amdhsa_exception_fp_ieee_invalid_op 0
		.amdhsa_exception_fp_denorm_src 0
		.amdhsa_exception_fp_ieee_div_zero 0
		.amdhsa_exception_fp_ieee_overflow 0
		.amdhsa_exception_fp_ieee_underflow 0
		.amdhsa_exception_fp_ieee_inexact 0
		.amdhsa_exception_int_div_zero 0
	.end_amdhsa_kernel
	.section	.text._ZN7rocprim17ROCPRIM_400000_NS6detail17trampoline_kernelINS0_14default_configENS1_25partition_config_selectorILNS1_17partition_subalgoE5ElNS0_10empty_typeEbEEZZNS1_14partition_implILS5_5ELb0ES3_mN6hipcub16HIPCUB_304000_NS21CountingInputIteratorIllEEPS6_NSA_22TransformInputIteratorIbN2at6native12_GLOBAL__N_19NonZeroOpIdEEPKdlEENS0_5tupleIJPlS6_EEENSN_IJSD_SD_EEES6_PiJS6_EEE10hipError_tPvRmT3_T4_T5_T6_T7_T9_mT8_P12ihipStream_tbDpT10_ENKUlT_T0_E_clISt17integral_constantIbLb0EES1A_IbLb1EEEEDaS16_S17_EUlS16_E_NS1_11comp_targetILNS1_3genE10ELNS1_11target_archE1200ELNS1_3gpuE4ELNS1_3repE0EEENS1_30default_config_static_selectorELNS0_4arch9wavefront6targetE0EEEvT1_,"axG",@progbits,_ZN7rocprim17ROCPRIM_400000_NS6detail17trampoline_kernelINS0_14default_configENS1_25partition_config_selectorILNS1_17partition_subalgoE5ElNS0_10empty_typeEbEEZZNS1_14partition_implILS5_5ELb0ES3_mN6hipcub16HIPCUB_304000_NS21CountingInputIteratorIllEEPS6_NSA_22TransformInputIteratorIbN2at6native12_GLOBAL__N_19NonZeroOpIdEEPKdlEENS0_5tupleIJPlS6_EEENSN_IJSD_SD_EEES6_PiJS6_EEE10hipError_tPvRmT3_T4_T5_T6_T7_T9_mT8_P12ihipStream_tbDpT10_ENKUlT_T0_E_clISt17integral_constantIbLb0EES1A_IbLb1EEEEDaS16_S17_EUlS16_E_NS1_11comp_targetILNS1_3genE10ELNS1_11target_archE1200ELNS1_3gpuE4ELNS1_3repE0EEENS1_30default_config_static_selectorELNS0_4arch9wavefront6targetE0EEEvT1_,comdat
.Lfunc_end419:
	.size	_ZN7rocprim17ROCPRIM_400000_NS6detail17trampoline_kernelINS0_14default_configENS1_25partition_config_selectorILNS1_17partition_subalgoE5ElNS0_10empty_typeEbEEZZNS1_14partition_implILS5_5ELb0ES3_mN6hipcub16HIPCUB_304000_NS21CountingInputIteratorIllEEPS6_NSA_22TransformInputIteratorIbN2at6native12_GLOBAL__N_19NonZeroOpIdEEPKdlEENS0_5tupleIJPlS6_EEENSN_IJSD_SD_EEES6_PiJS6_EEE10hipError_tPvRmT3_T4_T5_T6_T7_T9_mT8_P12ihipStream_tbDpT10_ENKUlT_T0_E_clISt17integral_constantIbLb0EES1A_IbLb1EEEEDaS16_S17_EUlS16_E_NS1_11comp_targetILNS1_3genE10ELNS1_11target_archE1200ELNS1_3gpuE4ELNS1_3repE0EEENS1_30default_config_static_selectorELNS0_4arch9wavefront6targetE0EEEvT1_, .Lfunc_end419-_ZN7rocprim17ROCPRIM_400000_NS6detail17trampoline_kernelINS0_14default_configENS1_25partition_config_selectorILNS1_17partition_subalgoE5ElNS0_10empty_typeEbEEZZNS1_14partition_implILS5_5ELb0ES3_mN6hipcub16HIPCUB_304000_NS21CountingInputIteratorIllEEPS6_NSA_22TransformInputIteratorIbN2at6native12_GLOBAL__N_19NonZeroOpIdEEPKdlEENS0_5tupleIJPlS6_EEENSN_IJSD_SD_EEES6_PiJS6_EEE10hipError_tPvRmT3_T4_T5_T6_T7_T9_mT8_P12ihipStream_tbDpT10_ENKUlT_T0_E_clISt17integral_constantIbLb0EES1A_IbLb1EEEEDaS16_S17_EUlS16_E_NS1_11comp_targetILNS1_3genE10ELNS1_11target_archE1200ELNS1_3gpuE4ELNS1_3repE0EEENS1_30default_config_static_selectorELNS0_4arch9wavefront6targetE0EEEvT1_
                                        ; -- End function
	.section	.AMDGPU.csdata,"",@progbits
; Kernel info:
; codeLenInByte = 0
; NumSgprs: 0
; NumVgprs: 0
; ScratchSize: 0
; MemoryBound: 0
; FloatMode: 240
; IeeeMode: 1
; LDSByteSize: 0 bytes/workgroup (compile time only)
; SGPRBlocks: 0
; VGPRBlocks: 0
; NumSGPRsForWavesPerEU: 1
; NumVGPRsForWavesPerEU: 1
; Occupancy: 16
; WaveLimiterHint : 0
; COMPUTE_PGM_RSRC2:SCRATCH_EN: 0
; COMPUTE_PGM_RSRC2:USER_SGPR: 15
; COMPUTE_PGM_RSRC2:TRAP_HANDLER: 0
; COMPUTE_PGM_RSRC2:TGID_X_EN: 1
; COMPUTE_PGM_RSRC2:TGID_Y_EN: 0
; COMPUTE_PGM_RSRC2:TGID_Z_EN: 0
; COMPUTE_PGM_RSRC2:TIDIG_COMP_CNT: 0
	.section	.text._ZN7rocprim17ROCPRIM_400000_NS6detail17trampoline_kernelINS0_14default_configENS1_25partition_config_selectorILNS1_17partition_subalgoE5ElNS0_10empty_typeEbEEZZNS1_14partition_implILS5_5ELb0ES3_mN6hipcub16HIPCUB_304000_NS21CountingInputIteratorIllEEPS6_NSA_22TransformInputIteratorIbN2at6native12_GLOBAL__N_19NonZeroOpIdEEPKdlEENS0_5tupleIJPlS6_EEENSN_IJSD_SD_EEES6_PiJS6_EEE10hipError_tPvRmT3_T4_T5_T6_T7_T9_mT8_P12ihipStream_tbDpT10_ENKUlT_T0_E_clISt17integral_constantIbLb0EES1A_IbLb1EEEEDaS16_S17_EUlS16_E_NS1_11comp_targetILNS1_3genE9ELNS1_11target_archE1100ELNS1_3gpuE3ELNS1_3repE0EEENS1_30default_config_static_selectorELNS0_4arch9wavefront6targetE0EEEvT1_,"axG",@progbits,_ZN7rocprim17ROCPRIM_400000_NS6detail17trampoline_kernelINS0_14default_configENS1_25partition_config_selectorILNS1_17partition_subalgoE5ElNS0_10empty_typeEbEEZZNS1_14partition_implILS5_5ELb0ES3_mN6hipcub16HIPCUB_304000_NS21CountingInputIteratorIllEEPS6_NSA_22TransformInputIteratorIbN2at6native12_GLOBAL__N_19NonZeroOpIdEEPKdlEENS0_5tupleIJPlS6_EEENSN_IJSD_SD_EEES6_PiJS6_EEE10hipError_tPvRmT3_T4_T5_T6_T7_T9_mT8_P12ihipStream_tbDpT10_ENKUlT_T0_E_clISt17integral_constantIbLb0EES1A_IbLb1EEEEDaS16_S17_EUlS16_E_NS1_11comp_targetILNS1_3genE9ELNS1_11target_archE1100ELNS1_3gpuE3ELNS1_3repE0EEENS1_30default_config_static_selectorELNS0_4arch9wavefront6targetE0EEEvT1_,comdat
	.globl	_ZN7rocprim17ROCPRIM_400000_NS6detail17trampoline_kernelINS0_14default_configENS1_25partition_config_selectorILNS1_17partition_subalgoE5ElNS0_10empty_typeEbEEZZNS1_14partition_implILS5_5ELb0ES3_mN6hipcub16HIPCUB_304000_NS21CountingInputIteratorIllEEPS6_NSA_22TransformInputIteratorIbN2at6native12_GLOBAL__N_19NonZeroOpIdEEPKdlEENS0_5tupleIJPlS6_EEENSN_IJSD_SD_EEES6_PiJS6_EEE10hipError_tPvRmT3_T4_T5_T6_T7_T9_mT8_P12ihipStream_tbDpT10_ENKUlT_T0_E_clISt17integral_constantIbLb0EES1A_IbLb1EEEEDaS16_S17_EUlS16_E_NS1_11comp_targetILNS1_3genE9ELNS1_11target_archE1100ELNS1_3gpuE3ELNS1_3repE0EEENS1_30default_config_static_selectorELNS0_4arch9wavefront6targetE0EEEvT1_ ; -- Begin function _ZN7rocprim17ROCPRIM_400000_NS6detail17trampoline_kernelINS0_14default_configENS1_25partition_config_selectorILNS1_17partition_subalgoE5ElNS0_10empty_typeEbEEZZNS1_14partition_implILS5_5ELb0ES3_mN6hipcub16HIPCUB_304000_NS21CountingInputIteratorIllEEPS6_NSA_22TransformInputIteratorIbN2at6native12_GLOBAL__N_19NonZeroOpIdEEPKdlEENS0_5tupleIJPlS6_EEENSN_IJSD_SD_EEES6_PiJS6_EEE10hipError_tPvRmT3_T4_T5_T6_T7_T9_mT8_P12ihipStream_tbDpT10_ENKUlT_T0_E_clISt17integral_constantIbLb0EES1A_IbLb1EEEEDaS16_S17_EUlS16_E_NS1_11comp_targetILNS1_3genE9ELNS1_11target_archE1100ELNS1_3gpuE3ELNS1_3repE0EEENS1_30default_config_static_selectorELNS0_4arch9wavefront6targetE0EEEvT1_
	.p2align	8
	.type	_ZN7rocprim17ROCPRIM_400000_NS6detail17trampoline_kernelINS0_14default_configENS1_25partition_config_selectorILNS1_17partition_subalgoE5ElNS0_10empty_typeEbEEZZNS1_14partition_implILS5_5ELb0ES3_mN6hipcub16HIPCUB_304000_NS21CountingInputIteratorIllEEPS6_NSA_22TransformInputIteratorIbN2at6native12_GLOBAL__N_19NonZeroOpIdEEPKdlEENS0_5tupleIJPlS6_EEENSN_IJSD_SD_EEES6_PiJS6_EEE10hipError_tPvRmT3_T4_T5_T6_T7_T9_mT8_P12ihipStream_tbDpT10_ENKUlT_T0_E_clISt17integral_constantIbLb0EES1A_IbLb1EEEEDaS16_S17_EUlS16_E_NS1_11comp_targetILNS1_3genE9ELNS1_11target_archE1100ELNS1_3gpuE3ELNS1_3repE0EEENS1_30default_config_static_selectorELNS0_4arch9wavefront6targetE0EEEvT1_,@function
_ZN7rocprim17ROCPRIM_400000_NS6detail17trampoline_kernelINS0_14default_configENS1_25partition_config_selectorILNS1_17partition_subalgoE5ElNS0_10empty_typeEbEEZZNS1_14partition_implILS5_5ELb0ES3_mN6hipcub16HIPCUB_304000_NS21CountingInputIteratorIllEEPS6_NSA_22TransformInputIteratorIbN2at6native12_GLOBAL__N_19NonZeroOpIdEEPKdlEENS0_5tupleIJPlS6_EEENSN_IJSD_SD_EEES6_PiJS6_EEE10hipError_tPvRmT3_T4_T5_T6_T7_T9_mT8_P12ihipStream_tbDpT10_ENKUlT_T0_E_clISt17integral_constantIbLb0EES1A_IbLb1EEEEDaS16_S17_EUlS16_E_NS1_11comp_targetILNS1_3genE9ELNS1_11target_archE1100ELNS1_3gpuE3ELNS1_3repE0EEENS1_30default_config_static_selectorELNS0_4arch9wavefront6targetE0EEEvT1_: ; @_ZN7rocprim17ROCPRIM_400000_NS6detail17trampoline_kernelINS0_14default_configENS1_25partition_config_selectorILNS1_17partition_subalgoE5ElNS0_10empty_typeEbEEZZNS1_14partition_implILS5_5ELb0ES3_mN6hipcub16HIPCUB_304000_NS21CountingInputIteratorIllEEPS6_NSA_22TransformInputIteratorIbN2at6native12_GLOBAL__N_19NonZeroOpIdEEPKdlEENS0_5tupleIJPlS6_EEENSN_IJSD_SD_EEES6_PiJS6_EEE10hipError_tPvRmT3_T4_T5_T6_T7_T9_mT8_P12ihipStream_tbDpT10_ENKUlT_T0_E_clISt17integral_constantIbLb0EES1A_IbLb1EEEEDaS16_S17_EUlS16_E_NS1_11comp_targetILNS1_3genE9ELNS1_11target_archE1100ELNS1_3gpuE3ELNS1_3repE0EEENS1_30default_config_static_selectorELNS0_4arch9wavefront6targetE0EEEvT1_
; %bb.0:
	s_clause 0x4
	s_load_b64 s[18:19], s[0:1], 0x20
	s_load_b64 s[12:13], s[0:1], 0x30
	;; [unrolled: 1-line block ×3, first 2 shown]
	s_load_b128 s[4:7], s[0:1], 0x48
	s_load_b64 s[14:15], s[0:1], 0x68
	v_cmp_eq_u32_e64 s2, 0, v0
	s_delay_alu instid0(VALU_DEP_1)
	s_and_saveexec_b32 s3, s2
	s_cbranch_execz .LBB420_4
; %bb.1:
	s_mov_b32 s9, exec_lo
	s_mov_b32 s8, exec_lo
	v_mbcnt_lo_u32_b32 v1, s9, 0
                                        ; implicit-def: $vgpr2
	s_delay_alu instid0(VALU_DEP_1)
	v_cmpx_eq_u32_e32 0, v1
	s_cbranch_execz .LBB420_3
; %bb.2:
	s_load_b64 s[10:11], s[0:1], 0x78
	s_bcnt1_i32_b32 s9, s9
	s_delay_alu instid0(SALU_CYCLE_1)
	v_dual_mov_b32 v2, 0 :: v_dual_mov_b32 v3, s9
	s_waitcnt lgkmcnt(0)
	global_atomic_add_u32 v2, v2, v3, s[10:11] glc
.LBB420_3:
	s_or_b32 exec_lo, exec_lo, s8
	s_waitcnt vmcnt(0)
	v_readfirstlane_b32 s8, v2
	s_delay_alu instid0(VALU_DEP_1)
	v_dual_mov_b32 v2, 0 :: v_dual_add_nc_u32 v1, s8, v1
	ds_store_b32 v2, v1
.LBB420_4:
	s_or_b32 exec_lo, exec_lo, s3
	v_mov_b32_e32 v1, 0
	s_clause 0x1
	s_load_b128 s[8:11], s[0:1], 0x8
	s_load_b32 s0, s[0:1], 0x70
	s_waitcnt lgkmcnt(0)
	s_barrier
	buffer_gl0_inv
	ds_load_b32 v3, v1
	s_waitcnt lgkmcnt(0)
	s_barrier
	buffer_gl0_inv
	global_load_b64 v[1:2], v1, s[6:7]
	s_add_u32 s21, s10, s8
	s_mul_i32 s20, s0, 0x300
	s_addc_u32 s22, s11, s9
	s_add_i32 s3, s0, -1
	s_add_u32 s0, s10, s20
	v_readfirstlane_b32 s9, v3
	s_addc_u32 s1, s11, 0
	s_delay_alu instid0(SALU_CYCLE_1) | instskip(SKIP_1) | instid1(VALU_DEP_2)
	v_cmp_ge_u64_e64 s0, s[0:1], s[16:17]
	s_mov_b32 s17, -1
	s_cmp_eq_u32 s9, s3
	s_cselect_b32 s3, -1, 0
	s_delay_alu instid0(VALU_DEP_1) | instid1(SALU_CYCLE_1)
	s_and_b32 s1, s0, s3
	s_mul_i32 s0, s9, 0x300
	s_xor_b32 s8, s1, -1
	s_mov_b32 s1, 0
	s_and_b32 vcc_lo, exec_lo, s8
	s_waitcnt vmcnt(0)
	v_readfirstlane_b32 s6, v1
	v_readfirstlane_b32 s7, v2
	s_cbranch_vccz .LBB420_6
; %bb.5:
	s_add_u32 s17, s0, s21
	s_addc_u32 s23, 0, s22
	v_add_co_u32 v1, s17, s17, v0
	s_delay_alu instid0(VALU_DEP_1) | instskip(SKIP_1) | instid1(VALU_DEP_3)
	v_add_co_ci_u32_e64 v2, null, s23, 0, s17
	v_lshlrev_b32_e32 v13, 3, v0
	v_add_co_u32 v3, vcc_lo, 0x80, v1
	s_delay_alu instid0(VALU_DEP_3)
	v_add_co_ci_u32_e32 v4, vcc_lo, 0, v2, vcc_lo
	v_add_co_u32 v5, vcc_lo, 0x100, v1
	v_add_co_ci_u32_e32 v6, vcc_lo, 0, v2, vcc_lo
	v_add_co_u32 v7, vcc_lo, 0x180, v1
	v_add_co_ci_u32_e32 v8, vcc_lo, 0, v2, vcc_lo
	v_add_co_u32 v9, vcc_lo, 0x200, v1
	v_add_co_ci_u32_e32 v10, vcc_lo, 0, v2, vcc_lo
	v_add_co_u32 v11, vcc_lo, 0x280, v1
	v_add_co_ci_u32_e32 v12, vcc_lo, 0, v2, vcc_lo
	ds_store_2addr_stride64_b64 v13, v[1:2], v[3:4] offset1:2
	ds_store_2addr_stride64_b64 v13, v[5:6], v[7:8] offset0:4 offset1:6
	ds_store_2addr_stride64_b64 v13, v[9:10], v[11:12] offset0:8 offset1:10
	s_waitcnt lgkmcnt(0)
	s_mov_b32 s17, s1
	s_barrier
.LBB420_6:
	v_or_b32_e32 v17, 0x100, v0
	v_or_b32_e32 v16, 0x180, v0
	;; [unrolled: 1-line block ×4, first 2 shown]
	s_and_not1_b32 vcc_lo, exec_lo, s17
	s_cbranch_vccnz .LBB420_8
; %bb.7:
	v_or_b32_e32 v3, 0x80, v0
	s_add_u32 s17, s21, s0
	s_addc_u32 s21, s22, 0
	v_add_co_u32 v1, s22, s17, v0
	s_delay_alu instid0(VALU_DEP_1) | instskip(SKIP_1) | instid1(VALU_DEP_1)
	v_add_co_ci_u32_e64 v2, null, s21, 0, s22
	v_add_co_u32 v3, s22, s17, v3
	v_add_co_ci_u32_e64 v4, null, s21, 0, s22
	v_add_co_u32 v5, s22, s17, v17
	s_delay_alu instid0(VALU_DEP_1) | instskip(SKIP_1) | instid1(VALU_DEP_1)
	v_add_co_ci_u32_e64 v6, null, s21, 0, s22
	v_add_co_u32 v7, s22, s17, v16
	v_add_co_ci_u32_e64 v8, null, s21, 0, s22
	v_add_co_u32 v9, s22, s17, v14
	v_lshlrev_b32_e32 v15, 3, v0
	v_add_co_u32 v11, s17, s17, v13
	v_add_co_ci_u32_e64 v10, null, s21, 0, s22
	v_add_co_ci_u32_e64 v12, null, s21, 0, s17
	ds_store_2addr_stride64_b64 v15, v[1:2], v[3:4] offset1:2
	ds_store_2addr_stride64_b64 v15, v[5:6], v[7:8] offset0:4 offset1:6
	ds_store_2addr_stride64_b64 v15, v[9:10], v[11:12] offset0:8 offset1:10
	s_waitcnt lgkmcnt(0)
	s_barrier
.LBB420_8:
	v_mul_u32_u24_e32 v1, 6, v0
	buffer_gl0_inv
	s_lshl_b64 s[22:23], s[10:11], 3
	s_delay_alu instid0(SALU_CYCLE_1)
	s_add_u32 s11, s18, s22
	v_lshlrev_b32_e32 v15, 3, v1
	s_addc_u32 s17, s19, s23
	s_lshl_b64 s[0:1], s[0:1], 3
	ds_load_b128 v[9:12], v15
	ds_load_b128 v[5:8], v15 offset:16
	ds_load_b128 v[1:4], v15 offset:32
	s_add_u32 s0, s11, s0
	s_addc_u32 s1, s17, s1
	s_and_b32 vcc_lo, exec_lo, s8
	s_mov_b32 s11, -1
	s_waitcnt lgkmcnt(0)
	s_barrier
	buffer_gl0_inv
	s_cbranch_vccz .LBB420_10
; %bb.9:
	v_lshlrev_b32_e32 v26, 3, v0
	s_clause 0x1
	global_load_b64 v[18:19], v26, s[0:1]
	global_load_b64 v[20:21], v26, s[0:1] offset:1024
	v_add_co_u32 v22, s11, s0, v26
	s_delay_alu instid0(VALU_DEP_1) | instskip(SKIP_1) | instid1(VALU_DEP_2)
	v_add_co_ci_u32_e64 v23, null, s1, 0, s11
	s_mov_b32 s11, 0
	v_add_co_u32 v22, vcc_lo, 0x1000, v22
	s_delay_alu instid0(VALU_DEP_2)
	v_add_co_ci_u32_e32 v23, vcc_lo, 0, v23, vcc_lo
	s_clause 0x3
	global_load_b64 v[24:25], v26, s[0:1] offset:2048
	global_load_b64 v[26:27], v26, s[0:1] offset:3072
	global_load_b64 v[28:29], v[22:23], off
	global_load_b64 v[22:23], v[22:23], off offset:1024
	s_waitcnt vmcnt(5)
	v_cmp_neq_f64_e32 vcc_lo, 0, v[18:19]
	v_cndmask_b32_e64 v18, 0, 1, vcc_lo
	s_waitcnt vmcnt(4)
	v_cmp_neq_f64_e32 vcc_lo, 0, v[20:21]
	v_cndmask_b32_e64 v19, 0, 1, vcc_lo
	;; [unrolled: 3-line block ×6, first 2 shown]
	ds_store_b8 v0, v18
	ds_store_b8 v0, v19 offset:128
	ds_store_b8 v0, v20 offset:256
	;; [unrolled: 1-line block ×5, first 2 shown]
	s_waitcnt lgkmcnt(0)
	s_barrier
.LBB420_10:
	s_and_not1_b32 vcc_lo, exec_lo, s11
	s_cbranch_vccnz .LBB420_24
; %bb.11:
	s_add_i32 s20, s20, s10
	v_dual_mov_b32 v18, 0 :: v_dual_mov_b32 v19, 0
	s_sub_i32 s10, s16, s20
	s_mov_b32 s11, exec_lo
	s_addk_i32 s10, 0x300
	s_delay_alu instid0(SALU_CYCLE_1)
	v_cmpx_gt_u32_e64 s10, v0
	s_cbranch_execz .LBB420_13
; %bb.12:
	v_lshlrev_b32_e32 v19, 3, v0
	global_load_b64 v[19:20], v19, s[0:1]
	s_waitcnt vmcnt(0)
	v_cmp_neq_f64_e32 vcc_lo, 0, v[19:20]
	v_cndmask_b32_e64 v19, 0, 1, vcc_lo
.LBB420_13:
	s_or_b32 exec_lo, exec_lo, s11
	v_or_b32_e32 v20, 0x80, v0
	s_mov_b32 s11, exec_lo
	s_delay_alu instid0(VALU_DEP_1)
	v_cmpx_gt_u32_e64 s10, v20
	s_cbranch_execz .LBB420_15
; %bb.14:
	v_lshlrev_b32_e32 v18, 3, v0
	global_load_b64 v[20:21], v18, s[0:1] offset:1024
	s_waitcnt vmcnt(0)
	v_cmp_neq_f64_e32 vcc_lo, 0, v[20:21]
	v_cndmask_b32_e64 v18, 0, 1, vcc_lo
.LBB420_15:
	s_or_b32 exec_lo, exec_lo, s11
	v_cmp_gt_u32_e32 vcc_lo, s10, v17
	v_dual_mov_b32 v17, 0 :: v_dual_mov_b32 v20, 0
	s_and_saveexec_b32 s11, vcc_lo
	s_cbranch_execz .LBB420_17
; %bb.16:
	v_lshlrev_b32_e32 v20, 3, v0
	global_load_b64 v[20:21], v20, s[0:1] offset:2048
	s_waitcnt vmcnt(0)
	v_cmp_neq_f64_e32 vcc_lo, 0, v[20:21]
	v_cndmask_b32_e64 v20, 0, 1, vcc_lo
.LBB420_17:
	s_or_b32 exec_lo, exec_lo, s11
	s_delay_alu instid0(SALU_CYCLE_1)
	s_mov_b32 s11, exec_lo
	v_cmpx_gt_u32_e64 s10, v16
	s_cbranch_execz .LBB420_19
; %bb.18:
	v_lshlrev_b32_e32 v16, 3, v0
	global_load_b64 v[16:17], v16, s[0:1] offset:3072
	s_waitcnt vmcnt(0)
	v_cmp_neq_f64_e32 vcc_lo, 0, v[16:17]
	v_cndmask_b32_e64 v17, 0, 1, vcc_lo
.LBB420_19:
	s_or_b32 exec_lo, exec_lo, s11
	v_dual_mov_b32 v16, 0 :: v_dual_mov_b32 v21, 0
	s_mov_b32 s11, exec_lo
	v_cmpx_gt_u32_e64 s10, v14
	s_cbranch_execz .LBB420_21
; %bb.20:
	v_lshlrev_b32_e32 v14, 3, v14
	global_load_b64 v[21:22], v14, s[0:1]
	s_waitcnt vmcnt(0)
	v_cmp_neq_f64_e32 vcc_lo, 0, v[21:22]
	v_cndmask_b32_e64 v21, 0, 1, vcc_lo
.LBB420_21:
	s_or_b32 exec_lo, exec_lo, s11
	v_cmp_gt_u32_e32 vcc_lo, s10, v13
	s_and_saveexec_b32 s10, vcc_lo
	s_cbranch_execz .LBB420_23
; %bb.22:
	v_lshlrev_b32_e32 v13, 3, v13
	global_load_b64 v[13:14], v13, s[0:1]
	s_waitcnt vmcnt(0)
	v_cmp_neq_f64_e32 vcc_lo, 0, v[13:14]
	v_cndmask_b32_e64 v16, 0, 1, vcc_lo
.LBB420_23:
	s_or_b32 exec_lo, exec_lo, s10
	ds_store_b8 v0, v19
	ds_store_b8 v0, v18 offset:128
	ds_store_b8 v0, v20 offset:256
	ds_store_b8 v0, v17 offset:384
	ds_store_b8 v0, v21 offset:512
	ds_store_b8 v0, v16 offset:640
	s_waitcnt lgkmcnt(0)
	s_barrier
.LBB420_24:
	v_mad_i32_i24 v43, 0xffffffd6, v0, v15
	buffer_gl0_inv
	v_mbcnt_lo_u32_b32 v42, -1, 0
	s_cmp_lg_u32 s9, 0
	s_mov_b32 s1, -1
	ds_load_u16 v36, v43
	ds_load_u16 v33, v43 offset:2
	ds_load_u16 v31, v43 offset:4
	v_mov_b32_e32 v14, 0
	v_and_b32_e32 v44, 15, v42
	s_waitcnt lgkmcnt(0)
	s_barrier
	buffer_gl0_inv
	v_and_b32_e32 v41, 0xff, v36
	v_lshrrev_b16 v34, 8, v36
	v_lshrrev_b16 v35, 8, v33
	v_and_b32_e32 v39, 0xff, v33
	v_lshrrev_b16 v32, 8, v31
	v_and_b32_e32 v37, 0xff, v31
	v_and_b32_e32 v40, 0xffff, v34
	;; [unrolled: 1-line block ×3, first 2 shown]
	s_delay_alu instid0(VALU_DEP_4) | instskip(NEXT) | instid1(VALU_DEP_3)
	v_and_b32_e32 v16, 0xffff, v32
	v_add_co_u32 v13, s0, v40, v41
	s_delay_alu instid0(VALU_DEP_1) | instskip(SKIP_1) | instid1(VALU_DEP_3)
	v_add_co_ci_u32_e64 v15, null, 0, 0, s0
	v_cmp_ne_u32_e64 s0, 0, v44
	v_add_co_u32 v13, vcc_lo, v13, v39
	s_delay_alu instid0(VALU_DEP_3) | instskip(NEXT) | instid1(VALU_DEP_2)
	v_add_co_ci_u32_e32 v15, vcc_lo, 0, v15, vcc_lo
	v_add_co_u32 v13, vcc_lo, v13, v38
	s_delay_alu instid0(VALU_DEP_2) | instskip(NEXT) | instid1(VALU_DEP_2)
	v_add_co_ci_u32_e32 v15, vcc_lo, 0, v15, vcc_lo
	v_add_co_u32 v13, vcc_lo, v13, v37
	s_delay_alu instid0(VALU_DEP_2) | instskip(NEXT) | instid1(VALU_DEP_2)
	v_add_co_ci_u32_e32 v15, vcc_lo, 0, v15, vcc_lo
	v_add_co_u32 v21, vcc_lo, v13, v16
	s_delay_alu instid0(VALU_DEP_2)
	v_add_co_ci_u32_e32 v22, vcc_lo, 0, v15, vcc_lo
	s_cbranch_scc0 .LBB420_88
; %bb.25:
	s_delay_alu instid0(VALU_DEP_2)
	v_mov_b32_e32 v15, v21
	v_mov_b32_dpp v13, v21 row_shr:1 row_mask:0xf bank_mask:0xf
	v_mov_b32_dpp v18, v14 row_shr:1 row_mask:0xf bank_mask:0xf
	v_dual_mov_b32 v17, v21 :: v_dual_mov_b32 v16, v22
	s_and_saveexec_b32 s1, s0
; %bb.26:
	s_delay_alu instid0(VALU_DEP_3) | instskip(SKIP_1) | instid1(VALU_DEP_2)
	v_add_co_u32 v17, vcc_lo, v21, v13
	v_add_co_ci_u32_e32 v14, vcc_lo, 0, v22, vcc_lo
	v_add_co_u32 v13, vcc_lo, 0, v17
	s_delay_alu instid0(VALU_DEP_2) | instskip(NEXT) | instid1(VALU_DEP_1)
	v_add_co_ci_u32_e32 v14, vcc_lo, v18, v14, vcc_lo
	v_dual_mov_b32 v16, v14 :: v_dual_mov_b32 v15, v13
; %bb.27:
	s_or_b32 exec_lo, exec_lo, s1
	v_mov_b32_dpp v13, v17 row_shr:2 row_mask:0xf bank_mask:0xf
	v_mov_b32_dpp v18, v14 row_shr:2 row_mask:0xf bank_mask:0xf
	s_mov_b32 s1, exec_lo
	v_cmpx_lt_u32_e32 1, v44
; %bb.28:
	s_delay_alu instid0(VALU_DEP_3) | instskip(SKIP_1) | instid1(VALU_DEP_2)
	v_add_co_u32 v17, vcc_lo, v15, v13
	v_add_co_ci_u32_e32 v14, vcc_lo, 0, v16, vcc_lo
	v_add_co_u32 v13, vcc_lo, 0, v17
	s_delay_alu instid0(VALU_DEP_2) | instskip(NEXT) | instid1(VALU_DEP_1)
	v_add_co_ci_u32_e32 v14, vcc_lo, v18, v14, vcc_lo
	v_dual_mov_b32 v16, v14 :: v_dual_mov_b32 v15, v13
; %bb.29:
	s_or_b32 exec_lo, exec_lo, s1
	v_mov_b32_dpp v13, v17 row_shr:4 row_mask:0xf bank_mask:0xf
	v_mov_b32_dpp v18, v14 row_shr:4 row_mask:0xf bank_mask:0xf
	s_mov_b32 s1, exec_lo
	v_cmpx_lt_u32_e32 3, v44
	;; [unrolled: 14-line block ×3, first 2 shown]
; %bb.32:
	s_delay_alu instid0(VALU_DEP_3) | instskip(SKIP_1) | instid1(VALU_DEP_2)
	v_add_co_u32 v17, vcc_lo, v15, v18
	v_add_co_ci_u32_e32 v14, vcc_lo, 0, v16, vcc_lo
	v_add_co_u32 v15, vcc_lo, 0, v17
	s_delay_alu instid0(VALU_DEP_2) | instskip(NEXT) | instid1(VALU_DEP_1)
	v_add_co_ci_u32_e32 v16, vcc_lo, v13, v14, vcc_lo
	v_mov_b32_e32 v14, v16
; %bb.33:
	s_or_b32 exec_lo, exec_lo, s1
	ds_swizzle_b32 v13, v17 offset:swizzle(BROADCAST,32,15)
	ds_swizzle_b32 v18, v14 offset:swizzle(BROADCAST,32,15)
	v_and_b32_e32 v19, 16, v42
	s_mov_b32 s1, exec_lo
	s_delay_alu instid0(VALU_DEP_1)
	v_cmpx_ne_u32_e32 0, v19
	s_cbranch_execz .LBB420_35
; %bb.34:
	s_waitcnt lgkmcnt(1)
	v_add_co_u32 v17, vcc_lo, v15, v13
	v_add_co_ci_u32_e32 v14, vcc_lo, 0, v16, vcc_lo
	s_delay_alu instid0(VALU_DEP_2) | instskip(SKIP_1) | instid1(VALU_DEP_2)
	v_add_co_u32 v13, vcc_lo, 0, v17
	s_waitcnt lgkmcnt(0)
	v_add_co_ci_u32_e32 v14, vcc_lo, v18, v14, vcc_lo
	s_delay_alu instid0(VALU_DEP_1)
	v_dual_mov_b32 v16, v14 :: v_dual_mov_b32 v15, v13
.LBB420_35:
	s_or_b32 exec_lo, exec_lo, s1
	s_waitcnt lgkmcnt(0)
	v_or_b32_e32 v18, 31, v0
	v_lshrrev_b32_e32 v13, 5, v0
	s_mov_b32 s1, exec_lo
	s_delay_alu instid0(VALU_DEP_2)
	v_cmpx_eq_u32_e64 v18, v0
	s_cbranch_execz .LBB420_37
; %bb.36:
	s_delay_alu instid0(VALU_DEP_2)
	v_lshlrev_b32_e32 v18, 3, v13
	ds_store_b64 v18, v[15:16]
.LBB420_37:
	s_or_b32 exec_lo, exec_lo, s1
	s_delay_alu instid0(SALU_CYCLE_1)
	s_mov_b32 s1, exec_lo
	s_waitcnt lgkmcnt(0)
	s_barrier
	buffer_gl0_inv
	v_cmpx_gt_u32_e32 4, v0
	s_cbranch_execz .LBB420_43
; %bb.38:
	v_lshlrev_b32_e32 v18, 3, v0
	s_mov_b32 s10, exec_lo
	ds_load_b64 v[15:16], v18
	s_waitcnt lgkmcnt(0)
	v_dual_mov_b32 v20, v15 :: v_dual_and_b32 v19, 3, v42
	v_mov_b32_dpp v24, v15 row_shr:1 row_mask:0xf bank_mask:0xf
	v_mov_b32_dpp v23, v16 row_shr:1 row_mask:0xf bank_mask:0xf
	s_delay_alu instid0(VALU_DEP_3)
	v_cmpx_ne_u32_e32 0, v19
; %bb.39:
	s_delay_alu instid0(VALU_DEP_3) | instskip(SKIP_1) | instid1(VALU_DEP_2)
	v_add_co_u32 v20, vcc_lo, v15, v24
	v_add_co_ci_u32_e32 v16, vcc_lo, 0, v16, vcc_lo
	v_add_co_u32 v15, vcc_lo, 0, v20
	s_delay_alu instid0(VALU_DEP_2)
	v_add_co_ci_u32_e32 v16, vcc_lo, v23, v16, vcc_lo
; %bb.40:
	s_or_b32 exec_lo, exec_lo, s10
	v_mov_b32_dpp v23, v20 row_shr:2 row_mask:0xf bank_mask:0xf
	s_delay_alu instid0(VALU_DEP_2)
	v_mov_b32_dpp v20, v16 row_shr:2 row_mask:0xf bank_mask:0xf
	s_mov_b32 s10, exec_lo
	v_cmpx_lt_u32_e32 1, v19
; %bb.41:
	s_delay_alu instid0(VALU_DEP_3) | instskip(SKIP_1) | instid1(VALU_DEP_2)
	v_add_co_u32 v15, vcc_lo, v15, v23
	v_add_co_ci_u32_e32 v16, vcc_lo, 0, v16, vcc_lo
	v_add_co_u32 v15, vcc_lo, v15, 0
	s_delay_alu instid0(VALU_DEP_2)
	v_add_co_ci_u32_e32 v16, vcc_lo, v16, v20, vcc_lo
; %bb.42:
	s_or_b32 exec_lo, exec_lo, s10
	ds_store_b64 v18, v[15:16]
.LBB420_43:
	s_or_b32 exec_lo, exec_lo, s1
	v_cmp_gt_u32_e32 vcc_lo, 32, v0
	s_mov_b32 s10, exec_lo
	s_waitcnt lgkmcnt(0)
	s_barrier
	buffer_gl0_inv
                                        ; implicit-def: $vgpr23_vgpr24
	v_cmpx_lt_u32_e32 31, v0
	s_cbranch_execz .LBB420_45
; %bb.44:
	v_lshl_add_u32 v13, v13, 3, -8
	ds_load_b64 v[23:24], v13
	s_waitcnt lgkmcnt(0)
	v_add_co_u32 v17, s1, v17, v23
	s_delay_alu instid0(VALU_DEP_1)
	v_add_co_ci_u32_e64 v14, s1, v14, v24, s1
.LBB420_45:
	s_or_b32 exec_lo, exec_lo, s10
	v_add_nc_u32_e32 v13, -1, v42
	s_delay_alu instid0(VALU_DEP_1) | instskip(NEXT) | instid1(VALU_DEP_1)
	v_cmp_gt_i32_e64 s1, 0, v13
	v_cndmask_b32_e64 v13, v13, v42, s1
	v_cmp_eq_u32_e64 s1, 0, v42
	s_delay_alu instid0(VALU_DEP_2)
	v_lshlrev_b32_e32 v13, 2, v13
	ds_bpermute_b32 v29, v13, v17
	ds_bpermute_b32 v30, v13, v14
	s_and_saveexec_b32 s10, vcc_lo
	s_cbranch_execz .LBB420_83
; %bb.46:
	v_mov_b32_e32 v16, 0
	ds_load_b64 v[13:14], v16 offset:24
	s_and_saveexec_b32 s11, s1
	s_cbranch_execz .LBB420_48
; %bb.47:
	s_add_i32 s16, s9, 32
	s_mov_b32 s17, 0
	s_delay_alu instid0(SALU_CYCLE_1) | instskip(NEXT) | instid1(SALU_CYCLE_1)
	s_lshl_b64 s[16:17], s[16:17], 4
	s_add_u32 s16, s14, s16
	s_addc_u32 s17, s15, s17
	s_delay_alu instid0(SALU_CYCLE_1)
	v_dual_mov_b32 v15, 1 :: v_dual_mov_b32 v18, s17
	v_mov_b32_e32 v17, s16
	s_waitcnt lgkmcnt(0)
	;;#ASMSTART
	global_store_dwordx4 v[17:18], v[13:16] off	
s_waitcnt vmcnt(0)
	;;#ASMEND
.LBB420_48:
	s_or_b32 exec_lo, exec_lo, s11
	v_xad_u32 v25, v42, -1, s9
	s_mov_b32 s16, 0
	s_mov_b32 s11, exec_lo
	s_delay_alu instid0(VALU_DEP_1) | instskip(NEXT) | instid1(VALU_DEP_1)
	v_add_nc_u32_e32 v15, 32, v25
	v_lshlrev_b64 v[15:16], 4, v[15:16]
	s_delay_alu instid0(VALU_DEP_1) | instskip(NEXT) | instid1(VALU_DEP_2)
	v_add_co_u32 v15, vcc_lo, s14, v15
	v_add_co_ci_u32_e32 v16, vcc_lo, s15, v16, vcc_lo
	;;#ASMSTART
	global_load_dwordx4 v[17:20], v[15:16] off glc	
s_waitcnt vmcnt(0)
	;;#ASMEND
	v_and_b32_e32 v20, 0xff, v18
	v_and_b32_e32 v26, 0xff00, v18
	v_or3_b32 v17, v17, 0, 0
	v_and_b32_e32 v27, 0xff000000, v18
	v_and_b32_e32 v18, 0xff0000, v18
	s_delay_alu instid0(VALU_DEP_4) | instskip(SKIP_2) | instid1(VALU_DEP_3)
	v_or3_b32 v20, 0, v20, v26
	v_and_b32_e32 v26, 0xff, v19
	v_or3_b32 v17, v17, 0, 0
	v_or3_b32 v18, v20, v18, v27
	s_delay_alu instid0(VALU_DEP_3)
	v_cmpx_eq_u16_e32 0, v26
	s_cbranch_execz .LBB420_51
.LBB420_49:                             ; =>This Inner Loop Header: Depth=1
	;;#ASMSTART
	global_load_dwordx4 v[17:20], v[15:16] off glc	
s_waitcnt vmcnt(0)
	;;#ASMEND
	v_and_b32_e32 v20, 0xff, v19
	s_delay_alu instid0(VALU_DEP_1) | instskip(SKIP_1) | instid1(SALU_CYCLE_1)
	v_cmp_ne_u16_e32 vcc_lo, 0, v20
	s_or_b32 s16, vcc_lo, s16
	s_and_not1_b32 exec_lo, exec_lo, s16
	s_cbranch_execnz .LBB420_49
; %bb.50:
	s_or_b32 exec_lo, exec_lo, s16
.LBB420_51:
	s_delay_alu instid0(SALU_CYCLE_1)
	s_or_b32 exec_lo, exec_lo, s11
	v_cmp_ne_u32_e32 vcc_lo, 31, v42
	v_and_b32_e32 v16, 0xff, v19
	v_lshlrev_b32_e64 v46, v42, -1
	s_mov_b32 s11, exec_lo
	v_add_co_ci_u32_e32 v15, vcc_lo, 0, v42, vcc_lo
	s_delay_alu instid0(VALU_DEP_3) | instskip(NEXT) | instid1(VALU_DEP_2)
	v_cmp_eq_u16_e32 vcc_lo, 2, v16
	v_dual_mov_b32 v16, v17 :: v_dual_lshlrev_b32 v45, 2, v15
	v_and_or_b32 v15, vcc_lo, v46, 0x80000000
	ds_bpermute_b32 v26, v45, v17
	ds_bpermute_b32 v20, v45, v18
	v_ctz_i32_b32_e32 v15, v15
	s_delay_alu instid0(VALU_DEP_1)
	v_cmpx_lt_u32_e64 v42, v15
	s_cbranch_execz .LBB420_53
; %bb.52:
	s_waitcnt lgkmcnt(1)
	v_add_co_u32 v16, vcc_lo, v17, v26
	v_add_co_ci_u32_e32 v18, vcc_lo, 0, v18, vcc_lo
	s_delay_alu instid0(VALU_DEP_2) | instskip(SKIP_1) | instid1(VALU_DEP_2)
	v_add_co_u32 v17, vcc_lo, 0, v16
	s_waitcnt lgkmcnt(0)
	v_add_co_ci_u32_e32 v18, vcc_lo, v20, v18, vcc_lo
.LBB420_53:
	s_or_b32 exec_lo, exec_lo, s11
	v_cmp_gt_u32_e32 vcc_lo, 30, v42
	v_add_nc_u32_e32 v48, 2, v42
	s_mov_b32 s11, exec_lo
	s_waitcnt lgkmcnt(0)
	v_cndmask_b32_e64 v20, 0, 1, vcc_lo
	s_delay_alu instid0(VALU_DEP_1) | instskip(NEXT) | instid1(VALU_DEP_1)
	v_lshlrev_b32_e32 v20, 1, v20
	v_add_lshl_u32 v47, v20, v42, 2
	ds_bpermute_b32 v26, v47, v16
	ds_bpermute_b32 v20, v47, v18
	v_cmpx_le_u32_e64 v48, v15
	s_cbranch_execz .LBB420_55
; %bb.54:
	s_waitcnt lgkmcnt(1)
	v_add_co_u32 v16, vcc_lo, v17, v26
	v_add_co_ci_u32_e32 v18, vcc_lo, 0, v18, vcc_lo
	s_delay_alu instid0(VALU_DEP_2) | instskip(SKIP_1) | instid1(VALU_DEP_2)
	v_add_co_u32 v17, vcc_lo, 0, v16
	s_waitcnt lgkmcnt(0)
	v_add_co_ci_u32_e32 v18, vcc_lo, v20, v18, vcc_lo
.LBB420_55:
	s_or_b32 exec_lo, exec_lo, s11
	v_cmp_gt_u32_e32 vcc_lo, 28, v42
	v_add_nc_u32_e32 v50, 4, v42
	s_mov_b32 s11, exec_lo
	s_waitcnt lgkmcnt(0)
	v_cndmask_b32_e64 v20, 0, 1, vcc_lo
	s_delay_alu instid0(VALU_DEP_1) | instskip(NEXT) | instid1(VALU_DEP_1)
	v_lshlrev_b32_e32 v20, 2, v20
	v_add_lshl_u32 v49, v20, v42, 2
	ds_bpermute_b32 v26, v49, v16
	ds_bpermute_b32 v20, v49, v18
	v_cmpx_le_u32_e64 v50, v15
	;; [unrolled: 22-line block ×4, first 2 shown]
	s_cbranch_execz .LBB420_61
; %bb.60:
	s_waitcnt lgkmcnt(1)
	v_add_co_u32 v15, vcc_lo, v17, v20
	v_add_co_ci_u32_e32 v18, vcc_lo, 0, v18, vcc_lo
	s_delay_alu instid0(VALU_DEP_2) | instskip(SKIP_1) | instid1(VALU_DEP_2)
	v_add_co_u32 v17, vcc_lo, v15, 0
	s_waitcnt lgkmcnt(0)
	v_add_co_ci_u32_e32 v18, vcc_lo, v18, v16, vcc_lo
.LBB420_61:
	s_or_b32 exec_lo, exec_lo, s11
	v_mov_b32_e32 v26, 0
	s_branch .LBB420_63
.LBB420_62:                             ;   in Loop: Header=BB420_63 Depth=1
	s_or_b32 exec_lo, exec_lo, s11
	v_add_co_u32 v17, vcc_lo, v17, v15
	v_subrev_nc_u32_e32 v25, 32, v25
	v_add_co_ci_u32_e32 v18, vcc_lo, v18, v16, vcc_lo
.LBB420_63:                             ; =>This Loop Header: Depth=1
                                        ;     Child Loop BB420_66 Depth 2
	v_and_b32_e32 v15, 0xff, v19
	s_delay_alu instid0(VALU_DEP_1) | instskip(SKIP_2) | instid1(VALU_DEP_1)
	v_cmp_ne_u16_e32 vcc_lo, 2, v15
	v_cndmask_b32_e64 v15, 0, 1, vcc_lo
	;;#ASMSTART
	;;#ASMEND
	v_cmp_ne_u32_e32 vcc_lo, 0, v15
	s_waitcnt lgkmcnt(0)
	v_dual_mov_b32 v15, v17 :: v_dual_mov_b32 v16, v18
	s_cmp_lg_u32 vcc_lo, exec_lo
	s_cbranch_scc1 .LBB420_78
; %bb.64:                               ;   in Loop: Header=BB420_63 Depth=1
	v_lshlrev_b64 v[17:18], 4, v[25:26]
	s_mov_b32 s11, exec_lo
	s_delay_alu instid0(VALU_DEP_1) | instskip(NEXT) | instid1(VALU_DEP_2)
	v_add_co_u32 v27, vcc_lo, s14, v17
	v_add_co_ci_u32_e32 v28, vcc_lo, s15, v18, vcc_lo
	;;#ASMSTART
	global_load_dwordx4 v[17:20], v[27:28] off glc	
s_waitcnt vmcnt(0)
	;;#ASMEND
	v_and_b32_e32 v20, 0xff, v18
	v_and_b32_e32 v55, 0xff00, v18
	v_or3_b32 v17, v17, 0, 0
	v_and_b32_e32 v56, 0xff000000, v18
	v_and_b32_e32 v18, 0xff0000, v18
	s_delay_alu instid0(VALU_DEP_4) | instskip(SKIP_2) | instid1(VALU_DEP_3)
	v_or3_b32 v20, 0, v20, v55
	v_and_b32_e32 v55, 0xff, v19
	v_or3_b32 v17, v17, 0, 0
	v_or3_b32 v18, v20, v18, v56
	s_delay_alu instid0(VALU_DEP_3)
	v_cmpx_eq_u16_e32 0, v55
	s_cbranch_execz .LBB420_68
; %bb.65:                               ;   in Loop: Header=BB420_63 Depth=1
	s_mov_b32 s16, 0
.LBB420_66:                             ;   Parent Loop BB420_63 Depth=1
                                        ; =>  This Inner Loop Header: Depth=2
	;;#ASMSTART
	global_load_dwordx4 v[17:20], v[27:28] off glc	
s_waitcnt vmcnt(0)
	;;#ASMEND
	v_and_b32_e32 v20, 0xff, v19
	s_delay_alu instid0(VALU_DEP_1) | instskip(SKIP_1) | instid1(SALU_CYCLE_1)
	v_cmp_ne_u16_e32 vcc_lo, 0, v20
	s_or_b32 s16, vcc_lo, s16
	s_and_not1_b32 exec_lo, exec_lo, s16
	s_cbranch_execnz .LBB420_66
; %bb.67:                               ;   in Loop: Header=BB420_63 Depth=1
	s_or_b32 exec_lo, exec_lo, s16
.LBB420_68:                             ;   in Loop: Header=BB420_63 Depth=1
	s_delay_alu instid0(SALU_CYCLE_1)
	s_or_b32 exec_lo, exec_lo, s11
	v_dual_mov_b32 v27, v17 :: v_dual_and_b32 v20, 0xff, v19
	ds_bpermute_b32 v55, v45, v17
	ds_bpermute_b32 v28, v45, v18
	s_mov_b32 s11, exec_lo
	v_cmp_eq_u16_e32 vcc_lo, 2, v20
	v_and_or_b32 v20, vcc_lo, v46, 0x80000000
	s_delay_alu instid0(VALU_DEP_1) | instskip(NEXT) | instid1(VALU_DEP_1)
	v_ctz_i32_b32_e32 v20, v20
	v_cmpx_lt_u32_e64 v42, v20
	s_cbranch_execz .LBB420_70
; %bb.69:                               ;   in Loop: Header=BB420_63 Depth=1
	s_waitcnt lgkmcnt(1)
	v_add_co_u32 v27, vcc_lo, v17, v55
	v_add_co_ci_u32_e32 v18, vcc_lo, 0, v18, vcc_lo
	s_delay_alu instid0(VALU_DEP_2) | instskip(SKIP_1) | instid1(VALU_DEP_2)
	v_add_co_u32 v17, vcc_lo, 0, v27
	s_waitcnt lgkmcnt(0)
	v_add_co_ci_u32_e32 v18, vcc_lo, v28, v18, vcc_lo
.LBB420_70:                             ;   in Loop: Header=BB420_63 Depth=1
	s_or_b32 exec_lo, exec_lo, s11
	s_waitcnt lgkmcnt(1)
	ds_bpermute_b32 v55, v47, v27
	s_waitcnt lgkmcnt(1)
	ds_bpermute_b32 v28, v47, v18
	s_mov_b32 s11, exec_lo
	v_cmpx_le_u32_e64 v48, v20
	s_cbranch_execz .LBB420_72
; %bb.71:                               ;   in Loop: Header=BB420_63 Depth=1
	s_waitcnt lgkmcnt(1)
	v_add_co_u32 v27, vcc_lo, v17, v55
	v_add_co_ci_u32_e32 v18, vcc_lo, 0, v18, vcc_lo
	s_delay_alu instid0(VALU_DEP_2) | instskip(SKIP_1) | instid1(VALU_DEP_2)
	v_add_co_u32 v17, vcc_lo, 0, v27
	s_waitcnt lgkmcnt(0)
	v_add_co_ci_u32_e32 v18, vcc_lo, v28, v18, vcc_lo
.LBB420_72:                             ;   in Loop: Header=BB420_63 Depth=1
	s_or_b32 exec_lo, exec_lo, s11
	s_waitcnt lgkmcnt(1)
	ds_bpermute_b32 v55, v49, v27
	s_waitcnt lgkmcnt(1)
	ds_bpermute_b32 v28, v49, v18
	s_mov_b32 s11, exec_lo
	v_cmpx_le_u32_e64 v50, v20
	;; [unrolled: 17-line block ×3, first 2 shown]
	s_cbranch_execz .LBB420_76
; %bb.75:                               ;   in Loop: Header=BB420_63 Depth=1
	s_waitcnt lgkmcnt(1)
	v_add_co_u32 v27, vcc_lo, v17, v55
	v_add_co_ci_u32_e32 v18, vcc_lo, 0, v18, vcc_lo
	s_delay_alu instid0(VALU_DEP_2) | instskip(SKIP_1) | instid1(VALU_DEP_2)
	v_add_co_u32 v17, vcc_lo, 0, v27
	s_waitcnt lgkmcnt(0)
	v_add_co_ci_u32_e32 v18, vcc_lo, v28, v18, vcc_lo
.LBB420_76:                             ;   in Loop: Header=BB420_63 Depth=1
	s_or_b32 exec_lo, exec_lo, s11
	s_waitcnt lgkmcnt(0)
	ds_bpermute_b32 v28, v53, v27
	ds_bpermute_b32 v27, v53, v18
	s_mov_b32 s11, exec_lo
	v_cmpx_le_u32_e64 v54, v20
	s_cbranch_execz .LBB420_62
; %bb.77:                               ;   in Loop: Header=BB420_63 Depth=1
	s_waitcnt lgkmcnt(1)
	v_add_co_u32 v17, vcc_lo, v17, v28
	v_add_co_ci_u32_e32 v18, vcc_lo, 0, v18, vcc_lo
	s_delay_alu instid0(VALU_DEP_2) | instskip(SKIP_1) | instid1(VALU_DEP_2)
	v_add_co_u32 v17, vcc_lo, v17, 0
	s_waitcnt lgkmcnt(0)
	v_add_co_ci_u32_e32 v18, vcc_lo, v18, v27, vcc_lo
	s_branch .LBB420_62
.LBB420_78:                             ;   in Loop: Header=BB420_63 Depth=1
                                        ; implicit-def: $vgpr17_vgpr18
	s_cbranch_execz .LBB420_63
; %bb.79:
	s_and_saveexec_b32 s11, s1
	s_cbranch_execz .LBB420_81
; %bb.80:
	s_add_i32 s16, s9, 32
	s_mov_b32 s17, 0
	v_add_co_u32 v17, vcc_lo, v15, v13
	s_lshl_b64 s[16:17], s[16:17], 4
	v_dual_mov_b32 v19, 2 :: v_dual_mov_b32 v20, 0
	s_add_u32 s16, s14, s16
	s_addc_u32 s17, s15, s17
	v_add_co_ci_u32_e32 v18, vcc_lo, v16, v14, vcc_lo
	v_dual_mov_b32 v26, s17 :: v_dual_mov_b32 v25, s16
	;;#ASMSTART
	global_store_dwordx4 v[25:26], v[17:20] off	
s_waitcnt vmcnt(0)
	;;#ASMEND
	ds_store_b128 v20, v[13:16] offset:6144
.LBB420_81:
	s_or_b32 exec_lo, exec_lo, s11
	s_delay_alu instid0(SALU_CYCLE_1)
	s_and_b32 exec_lo, exec_lo, s2
	s_cbranch_execz .LBB420_83
; %bb.82:
	v_mov_b32_e32 v13, 0
	ds_store_b64 v13, v[15:16] offset:24
.LBB420_83:
	s_or_b32 exec_lo, exec_lo, s10
	v_mov_b32_e32 v15, 0
	s_waitcnt lgkmcnt(0)
	s_barrier
	buffer_gl0_inv
	v_cndmask_b32_e64 v16, v29, v23, s1
	ds_load_b64 v[13:14], v15 offset:24
	v_cndmask_b32_e64 v17, v30, v24, s1
	s_waitcnt lgkmcnt(0)
	s_barrier
	v_cndmask_b32_e64 v16, v16, 0, s2
	buffer_gl0_inv
	v_cndmask_b32_e64 v17, v17, 0, s2
	v_add_co_u32 v29, vcc_lo, v13, v16
	s_delay_alu instid0(VALU_DEP_2) | instskip(SKIP_3) | instid1(VALU_DEP_2)
	v_add_co_ci_u32_e32 v30, vcc_lo, v14, v17, vcc_lo
	ds_load_b128 v[13:16], v15 offset:6144
	v_add_co_u32 v27, vcc_lo, v29, v41
	v_add_co_ci_u32_e32 v28, vcc_lo, 0, v30, vcc_lo
	v_add_co_u32 v25, vcc_lo, v27, v40
	s_delay_alu instid0(VALU_DEP_2) | instskip(NEXT) | instid1(VALU_DEP_2)
	v_add_co_ci_u32_e32 v26, vcc_lo, 0, v28, vcc_lo
	v_add_co_u32 v23, vcc_lo, v25, v39
	s_delay_alu instid0(VALU_DEP_2) | instskip(NEXT) | instid1(VALU_DEP_2)
	;; [unrolled: 3-line block ×3, first 2 shown]
	v_add_co_ci_u32_e32 v20, vcc_lo, 0, v24, vcc_lo
	v_add_co_u32 v17, vcc_lo, v19, v37
	s_delay_alu instid0(VALU_DEP_2)
	v_add_co_ci_u32_e32 v18, vcc_lo, 0, v20, vcc_lo
.LBB420_84:
	s_waitcnt lgkmcnt(0)
	v_cmp_gt_u64_e32 vcc_lo, 0x81, v[13:14]
	s_mov_b32 s0, -1
	s_cbranch_vccnz .LBB420_112
.LBB420_85:
	s_and_b32 vcc_lo, exec_lo, s0
	s_cbranch_vccnz .LBB420_131
.LBB420_86:
	s_and_b32 s0, s2, s3
	s_delay_alu instid0(SALU_CYCLE_1)
	s_and_saveexec_b32 s1, s0
	s_cbranch_execnz .LBB420_147
.LBB420_87:
	s_nop 0
	s_sendmsg sendmsg(MSG_DEALLOC_VGPRS)
	s_endpgm
.LBB420_88:
                                        ; kill: def $vgpr13_vgpr14 killed $sgpr0_sgpr1 killed $exec
                                        ; implicit-def: $vgpr17_vgpr18
                                        ; implicit-def: $vgpr19_vgpr20
                                        ; implicit-def: $vgpr23_vgpr24
                                        ; implicit-def: $vgpr25_vgpr26
                                        ; implicit-def: $vgpr27_vgpr28
                                        ; implicit-def: $vgpr29_vgpr30
                                        ; implicit-def: $vgpr15_vgpr16
	s_and_b32 vcc_lo, exec_lo, s1
	s_cbranch_vccz .LBB420_84
; %bb.89:
	s_waitcnt lgkmcnt(0)
	v_dual_mov_b32 v14, 0 :: v_dual_mov_b32 v15, v21
	v_mov_b32_dpp v16, v21 row_shr:1 row_mask:0xf bank_mask:0xf
	s_delay_alu instid0(VALU_DEP_2)
	v_mov_b32_dpp v13, v14 row_shr:1 row_mask:0xf bank_mask:0xf
	s_and_saveexec_b32 s1, s0
; %bb.90:
	s_delay_alu instid0(VALU_DEP_2) | instskip(SKIP_1) | instid1(VALU_DEP_2)
	v_add_co_u32 v15, vcc_lo, v21, v16
	v_add_co_ci_u32_e32 v14, vcc_lo, 0, v22, vcc_lo
	v_add_co_u32 v21, vcc_lo, 0, v15
	s_delay_alu instid0(VALU_DEP_2) | instskip(NEXT) | instid1(VALU_DEP_1)
	v_add_co_ci_u32_e32 v22, vcc_lo, v13, v14, vcc_lo
	v_mov_b32_e32 v14, v22
; %bb.91:
	s_or_b32 exec_lo, exec_lo, s1
	v_mov_b32_dpp v13, v15 row_shr:2 row_mask:0xf bank_mask:0xf
	s_delay_alu instid0(VALU_DEP_2)
	v_mov_b32_dpp v16, v14 row_shr:2 row_mask:0xf bank_mask:0xf
	s_mov_b32 s0, exec_lo
	v_cmpx_lt_u32_e32 1, v44
; %bb.92:
	s_delay_alu instid0(VALU_DEP_3) | instskip(SKIP_1) | instid1(VALU_DEP_2)
	v_add_co_u32 v15, vcc_lo, v21, v13
	v_add_co_ci_u32_e32 v14, vcc_lo, 0, v22, vcc_lo
	v_add_co_u32 v13, vcc_lo, 0, v15
	s_delay_alu instid0(VALU_DEP_2) | instskip(NEXT) | instid1(VALU_DEP_1)
	v_add_co_ci_u32_e32 v14, vcc_lo, v16, v14, vcc_lo
	v_dual_mov_b32 v22, v14 :: v_dual_mov_b32 v21, v13
; %bb.93:
	s_or_b32 exec_lo, exec_lo, s0
	v_mov_b32_dpp v13, v15 row_shr:4 row_mask:0xf bank_mask:0xf
	v_mov_b32_dpp v16, v14 row_shr:4 row_mask:0xf bank_mask:0xf
	s_mov_b32 s0, exec_lo
	v_cmpx_lt_u32_e32 3, v44
; %bb.94:
	s_delay_alu instid0(VALU_DEP_3) | instskip(SKIP_1) | instid1(VALU_DEP_2)
	v_add_co_u32 v15, vcc_lo, v21, v13
	v_add_co_ci_u32_e32 v14, vcc_lo, 0, v22, vcc_lo
	v_add_co_u32 v13, vcc_lo, 0, v15
	s_delay_alu instid0(VALU_DEP_2) | instskip(NEXT) | instid1(VALU_DEP_1)
	v_add_co_ci_u32_e32 v14, vcc_lo, v16, v14, vcc_lo
	v_dual_mov_b32 v22, v14 :: v_dual_mov_b32 v21, v13
; %bb.95:
	s_or_b32 exec_lo, exec_lo, s0
	v_mov_b32_dpp v16, v15 row_shr:8 row_mask:0xf bank_mask:0xf
	v_mov_b32_dpp v13, v14 row_shr:8 row_mask:0xf bank_mask:0xf
	s_mov_b32 s0, exec_lo
	v_cmpx_lt_u32_e32 7, v44
; %bb.96:
	s_delay_alu instid0(VALU_DEP_3) | instskip(SKIP_1) | instid1(VALU_DEP_2)
	v_add_co_u32 v15, vcc_lo, v21, v16
	v_add_co_ci_u32_e32 v14, vcc_lo, 0, v22, vcc_lo
	v_add_co_u32 v21, vcc_lo, 0, v15
	s_delay_alu instid0(VALU_DEP_2) | instskip(NEXT) | instid1(VALU_DEP_1)
	v_add_co_ci_u32_e32 v22, vcc_lo, v13, v14, vcc_lo
	v_mov_b32_e32 v14, v22
; %bb.97:
	s_or_b32 exec_lo, exec_lo, s0
	ds_swizzle_b32 v15, v15 offset:swizzle(BROADCAST,32,15)
	ds_swizzle_b32 v13, v14 offset:swizzle(BROADCAST,32,15)
	v_and_b32_e32 v14, 16, v42
	s_mov_b32 s0, exec_lo
	s_delay_alu instid0(VALU_DEP_1)
	v_cmpx_ne_u32_e32 0, v14
	s_cbranch_execz .LBB420_99
; %bb.98:
	s_waitcnt lgkmcnt(1)
	v_add_co_u32 v14, vcc_lo, v21, v15
	v_add_co_ci_u32_e32 v15, vcc_lo, 0, v22, vcc_lo
	s_delay_alu instid0(VALU_DEP_2) | instskip(SKIP_1) | instid1(VALU_DEP_2)
	v_add_co_u32 v21, vcc_lo, v14, 0
	s_waitcnt lgkmcnt(0)
	v_add_co_ci_u32_e32 v22, vcc_lo, v15, v13, vcc_lo
.LBB420_99:
	s_or_b32 exec_lo, exec_lo, s0
	s_waitcnt lgkmcnt(0)
	v_or_b32_e32 v13, 31, v0
	v_lshrrev_b32_e32 v15, 5, v0
	s_mov_b32 s0, exec_lo
	s_delay_alu instid0(VALU_DEP_2)
	v_cmpx_eq_u32_e64 v13, v0
	s_cbranch_execz .LBB420_101
; %bb.100:
	s_delay_alu instid0(VALU_DEP_2)
	v_lshlrev_b32_e32 v13, 3, v15
	ds_store_b64 v13, v[21:22]
.LBB420_101:
	s_or_b32 exec_lo, exec_lo, s0
	s_delay_alu instid0(SALU_CYCLE_1)
	s_mov_b32 s0, exec_lo
	s_waitcnt lgkmcnt(0)
	s_barrier
	buffer_gl0_inv
	v_cmpx_gt_u32_e32 4, v0
	s_cbranch_execz .LBB420_107
; %bb.102:
	v_lshlrev_b32_e32 v13, 1, v0
	s_mov_b32 s1, exec_lo
	s_delay_alu instid0(VALU_DEP_1)
	v_add_nc_u32_e32 v16, v43, v13
	ds_load_b64 v[13:14], v16
	s_waitcnt lgkmcnt(0)
	v_dual_mov_b32 v18, v13 :: v_dual_and_b32 v17, 3, v42
	v_mov_b32_dpp v20, v13 row_shr:1 row_mask:0xf bank_mask:0xf
	v_mov_b32_dpp v19, v14 row_shr:1 row_mask:0xf bank_mask:0xf
	s_delay_alu instid0(VALU_DEP_3)
	v_cmpx_ne_u32_e32 0, v17
; %bb.103:
	s_delay_alu instid0(VALU_DEP_3) | instskip(SKIP_1) | instid1(VALU_DEP_2)
	v_add_co_u32 v18, vcc_lo, v13, v20
	v_add_co_ci_u32_e32 v14, vcc_lo, 0, v14, vcc_lo
	v_add_co_u32 v13, vcc_lo, 0, v18
	s_delay_alu instid0(VALU_DEP_2)
	v_add_co_ci_u32_e32 v14, vcc_lo, v19, v14, vcc_lo
; %bb.104:
	s_or_b32 exec_lo, exec_lo, s1
	v_mov_b32_dpp v19, v18 row_shr:2 row_mask:0xf bank_mask:0xf
	s_delay_alu instid0(VALU_DEP_2)
	v_mov_b32_dpp v18, v14 row_shr:2 row_mask:0xf bank_mask:0xf
	s_mov_b32 s1, exec_lo
	v_cmpx_lt_u32_e32 1, v17
; %bb.105:
	s_delay_alu instid0(VALU_DEP_3) | instskip(SKIP_1) | instid1(VALU_DEP_2)
	v_add_co_u32 v13, vcc_lo, v13, v19
	v_add_co_ci_u32_e32 v14, vcc_lo, 0, v14, vcc_lo
	v_add_co_u32 v13, vcc_lo, v13, 0
	s_delay_alu instid0(VALU_DEP_2)
	v_add_co_ci_u32_e32 v14, vcc_lo, v14, v18, vcc_lo
; %bb.106:
	s_or_b32 exec_lo, exec_lo, s1
	ds_store_b64 v16, v[13:14]
.LBB420_107:
	s_or_b32 exec_lo, exec_lo, s0
	v_mov_b32_e32 v17, 0
	v_mov_b32_e32 v18, 0
	s_mov_b32 s0, exec_lo
	s_waitcnt lgkmcnt(0)
	s_barrier
	buffer_gl0_inv
	v_cmpx_lt_u32_e32 31, v0
	s_cbranch_execz .LBB420_109
; %bb.108:
	v_lshl_add_u32 v13, v15, 3, -8
	ds_load_b64 v[17:18], v13
.LBB420_109:
	s_or_b32 exec_lo, exec_lo, s0
	v_dual_mov_b32 v16, 0 :: v_dual_add_nc_u32 v13, -1, v42
	s_delay_alu instid0(VALU_DEP_1) | instskip(SKIP_4) | instid1(VALU_DEP_3)
	v_cmp_gt_i32_e32 vcc_lo, 0, v13
	v_cndmask_b32_e32 v13, v13, v42, vcc_lo
	s_waitcnt lgkmcnt(0)
	v_add_co_u32 v14, vcc_lo, v17, v21
	v_add_co_ci_u32_e32 v15, vcc_lo, v18, v22, vcc_lo
	v_lshlrev_b32_e32 v13, 2, v13
	ds_bpermute_b32 v19, v13, v14
	ds_bpermute_b32 v20, v13, v15
	ds_load_b64 v[13:14], v16 offset:24
	s_and_saveexec_b32 s0, s2
	s_cbranch_execz .LBB420_111
; %bb.110:
	s_add_u32 s10, s14, 0x200
	s_addc_u32 s11, s15, 0
	s_delay_alu instid0(SALU_CYCLE_1)
	v_dual_mov_b32 v15, 2 :: v_dual_mov_b32 v22, s11
	v_mov_b32_e32 v21, s10
	s_waitcnt lgkmcnt(0)
	;;#ASMSTART
	global_store_dwordx4 v[21:22], v[13:16] off	
s_waitcnt vmcnt(0)
	;;#ASMEND
.LBB420_111:
	s_or_b32 exec_lo, exec_lo, s0
	v_cmp_eq_u32_e32 vcc_lo, 0, v42
	s_waitcnt lgkmcnt(0)
	s_barrier
	buffer_gl0_inv
	v_dual_cndmask_b32 v15, v19, v17 :: v_dual_cndmask_b32 v16, v20, v18
	s_delay_alu instid0(VALU_DEP_1) | instskip(NEXT) | instid1(VALU_DEP_2)
	v_cndmask_b32_e64 v29, v15, 0, s2
	v_cndmask_b32_e64 v30, v16, 0, s2
	v_mov_b32_e32 v15, 0
	v_mov_b32_e32 v16, 0
	s_delay_alu instid0(VALU_DEP_4) | instskip(NEXT) | instid1(VALU_DEP_4)
	v_add_co_u32 v27, vcc_lo, v29, v41
	v_add_co_ci_u32_e32 v28, vcc_lo, 0, v30, vcc_lo
	s_delay_alu instid0(VALU_DEP_2) | instskip(NEXT) | instid1(VALU_DEP_2)
	v_add_co_u32 v25, vcc_lo, v27, v40
	v_add_co_ci_u32_e32 v26, vcc_lo, 0, v28, vcc_lo
	s_delay_alu instid0(VALU_DEP_2) | instskip(NEXT) | instid1(VALU_DEP_2)
	;; [unrolled: 3-line block ×4, first 2 shown]
	v_add_co_u32 v17, vcc_lo, v19, v37
	v_add_co_ci_u32_e32 v18, vcc_lo, 0, v20, vcc_lo
	v_cmp_gt_u64_e32 vcc_lo, 0x81, v[13:14]
	s_mov_b32 s0, -1
	s_cbranch_vccz .LBB420_85
.LBB420_112:
	v_add_co_u32 v21, vcc_lo, v15, v13
	v_add_co_ci_u32_e32 v22, vcc_lo, v16, v14, vcc_lo
	s_delay_alu instid0(VALU_DEP_1) | instskip(SKIP_1) | instid1(SALU_CYCLE_1)
	v_cmp_lt_u64_e32 vcc_lo, v[29:30], v[21:22]
	s_or_b32 s1, s8, vcc_lo
	s_and_saveexec_b32 s0, s1
	s_cbranch_execz .LBB420_115
; %bb.113:
	v_and_b32_e32 v37, 1, v36
	s_delay_alu instid0(VALU_DEP_1)
	v_cmp_eq_u32_e32 vcc_lo, 1, v37
	s_and_b32 exec_lo, exec_lo, vcc_lo
	s_cbranch_execz .LBB420_115
; %bb.114:
	v_lshlrev_b64 v[37:38], 3, v[29:30]
	s_lshl_b64 s[10:11], s[6:7], 3
	s_delay_alu instid0(SALU_CYCLE_1) | instskip(SKIP_1) | instid1(VALU_DEP_1)
	s_add_u32 s1, s12, s10
	s_addc_u32 s9, s13, s11
	v_add_co_u32 v37, vcc_lo, s1, v37
	s_delay_alu instid0(VALU_DEP_2)
	v_add_co_ci_u32_e32 v38, vcc_lo, s9, v38, vcc_lo
	global_store_b64 v[37:38], v[9:10], off
.LBB420_115:
	s_or_b32 exec_lo, exec_lo, s0
	v_cmp_lt_u64_e32 vcc_lo, v[27:28], v[21:22]
	s_or_b32 s1, s8, vcc_lo
	s_delay_alu instid0(SALU_CYCLE_1)
	s_and_saveexec_b32 s0, s1
	s_cbranch_execz .LBB420_118
; %bb.116:
	v_and_b32_e32 v30, 1, v34
	s_delay_alu instid0(VALU_DEP_1)
	v_cmp_eq_u32_e32 vcc_lo, 1, v30
	s_and_b32 exec_lo, exec_lo, vcc_lo
	s_cbranch_execz .LBB420_118
; %bb.117:
	v_lshlrev_b64 v[37:38], 3, v[27:28]
	s_lshl_b64 s[10:11], s[6:7], 3
	s_delay_alu instid0(SALU_CYCLE_1) | instskip(SKIP_1) | instid1(VALU_DEP_1)
	s_add_u32 s1, s12, s10
	s_addc_u32 s9, s13, s11
	v_add_co_u32 v37, vcc_lo, s1, v37
	s_delay_alu instid0(VALU_DEP_2)
	v_add_co_ci_u32_e32 v38, vcc_lo, s9, v38, vcc_lo
	global_store_b64 v[37:38], v[11:12], off
.LBB420_118:
	s_or_b32 exec_lo, exec_lo, s0
	v_cmp_lt_u64_e32 vcc_lo, v[25:26], v[21:22]
	s_or_b32 s1, s8, vcc_lo
	s_delay_alu instid0(SALU_CYCLE_1)
	;; [unrolled: 23-line block ×5, first 2 shown]
	s_and_saveexec_b32 s0, s1
	s_cbranch_execz .LBB420_130
; %bb.128:
	v_and_b32_e32 v20, 1, v32
	s_delay_alu instid0(VALU_DEP_1)
	v_cmp_eq_u32_e32 vcc_lo, 1, v20
	s_and_b32 exec_lo, exec_lo, vcc_lo
	s_cbranch_execz .LBB420_130
; %bb.129:
	v_lshlrev_b64 v[20:21], 3, v[17:18]
	s_lshl_b64 s[8:9], s[6:7], 3
	s_delay_alu instid0(SALU_CYCLE_1) | instskip(SKIP_1) | instid1(VALU_DEP_1)
	s_add_u32 s1, s12, s8
	s_addc_u32 s8, s13, s9
	v_add_co_u32 v20, vcc_lo, s1, v20
	s_delay_alu instid0(VALU_DEP_2)
	v_add_co_ci_u32_e32 v21, vcc_lo, s8, v21, vcc_lo
	global_store_b64 v[20:21], v[3:4], off
.LBB420_130:
	s_or_b32 exec_lo, exec_lo, s0
	s_branch .LBB420_86
.LBB420_131:
	v_and_b32_e32 v18, 1, v36
	s_mov_b32 s0, exec_lo
	s_delay_alu instid0(VALU_DEP_1)
	v_cmpx_eq_u32_e32 1, v18
	s_cbranch_execz .LBB420_133
; %bb.132:
	v_sub_nc_u32_e32 v18, v29, v15
	s_delay_alu instid0(VALU_DEP_1)
	v_lshlrev_b32_e32 v18, 3, v18
	ds_store_b64 v18, v[9:10]
.LBB420_133:
	s_or_b32 exec_lo, exec_lo, s0
	v_and_b32_e32 v9, 1, v34
	s_mov_b32 s0, exec_lo
	s_delay_alu instid0(VALU_DEP_1)
	v_cmpx_eq_u32_e32 1, v9
	s_cbranch_execz .LBB420_135
; %bb.134:
	v_sub_nc_u32_e32 v9, v27, v15
	s_delay_alu instid0(VALU_DEP_1)
	v_lshlrev_b32_e32 v9, 3, v9
	ds_store_b64 v9, v[11:12]
.LBB420_135:
	s_or_b32 exec_lo, exec_lo, s0
	;; [unrolled: 12-line block ×6, first 2 shown]
	v_mov_b32_e32 v1, 0
	s_mov_b32 s1, exec_lo
	s_waitcnt lgkmcnt(0)
	s_waitcnt_vscnt null, 0x0
	s_barrier
	buffer_gl0_inv
	v_cmpx_gt_u64_e64 v[13:14], v[0:1]
	s_cbranch_execz .LBB420_146
; %bb.144:
	v_lshlrev_b64 v[4:5], 3, v[15:16]
	s_lshl_b64 s[8:9], s[6:7], 3
	v_dual_mov_b32 v3, v1 :: v_dual_mov_b32 v2, v0
	v_or_b32_e32 v0, 0x80, v0
	s_delay_alu instid0(VALU_DEP_3) | instskip(NEXT) | instid1(VALU_DEP_4)
	v_add_co_u32 v4, vcc_lo, s12, v4
	v_add_co_ci_u32_e32 v5, vcc_lo, s13, v5, vcc_lo
	s_delay_alu instid0(VALU_DEP_2) | instskip(NEXT) | instid1(VALU_DEP_2)
	v_add_co_u32 v4, vcc_lo, v4, s8
	v_add_co_ci_u32_e32 v5, vcc_lo, s9, v5, vcc_lo
	s_mov_b32 s8, 0
	.p2align	6
.LBB420_145:                            ; =>This Inner Loop Header: Depth=1
	v_lshlrev_b32_e32 v6, 3, v2
	v_lshlrev_b64 v[8:9], 3, v[2:3]
	v_mov_b32_e32 v3, v1
	v_cmp_le_u64_e32 vcc_lo, v[13:14], v[0:1]
	v_mov_b32_e32 v2, v0
	ds_load_b64 v[6:7], v6
	v_add_nc_u32_e32 v0, 0x80, v0
	v_add_co_u32 v8, s0, v4, v8
	s_delay_alu instid0(VALU_DEP_1)
	v_add_co_ci_u32_e64 v9, s0, v5, v9, s0
	s_or_b32 s8, vcc_lo, s8
	s_waitcnt lgkmcnt(0)
	global_store_b64 v[8:9], v[6:7], off
	s_and_not1_b32 exec_lo, exec_lo, s8
	s_cbranch_execnz .LBB420_145
.LBB420_146:
	s_or_b32 exec_lo, exec_lo, s1
	s_and_b32 s0, s2, s3
	s_delay_alu instid0(SALU_CYCLE_1)
	s_and_saveexec_b32 s1, s0
	s_cbranch_execz .LBB420_87
.LBB420_147:
	v_add_co_u32 v0, vcc_lo, v15, v13
	v_add_co_ci_u32_e32 v1, vcc_lo, v16, v14, vcc_lo
	v_mov_b32_e32 v2, 0
	s_delay_alu instid0(VALU_DEP_3) | instskip(NEXT) | instid1(VALU_DEP_3)
	v_add_co_u32 v0, vcc_lo, v0, s6
	v_add_co_ci_u32_e32 v1, vcc_lo, s7, v1, vcc_lo
	global_store_b64 v2, v[0:1], s[4:5]
	s_nop 0
	s_sendmsg sendmsg(MSG_DEALLOC_VGPRS)
	s_endpgm
	.section	.rodata,"a",@progbits
	.p2align	6, 0x0
	.amdhsa_kernel _ZN7rocprim17ROCPRIM_400000_NS6detail17trampoline_kernelINS0_14default_configENS1_25partition_config_selectorILNS1_17partition_subalgoE5ElNS0_10empty_typeEbEEZZNS1_14partition_implILS5_5ELb0ES3_mN6hipcub16HIPCUB_304000_NS21CountingInputIteratorIllEEPS6_NSA_22TransformInputIteratorIbN2at6native12_GLOBAL__N_19NonZeroOpIdEEPKdlEENS0_5tupleIJPlS6_EEENSN_IJSD_SD_EEES6_PiJS6_EEE10hipError_tPvRmT3_T4_T5_T6_T7_T9_mT8_P12ihipStream_tbDpT10_ENKUlT_T0_E_clISt17integral_constantIbLb0EES1A_IbLb1EEEEDaS16_S17_EUlS16_E_NS1_11comp_targetILNS1_3genE9ELNS1_11target_archE1100ELNS1_3gpuE3ELNS1_3repE0EEENS1_30default_config_static_selectorELNS0_4arch9wavefront6targetE0EEEvT1_
		.amdhsa_group_segment_fixed_size 6160
		.amdhsa_private_segment_fixed_size 0
		.amdhsa_kernarg_size 136
		.amdhsa_user_sgpr_count 15
		.amdhsa_user_sgpr_dispatch_ptr 0
		.amdhsa_user_sgpr_queue_ptr 0
		.amdhsa_user_sgpr_kernarg_segment_ptr 1
		.amdhsa_user_sgpr_dispatch_id 0
		.amdhsa_user_sgpr_private_segment_size 0
		.amdhsa_wavefront_size32 1
		.amdhsa_uses_dynamic_stack 0
		.amdhsa_enable_private_segment 0
		.amdhsa_system_sgpr_workgroup_id_x 1
		.amdhsa_system_sgpr_workgroup_id_y 0
		.amdhsa_system_sgpr_workgroup_id_z 0
		.amdhsa_system_sgpr_workgroup_info 0
		.amdhsa_system_vgpr_workitem_id 0
		.amdhsa_next_free_vgpr 57
		.amdhsa_next_free_sgpr 24
		.amdhsa_reserve_vcc 1
		.amdhsa_float_round_mode_32 0
		.amdhsa_float_round_mode_16_64 0
		.amdhsa_float_denorm_mode_32 3
		.amdhsa_float_denorm_mode_16_64 3
		.amdhsa_dx10_clamp 1
		.amdhsa_ieee_mode 1
		.amdhsa_fp16_overflow 0
		.amdhsa_workgroup_processor_mode 1
		.amdhsa_memory_ordered 1
		.amdhsa_forward_progress 0
		.amdhsa_shared_vgpr_count 0
		.amdhsa_exception_fp_ieee_invalid_op 0
		.amdhsa_exception_fp_denorm_src 0
		.amdhsa_exception_fp_ieee_div_zero 0
		.amdhsa_exception_fp_ieee_overflow 0
		.amdhsa_exception_fp_ieee_underflow 0
		.amdhsa_exception_fp_ieee_inexact 0
		.amdhsa_exception_int_div_zero 0
	.end_amdhsa_kernel
	.section	.text._ZN7rocprim17ROCPRIM_400000_NS6detail17trampoline_kernelINS0_14default_configENS1_25partition_config_selectorILNS1_17partition_subalgoE5ElNS0_10empty_typeEbEEZZNS1_14partition_implILS5_5ELb0ES3_mN6hipcub16HIPCUB_304000_NS21CountingInputIteratorIllEEPS6_NSA_22TransformInputIteratorIbN2at6native12_GLOBAL__N_19NonZeroOpIdEEPKdlEENS0_5tupleIJPlS6_EEENSN_IJSD_SD_EEES6_PiJS6_EEE10hipError_tPvRmT3_T4_T5_T6_T7_T9_mT8_P12ihipStream_tbDpT10_ENKUlT_T0_E_clISt17integral_constantIbLb0EES1A_IbLb1EEEEDaS16_S17_EUlS16_E_NS1_11comp_targetILNS1_3genE9ELNS1_11target_archE1100ELNS1_3gpuE3ELNS1_3repE0EEENS1_30default_config_static_selectorELNS0_4arch9wavefront6targetE0EEEvT1_,"axG",@progbits,_ZN7rocprim17ROCPRIM_400000_NS6detail17trampoline_kernelINS0_14default_configENS1_25partition_config_selectorILNS1_17partition_subalgoE5ElNS0_10empty_typeEbEEZZNS1_14partition_implILS5_5ELb0ES3_mN6hipcub16HIPCUB_304000_NS21CountingInputIteratorIllEEPS6_NSA_22TransformInputIteratorIbN2at6native12_GLOBAL__N_19NonZeroOpIdEEPKdlEENS0_5tupleIJPlS6_EEENSN_IJSD_SD_EEES6_PiJS6_EEE10hipError_tPvRmT3_T4_T5_T6_T7_T9_mT8_P12ihipStream_tbDpT10_ENKUlT_T0_E_clISt17integral_constantIbLb0EES1A_IbLb1EEEEDaS16_S17_EUlS16_E_NS1_11comp_targetILNS1_3genE9ELNS1_11target_archE1100ELNS1_3gpuE3ELNS1_3repE0EEENS1_30default_config_static_selectorELNS0_4arch9wavefront6targetE0EEEvT1_,comdat
.Lfunc_end420:
	.size	_ZN7rocprim17ROCPRIM_400000_NS6detail17trampoline_kernelINS0_14default_configENS1_25partition_config_selectorILNS1_17partition_subalgoE5ElNS0_10empty_typeEbEEZZNS1_14partition_implILS5_5ELb0ES3_mN6hipcub16HIPCUB_304000_NS21CountingInputIteratorIllEEPS6_NSA_22TransformInputIteratorIbN2at6native12_GLOBAL__N_19NonZeroOpIdEEPKdlEENS0_5tupleIJPlS6_EEENSN_IJSD_SD_EEES6_PiJS6_EEE10hipError_tPvRmT3_T4_T5_T6_T7_T9_mT8_P12ihipStream_tbDpT10_ENKUlT_T0_E_clISt17integral_constantIbLb0EES1A_IbLb1EEEEDaS16_S17_EUlS16_E_NS1_11comp_targetILNS1_3genE9ELNS1_11target_archE1100ELNS1_3gpuE3ELNS1_3repE0EEENS1_30default_config_static_selectorELNS0_4arch9wavefront6targetE0EEEvT1_, .Lfunc_end420-_ZN7rocprim17ROCPRIM_400000_NS6detail17trampoline_kernelINS0_14default_configENS1_25partition_config_selectorILNS1_17partition_subalgoE5ElNS0_10empty_typeEbEEZZNS1_14partition_implILS5_5ELb0ES3_mN6hipcub16HIPCUB_304000_NS21CountingInputIteratorIllEEPS6_NSA_22TransformInputIteratorIbN2at6native12_GLOBAL__N_19NonZeroOpIdEEPKdlEENS0_5tupleIJPlS6_EEENSN_IJSD_SD_EEES6_PiJS6_EEE10hipError_tPvRmT3_T4_T5_T6_T7_T9_mT8_P12ihipStream_tbDpT10_ENKUlT_T0_E_clISt17integral_constantIbLb0EES1A_IbLb1EEEEDaS16_S17_EUlS16_E_NS1_11comp_targetILNS1_3genE9ELNS1_11target_archE1100ELNS1_3gpuE3ELNS1_3repE0EEENS1_30default_config_static_selectorELNS0_4arch9wavefront6targetE0EEEvT1_
                                        ; -- End function
	.section	.AMDGPU.csdata,"",@progbits
; Kernel info:
; codeLenInByte = 6556
; NumSgprs: 26
; NumVgprs: 57
; ScratchSize: 0
; MemoryBound: 0
; FloatMode: 240
; IeeeMode: 1
; LDSByteSize: 6160 bytes/workgroup (compile time only)
; SGPRBlocks: 3
; VGPRBlocks: 7
; NumSGPRsForWavesPerEU: 26
; NumVGPRsForWavesPerEU: 57
; Occupancy: 16
; WaveLimiterHint : 1
; COMPUTE_PGM_RSRC2:SCRATCH_EN: 0
; COMPUTE_PGM_RSRC2:USER_SGPR: 15
; COMPUTE_PGM_RSRC2:TRAP_HANDLER: 0
; COMPUTE_PGM_RSRC2:TGID_X_EN: 1
; COMPUTE_PGM_RSRC2:TGID_Y_EN: 0
; COMPUTE_PGM_RSRC2:TGID_Z_EN: 0
; COMPUTE_PGM_RSRC2:TIDIG_COMP_CNT: 0
	.section	.text._ZN7rocprim17ROCPRIM_400000_NS6detail17trampoline_kernelINS0_14default_configENS1_25partition_config_selectorILNS1_17partition_subalgoE5ElNS0_10empty_typeEbEEZZNS1_14partition_implILS5_5ELb0ES3_mN6hipcub16HIPCUB_304000_NS21CountingInputIteratorIllEEPS6_NSA_22TransformInputIteratorIbN2at6native12_GLOBAL__N_19NonZeroOpIdEEPKdlEENS0_5tupleIJPlS6_EEENSN_IJSD_SD_EEES6_PiJS6_EEE10hipError_tPvRmT3_T4_T5_T6_T7_T9_mT8_P12ihipStream_tbDpT10_ENKUlT_T0_E_clISt17integral_constantIbLb0EES1A_IbLb1EEEEDaS16_S17_EUlS16_E_NS1_11comp_targetILNS1_3genE8ELNS1_11target_archE1030ELNS1_3gpuE2ELNS1_3repE0EEENS1_30default_config_static_selectorELNS0_4arch9wavefront6targetE0EEEvT1_,"axG",@progbits,_ZN7rocprim17ROCPRIM_400000_NS6detail17trampoline_kernelINS0_14default_configENS1_25partition_config_selectorILNS1_17partition_subalgoE5ElNS0_10empty_typeEbEEZZNS1_14partition_implILS5_5ELb0ES3_mN6hipcub16HIPCUB_304000_NS21CountingInputIteratorIllEEPS6_NSA_22TransformInputIteratorIbN2at6native12_GLOBAL__N_19NonZeroOpIdEEPKdlEENS0_5tupleIJPlS6_EEENSN_IJSD_SD_EEES6_PiJS6_EEE10hipError_tPvRmT3_T4_T5_T6_T7_T9_mT8_P12ihipStream_tbDpT10_ENKUlT_T0_E_clISt17integral_constantIbLb0EES1A_IbLb1EEEEDaS16_S17_EUlS16_E_NS1_11comp_targetILNS1_3genE8ELNS1_11target_archE1030ELNS1_3gpuE2ELNS1_3repE0EEENS1_30default_config_static_selectorELNS0_4arch9wavefront6targetE0EEEvT1_,comdat
	.globl	_ZN7rocprim17ROCPRIM_400000_NS6detail17trampoline_kernelINS0_14default_configENS1_25partition_config_selectorILNS1_17partition_subalgoE5ElNS0_10empty_typeEbEEZZNS1_14partition_implILS5_5ELb0ES3_mN6hipcub16HIPCUB_304000_NS21CountingInputIteratorIllEEPS6_NSA_22TransformInputIteratorIbN2at6native12_GLOBAL__N_19NonZeroOpIdEEPKdlEENS0_5tupleIJPlS6_EEENSN_IJSD_SD_EEES6_PiJS6_EEE10hipError_tPvRmT3_T4_T5_T6_T7_T9_mT8_P12ihipStream_tbDpT10_ENKUlT_T0_E_clISt17integral_constantIbLb0EES1A_IbLb1EEEEDaS16_S17_EUlS16_E_NS1_11comp_targetILNS1_3genE8ELNS1_11target_archE1030ELNS1_3gpuE2ELNS1_3repE0EEENS1_30default_config_static_selectorELNS0_4arch9wavefront6targetE0EEEvT1_ ; -- Begin function _ZN7rocprim17ROCPRIM_400000_NS6detail17trampoline_kernelINS0_14default_configENS1_25partition_config_selectorILNS1_17partition_subalgoE5ElNS0_10empty_typeEbEEZZNS1_14partition_implILS5_5ELb0ES3_mN6hipcub16HIPCUB_304000_NS21CountingInputIteratorIllEEPS6_NSA_22TransformInputIteratorIbN2at6native12_GLOBAL__N_19NonZeroOpIdEEPKdlEENS0_5tupleIJPlS6_EEENSN_IJSD_SD_EEES6_PiJS6_EEE10hipError_tPvRmT3_T4_T5_T6_T7_T9_mT8_P12ihipStream_tbDpT10_ENKUlT_T0_E_clISt17integral_constantIbLb0EES1A_IbLb1EEEEDaS16_S17_EUlS16_E_NS1_11comp_targetILNS1_3genE8ELNS1_11target_archE1030ELNS1_3gpuE2ELNS1_3repE0EEENS1_30default_config_static_selectorELNS0_4arch9wavefront6targetE0EEEvT1_
	.p2align	8
	.type	_ZN7rocprim17ROCPRIM_400000_NS6detail17trampoline_kernelINS0_14default_configENS1_25partition_config_selectorILNS1_17partition_subalgoE5ElNS0_10empty_typeEbEEZZNS1_14partition_implILS5_5ELb0ES3_mN6hipcub16HIPCUB_304000_NS21CountingInputIteratorIllEEPS6_NSA_22TransformInputIteratorIbN2at6native12_GLOBAL__N_19NonZeroOpIdEEPKdlEENS0_5tupleIJPlS6_EEENSN_IJSD_SD_EEES6_PiJS6_EEE10hipError_tPvRmT3_T4_T5_T6_T7_T9_mT8_P12ihipStream_tbDpT10_ENKUlT_T0_E_clISt17integral_constantIbLb0EES1A_IbLb1EEEEDaS16_S17_EUlS16_E_NS1_11comp_targetILNS1_3genE8ELNS1_11target_archE1030ELNS1_3gpuE2ELNS1_3repE0EEENS1_30default_config_static_selectorELNS0_4arch9wavefront6targetE0EEEvT1_,@function
_ZN7rocprim17ROCPRIM_400000_NS6detail17trampoline_kernelINS0_14default_configENS1_25partition_config_selectorILNS1_17partition_subalgoE5ElNS0_10empty_typeEbEEZZNS1_14partition_implILS5_5ELb0ES3_mN6hipcub16HIPCUB_304000_NS21CountingInputIteratorIllEEPS6_NSA_22TransformInputIteratorIbN2at6native12_GLOBAL__N_19NonZeroOpIdEEPKdlEENS0_5tupleIJPlS6_EEENSN_IJSD_SD_EEES6_PiJS6_EEE10hipError_tPvRmT3_T4_T5_T6_T7_T9_mT8_P12ihipStream_tbDpT10_ENKUlT_T0_E_clISt17integral_constantIbLb0EES1A_IbLb1EEEEDaS16_S17_EUlS16_E_NS1_11comp_targetILNS1_3genE8ELNS1_11target_archE1030ELNS1_3gpuE2ELNS1_3repE0EEENS1_30default_config_static_selectorELNS0_4arch9wavefront6targetE0EEEvT1_: ; @_ZN7rocprim17ROCPRIM_400000_NS6detail17trampoline_kernelINS0_14default_configENS1_25partition_config_selectorILNS1_17partition_subalgoE5ElNS0_10empty_typeEbEEZZNS1_14partition_implILS5_5ELb0ES3_mN6hipcub16HIPCUB_304000_NS21CountingInputIteratorIllEEPS6_NSA_22TransformInputIteratorIbN2at6native12_GLOBAL__N_19NonZeroOpIdEEPKdlEENS0_5tupleIJPlS6_EEENSN_IJSD_SD_EEES6_PiJS6_EEE10hipError_tPvRmT3_T4_T5_T6_T7_T9_mT8_P12ihipStream_tbDpT10_ENKUlT_T0_E_clISt17integral_constantIbLb0EES1A_IbLb1EEEEDaS16_S17_EUlS16_E_NS1_11comp_targetILNS1_3genE8ELNS1_11target_archE1030ELNS1_3gpuE2ELNS1_3repE0EEENS1_30default_config_static_selectorELNS0_4arch9wavefront6targetE0EEEvT1_
; %bb.0:
	.section	.rodata,"a",@progbits
	.p2align	6, 0x0
	.amdhsa_kernel _ZN7rocprim17ROCPRIM_400000_NS6detail17trampoline_kernelINS0_14default_configENS1_25partition_config_selectorILNS1_17partition_subalgoE5ElNS0_10empty_typeEbEEZZNS1_14partition_implILS5_5ELb0ES3_mN6hipcub16HIPCUB_304000_NS21CountingInputIteratorIllEEPS6_NSA_22TransformInputIteratorIbN2at6native12_GLOBAL__N_19NonZeroOpIdEEPKdlEENS0_5tupleIJPlS6_EEENSN_IJSD_SD_EEES6_PiJS6_EEE10hipError_tPvRmT3_T4_T5_T6_T7_T9_mT8_P12ihipStream_tbDpT10_ENKUlT_T0_E_clISt17integral_constantIbLb0EES1A_IbLb1EEEEDaS16_S17_EUlS16_E_NS1_11comp_targetILNS1_3genE8ELNS1_11target_archE1030ELNS1_3gpuE2ELNS1_3repE0EEENS1_30default_config_static_selectorELNS0_4arch9wavefront6targetE0EEEvT1_
		.amdhsa_group_segment_fixed_size 0
		.amdhsa_private_segment_fixed_size 0
		.amdhsa_kernarg_size 136
		.amdhsa_user_sgpr_count 15
		.amdhsa_user_sgpr_dispatch_ptr 0
		.amdhsa_user_sgpr_queue_ptr 0
		.amdhsa_user_sgpr_kernarg_segment_ptr 1
		.amdhsa_user_sgpr_dispatch_id 0
		.amdhsa_user_sgpr_private_segment_size 0
		.amdhsa_wavefront_size32 1
		.amdhsa_uses_dynamic_stack 0
		.amdhsa_enable_private_segment 0
		.amdhsa_system_sgpr_workgroup_id_x 1
		.amdhsa_system_sgpr_workgroup_id_y 0
		.amdhsa_system_sgpr_workgroup_id_z 0
		.amdhsa_system_sgpr_workgroup_info 0
		.amdhsa_system_vgpr_workitem_id 0
		.amdhsa_next_free_vgpr 1
		.amdhsa_next_free_sgpr 1
		.amdhsa_reserve_vcc 0
		.amdhsa_float_round_mode_32 0
		.amdhsa_float_round_mode_16_64 0
		.amdhsa_float_denorm_mode_32 3
		.amdhsa_float_denorm_mode_16_64 3
		.amdhsa_dx10_clamp 1
		.amdhsa_ieee_mode 1
		.amdhsa_fp16_overflow 0
		.amdhsa_workgroup_processor_mode 1
		.amdhsa_memory_ordered 1
		.amdhsa_forward_progress 0
		.amdhsa_shared_vgpr_count 0
		.amdhsa_exception_fp_ieee_invalid_op 0
		.amdhsa_exception_fp_denorm_src 0
		.amdhsa_exception_fp_ieee_div_zero 0
		.amdhsa_exception_fp_ieee_overflow 0
		.amdhsa_exception_fp_ieee_underflow 0
		.amdhsa_exception_fp_ieee_inexact 0
		.amdhsa_exception_int_div_zero 0
	.end_amdhsa_kernel
	.section	.text._ZN7rocprim17ROCPRIM_400000_NS6detail17trampoline_kernelINS0_14default_configENS1_25partition_config_selectorILNS1_17partition_subalgoE5ElNS0_10empty_typeEbEEZZNS1_14partition_implILS5_5ELb0ES3_mN6hipcub16HIPCUB_304000_NS21CountingInputIteratorIllEEPS6_NSA_22TransformInputIteratorIbN2at6native12_GLOBAL__N_19NonZeroOpIdEEPKdlEENS0_5tupleIJPlS6_EEENSN_IJSD_SD_EEES6_PiJS6_EEE10hipError_tPvRmT3_T4_T5_T6_T7_T9_mT8_P12ihipStream_tbDpT10_ENKUlT_T0_E_clISt17integral_constantIbLb0EES1A_IbLb1EEEEDaS16_S17_EUlS16_E_NS1_11comp_targetILNS1_3genE8ELNS1_11target_archE1030ELNS1_3gpuE2ELNS1_3repE0EEENS1_30default_config_static_selectorELNS0_4arch9wavefront6targetE0EEEvT1_,"axG",@progbits,_ZN7rocprim17ROCPRIM_400000_NS6detail17trampoline_kernelINS0_14default_configENS1_25partition_config_selectorILNS1_17partition_subalgoE5ElNS0_10empty_typeEbEEZZNS1_14partition_implILS5_5ELb0ES3_mN6hipcub16HIPCUB_304000_NS21CountingInputIteratorIllEEPS6_NSA_22TransformInputIteratorIbN2at6native12_GLOBAL__N_19NonZeroOpIdEEPKdlEENS0_5tupleIJPlS6_EEENSN_IJSD_SD_EEES6_PiJS6_EEE10hipError_tPvRmT3_T4_T5_T6_T7_T9_mT8_P12ihipStream_tbDpT10_ENKUlT_T0_E_clISt17integral_constantIbLb0EES1A_IbLb1EEEEDaS16_S17_EUlS16_E_NS1_11comp_targetILNS1_3genE8ELNS1_11target_archE1030ELNS1_3gpuE2ELNS1_3repE0EEENS1_30default_config_static_selectorELNS0_4arch9wavefront6targetE0EEEvT1_,comdat
.Lfunc_end421:
	.size	_ZN7rocprim17ROCPRIM_400000_NS6detail17trampoline_kernelINS0_14default_configENS1_25partition_config_selectorILNS1_17partition_subalgoE5ElNS0_10empty_typeEbEEZZNS1_14partition_implILS5_5ELb0ES3_mN6hipcub16HIPCUB_304000_NS21CountingInputIteratorIllEEPS6_NSA_22TransformInputIteratorIbN2at6native12_GLOBAL__N_19NonZeroOpIdEEPKdlEENS0_5tupleIJPlS6_EEENSN_IJSD_SD_EEES6_PiJS6_EEE10hipError_tPvRmT3_T4_T5_T6_T7_T9_mT8_P12ihipStream_tbDpT10_ENKUlT_T0_E_clISt17integral_constantIbLb0EES1A_IbLb1EEEEDaS16_S17_EUlS16_E_NS1_11comp_targetILNS1_3genE8ELNS1_11target_archE1030ELNS1_3gpuE2ELNS1_3repE0EEENS1_30default_config_static_selectorELNS0_4arch9wavefront6targetE0EEEvT1_, .Lfunc_end421-_ZN7rocprim17ROCPRIM_400000_NS6detail17trampoline_kernelINS0_14default_configENS1_25partition_config_selectorILNS1_17partition_subalgoE5ElNS0_10empty_typeEbEEZZNS1_14partition_implILS5_5ELb0ES3_mN6hipcub16HIPCUB_304000_NS21CountingInputIteratorIllEEPS6_NSA_22TransformInputIteratorIbN2at6native12_GLOBAL__N_19NonZeroOpIdEEPKdlEENS0_5tupleIJPlS6_EEENSN_IJSD_SD_EEES6_PiJS6_EEE10hipError_tPvRmT3_T4_T5_T6_T7_T9_mT8_P12ihipStream_tbDpT10_ENKUlT_T0_E_clISt17integral_constantIbLb0EES1A_IbLb1EEEEDaS16_S17_EUlS16_E_NS1_11comp_targetILNS1_3genE8ELNS1_11target_archE1030ELNS1_3gpuE2ELNS1_3repE0EEENS1_30default_config_static_selectorELNS0_4arch9wavefront6targetE0EEEvT1_
                                        ; -- End function
	.section	.AMDGPU.csdata,"",@progbits
; Kernel info:
; codeLenInByte = 0
; NumSgprs: 0
; NumVgprs: 0
; ScratchSize: 0
; MemoryBound: 0
; FloatMode: 240
; IeeeMode: 1
; LDSByteSize: 0 bytes/workgroup (compile time only)
; SGPRBlocks: 0
; VGPRBlocks: 0
; NumSGPRsForWavesPerEU: 1
; NumVGPRsForWavesPerEU: 1
; Occupancy: 16
; WaveLimiterHint : 0
; COMPUTE_PGM_RSRC2:SCRATCH_EN: 0
; COMPUTE_PGM_RSRC2:USER_SGPR: 15
; COMPUTE_PGM_RSRC2:TRAP_HANDLER: 0
; COMPUTE_PGM_RSRC2:TGID_X_EN: 1
; COMPUTE_PGM_RSRC2:TGID_Y_EN: 0
; COMPUTE_PGM_RSRC2:TGID_Z_EN: 0
; COMPUTE_PGM_RSRC2:TIDIG_COMP_CNT: 0
	.section	.text._ZN7rocprim17ROCPRIM_400000_NS6detail17trampoline_kernelINS0_14default_configENS1_22reduce_config_selectorIiEEZNS1_11reduce_implILb1ES3_PiS7_iN6hipcub16HIPCUB_304000_NS6detail34convert_binary_result_type_wrapperINS9_3SumENS9_22TransformInputIteratorIbN2at6native12_GLOBAL__N_19NonZeroOpIfEEPKflEEiEEEE10hipError_tPvRmT1_T2_T3_mT4_P12ihipStream_tbEUlT_E0_NS1_11comp_targetILNS1_3genE0ELNS1_11target_archE4294967295ELNS1_3gpuE0ELNS1_3repE0EEENS1_30default_config_static_selectorELNS0_4arch9wavefront6targetE0EEEvSQ_,"axG",@progbits,_ZN7rocprim17ROCPRIM_400000_NS6detail17trampoline_kernelINS0_14default_configENS1_22reduce_config_selectorIiEEZNS1_11reduce_implILb1ES3_PiS7_iN6hipcub16HIPCUB_304000_NS6detail34convert_binary_result_type_wrapperINS9_3SumENS9_22TransformInputIteratorIbN2at6native12_GLOBAL__N_19NonZeroOpIfEEPKflEEiEEEE10hipError_tPvRmT1_T2_T3_mT4_P12ihipStream_tbEUlT_E0_NS1_11comp_targetILNS1_3genE0ELNS1_11target_archE4294967295ELNS1_3gpuE0ELNS1_3repE0EEENS1_30default_config_static_selectorELNS0_4arch9wavefront6targetE0EEEvSQ_,comdat
	.globl	_ZN7rocprim17ROCPRIM_400000_NS6detail17trampoline_kernelINS0_14default_configENS1_22reduce_config_selectorIiEEZNS1_11reduce_implILb1ES3_PiS7_iN6hipcub16HIPCUB_304000_NS6detail34convert_binary_result_type_wrapperINS9_3SumENS9_22TransformInputIteratorIbN2at6native12_GLOBAL__N_19NonZeroOpIfEEPKflEEiEEEE10hipError_tPvRmT1_T2_T3_mT4_P12ihipStream_tbEUlT_E0_NS1_11comp_targetILNS1_3genE0ELNS1_11target_archE4294967295ELNS1_3gpuE0ELNS1_3repE0EEENS1_30default_config_static_selectorELNS0_4arch9wavefront6targetE0EEEvSQ_ ; -- Begin function _ZN7rocprim17ROCPRIM_400000_NS6detail17trampoline_kernelINS0_14default_configENS1_22reduce_config_selectorIiEEZNS1_11reduce_implILb1ES3_PiS7_iN6hipcub16HIPCUB_304000_NS6detail34convert_binary_result_type_wrapperINS9_3SumENS9_22TransformInputIteratorIbN2at6native12_GLOBAL__N_19NonZeroOpIfEEPKflEEiEEEE10hipError_tPvRmT1_T2_T3_mT4_P12ihipStream_tbEUlT_E0_NS1_11comp_targetILNS1_3genE0ELNS1_11target_archE4294967295ELNS1_3gpuE0ELNS1_3repE0EEENS1_30default_config_static_selectorELNS0_4arch9wavefront6targetE0EEEvSQ_
	.p2align	8
	.type	_ZN7rocprim17ROCPRIM_400000_NS6detail17trampoline_kernelINS0_14default_configENS1_22reduce_config_selectorIiEEZNS1_11reduce_implILb1ES3_PiS7_iN6hipcub16HIPCUB_304000_NS6detail34convert_binary_result_type_wrapperINS9_3SumENS9_22TransformInputIteratorIbN2at6native12_GLOBAL__N_19NonZeroOpIfEEPKflEEiEEEE10hipError_tPvRmT1_T2_T3_mT4_P12ihipStream_tbEUlT_E0_NS1_11comp_targetILNS1_3genE0ELNS1_11target_archE4294967295ELNS1_3gpuE0ELNS1_3repE0EEENS1_30default_config_static_selectorELNS0_4arch9wavefront6targetE0EEEvSQ_,@function
_ZN7rocprim17ROCPRIM_400000_NS6detail17trampoline_kernelINS0_14default_configENS1_22reduce_config_selectorIiEEZNS1_11reduce_implILb1ES3_PiS7_iN6hipcub16HIPCUB_304000_NS6detail34convert_binary_result_type_wrapperINS9_3SumENS9_22TransformInputIteratorIbN2at6native12_GLOBAL__N_19NonZeroOpIfEEPKflEEiEEEE10hipError_tPvRmT1_T2_T3_mT4_P12ihipStream_tbEUlT_E0_NS1_11comp_targetILNS1_3genE0ELNS1_11target_archE4294967295ELNS1_3gpuE0ELNS1_3repE0EEENS1_30default_config_static_selectorELNS0_4arch9wavefront6targetE0EEEvSQ_: ; @_ZN7rocprim17ROCPRIM_400000_NS6detail17trampoline_kernelINS0_14default_configENS1_22reduce_config_selectorIiEEZNS1_11reduce_implILb1ES3_PiS7_iN6hipcub16HIPCUB_304000_NS6detail34convert_binary_result_type_wrapperINS9_3SumENS9_22TransformInputIteratorIbN2at6native12_GLOBAL__N_19NonZeroOpIfEEPKflEEiEEEE10hipError_tPvRmT1_T2_T3_mT4_P12ihipStream_tbEUlT_E0_NS1_11comp_targetILNS1_3genE0ELNS1_11target_archE4294967295ELNS1_3gpuE0ELNS1_3repE0EEENS1_30default_config_static_selectorELNS0_4arch9wavefront6targetE0EEEvSQ_
; %bb.0:
	.section	.rodata,"a",@progbits
	.p2align	6, 0x0
	.amdhsa_kernel _ZN7rocprim17ROCPRIM_400000_NS6detail17trampoline_kernelINS0_14default_configENS1_22reduce_config_selectorIiEEZNS1_11reduce_implILb1ES3_PiS7_iN6hipcub16HIPCUB_304000_NS6detail34convert_binary_result_type_wrapperINS9_3SumENS9_22TransformInputIteratorIbN2at6native12_GLOBAL__N_19NonZeroOpIfEEPKflEEiEEEE10hipError_tPvRmT1_T2_T3_mT4_P12ihipStream_tbEUlT_E0_NS1_11comp_targetILNS1_3genE0ELNS1_11target_archE4294967295ELNS1_3gpuE0ELNS1_3repE0EEENS1_30default_config_static_selectorELNS0_4arch9wavefront6targetE0EEEvSQ_
		.amdhsa_group_segment_fixed_size 0
		.amdhsa_private_segment_fixed_size 0
		.amdhsa_kernarg_size 56
		.amdhsa_user_sgpr_count 15
		.amdhsa_user_sgpr_dispatch_ptr 0
		.amdhsa_user_sgpr_queue_ptr 0
		.amdhsa_user_sgpr_kernarg_segment_ptr 1
		.amdhsa_user_sgpr_dispatch_id 0
		.amdhsa_user_sgpr_private_segment_size 0
		.amdhsa_wavefront_size32 1
		.amdhsa_uses_dynamic_stack 0
		.amdhsa_enable_private_segment 0
		.amdhsa_system_sgpr_workgroup_id_x 1
		.amdhsa_system_sgpr_workgroup_id_y 0
		.amdhsa_system_sgpr_workgroup_id_z 0
		.amdhsa_system_sgpr_workgroup_info 0
		.amdhsa_system_vgpr_workitem_id 0
		.amdhsa_next_free_vgpr 1
		.amdhsa_next_free_sgpr 1
		.amdhsa_reserve_vcc 0
		.amdhsa_float_round_mode_32 0
		.amdhsa_float_round_mode_16_64 0
		.amdhsa_float_denorm_mode_32 3
		.amdhsa_float_denorm_mode_16_64 3
		.amdhsa_dx10_clamp 1
		.amdhsa_ieee_mode 1
		.amdhsa_fp16_overflow 0
		.amdhsa_workgroup_processor_mode 1
		.amdhsa_memory_ordered 1
		.amdhsa_forward_progress 0
		.amdhsa_shared_vgpr_count 0
		.amdhsa_exception_fp_ieee_invalid_op 0
		.amdhsa_exception_fp_denorm_src 0
		.amdhsa_exception_fp_ieee_div_zero 0
		.amdhsa_exception_fp_ieee_overflow 0
		.amdhsa_exception_fp_ieee_underflow 0
		.amdhsa_exception_fp_ieee_inexact 0
		.amdhsa_exception_int_div_zero 0
	.end_amdhsa_kernel
	.section	.text._ZN7rocprim17ROCPRIM_400000_NS6detail17trampoline_kernelINS0_14default_configENS1_22reduce_config_selectorIiEEZNS1_11reduce_implILb1ES3_PiS7_iN6hipcub16HIPCUB_304000_NS6detail34convert_binary_result_type_wrapperINS9_3SumENS9_22TransformInputIteratorIbN2at6native12_GLOBAL__N_19NonZeroOpIfEEPKflEEiEEEE10hipError_tPvRmT1_T2_T3_mT4_P12ihipStream_tbEUlT_E0_NS1_11comp_targetILNS1_3genE0ELNS1_11target_archE4294967295ELNS1_3gpuE0ELNS1_3repE0EEENS1_30default_config_static_selectorELNS0_4arch9wavefront6targetE0EEEvSQ_,"axG",@progbits,_ZN7rocprim17ROCPRIM_400000_NS6detail17trampoline_kernelINS0_14default_configENS1_22reduce_config_selectorIiEEZNS1_11reduce_implILb1ES3_PiS7_iN6hipcub16HIPCUB_304000_NS6detail34convert_binary_result_type_wrapperINS9_3SumENS9_22TransformInputIteratorIbN2at6native12_GLOBAL__N_19NonZeroOpIfEEPKflEEiEEEE10hipError_tPvRmT1_T2_T3_mT4_P12ihipStream_tbEUlT_E0_NS1_11comp_targetILNS1_3genE0ELNS1_11target_archE4294967295ELNS1_3gpuE0ELNS1_3repE0EEENS1_30default_config_static_selectorELNS0_4arch9wavefront6targetE0EEEvSQ_,comdat
.Lfunc_end422:
	.size	_ZN7rocprim17ROCPRIM_400000_NS6detail17trampoline_kernelINS0_14default_configENS1_22reduce_config_selectorIiEEZNS1_11reduce_implILb1ES3_PiS7_iN6hipcub16HIPCUB_304000_NS6detail34convert_binary_result_type_wrapperINS9_3SumENS9_22TransformInputIteratorIbN2at6native12_GLOBAL__N_19NonZeroOpIfEEPKflEEiEEEE10hipError_tPvRmT1_T2_T3_mT4_P12ihipStream_tbEUlT_E0_NS1_11comp_targetILNS1_3genE0ELNS1_11target_archE4294967295ELNS1_3gpuE0ELNS1_3repE0EEENS1_30default_config_static_selectorELNS0_4arch9wavefront6targetE0EEEvSQ_, .Lfunc_end422-_ZN7rocprim17ROCPRIM_400000_NS6detail17trampoline_kernelINS0_14default_configENS1_22reduce_config_selectorIiEEZNS1_11reduce_implILb1ES3_PiS7_iN6hipcub16HIPCUB_304000_NS6detail34convert_binary_result_type_wrapperINS9_3SumENS9_22TransformInputIteratorIbN2at6native12_GLOBAL__N_19NonZeroOpIfEEPKflEEiEEEE10hipError_tPvRmT1_T2_T3_mT4_P12ihipStream_tbEUlT_E0_NS1_11comp_targetILNS1_3genE0ELNS1_11target_archE4294967295ELNS1_3gpuE0ELNS1_3repE0EEENS1_30default_config_static_selectorELNS0_4arch9wavefront6targetE0EEEvSQ_
                                        ; -- End function
	.section	.AMDGPU.csdata,"",@progbits
; Kernel info:
; codeLenInByte = 0
; NumSgprs: 0
; NumVgprs: 0
; ScratchSize: 0
; MemoryBound: 0
; FloatMode: 240
; IeeeMode: 1
; LDSByteSize: 0 bytes/workgroup (compile time only)
; SGPRBlocks: 0
; VGPRBlocks: 0
; NumSGPRsForWavesPerEU: 1
; NumVGPRsForWavesPerEU: 1
; Occupancy: 16
; WaveLimiterHint : 0
; COMPUTE_PGM_RSRC2:SCRATCH_EN: 0
; COMPUTE_PGM_RSRC2:USER_SGPR: 15
; COMPUTE_PGM_RSRC2:TRAP_HANDLER: 0
; COMPUTE_PGM_RSRC2:TGID_X_EN: 1
; COMPUTE_PGM_RSRC2:TGID_Y_EN: 0
; COMPUTE_PGM_RSRC2:TGID_Z_EN: 0
; COMPUTE_PGM_RSRC2:TIDIG_COMP_CNT: 0
	.section	.text._ZN7rocprim17ROCPRIM_400000_NS6detail17trampoline_kernelINS0_14default_configENS1_22reduce_config_selectorIiEEZNS1_11reduce_implILb1ES3_PiS7_iN6hipcub16HIPCUB_304000_NS6detail34convert_binary_result_type_wrapperINS9_3SumENS9_22TransformInputIteratorIbN2at6native12_GLOBAL__N_19NonZeroOpIfEEPKflEEiEEEE10hipError_tPvRmT1_T2_T3_mT4_P12ihipStream_tbEUlT_E0_NS1_11comp_targetILNS1_3genE5ELNS1_11target_archE942ELNS1_3gpuE9ELNS1_3repE0EEENS1_30default_config_static_selectorELNS0_4arch9wavefront6targetE0EEEvSQ_,"axG",@progbits,_ZN7rocprim17ROCPRIM_400000_NS6detail17trampoline_kernelINS0_14default_configENS1_22reduce_config_selectorIiEEZNS1_11reduce_implILb1ES3_PiS7_iN6hipcub16HIPCUB_304000_NS6detail34convert_binary_result_type_wrapperINS9_3SumENS9_22TransformInputIteratorIbN2at6native12_GLOBAL__N_19NonZeroOpIfEEPKflEEiEEEE10hipError_tPvRmT1_T2_T3_mT4_P12ihipStream_tbEUlT_E0_NS1_11comp_targetILNS1_3genE5ELNS1_11target_archE942ELNS1_3gpuE9ELNS1_3repE0EEENS1_30default_config_static_selectorELNS0_4arch9wavefront6targetE0EEEvSQ_,comdat
	.globl	_ZN7rocprim17ROCPRIM_400000_NS6detail17trampoline_kernelINS0_14default_configENS1_22reduce_config_selectorIiEEZNS1_11reduce_implILb1ES3_PiS7_iN6hipcub16HIPCUB_304000_NS6detail34convert_binary_result_type_wrapperINS9_3SumENS9_22TransformInputIteratorIbN2at6native12_GLOBAL__N_19NonZeroOpIfEEPKflEEiEEEE10hipError_tPvRmT1_T2_T3_mT4_P12ihipStream_tbEUlT_E0_NS1_11comp_targetILNS1_3genE5ELNS1_11target_archE942ELNS1_3gpuE9ELNS1_3repE0EEENS1_30default_config_static_selectorELNS0_4arch9wavefront6targetE0EEEvSQ_ ; -- Begin function _ZN7rocprim17ROCPRIM_400000_NS6detail17trampoline_kernelINS0_14default_configENS1_22reduce_config_selectorIiEEZNS1_11reduce_implILb1ES3_PiS7_iN6hipcub16HIPCUB_304000_NS6detail34convert_binary_result_type_wrapperINS9_3SumENS9_22TransformInputIteratorIbN2at6native12_GLOBAL__N_19NonZeroOpIfEEPKflEEiEEEE10hipError_tPvRmT1_T2_T3_mT4_P12ihipStream_tbEUlT_E0_NS1_11comp_targetILNS1_3genE5ELNS1_11target_archE942ELNS1_3gpuE9ELNS1_3repE0EEENS1_30default_config_static_selectorELNS0_4arch9wavefront6targetE0EEEvSQ_
	.p2align	8
	.type	_ZN7rocprim17ROCPRIM_400000_NS6detail17trampoline_kernelINS0_14default_configENS1_22reduce_config_selectorIiEEZNS1_11reduce_implILb1ES3_PiS7_iN6hipcub16HIPCUB_304000_NS6detail34convert_binary_result_type_wrapperINS9_3SumENS9_22TransformInputIteratorIbN2at6native12_GLOBAL__N_19NonZeroOpIfEEPKflEEiEEEE10hipError_tPvRmT1_T2_T3_mT4_P12ihipStream_tbEUlT_E0_NS1_11comp_targetILNS1_3genE5ELNS1_11target_archE942ELNS1_3gpuE9ELNS1_3repE0EEENS1_30default_config_static_selectorELNS0_4arch9wavefront6targetE0EEEvSQ_,@function
_ZN7rocprim17ROCPRIM_400000_NS6detail17trampoline_kernelINS0_14default_configENS1_22reduce_config_selectorIiEEZNS1_11reduce_implILb1ES3_PiS7_iN6hipcub16HIPCUB_304000_NS6detail34convert_binary_result_type_wrapperINS9_3SumENS9_22TransformInputIteratorIbN2at6native12_GLOBAL__N_19NonZeroOpIfEEPKflEEiEEEE10hipError_tPvRmT1_T2_T3_mT4_P12ihipStream_tbEUlT_E0_NS1_11comp_targetILNS1_3genE5ELNS1_11target_archE942ELNS1_3gpuE9ELNS1_3repE0EEENS1_30default_config_static_selectorELNS0_4arch9wavefront6targetE0EEEvSQ_: ; @_ZN7rocprim17ROCPRIM_400000_NS6detail17trampoline_kernelINS0_14default_configENS1_22reduce_config_selectorIiEEZNS1_11reduce_implILb1ES3_PiS7_iN6hipcub16HIPCUB_304000_NS6detail34convert_binary_result_type_wrapperINS9_3SumENS9_22TransformInputIteratorIbN2at6native12_GLOBAL__N_19NonZeroOpIfEEPKflEEiEEEE10hipError_tPvRmT1_T2_T3_mT4_P12ihipStream_tbEUlT_E0_NS1_11comp_targetILNS1_3genE5ELNS1_11target_archE942ELNS1_3gpuE9ELNS1_3repE0EEENS1_30default_config_static_selectorELNS0_4arch9wavefront6targetE0EEEvSQ_
; %bb.0:
	.section	.rodata,"a",@progbits
	.p2align	6, 0x0
	.amdhsa_kernel _ZN7rocprim17ROCPRIM_400000_NS6detail17trampoline_kernelINS0_14default_configENS1_22reduce_config_selectorIiEEZNS1_11reduce_implILb1ES3_PiS7_iN6hipcub16HIPCUB_304000_NS6detail34convert_binary_result_type_wrapperINS9_3SumENS9_22TransformInputIteratorIbN2at6native12_GLOBAL__N_19NonZeroOpIfEEPKflEEiEEEE10hipError_tPvRmT1_T2_T3_mT4_P12ihipStream_tbEUlT_E0_NS1_11comp_targetILNS1_3genE5ELNS1_11target_archE942ELNS1_3gpuE9ELNS1_3repE0EEENS1_30default_config_static_selectorELNS0_4arch9wavefront6targetE0EEEvSQ_
		.amdhsa_group_segment_fixed_size 0
		.amdhsa_private_segment_fixed_size 0
		.amdhsa_kernarg_size 56
		.amdhsa_user_sgpr_count 15
		.amdhsa_user_sgpr_dispatch_ptr 0
		.amdhsa_user_sgpr_queue_ptr 0
		.amdhsa_user_sgpr_kernarg_segment_ptr 1
		.amdhsa_user_sgpr_dispatch_id 0
		.amdhsa_user_sgpr_private_segment_size 0
		.amdhsa_wavefront_size32 1
		.amdhsa_uses_dynamic_stack 0
		.amdhsa_enable_private_segment 0
		.amdhsa_system_sgpr_workgroup_id_x 1
		.amdhsa_system_sgpr_workgroup_id_y 0
		.amdhsa_system_sgpr_workgroup_id_z 0
		.amdhsa_system_sgpr_workgroup_info 0
		.amdhsa_system_vgpr_workitem_id 0
		.amdhsa_next_free_vgpr 1
		.amdhsa_next_free_sgpr 1
		.amdhsa_reserve_vcc 0
		.amdhsa_float_round_mode_32 0
		.amdhsa_float_round_mode_16_64 0
		.amdhsa_float_denorm_mode_32 3
		.amdhsa_float_denorm_mode_16_64 3
		.amdhsa_dx10_clamp 1
		.amdhsa_ieee_mode 1
		.amdhsa_fp16_overflow 0
		.amdhsa_workgroup_processor_mode 1
		.amdhsa_memory_ordered 1
		.amdhsa_forward_progress 0
		.amdhsa_shared_vgpr_count 0
		.amdhsa_exception_fp_ieee_invalid_op 0
		.amdhsa_exception_fp_denorm_src 0
		.amdhsa_exception_fp_ieee_div_zero 0
		.amdhsa_exception_fp_ieee_overflow 0
		.amdhsa_exception_fp_ieee_underflow 0
		.amdhsa_exception_fp_ieee_inexact 0
		.amdhsa_exception_int_div_zero 0
	.end_amdhsa_kernel
	.section	.text._ZN7rocprim17ROCPRIM_400000_NS6detail17trampoline_kernelINS0_14default_configENS1_22reduce_config_selectorIiEEZNS1_11reduce_implILb1ES3_PiS7_iN6hipcub16HIPCUB_304000_NS6detail34convert_binary_result_type_wrapperINS9_3SumENS9_22TransformInputIteratorIbN2at6native12_GLOBAL__N_19NonZeroOpIfEEPKflEEiEEEE10hipError_tPvRmT1_T2_T3_mT4_P12ihipStream_tbEUlT_E0_NS1_11comp_targetILNS1_3genE5ELNS1_11target_archE942ELNS1_3gpuE9ELNS1_3repE0EEENS1_30default_config_static_selectorELNS0_4arch9wavefront6targetE0EEEvSQ_,"axG",@progbits,_ZN7rocprim17ROCPRIM_400000_NS6detail17trampoline_kernelINS0_14default_configENS1_22reduce_config_selectorIiEEZNS1_11reduce_implILb1ES3_PiS7_iN6hipcub16HIPCUB_304000_NS6detail34convert_binary_result_type_wrapperINS9_3SumENS9_22TransformInputIteratorIbN2at6native12_GLOBAL__N_19NonZeroOpIfEEPKflEEiEEEE10hipError_tPvRmT1_T2_T3_mT4_P12ihipStream_tbEUlT_E0_NS1_11comp_targetILNS1_3genE5ELNS1_11target_archE942ELNS1_3gpuE9ELNS1_3repE0EEENS1_30default_config_static_selectorELNS0_4arch9wavefront6targetE0EEEvSQ_,comdat
.Lfunc_end423:
	.size	_ZN7rocprim17ROCPRIM_400000_NS6detail17trampoline_kernelINS0_14default_configENS1_22reduce_config_selectorIiEEZNS1_11reduce_implILb1ES3_PiS7_iN6hipcub16HIPCUB_304000_NS6detail34convert_binary_result_type_wrapperINS9_3SumENS9_22TransformInputIteratorIbN2at6native12_GLOBAL__N_19NonZeroOpIfEEPKflEEiEEEE10hipError_tPvRmT1_T2_T3_mT4_P12ihipStream_tbEUlT_E0_NS1_11comp_targetILNS1_3genE5ELNS1_11target_archE942ELNS1_3gpuE9ELNS1_3repE0EEENS1_30default_config_static_selectorELNS0_4arch9wavefront6targetE0EEEvSQ_, .Lfunc_end423-_ZN7rocprim17ROCPRIM_400000_NS6detail17trampoline_kernelINS0_14default_configENS1_22reduce_config_selectorIiEEZNS1_11reduce_implILb1ES3_PiS7_iN6hipcub16HIPCUB_304000_NS6detail34convert_binary_result_type_wrapperINS9_3SumENS9_22TransformInputIteratorIbN2at6native12_GLOBAL__N_19NonZeroOpIfEEPKflEEiEEEE10hipError_tPvRmT1_T2_T3_mT4_P12ihipStream_tbEUlT_E0_NS1_11comp_targetILNS1_3genE5ELNS1_11target_archE942ELNS1_3gpuE9ELNS1_3repE0EEENS1_30default_config_static_selectorELNS0_4arch9wavefront6targetE0EEEvSQ_
                                        ; -- End function
	.section	.AMDGPU.csdata,"",@progbits
; Kernel info:
; codeLenInByte = 0
; NumSgprs: 0
; NumVgprs: 0
; ScratchSize: 0
; MemoryBound: 0
; FloatMode: 240
; IeeeMode: 1
; LDSByteSize: 0 bytes/workgroup (compile time only)
; SGPRBlocks: 0
; VGPRBlocks: 0
; NumSGPRsForWavesPerEU: 1
; NumVGPRsForWavesPerEU: 1
; Occupancy: 16
; WaveLimiterHint : 0
; COMPUTE_PGM_RSRC2:SCRATCH_EN: 0
; COMPUTE_PGM_RSRC2:USER_SGPR: 15
; COMPUTE_PGM_RSRC2:TRAP_HANDLER: 0
; COMPUTE_PGM_RSRC2:TGID_X_EN: 1
; COMPUTE_PGM_RSRC2:TGID_Y_EN: 0
; COMPUTE_PGM_RSRC2:TGID_Z_EN: 0
; COMPUTE_PGM_RSRC2:TIDIG_COMP_CNT: 0
	.section	.text._ZN7rocprim17ROCPRIM_400000_NS6detail17trampoline_kernelINS0_14default_configENS1_22reduce_config_selectorIiEEZNS1_11reduce_implILb1ES3_PiS7_iN6hipcub16HIPCUB_304000_NS6detail34convert_binary_result_type_wrapperINS9_3SumENS9_22TransformInputIteratorIbN2at6native12_GLOBAL__N_19NonZeroOpIfEEPKflEEiEEEE10hipError_tPvRmT1_T2_T3_mT4_P12ihipStream_tbEUlT_E0_NS1_11comp_targetILNS1_3genE4ELNS1_11target_archE910ELNS1_3gpuE8ELNS1_3repE0EEENS1_30default_config_static_selectorELNS0_4arch9wavefront6targetE0EEEvSQ_,"axG",@progbits,_ZN7rocprim17ROCPRIM_400000_NS6detail17trampoline_kernelINS0_14default_configENS1_22reduce_config_selectorIiEEZNS1_11reduce_implILb1ES3_PiS7_iN6hipcub16HIPCUB_304000_NS6detail34convert_binary_result_type_wrapperINS9_3SumENS9_22TransformInputIteratorIbN2at6native12_GLOBAL__N_19NonZeroOpIfEEPKflEEiEEEE10hipError_tPvRmT1_T2_T3_mT4_P12ihipStream_tbEUlT_E0_NS1_11comp_targetILNS1_3genE4ELNS1_11target_archE910ELNS1_3gpuE8ELNS1_3repE0EEENS1_30default_config_static_selectorELNS0_4arch9wavefront6targetE0EEEvSQ_,comdat
	.globl	_ZN7rocprim17ROCPRIM_400000_NS6detail17trampoline_kernelINS0_14default_configENS1_22reduce_config_selectorIiEEZNS1_11reduce_implILb1ES3_PiS7_iN6hipcub16HIPCUB_304000_NS6detail34convert_binary_result_type_wrapperINS9_3SumENS9_22TransformInputIteratorIbN2at6native12_GLOBAL__N_19NonZeroOpIfEEPKflEEiEEEE10hipError_tPvRmT1_T2_T3_mT4_P12ihipStream_tbEUlT_E0_NS1_11comp_targetILNS1_3genE4ELNS1_11target_archE910ELNS1_3gpuE8ELNS1_3repE0EEENS1_30default_config_static_selectorELNS0_4arch9wavefront6targetE0EEEvSQ_ ; -- Begin function _ZN7rocprim17ROCPRIM_400000_NS6detail17trampoline_kernelINS0_14default_configENS1_22reduce_config_selectorIiEEZNS1_11reduce_implILb1ES3_PiS7_iN6hipcub16HIPCUB_304000_NS6detail34convert_binary_result_type_wrapperINS9_3SumENS9_22TransformInputIteratorIbN2at6native12_GLOBAL__N_19NonZeroOpIfEEPKflEEiEEEE10hipError_tPvRmT1_T2_T3_mT4_P12ihipStream_tbEUlT_E0_NS1_11comp_targetILNS1_3genE4ELNS1_11target_archE910ELNS1_3gpuE8ELNS1_3repE0EEENS1_30default_config_static_selectorELNS0_4arch9wavefront6targetE0EEEvSQ_
	.p2align	8
	.type	_ZN7rocprim17ROCPRIM_400000_NS6detail17trampoline_kernelINS0_14default_configENS1_22reduce_config_selectorIiEEZNS1_11reduce_implILb1ES3_PiS7_iN6hipcub16HIPCUB_304000_NS6detail34convert_binary_result_type_wrapperINS9_3SumENS9_22TransformInputIteratorIbN2at6native12_GLOBAL__N_19NonZeroOpIfEEPKflEEiEEEE10hipError_tPvRmT1_T2_T3_mT4_P12ihipStream_tbEUlT_E0_NS1_11comp_targetILNS1_3genE4ELNS1_11target_archE910ELNS1_3gpuE8ELNS1_3repE0EEENS1_30default_config_static_selectorELNS0_4arch9wavefront6targetE0EEEvSQ_,@function
_ZN7rocprim17ROCPRIM_400000_NS6detail17trampoline_kernelINS0_14default_configENS1_22reduce_config_selectorIiEEZNS1_11reduce_implILb1ES3_PiS7_iN6hipcub16HIPCUB_304000_NS6detail34convert_binary_result_type_wrapperINS9_3SumENS9_22TransformInputIteratorIbN2at6native12_GLOBAL__N_19NonZeroOpIfEEPKflEEiEEEE10hipError_tPvRmT1_T2_T3_mT4_P12ihipStream_tbEUlT_E0_NS1_11comp_targetILNS1_3genE4ELNS1_11target_archE910ELNS1_3gpuE8ELNS1_3repE0EEENS1_30default_config_static_selectorELNS0_4arch9wavefront6targetE0EEEvSQ_: ; @_ZN7rocprim17ROCPRIM_400000_NS6detail17trampoline_kernelINS0_14default_configENS1_22reduce_config_selectorIiEEZNS1_11reduce_implILb1ES3_PiS7_iN6hipcub16HIPCUB_304000_NS6detail34convert_binary_result_type_wrapperINS9_3SumENS9_22TransformInputIteratorIbN2at6native12_GLOBAL__N_19NonZeroOpIfEEPKflEEiEEEE10hipError_tPvRmT1_T2_T3_mT4_P12ihipStream_tbEUlT_E0_NS1_11comp_targetILNS1_3genE4ELNS1_11target_archE910ELNS1_3gpuE8ELNS1_3repE0EEENS1_30default_config_static_selectorELNS0_4arch9wavefront6targetE0EEEvSQ_
; %bb.0:
	.section	.rodata,"a",@progbits
	.p2align	6, 0x0
	.amdhsa_kernel _ZN7rocprim17ROCPRIM_400000_NS6detail17trampoline_kernelINS0_14default_configENS1_22reduce_config_selectorIiEEZNS1_11reduce_implILb1ES3_PiS7_iN6hipcub16HIPCUB_304000_NS6detail34convert_binary_result_type_wrapperINS9_3SumENS9_22TransformInputIteratorIbN2at6native12_GLOBAL__N_19NonZeroOpIfEEPKflEEiEEEE10hipError_tPvRmT1_T2_T3_mT4_P12ihipStream_tbEUlT_E0_NS1_11comp_targetILNS1_3genE4ELNS1_11target_archE910ELNS1_3gpuE8ELNS1_3repE0EEENS1_30default_config_static_selectorELNS0_4arch9wavefront6targetE0EEEvSQ_
		.amdhsa_group_segment_fixed_size 0
		.amdhsa_private_segment_fixed_size 0
		.amdhsa_kernarg_size 56
		.amdhsa_user_sgpr_count 15
		.amdhsa_user_sgpr_dispatch_ptr 0
		.amdhsa_user_sgpr_queue_ptr 0
		.amdhsa_user_sgpr_kernarg_segment_ptr 1
		.amdhsa_user_sgpr_dispatch_id 0
		.amdhsa_user_sgpr_private_segment_size 0
		.amdhsa_wavefront_size32 1
		.amdhsa_uses_dynamic_stack 0
		.amdhsa_enable_private_segment 0
		.amdhsa_system_sgpr_workgroup_id_x 1
		.amdhsa_system_sgpr_workgroup_id_y 0
		.amdhsa_system_sgpr_workgroup_id_z 0
		.amdhsa_system_sgpr_workgroup_info 0
		.amdhsa_system_vgpr_workitem_id 0
		.amdhsa_next_free_vgpr 1
		.amdhsa_next_free_sgpr 1
		.amdhsa_reserve_vcc 0
		.amdhsa_float_round_mode_32 0
		.amdhsa_float_round_mode_16_64 0
		.amdhsa_float_denorm_mode_32 3
		.amdhsa_float_denorm_mode_16_64 3
		.amdhsa_dx10_clamp 1
		.amdhsa_ieee_mode 1
		.amdhsa_fp16_overflow 0
		.amdhsa_workgroup_processor_mode 1
		.amdhsa_memory_ordered 1
		.amdhsa_forward_progress 0
		.amdhsa_shared_vgpr_count 0
		.amdhsa_exception_fp_ieee_invalid_op 0
		.amdhsa_exception_fp_denorm_src 0
		.amdhsa_exception_fp_ieee_div_zero 0
		.amdhsa_exception_fp_ieee_overflow 0
		.amdhsa_exception_fp_ieee_underflow 0
		.amdhsa_exception_fp_ieee_inexact 0
		.amdhsa_exception_int_div_zero 0
	.end_amdhsa_kernel
	.section	.text._ZN7rocprim17ROCPRIM_400000_NS6detail17trampoline_kernelINS0_14default_configENS1_22reduce_config_selectorIiEEZNS1_11reduce_implILb1ES3_PiS7_iN6hipcub16HIPCUB_304000_NS6detail34convert_binary_result_type_wrapperINS9_3SumENS9_22TransformInputIteratorIbN2at6native12_GLOBAL__N_19NonZeroOpIfEEPKflEEiEEEE10hipError_tPvRmT1_T2_T3_mT4_P12ihipStream_tbEUlT_E0_NS1_11comp_targetILNS1_3genE4ELNS1_11target_archE910ELNS1_3gpuE8ELNS1_3repE0EEENS1_30default_config_static_selectorELNS0_4arch9wavefront6targetE0EEEvSQ_,"axG",@progbits,_ZN7rocprim17ROCPRIM_400000_NS6detail17trampoline_kernelINS0_14default_configENS1_22reduce_config_selectorIiEEZNS1_11reduce_implILb1ES3_PiS7_iN6hipcub16HIPCUB_304000_NS6detail34convert_binary_result_type_wrapperINS9_3SumENS9_22TransformInputIteratorIbN2at6native12_GLOBAL__N_19NonZeroOpIfEEPKflEEiEEEE10hipError_tPvRmT1_T2_T3_mT4_P12ihipStream_tbEUlT_E0_NS1_11comp_targetILNS1_3genE4ELNS1_11target_archE910ELNS1_3gpuE8ELNS1_3repE0EEENS1_30default_config_static_selectorELNS0_4arch9wavefront6targetE0EEEvSQ_,comdat
.Lfunc_end424:
	.size	_ZN7rocprim17ROCPRIM_400000_NS6detail17trampoline_kernelINS0_14default_configENS1_22reduce_config_selectorIiEEZNS1_11reduce_implILb1ES3_PiS7_iN6hipcub16HIPCUB_304000_NS6detail34convert_binary_result_type_wrapperINS9_3SumENS9_22TransformInputIteratorIbN2at6native12_GLOBAL__N_19NonZeroOpIfEEPKflEEiEEEE10hipError_tPvRmT1_T2_T3_mT4_P12ihipStream_tbEUlT_E0_NS1_11comp_targetILNS1_3genE4ELNS1_11target_archE910ELNS1_3gpuE8ELNS1_3repE0EEENS1_30default_config_static_selectorELNS0_4arch9wavefront6targetE0EEEvSQ_, .Lfunc_end424-_ZN7rocprim17ROCPRIM_400000_NS6detail17trampoline_kernelINS0_14default_configENS1_22reduce_config_selectorIiEEZNS1_11reduce_implILb1ES3_PiS7_iN6hipcub16HIPCUB_304000_NS6detail34convert_binary_result_type_wrapperINS9_3SumENS9_22TransformInputIteratorIbN2at6native12_GLOBAL__N_19NonZeroOpIfEEPKflEEiEEEE10hipError_tPvRmT1_T2_T3_mT4_P12ihipStream_tbEUlT_E0_NS1_11comp_targetILNS1_3genE4ELNS1_11target_archE910ELNS1_3gpuE8ELNS1_3repE0EEENS1_30default_config_static_selectorELNS0_4arch9wavefront6targetE0EEEvSQ_
                                        ; -- End function
	.section	.AMDGPU.csdata,"",@progbits
; Kernel info:
; codeLenInByte = 0
; NumSgprs: 0
; NumVgprs: 0
; ScratchSize: 0
; MemoryBound: 0
; FloatMode: 240
; IeeeMode: 1
; LDSByteSize: 0 bytes/workgroup (compile time only)
; SGPRBlocks: 0
; VGPRBlocks: 0
; NumSGPRsForWavesPerEU: 1
; NumVGPRsForWavesPerEU: 1
; Occupancy: 16
; WaveLimiterHint : 0
; COMPUTE_PGM_RSRC2:SCRATCH_EN: 0
; COMPUTE_PGM_RSRC2:USER_SGPR: 15
; COMPUTE_PGM_RSRC2:TRAP_HANDLER: 0
; COMPUTE_PGM_RSRC2:TGID_X_EN: 1
; COMPUTE_PGM_RSRC2:TGID_Y_EN: 0
; COMPUTE_PGM_RSRC2:TGID_Z_EN: 0
; COMPUTE_PGM_RSRC2:TIDIG_COMP_CNT: 0
	.section	.text._ZN7rocprim17ROCPRIM_400000_NS6detail17trampoline_kernelINS0_14default_configENS1_22reduce_config_selectorIiEEZNS1_11reduce_implILb1ES3_PiS7_iN6hipcub16HIPCUB_304000_NS6detail34convert_binary_result_type_wrapperINS9_3SumENS9_22TransformInputIteratorIbN2at6native12_GLOBAL__N_19NonZeroOpIfEEPKflEEiEEEE10hipError_tPvRmT1_T2_T3_mT4_P12ihipStream_tbEUlT_E0_NS1_11comp_targetILNS1_3genE3ELNS1_11target_archE908ELNS1_3gpuE7ELNS1_3repE0EEENS1_30default_config_static_selectorELNS0_4arch9wavefront6targetE0EEEvSQ_,"axG",@progbits,_ZN7rocprim17ROCPRIM_400000_NS6detail17trampoline_kernelINS0_14default_configENS1_22reduce_config_selectorIiEEZNS1_11reduce_implILb1ES3_PiS7_iN6hipcub16HIPCUB_304000_NS6detail34convert_binary_result_type_wrapperINS9_3SumENS9_22TransformInputIteratorIbN2at6native12_GLOBAL__N_19NonZeroOpIfEEPKflEEiEEEE10hipError_tPvRmT1_T2_T3_mT4_P12ihipStream_tbEUlT_E0_NS1_11comp_targetILNS1_3genE3ELNS1_11target_archE908ELNS1_3gpuE7ELNS1_3repE0EEENS1_30default_config_static_selectorELNS0_4arch9wavefront6targetE0EEEvSQ_,comdat
	.globl	_ZN7rocprim17ROCPRIM_400000_NS6detail17trampoline_kernelINS0_14default_configENS1_22reduce_config_selectorIiEEZNS1_11reduce_implILb1ES3_PiS7_iN6hipcub16HIPCUB_304000_NS6detail34convert_binary_result_type_wrapperINS9_3SumENS9_22TransformInputIteratorIbN2at6native12_GLOBAL__N_19NonZeroOpIfEEPKflEEiEEEE10hipError_tPvRmT1_T2_T3_mT4_P12ihipStream_tbEUlT_E0_NS1_11comp_targetILNS1_3genE3ELNS1_11target_archE908ELNS1_3gpuE7ELNS1_3repE0EEENS1_30default_config_static_selectorELNS0_4arch9wavefront6targetE0EEEvSQ_ ; -- Begin function _ZN7rocprim17ROCPRIM_400000_NS6detail17trampoline_kernelINS0_14default_configENS1_22reduce_config_selectorIiEEZNS1_11reduce_implILb1ES3_PiS7_iN6hipcub16HIPCUB_304000_NS6detail34convert_binary_result_type_wrapperINS9_3SumENS9_22TransformInputIteratorIbN2at6native12_GLOBAL__N_19NonZeroOpIfEEPKflEEiEEEE10hipError_tPvRmT1_T2_T3_mT4_P12ihipStream_tbEUlT_E0_NS1_11comp_targetILNS1_3genE3ELNS1_11target_archE908ELNS1_3gpuE7ELNS1_3repE0EEENS1_30default_config_static_selectorELNS0_4arch9wavefront6targetE0EEEvSQ_
	.p2align	8
	.type	_ZN7rocprim17ROCPRIM_400000_NS6detail17trampoline_kernelINS0_14default_configENS1_22reduce_config_selectorIiEEZNS1_11reduce_implILb1ES3_PiS7_iN6hipcub16HIPCUB_304000_NS6detail34convert_binary_result_type_wrapperINS9_3SumENS9_22TransformInputIteratorIbN2at6native12_GLOBAL__N_19NonZeroOpIfEEPKflEEiEEEE10hipError_tPvRmT1_T2_T3_mT4_P12ihipStream_tbEUlT_E0_NS1_11comp_targetILNS1_3genE3ELNS1_11target_archE908ELNS1_3gpuE7ELNS1_3repE0EEENS1_30default_config_static_selectorELNS0_4arch9wavefront6targetE0EEEvSQ_,@function
_ZN7rocprim17ROCPRIM_400000_NS6detail17trampoline_kernelINS0_14default_configENS1_22reduce_config_selectorIiEEZNS1_11reduce_implILb1ES3_PiS7_iN6hipcub16HIPCUB_304000_NS6detail34convert_binary_result_type_wrapperINS9_3SumENS9_22TransformInputIteratorIbN2at6native12_GLOBAL__N_19NonZeroOpIfEEPKflEEiEEEE10hipError_tPvRmT1_T2_T3_mT4_P12ihipStream_tbEUlT_E0_NS1_11comp_targetILNS1_3genE3ELNS1_11target_archE908ELNS1_3gpuE7ELNS1_3repE0EEENS1_30default_config_static_selectorELNS0_4arch9wavefront6targetE0EEEvSQ_: ; @_ZN7rocprim17ROCPRIM_400000_NS6detail17trampoline_kernelINS0_14default_configENS1_22reduce_config_selectorIiEEZNS1_11reduce_implILb1ES3_PiS7_iN6hipcub16HIPCUB_304000_NS6detail34convert_binary_result_type_wrapperINS9_3SumENS9_22TransformInputIteratorIbN2at6native12_GLOBAL__N_19NonZeroOpIfEEPKflEEiEEEE10hipError_tPvRmT1_T2_T3_mT4_P12ihipStream_tbEUlT_E0_NS1_11comp_targetILNS1_3genE3ELNS1_11target_archE908ELNS1_3gpuE7ELNS1_3repE0EEENS1_30default_config_static_selectorELNS0_4arch9wavefront6targetE0EEEvSQ_
; %bb.0:
	.section	.rodata,"a",@progbits
	.p2align	6, 0x0
	.amdhsa_kernel _ZN7rocprim17ROCPRIM_400000_NS6detail17trampoline_kernelINS0_14default_configENS1_22reduce_config_selectorIiEEZNS1_11reduce_implILb1ES3_PiS7_iN6hipcub16HIPCUB_304000_NS6detail34convert_binary_result_type_wrapperINS9_3SumENS9_22TransformInputIteratorIbN2at6native12_GLOBAL__N_19NonZeroOpIfEEPKflEEiEEEE10hipError_tPvRmT1_T2_T3_mT4_P12ihipStream_tbEUlT_E0_NS1_11comp_targetILNS1_3genE3ELNS1_11target_archE908ELNS1_3gpuE7ELNS1_3repE0EEENS1_30default_config_static_selectorELNS0_4arch9wavefront6targetE0EEEvSQ_
		.amdhsa_group_segment_fixed_size 0
		.amdhsa_private_segment_fixed_size 0
		.amdhsa_kernarg_size 56
		.amdhsa_user_sgpr_count 15
		.amdhsa_user_sgpr_dispatch_ptr 0
		.amdhsa_user_sgpr_queue_ptr 0
		.amdhsa_user_sgpr_kernarg_segment_ptr 1
		.amdhsa_user_sgpr_dispatch_id 0
		.amdhsa_user_sgpr_private_segment_size 0
		.amdhsa_wavefront_size32 1
		.amdhsa_uses_dynamic_stack 0
		.amdhsa_enable_private_segment 0
		.amdhsa_system_sgpr_workgroup_id_x 1
		.amdhsa_system_sgpr_workgroup_id_y 0
		.amdhsa_system_sgpr_workgroup_id_z 0
		.amdhsa_system_sgpr_workgroup_info 0
		.amdhsa_system_vgpr_workitem_id 0
		.amdhsa_next_free_vgpr 1
		.amdhsa_next_free_sgpr 1
		.amdhsa_reserve_vcc 0
		.amdhsa_float_round_mode_32 0
		.amdhsa_float_round_mode_16_64 0
		.amdhsa_float_denorm_mode_32 3
		.amdhsa_float_denorm_mode_16_64 3
		.amdhsa_dx10_clamp 1
		.amdhsa_ieee_mode 1
		.amdhsa_fp16_overflow 0
		.amdhsa_workgroup_processor_mode 1
		.amdhsa_memory_ordered 1
		.amdhsa_forward_progress 0
		.amdhsa_shared_vgpr_count 0
		.amdhsa_exception_fp_ieee_invalid_op 0
		.amdhsa_exception_fp_denorm_src 0
		.amdhsa_exception_fp_ieee_div_zero 0
		.amdhsa_exception_fp_ieee_overflow 0
		.amdhsa_exception_fp_ieee_underflow 0
		.amdhsa_exception_fp_ieee_inexact 0
		.amdhsa_exception_int_div_zero 0
	.end_amdhsa_kernel
	.section	.text._ZN7rocprim17ROCPRIM_400000_NS6detail17trampoline_kernelINS0_14default_configENS1_22reduce_config_selectorIiEEZNS1_11reduce_implILb1ES3_PiS7_iN6hipcub16HIPCUB_304000_NS6detail34convert_binary_result_type_wrapperINS9_3SumENS9_22TransformInputIteratorIbN2at6native12_GLOBAL__N_19NonZeroOpIfEEPKflEEiEEEE10hipError_tPvRmT1_T2_T3_mT4_P12ihipStream_tbEUlT_E0_NS1_11comp_targetILNS1_3genE3ELNS1_11target_archE908ELNS1_3gpuE7ELNS1_3repE0EEENS1_30default_config_static_selectorELNS0_4arch9wavefront6targetE0EEEvSQ_,"axG",@progbits,_ZN7rocprim17ROCPRIM_400000_NS6detail17trampoline_kernelINS0_14default_configENS1_22reduce_config_selectorIiEEZNS1_11reduce_implILb1ES3_PiS7_iN6hipcub16HIPCUB_304000_NS6detail34convert_binary_result_type_wrapperINS9_3SumENS9_22TransformInputIteratorIbN2at6native12_GLOBAL__N_19NonZeroOpIfEEPKflEEiEEEE10hipError_tPvRmT1_T2_T3_mT4_P12ihipStream_tbEUlT_E0_NS1_11comp_targetILNS1_3genE3ELNS1_11target_archE908ELNS1_3gpuE7ELNS1_3repE0EEENS1_30default_config_static_selectorELNS0_4arch9wavefront6targetE0EEEvSQ_,comdat
.Lfunc_end425:
	.size	_ZN7rocprim17ROCPRIM_400000_NS6detail17trampoline_kernelINS0_14default_configENS1_22reduce_config_selectorIiEEZNS1_11reduce_implILb1ES3_PiS7_iN6hipcub16HIPCUB_304000_NS6detail34convert_binary_result_type_wrapperINS9_3SumENS9_22TransformInputIteratorIbN2at6native12_GLOBAL__N_19NonZeroOpIfEEPKflEEiEEEE10hipError_tPvRmT1_T2_T3_mT4_P12ihipStream_tbEUlT_E0_NS1_11comp_targetILNS1_3genE3ELNS1_11target_archE908ELNS1_3gpuE7ELNS1_3repE0EEENS1_30default_config_static_selectorELNS0_4arch9wavefront6targetE0EEEvSQ_, .Lfunc_end425-_ZN7rocprim17ROCPRIM_400000_NS6detail17trampoline_kernelINS0_14default_configENS1_22reduce_config_selectorIiEEZNS1_11reduce_implILb1ES3_PiS7_iN6hipcub16HIPCUB_304000_NS6detail34convert_binary_result_type_wrapperINS9_3SumENS9_22TransformInputIteratorIbN2at6native12_GLOBAL__N_19NonZeroOpIfEEPKflEEiEEEE10hipError_tPvRmT1_T2_T3_mT4_P12ihipStream_tbEUlT_E0_NS1_11comp_targetILNS1_3genE3ELNS1_11target_archE908ELNS1_3gpuE7ELNS1_3repE0EEENS1_30default_config_static_selectorELNS0_4arch9wavefront6targetE0EEEvSQ_
                                        ; -- End function
	.section	.AMDGPU.csdata,"",@progbits
; Kernel info:
; codeLenInByte = 0
; NumSgprs: 0
; NumVgprs: 0
; ScratchSize: 0
; MemoryBound: 0
; FloatMode: 240
; IeeeMode: 1
; LDSByteSize: 0 bytes/workgroup (compile time only)
; SGPRBlocks: 0
; VGPRBlocks: 0
; NumSGPRsForWavesPerEU: 1
; NumVGPRsForWavesPerEU: 1
; Occupancy: 16
; WaveLimiterHint : 0
; COMPUTE_PGM_RSRC2:SCRATCH_EN: 0
; COMPUTE_PGM_RSRC2:USER_SGPR: 15
; COMPUTE_PGM_RSRC2:TRAP_HANDLER: 0
; COMPUTE_PGM_RSRC2:TGID_X_EN: 1
; COMPUTE_PGM_RSRC2:TGID_Y_EN: 0
; COMPUTE_PGM_RSRC2:TGID_Z_EN: 0
; COMPUTE_PGM_RSRC2:TIDIG_COMP_CNT: 0
	.section	.text._ZN7rocprim17ROCPRIM_400000_NS6detail17trampoline_kernelINS0_14default_configENS1_22reduce_config_selectorIiEEZNS1_11reduce_implILb1ES3_PiS7_iN6hipcub16HIPCUB_304000_NS6detail34convert_binary_result_type_wrapperINS9_3SumENS9_22TransformInputIteratorIbN2at6native12_GLOBAL__N_19NonZeroOpIfEEPKflEEiEEEE10hipError_tPvRmT1_T2_T3_mT4_P12ihipStream_tbEUlT_E0_NS1_11comp_targetILNS1_3genE2ELNS1_11target_archE906ELNS1_3gpuE6ELNS1_3repE0EEENS1_30default_config_static_selectorELNS0_4arch9wavefront6targetE0EEEvSQ_,"axG",@progbits,_ZN7rocprim17ROCPRIM_400000_NS6detail17trampoline_kernelINS0_14default_configENS1_22reduce_config_selectorIiEEZNS1_11reduce_implILb1ES3_PiS7_iN6hipcub16HIPCUB_304000_NS6detail34convert_binary_result_type_wrapperINS9_3SumENS9_22TransformInputIteratorIbN2at6native12_GLOBAL__N_19NonZeroOpIfEEPKflEEiEEEE10hipError_tPvRmT1_T2_T3_mT4_P12ihipStream_tbEUlT_E0_NS1_11comp_targetILNS1_3genE2ELNS1_11target_archE906ELNS1_3gpuE6ELNS1_3repE0EEENS1_30default_config_static_selectorELNS0_4arch9wavefront6targetE0EEEvSQ_,comdat
	.globl	_ZN7rocprim17ROCPRIM_400000_NS6detail17trampoline_kernelINS0_14default_configENS1_22reduce_config_selectorIiEEZNS1_11reduce_implILb1ES3_PiS7_iN6hipcub16HIPCUB_304000_NS6detail34convert_binary_result_type_wrapperINS9_3SumENS9_22TransformInputIteratorIbN2at6native12_GLOBAL__N_19NonZeroOpIfEEPKflEEiEEEE10hipError_tPvRmT1_T2_T3_mT4_P12ihipStream_tbEUlT_E0_NS1_11comp_targetILNS1_3genE2ELNS1_11target_archE906ELNS1_3gpuE6ELNS1_3repE0EEENS1_30default_config_static_selectorELNS0_4arch9wavefront6targetE0EEEvSQ_ ; -- Begin function _ZN7rocprim17ROCPRIM_400000_NS6detail17trampoline_kernelINS0_14default_configENS1_22reduce_config_selectorIiEEZNS1_11reduce_implILb1ES3_PiS7_iN6hipcub16HIPCUB_304000_NS6detail34convert_binary_result_type_wrapperINS9_3SumENS9_22TransformInputIteratorIbN2at6native12_GLOBAL__N_19NonZeroOpIfEEPKflEEiEEEE10hipError_tPvRmT1_T2_T3_mT4_P12ihipStream_tbEUlT_E0_NS1_11comp_targetILNS1_3genE2ELNS1_11target_archE906ELNS1_3gpuE6ELNS1_3repE0EEENS1_30default_config_static_selectorELNS0_4arch9wavefront6targetE0EEEvSQ_
	.p2align	8
	.type	_ZN7rocprim17ROCPRIM_400000_NS6detail17trampoline_kernelINS0_14default_configENS1_22reduce_config_selectorIiEEZNS1_11reduce_implILb1ES3_PiS7_iN6hipcub16HIPCUB_304000_NS6detail34convert_binary_result_type_wrapperINS9_3SumENS9_22TransformInputIteratorIbN2at6native12_GLOBAL__N_19NonZeroOpIfEEPKflEEiEEEE10hipError_tPvRmT1_T2_T3_mT4_P12ihipStream_tbEUlT_E0_NS1_11comp_targetILNS1_3genE2ELNS1_11target_archE906ELNS1_3gpuE6ELNS1_3repE0EEENS1_30default_config_static_selectorELNS0_4arch9wavefront6targetE0EEEvSQ_,@function
_ZN7rocprim17ROCPRIM_400000_NS6detail17trampoline_kernelINS0_14default_configENS1_22reduce_config_selectorIiEEZNS1_11reduce_implILb1ES3_PiS7_iN6hipcub16HIPCUB_304000_NS6detail34convert_binary_result_type_wrapperINS9_3SumENS9_22TransformInputIteratorIbN2at6native12_GLOBAL__N_19NonZeroOpIfEEPKflEEiEEEE10hipError_tPvRmT1_T2_T3_mT4_P12ihipStream_tbEUlT_E0_NS1_11comp_targetILNS1_3genE2ELNS1_11target_archE906ELNS1_3gpuE6ELNS1_3repE0EEENS1_30default_config_static_selectorELNS0_4arch9wavefront6targetE0EEEvSQ_: ; @_ZN7rocprim17ROCPRIM_400000_NS6detail17trampoline_kernelINS0_14default_configENS1_22reduce_config_selectorIiEEZNS1_11reduce_implILb1ES3_PiS7_iN6hipcub16HIPCUB_304000_NS6detail34convert_binary_result_type_wrapperINS9_3SumENS9_22TransformInputIteratorIbN2at6native12_GLOBAL__N_19NonZeroOpIfEEPKflEEiEEEE10hipError_tPvRmT1_T2_T3_mT4_P12ihipStream_tbEUlT_E0_NS1_11comp_targetILNS1_3genE2ELNS1_11target_archE906ELNS1_3gpuE6ELNS1_3repE0EEENS1_30default_config_static_selectorELNS0_4arch9wavefront6targetE0EEEvSQ_
; %bb.0:
	.section	.rodata,"a",@progbits
	.p2align	6, 0x0
	.amdhsa_kernel _ZN7rocprim17ROCPRIM_400000_NS6detail17trampoline_kernelINS0_14default_configENS1_22reduce_config_selectorIiEEZNS1_11reduce_implILb1ES3_PiS7_iN6hipcub16HIPCUB_304000_NS6detail34convert_binary_result_type_wrapperINS9_3SumENS9_22TransformInputIteratorIbN2at6native12_GLOBAL__N_19NonZeroOpIfEEPKflEEiEEEE10hipError_tPvRmT1_T2_T3_mT4_P12ihipStream_tbEUlT_E0_NS1_11comp_targetILNS1_3genE2ELNS1_11target_archE906ELNS1_3gpuE6ELNS1_3repE0EEENS1_30default_config_static_selectorELNS0_4arch9wavefront6targetE0EEEvSQ_
		.amdhsa_group_segment_fixed_size 0
		.amdhsa_private_segment_fixed_size 0
		.amdhsa_kernarg_size 56
		.amdhsa_user_sgpr_count 15
		.amdhsa_user_sgpr_dispatch_ptr 0
		.amdhsa_user_sgpr_queue_ptr 0
		.amdhsa_user_sgpr_kernarg_segment_ptr 1
		.amdhsa_user_sgpr_dispatch_id 0
		.amdhsa_user_sgpr_private_segment_size 0
		.amdhsa_wavefront_size32 1
		.amdhsa_uses_dynamic_stack 0
		.amdhsa_enable_private_segment 0
		.amdhsa_system_sgpr_workgroup_id_x 1
		.amdhsa_system_sgpr_workgroup_id_y 0
		.amdhsa_system_sgpr_workgroup_id_z 0
		.amdhsa_system_sgpr_workgroup_info 0
		.amdhsa_system_vgpr_workitem_id 0
		.amdhsa_next_free_vgpr 1
		.amdhsa_next_free_sgpr 1
		.amdhsa_reserve_vcc 0
		.amdhsa_float_round_mode_32 0
		.amdhsa_float_round_mode_16_64 0
		.amdhsa_float_denorm_mode_32 3
		.amdhsa_float_denorm_mode_16_64 3
		.amdhsa_dx10_clamp 1
		.amdhsa_ieee_mode 1
		.amdhsa_fp16_overflow 0
		.amdhsa_workgroup_processor_mode 1
		.amdhsa_memory_ordered 1
		.amdhsa_forward_progress 0
		.amdhsa_shared_vgpr_count 0
		.amdhsa_exception_fp_ieee_invalid_op 0
		.amdhsa_exception_fp_denorm_src 0
		.amdhsa_exception_fp_ieee_div_zero 0
		.amdhsa_exception_fp_ieee_overflow 0
		.amdhsa_exception_fp_ieee_underflow 0
		.amdhsa_exception_fp_ieee_inexact 0
		.amdhsa_exception_int_div_zero 0
	.end_amdhsa_kernel
	.section	.text._ZN7rocprim17ROCPRIM_400000_NS6detail17trampoline_kernelINS0_14default_configENS1_22reduce_config_selectorIiEEZNS1_11reduce_implILb1ES3_PiS7_iN6hipcub16HIPCUB_304000_NS6detail34convert_binary_result_type_wrapperINS9_3SumENS9_22TransformInputIteratorIbN2at6native12_GLOBAL__N_19NonZeroOpIfEEPKflEEiEEEE10hipError_tPvRmT1_T2_T3_mT4_P12ihipStream_tbEUlT_E0_NS1_11comp_targetILNS1_3genE2ELNS1_11target_archE906ELNS1_3gpuE6ELNS1_3repE0EEENS1_30default_config_static_selectorELNS0_4arch9wavefront6targetE0EEEvSQ_,"axG",@progbits,_ZN7rocprim17ROCPRIM_400000_NS6detail17trampoline_kernelINS0_14default_configENS1_22reduce_config_selectorIiEEZNS1_11reduce_implILb1ES3_PiS7_iN6hipcub16HIPCUB_304000_NS6detail34convert_binary_result_type_wrapperINS9_3SumENS9_22TransformInputIteratorIbN2at6native12_GLOBAL__N_19NonZeroOpIfEEPKflEEiEEEE10hipError_tPvRmT1_T2_T3_mT4_P12ihipStream_tbEUlT_E0_NS1_11comp_targetILNS1_3genE2ELNS1_11target_archE906ELNS1_3gpuE6ELNS1_3repE0EEENS1_30default_config_static_selectorELNS0_4arch9wavefront6targetE0EEEvSQ_,comdat
.Lfunc_end426:
	.size	_ZN7rocprim17ROCPRIM_400000_NS6detail17trampoline_kernelINS0_14default_configENS1_22reduce_config_selectorIiEEZNS1_11reduce_implILb1ES3_PiS7_iN6hipcub16HIPCUB_304000_NS6detail34convert_binary_result_type_wrapperINS9_3SumENS9_22TransformInputIteratorIbN2at6native12_GLOBAL__N_19NonZeroOpIfEEPKflEEiEEEE10hipError_tPvRmT1_T2_T3_mT4_P12ihipStream_tbEUlT_E0_NS1_11comp_targetILNS1_3genE2ELNS1_11target_archE906ELNS1_3gpuE6ELNS1_3repE0EEENS1_30default_config_static_selectorELNS0_4arch9wavefront6targetE0EEEvSQ_, .Lfunc_end426-_ZN7rocprim17ROCPRIM_400000_NS6detail17trampoline_kernelINS0_14default_configENS1_22reduce_config_selectorIiEEZNS1_11reduce_implILb1ES3_PiS7_iN6hipcub16HIPCUB_304000_NS6detail34convert_binary_result_type_wrapperINS9_3SumENS9_22TransformInputIteratorIbN2at6native12_GLOBAL__N_19NonZeroOpIfEEPKflEEiEEEE10hipError_tPvRmT1_T2_T3_mT4_P12ihipStream_tbEUlT_E0_NS1_11comp_targetILNS1_3genE2ELNS1_11target_archE906ELNS1_3gpuE6ELNS1_3repE0EEENS1_30default_config_static_selectorELNS0_4arch9wavefront6targetE0EEEvSQ_
                                        ; -- End function
	.section	.AMDGPU.csdata,"",@progbits
; Kernel info:
; codeLenInByte = 0
; NumSgprs: 0
; NumVgprs: 0
; ScratchSize: 0
; MemoryBound: 0
; FloatMode: 240
; IeeeMode: 1
; LDSByteSize: 0 bytes/workgroup (compile time only)
; SGPRBlocks: 0
; VGPRBlocks: 0
; NumSGPRsForWavesPerEU: 1
; NumVGPRsForWavesPerEU: 1
; Occupancy: 16
; WaveLimiterHint : 0
; COMPUTE_PGM_RSRC2:SCRATCH_EN: 0
; COMPUTE_PGM_RSRC2:USER_SGPR: 15
; COMPUTE_PGM_RSRC2:TRAP_HANDLER: 0
; COMPUTE_PGM_RSRC2:TGID_X_EN: 1
; COMPUTE_PGM_RSRC2:TGID_Y_EN: 0
; COMPUTE_PGM_RSRC2:TGID_Z_EN: 0
; COMPUTE_PGM_RSRC2:TIDIG_COMP_CNT: 0
	.section	.text._ZN7rocprim17ROCPRIM_400000_NS6detail17trampoline_kernelINS0_14default_configENS1_22reduce_config_selectorIiEEZNS1_11reduce_implILb1ES3_PiS7_iN6hipcub16HIPCUB_304000_NS6detail34convert_binary_result_type_wrapperINS9_3SumENS9_22TransformInputIteratorIbN2at6native12_GLOBAL__N_19NonZeroOpIfEEPKflEEiEEEE10hipError_tPvRmT1_T2_T3_mT4_P12ihipStream_tbEUlT_E0_NS1_11comp_targetILNS1_3genE10ELNS1_11target_archE1201ELNS1_3gpuE5ELNS1_3repE0EEENS1_30default_config_static_selectorELNS0_4arch9wavefront6targetE0EEEvSQ_,"axG",@progbits,_ZN7rocprim17ROCPRIM_400000_NS6detail17trampoline_kernelINS0_14default_configENS1_22reduce_config_selectorIiEEZNS1_11reduce_implILb1ES3_PiS7_iN6hipcub16HIPCUB_304000_NS6detail34convert_binary_result_type_wrapperINS9_3SumENS9_22TransformInputIteratorIbN2at6native12_GLOBAL__N_19NonZeroOpIfEEPKflEEiEEEE10hipError_tPvRmT1_T2_T3_mT4_P12ihipStream_tbEUlT_E0_NS1_11comp_targetILNS1_3genE10ELNS1_11target_archE1201ELNS1_3gpuE5ELNS1_3repE0EEENS1_30default_config_static_selectorELNS0_4arch9wavefront6targetE0EEEvSQ_,comdat
	.globl	_ZN7rocprim17ROCPRIM_400000_NS6detail17trampoline_kernelINS0_14default_configENS1_22reduce_config_selectorIiEEZNS1_11reduce_implILb1ES3_PiS7_iN6hipcub16HIPCUB_304000_NS6detail34convert_binary_result_type_wrapperINS9_3SumENS9_22TransformInputIteratorIbN2at6native12_GLOBAL__N_19NonZeroOpIfEEPKflEEiEEEE10hipError_tPvRmT1_T2_T3_mT4_P12ihipStream_tbEUlT_E0_NS1_11comp_targetILNS1_3genE10ELNS1_11target_archE1201ELNS1_3gpuE5ELNS1_3repE0EEENS1_30default_config_static_selectorELNS0_4arch9wavefront6targetE0EEEvSQ_ ; -- Begin function _ZN7rocprim17ROCPRIM_400000_NS6detail17trampoline_kernelINS0_14default_configENS1_22reduce_config_selectorIiEEZNS1_11reduce_implILb1ES3_PiS7_iN6hipcub16HIPCUB_304000_NS6detail34convert_binary_result_type_wrapperINS9_3SumENS9_22TransformInputIteratorIbN2at6native12_GLOBAL__N_19NonZeroOpIfEEPKflEEiEEEE10hipError_tPvRmT1_T2_T3_mT4_P12ihipStream_tbEUlT_E0_NS1_11comp_targetILNS1_3genE10ELNS1_11target_archE1201ELNS1_3gpuE5ELNS1_3repE0EEENS1_30default_config_static_selectorELNS0_4arch9wavefront6targetE0EEEvSQ_
	.p2align	8
	.type	_ZN7rocprim17ROCPRIM_400000_NS6detail17trampoline_kernelINS0_14default_configENS1_22reduce_config_selectorIiEEZNS1_11reduce_implILb1ES3_PiS7_iN6hipcub16HIPCUB_304000_NS6detail34convert_binary_result_type_wrapperINS9_3SumENS9_22TransformInputIteratorIbN2at6native12_GLOBAL__N_19NonZeroOpIfEEPKflEEiEEEE10hipError_tPvRmT1_T2_T3_mT4_P12ihipStream_tbEUlT_E0_NS1_11comp_targetILNS1_3genE10ELNS1_11target_archE1201ELNS1_3gpuE5ELNS1_3repE0EEENS1_30default_config_static_selectorELNS0_4arch9wavefront6targetE0EEEvSQ_,@function
_ZN7rocprim17ROCPRIM_400000_NS6detail17trampoline_kernelINS0_14default_configENS1_22reduce_config_selectorIiEEZNS1_11reduce_implILb1ES3_PiS7_iN6hipcub16HIPCUB_304000_NS6detail34convert_binary_result_type_wrapperINS9_3SumENS9_22TransformInputIteratorIbN2at6native12_GLOBAL__N_19NonZeroOpIfEEPKflEEiEEEE10hipError_tPvRmT1_T2_T3_mT4_P12ihipStream_tbEUlT_E0_NS1_11comp_targetILNS1_3genE10ELNS1_11target_archE1201ELNS1_3gpuE5ELNS1_3repE0EEENS1_30default_config_static_selectorELNS0_4arch9wavefront6targetE0EEEvSQ_: ; @_ZN7rocprim17ROCPRIM_400000_NS6detail17trampoline_kernelINS0_14default_configENS1_22reduce_config_selectorIiEEZNS1_11reduce_implILb1ES3_PiS7_iN6hipcub16HIPCUB_304000_NS6detail34convert_binary_result_type_wrapperINS9_3SumENS9_22TransformInputIteratorIbN2at6native12_GLOBAL__N_19NonZeroOpIfEEPKflEEiEEEE10hipError_tPvRmT1_T2_T3_mT4_P12ihipStream_tbEUlT_E0_NS1_11comp_targetILNS1_3genE10ELNS1_11target_archE1201ELNS1_3gpuE5ELNS1_3repE0EEENS1_30default_config_static_selectorELNS0_4arch9wavefront6targetE0EEEvSQ_
; %bb.0:
	.section	.rodata,"a",@progbits
	.p2align	6, 0x0
	.amdhsa_kernel _ZN7rocprim17ROCPRIM_400000_NS6detail17trampoline_kernelINS0_14default_configENS1_22reduce_config_selectorIiEEZNS1_11reduce_implILb1ES3_PiS7_iN6hipcub16HIPCUB_304000_NS6detail34convert_binary_result_type_wrapperINS9_3SumENS9_22TransformInputIteratorIbN2at6native12_GLOBAL__N_19NonZeroOpIfEEPKflEEiEEEE10hipError_tPvRmT1_T2_T3_mT4_P12ihipStream_tbEUlT_E0_NS1_11comp_targetILNS1_3genE10ELNS1_11target_archE1201ELNS1_3gpuE5ELNS1_3repE0EEENS1_30default_config_static_selectorELNS0_4arch9wavefront6targetE0EEEvSQ_
		.amdhsa_group_segment_fixed_size 0
		.amdhsa_private_segment_fixed_size 0
		.amdhsa_kernarg_size 56
		.amdhsa_user_sgpr_count 15
		.amdhsa_user_sgpr_dispatch_ptr 0
		.amdhsa_user_sgpr_queue_ptr 0
		.amdhsa_user_sgpr_kernarg_segment_ptr 1
		.amdhsa_user_sgpr_dispatch_id 0
		.amdhsa_user_sgpr_private_segment_size 0
		.amdhsa_wavefront_size32 1
		.amdhsa_uses_dynamic_stack 0
		.amdhsa_enable_private_segment 0
		.amdhsa_system_sgpr_workgroup_id_x 1
		.amdhsa_system_sgpr_workgroup_id_y 0
		.amdhsa_system_sgpr_workgroup_id_z 0
		.amdhsa_system_sgpr_workgroup_info 0
		.amdhsa_system_vgpr_workitem_id 0
		.amdhsa_next_free_vgpr 1
		.amdhsa_next_free_sgpr 1
		.amdhsa_reserve_vcc 0
		.amdhsa_float_round_mode_32 0
		.amdhsa_float_round_mode_16_64 0
		.amdhsa_float_denorm_mode_32 3
		.amdhsa_float_denorm_mode_16_64 3
		.amdhsa_dx10_clamp 1
		.amdhsa_ieee_mode 1
		.amdhsa_fp16_overflow 0
		.amdhsa_workgroup_processor_mode 1
		.amdhsa_memory_ordered 1
		.amdhsa_forward_progress 0
		.amdhsa_shared_vgpr_count 0
		.amdhsa_exception_fp_ieee_invalid_op 0
		.amdhsa_exception_fp_denorm_src 0
		.amdhsa_exception_fp_ieee_div_zero 0
		.amdhsa_exception_fp_ieee_overflow 0
		.amdhsa_exception_fp_ieee_underflow 0
		.amdhsa_exception_fp_ieee_inexact 0
		.amdhsa_exception_int_div_zero 0
	.end_amdhsa_kernel
	.section	.text._ZN7rocprim17ROCPRIM_400000_NS6detail17trampoline_kernelINS0_14default_configENS1_22reduce_config_selectorIiEEZNS1_11reduce_implILb1ES3_PiS7_iN6hipcub16HIPCUB_304000_NS6detail34convert_binary_result_type_wrapperINS9_3SumENS9_22TransformInputIteratorIbN2at6native12_GLOBAL__N_19NonZeroOpIfEEPKflEEiEEEE10hipError_tPvRmT1_T2_T3_mT4_P12ihipStream_tbEUlT_E0_NS1_11comp_targetILNS1_3genE10ELNS1_11target_archE1201ELNS1_3gpuE5ELNS1_3repE0EEENS1_30default_config_static_selectorELNS0_4arch9wavefront6targetE0EEEvSQ_,"axG",@progbits,_ZN7rocprim17ROCPRIM_400000_NS6detail17trampoline_kernelINS0_14default_configENS1_22reduce_config_selectorIiEEZNS1_11reduce_implILb1ES3_PiS7_iN6hipcub16HIPCUB_304000_NS6detail34convert_binary_result_type_wrapperINS9_3SumENS9_22TransformInputIteratorIbN2at6native12_GLOBAL__N_19NonZeroOpIfEEPKflEEiEEEE10hipError_tPvRmT1_T2_T3_mT4_P12ihipStream_tbEUlT_E0_NS1_11comp_targetILNS1_3genE10ELNS1_11target_archE1201ELNS1_3gpuE5ELNS1_3repE0EEENS1_30default_config_static_selectorELNS0_4arch9wavefront6targetE0EEEvSQ_,comdat
.Lfunc_end427:
	.size	_ZN7rocprim17ROCPRIM_400000_NS6detail17trampoline_kernelINS0_14default_configENS1_22reduce_config_selectorIiEEZNS1_11reduce_implILb1ES3_PiS7_iN6hipcub16HIPCUB_304000_NS6detail34convert_binary_result_type_wrapperINS9_3SumENS9_22TransformInputIteratorIbN2at6native12_GLOBAL__N_19NonZeroOpIfEEPKflEEiEEEE10hipError_tPvRmT1_T2_T3_mT4_P12ihipStream_tbEUlT_E0_NS1_11comp_targetILNS1_3genE10ELNS1_11target_archE1201ELNS1_3gpuE5ELNS1_3repE0EEENS1_30default_config_static_selectorELNS0_4arch9wavefront6targetE0EEEvSQ_, .Lfunc_end427-_ZN7rocprim17ROCPRIM_400000_NS6detail17trampoline_kernelINS0_14default_configENS1_22reduce_config_selectorIiEEZNS1_11reduce_implILb1ES3_PiS7_iN6hipcub16HIPCUB_304000_NS6detail34convert_binary_result_type_wrapperINS9_3SumENS9_22TransformInputIteratorIbN2at6native12_GLOBAL__N_19NonZeroOpIfEEPKflEEiEEEE10hipError_tPvRmT1_T2_T3_mT4_P12ihipStream_tbEUlT_E0_NS1_11comp_targetILNS1_3genE10ELNS1_11target_archE1201ELNS1_3gpuE5ELNS1_3repE0EEENS1_30default_config_static_selectorELNS0_4arch9wavefront6targetE0EEEvSQ_
                                        ; -- End function
	.section	.AMDGPU.csdata,"",@progbits
; Kernel info:
; codeLenInByte = 0
; NumSgprs: 0
; NumVgprs: 0
; ScratchSize: 0
; MemoryBound: 0
; FloatMode: 240
; IeeeMode: 1
; LDSByteSize: 0 bytes/workgroup (compile time only)
; SGPRBlocks: 0
; VGPRBlocks: 0
; NumSGPRsForWavesPerEU: 1
; NumVGPRsForWavesPerEU: 1
; Occupancy: 16
; WaveLimiterHint : 0
; COMPUTE_PGM_RSRC2:SCRATCH_EN: 0
; COMPUTE_PGM_RSRC2:USER_SGPR: 15
; COMPUTE_PGM_RSRC2:TRAP_HANDLER: 0
; COMPUTE_PGM_RSRC2:TGID_X_EN: 1
; COMPUTE_PGM_RSRC2:TGID_Y_EN: 0
; COMPUTE_PGM_RSRC2:TGID_Z_EN: 0
; COMPUTE_PGM_RSRC2:TIDIG_COMP_CNT: 0
	.section	.text._ZN7rocprim17ROCPRIM_400000_NS6detail17trampoline_kernelINS0_14default_configENS1_22reduce_config_selectorIiEEZNS1_11reduce_implILb1ES3_PiS7_iN6hipcub16HIPCUB_304000_NS6detail34convert_binary_result_type_wrapperINS9_3SumENS9_22TransformInputIteratorIbN2at6native12_GLOBAL__N_19NonZeroOpIfEEPKflEEiEEEE10hipError_tPvRmT1_T2_T3_mT4_P12ihipStream_tbEUlT_E0_NS1_11comp_targetILNS1_3genE10ELNS1_11target_archE1200ELNS1_3gpuE4ELNS1_3repE0EEENS1_30default_config_static_selectorELNS0_4arch9wavefront6targetE0EEEvSQ_,"axG",@progbits,_ZN7rocprim17ROCPRIM_400000_NS6detail17trampoline_kernelINS0_14default_configENS1_22reduce_config_selectorIiEEZNS1_11reduce_implILb1ES3_PiS7_iN6hipcub16HIPCUB_304000_NS6detail34convert_binary_result_type_wrapperINS9_3SumENS9_22TransformInputIteratorIbN2at6native12_GLOBAL__N_19NonZeroOpIfEEPKflEEiEEEE10hipError_tPvRmT1_T2_T3_mT4_P12ihipStream_tbEUlT_E0_NS1_11comp_targetILNS1_3genE10ELNS1_11target_archE1200ELNS1_3gpuE4ELNS1_3repE0EEENS1_30default_config_static_selectorELNS0_4arch9wavefront6targetE0EEEvSQ_,comdat
	.globl	_ZN7rocprim17ROCPRIM_400000_NS6detail17trampoline_kernelINS0_14default_configENS1_22reduce_config_selectorIiEEZNS1_11reduce_implILb1ES3_PiS7_iN6hipcub16HIPCUB_304000_NS6detail34convert_binary_result_type_wrapperINS9_3SumENS9_22TransformInputIteratorIbN2at6native12_GLOBAL__N_19NonZeroOpIfEEPKflEEiEEEE10hipError_tPvRmT1_T2_T3_mT4_P12ihipStream_tbEUlT_E0_NS1_11comp_targetILNS1_3genE10ELNS1_11target_archE1200ELNS1_3gpuE4ELNS1_3repE0EEENS1_30default_config_static_selectorELNS0_4arch9wavefront6targetE0EEEvSQ_ ; -- Begin function _ZN7rocprim17ROCPRIM_400000_NS6detail17trampoline_kernelINS0_14default_configENS1_22reduce_config_selectorIiEEZNS1_11reduce_implILb1ES3_PiS7_iN6hipcub16HIPCUB_304000_NS6detail34convert_binary_result_type_wrapperINS9_3SumENS9_22TransformInputIteratorIbN2at6native12_GLOBAL__N_19NonZeroOpIfEEPKflEEiEEEE10hipError_tPvRmT1_T2_T3_mT4_P12ihipStream_tbEUlT_E0_NS1_11comp_targetILNS1_3genE10ELNS1_11target_archE1200ELNS1_3gpuE4ELNS1_3repE0EEENS1_30default_config_static_selectorELNS0_4arch9wavefront6targetE0EEEvSQ_
	.p2align	8
	.type	_ZN7rocprim17ROCPRIM_400000_NS6detail17trampoline_kernelINS0_14default_configENS1_22reduce_config_selectorIiEEZNS1_11reduce_implILb1ES3_PiS7_iN6hipcub16HIPCUB_304000_NS6detail34convert_binary_result_type_wrapperINS9_3SumENS9_22TransformInputIteratorIbN2at6native12_GLOBAL__N_19NonZeroOpIfEEPKflEEiEEEE10hipError_tPvRmT1_T2_T3_mT4_P12ihipStream_tbEUlT_E0_NS1_11comp_targetILNS1_3genE10ELNS1_11target_archE1200ELNS1_3gpuE4ELNS1_3repE0EEENS1_30default_config_static_selectorELNS0_4arch9wavefront6targetE0EEEvSQ_,@function
_ZN7rocprim17ROCPRIM_400000_NS6detail17trampoline_kernelINS0_14default_configENS1_22reduce_config_selectorIiEEZNS1_11reduce_implILb1ES3_PiS7_iN6hipcub16HIPCUB_304000_NS6detail34convert_binary_result_type_wrapperINS9_3SumENS9_22TransformInputIteratorIbN2at6native12_GLOBAL__N_19NonZeroOpIfEEPKflEEiEEEE10hipError_tPvRmT1_T2_T3_mT4_P12ihipStream_tbEUlT_E0_NS1_11comp_targetILNS1_3genE10ELNS1_11target_archE1200ELNS1_3gpuE4ELNS1_3repE0EEENS1_30default_config_static_selectorELNS0_4arch9wavefront6targetE0EEEvSQ_: ; @_ZN7rocprim17ROCPRIM_400000_NS6detail17trampoline_kernelINS0_14default_configENS1_22reduce_config_selectorIiEEZNS1_11reduce_implILb1ES3_PiS7_iN6hipcub16HIPCUB_304000_NS6detail34convert_binary_result_type_wrapperINS9_3SumENS9_22TransformInputIteratorIbN2at6native12_GLOBAL__N_19NonZeroOpIfEEPKflEEiEEEE10hipError_tPvRmT1_T2_T3_mT4_P12ihipStream_tbEUlT_E0_NS1_11comp_targetILNS1_3genE10ELNS1_11target_archE1200ELNS1_3gpuE4ELNS1_3repE0EEENS1_30default_config_static_selectorELNS0_4arch9wavefront6targetE0EEEvSQ_
; %bb.0:
	.section	.rodata,"a",@progbits
	.p2align	6, 0x0
	.amdhsa_kernel _ZN7rocprim17ROCPRIM_400000_NS6detail17trampoline_kernelINS0_14default_configENS1_22reduce_config_selectorIiEEZNS1_11reduce_implILb1ES3_PiS7_iN6hipcub16HIPCUB_304000_NS6detail34convert_binary_result_type_wrapperINS9_3SumENS9_22TransformInputIteratorIbN2at6native12_GLOBAL__N_19NonZeroOpIfEEPKflEEiEEEE10hipError_tPvRmT1_T2_T3_mT4_P12ihipStream_tbEUlT_E0_NS1_11comp_targetILNS1_3genE10ELNS1_11target_archE1200ELNS1_3gpuE4ELNS1_3repE0EEENS1_30default_config_static_selectorELNS0_4arch9wavefront6targetE0EEEvSQ_
		.amdhsa_group_segment_fixed_size 0
		.amdhsa_private_segment_fixed_size 0
		.amdhsa_kernarg_size 56
		.amdhsa_user_sgpr_count 15
		.amdhsa_user_sgpr_dispatch_ptr 0
		.amdhsa_user_sgpr_queue_ptr 0
		.amdhsa_user_sgpr_kernarg_segment_ptr 1
		.amdhsa_user_sgpr_dispatch_id 0
		.amdhsa_user_sgpr_private_segment_size 0
		.amdhsa_wavefront_size32 1
		.amdhsa_uses_dynamic_stack 0
		.amdhsa_enable_private_segment 0
		.amdhsa_system_sgpr_workgroup_id_x 1
		.amdhsa_system_sgpr_workgroup_id_y 0
		.amdhsa_system_sgpr_workgroup_id_z 0
		.amdhsa_system_sgpr_workgroup_info 0
		.amdhsa_system_vgpr_workitem_id 0
		.amdhsa_next_free_vgpr 1
		.amdhsa_next_free_sgpr 1
		.amdhsa_reserve_vcc 0
		.amdhsa_float_round_mode_32 0
		.amdhsa_float_round_mode_16_64 0
		.amdhsa_float_denorm_mode_32 3
		.amdhsa_float_denorm_mode_16_64 3
		.amdhsa_dx10_clamp 1
		.amdhsa_ieee_mode 1
		.amdhsa_fp16_overflow 0
		.amdhsa_workgroup_processor_mode 1
		.amdhsa_memory_ordered 1
		.amdhsa_forward_progress 0
		.amdhsa_shared_vgpr_count 0
		.amdhsa_exception_fp_ieee_invalid_op 0
		.amdhsa_exception_fp_denorm_src 0
		.amdhsa_exception_fp_ieee_div_zero 0
		.amdhsa_exception_fp_ieee_overflow 0
		.amdhsa_exception_fp_ieee_underflow 0
		.amdhsa_exception_fp_ieee_inexact 0
		.amdhsa_exception_int_div_zero 0
	.end_amdhsa_kernel
	.section	.text._ZN7rocprim17ROCPRIM_400000_NS6detail17trampoline_kernelINS0_14default_configENS1_22reduce_config_selectorIiEEZNS1_11reduce_implILb1ES3_PiS7_iN6hipcub16HIPCUB_304000_NS6detail34convert_binary_result_type_wrapperINS9_3SumENS9_22TransformInputIteratorIbN2at6native12_GLOBAL__N_19NonZeroOpIfEEPKflEEiEEEE10hipError_tPvRmT1_T2_T3_mT4_P12ihipStream_tbEUlT_E0_NS1_11comp_targetILNS1_3genE10ELNS1_11target_archE1200ELNS1_3gpuE4ELNS1_3repE0EEENS1_30default_config_static_selectorELNS0_4arch9wavefront6targetE0EEEvSQ_,"axG",@progbits,_ZN7rocprim17ROCPRIM_400000_NS6detail17trampoline_kernelINS0_14default_configENS1_22reduce_config_selectorIiEEZNS1_11reduce_implILb1ES3_PiS7_iN6hipcub16HIPCUB_304000_NS6detail34convert_binary_result_type_wrapperINS9_3SumENS9_22TransformInputIteratorIbN2at6native12_GLOBAL__N_19NonZeroOpIfEEPKflEEiEEEE10hipError_tPvRmT1_T2_T3_mT4_P12ihipStream_tbEUlT_E0_NS1_11comp_targetILNS1_3genE10ELNS1_11target_archE1200ELNS1_3gpuE4ELNS1_3repE0EEENS1_30default_config_static_selectorELNS0_4arch9wavefront6targetE0EEEvSQ_,comdat
.Lfunc_end428:
	.size	_ZN7rocprim17ROCPRIM_400000_NS6detail17trampoline_kernelINS0_14default_configENS1_22reduce_config_selectorIiEEZNS1_11reduce_implILb1ES3_PiS7_iN6hipcub16HIPCUB_304000_NS6detail34convert_binary_result_type_wrapperINS9_3SumENS9_22TransformInputIteratorIbN2at6native12_GLOBAL__N_19NonZeroOpIfEEPKflEEiEEEE10hipError_tPvRmT1_T2_T3_mT4_P12ihipStream_tbEUlT_E0_NS1_11comp_targetILNS1_3genE10ELNS1_11target_archE1200ELNS1_3gpuE4ELNS1_3repE0EEENS1_30default_config_static_selectorELNS0_4arch9wavefront6targetE0EEEvSQ_, .Lfunc_end428-_ZN7rocprim17ROCPRIM_400000_NS6detail17trampoline_kernelINS0_14default_configENS1_22reduce_config_selectorIiEEZNS1_11reduce_implILb1ES3_PiS7_iN6hipcub16HIPCUB_304000_NS6detail34convert_binary_result_type_wrapperINS9_3SumENS9_22TransformInputIteratorIbN2at6native12_GLOBAL__N_19NonZeroOpIfEEPKflEEiEEEE10hipError_tPvRmT1_T2_T3_mT4_P12ihipStream_tbEUlT_E0_NS1_11comp_targetILNS1_3genE10ELNS1_11target_archE1200ELNS1_3gpuE4ELNS1_3repE0EEENS1_30default_config_static_selectorELNS0_4arch9wavefront6targetE0EEEvSQ_
                                        ; -- End function
	.section	.AMDGPU.csdata,"",@progbits
; Kernel info:
; codeLenInByte = 0
; NumSgprs: 0
; NumVgprs: 0
; ScratchSize: 0
; MemoryBound: 0
; FloatMode: 240
; IeeeMode: 1
; LDSByteSize: 0 bytes/workgroup (compile time only)
; SGPRBlocks: 0
; VGPRBlocks: 0
; NumSGPRsForWavesPerEU: 1
; NumVGPRsForWavesPerEU: 1
; Occupancy: 16
; WaveLimiterHint : 0
; COMPUTE_PGM_RSRC2:SCRATCH_EN: 0
; COMPUTE_PGM_RSRC2:USER_SGPR: 15
; COMPUTE_PGM_RSRC2:TRAP_HANDLER: 0
; COMPUTE_PGM_RSRC2:TGID_X_EN: 1
; COMPUTE_PGM_RSRC2:TGID_Y_EN: 0
; COMPUTE_PGM_RSRC2:TGID_Z_EN: 0
; COMPUTE_PGM_RSRC2:TIDIG_COMP_CNT: 0
	.section	.text._ZN7rocprim17ROCPRIM_400000_NS6detail17trampoline_kernelINS0_14default_configENS1_22reduce_config_selectorIiEEZNS1_11reduce_implILb1ES3_PiS7_iN6hipcub16HIPCUB_304000_NS6detail34convert_binary_result_type_wrapperINS9_3SumENS9_22TransformInputIteratorIbN2at6native12_GLOBAL__N_19NonZeroOpIfEEPKflEEiEEEE10hipError_tPvRmT1_T2_T3_mT4_P12ihipStream_tbEUlT_E0_NS1_11comp_targetILNS1_3genE9ELNS1_11target_archE1100ELNS1_3gpuE3ELNS1_3repE0EEENS1_30default_config_static_selectorELNS0_4arch9wavefront6targetE0EEEvSQ_,"axG",@progbits,_ZN7rocprim17ROCPRIM_400000_NS6detail17trampoline_kernelINS0_14default_configENS1_22reduce_config_selectorIiEEZNS1_11reduce_implILb1ES3_PiS7_iN6hipcub16HIPCUB_304000_NS6detail34convert_binary_result_type_wrapperINS9_3SumENS9_22TransformInputIteratorIbN2at6native12_GLOBAL__N_19NonZeroOpIfEEPKflEEiEEEE10hipError_tPvRmT1_T2_T3_mT4_P12ihipStream_tbEUlT_E0_NS1_11comp_targetILNS1_3genE9ELNS1_11target_archE1100ELNS1_3gpuE3ELNS1_3repE0EEENS1_30default_config_static_selectorELNS0_4arch9wavefront6targetE0EEEvSQ_,comdat
	.globl	_ZN7rocprim17ROCPRIM_400000_NS6detail17trampoline_kernelINS0_14default_configENS1_22reduce_config_selectorIiEEZNS1_11reduce_implILb1ES3_PiS7_iN6hipcub16HIPCUB_304000_NS6detail34convert_binary_result_type_wrapperINS9_3SumENS9_22TransformInputIteratorIbN2at6native12_GLOBAL__N_19NonZeroOpIfEEPKflEEiEEEE10hipError_tPvRmT1_T2_T3_mT4_P12ihipStream_tbEUlT_E0_NS1_11comp_targetILNS1_3genE9ELNS1_11target_archE1100ELNS1_3gpuE3ELNS1_3repE0EEENS1_30default_config_static_selectorELNS0_4arch9wavefront6targetE0EEEvSQ_ ; -- Begin function _ZN7rocprim17ROCPRIM_400000_NS6detail17trampoline_kernelINS0_14default_configENS1_22reduce_config_selectorIiEEZNS1_11reduce_implILb1ES3_PiS7_iN6hipcub16HIPCUB_304000_NS6detail34convert_binary_result_type_wrapperINS9_3SumENS9_22TransformInputIteratorIbN2at6native12_GLOBAL__N_19NonZeroOpIfEEPKflEEiEEEE10hipError_tPvRmT1_T2_T3_mT4_P12ihipStream_tbEUlT_E0_NS1_11comp_targetILNS1_3genE9ELNS1_11target_archE1100ELNS1_3gpuE3ELNS1_3repE0EEENS1_30default_config_static_selectorELNS0_4arch9wavefront6targetE0EEEvSQ_
	.p2align	8
	.type	_ZN7rocprim17ROCPRIM_400000_NS6detail17trampoline_kernelINS0_14default_configENS1_22reduce_config_selectorIiEEZNS1_11reduce_implILb1ES3_PiS7_iN6hipcub16HIPCUB_304000_NS6detail34convert_binary_result_type_wrapperINS9_3SumENS9_22TransformInputIteratorIbN2at6native12_GLOBAL__N_19NonZeroOpIfEEPKflEEiEEEE10hipError_tPvRmT1_T2_T3_mT4_P12ihipStream_tbEUlT_E0_NS1_11comp_targetILNS1_3genE9ELNS1_11target_archE1100ELNS1_3gpuE3ELNS1_3repE0EEENS1_30default_config_static_selectorELNS0_4arch9wavefront6targetE0EEEvSQ_,@function
_ZN7rocprim17ROCPRIM_400000_NS6detail17trampoline_kernelINS0_14default_configENS1_22reduce_config_selectorIiEEZNS1_11reduce_implILb1ES3_PiS7_iN6hipcub16HIPCUB_304000_NS6detail34convert_binary_result_type_wrapperINS9_3SumENS9_22TransformInputIteratorIbN2at6native12_GLOBAL__N_19NonZeroOpIfEEPKflEEiEEEE10hipError_tPvRmT1_T2_T3_mT4_P12ihipStream_tbEUlT_E0_NS1_11comp_targetILNS1_3genE9ELNS1_11target_archE1100ELNS1_3gpuE3ELNS1_3repE0EEENS1_30default_config_static_selectorELNS0_4arch9wavefront6targetE0EEEvSQ_: ; @_ZN7rocprim17ROCPRIM_400000_NS6detail17trampoline_kernelINS0_14default_configENS1_22reduce_config_selectorIiEEZNS1_11reduce_implILb1ES3_PiS7_iN6hipcub16HIPCUB_304000_NS6detail34convert_binary_result_type_wrapperINS9_3SumENS9_22TransformInputIteratorIbN2at6native12_GLOBAL__N_19NonZeroOpIfEEPKflEEiEEEE10hipError_tPvRmT1_T2_T3_mT4_P12ihipStream_tbEUlT_E0_NS1_11comp_targetILNS1_3genE9ELNS1_11target_archE1100ELNS1_3gpuE3ELNS1_3repE0EEENS1_30default_config_static_selectorELNS0_4arch9wavefront6targetE0EEEvSQ_
; %bb.0:
	s_mov_b32 s16, s15
	s_clause 0x1
	s_load_b256 s[4:11], s[0:1], 0x0
	s_load_b128 s[12:15], s[0:1], 0x20
	s_mov_b32 s3, 0
	v_lshlrev_b32_e32 v10, 2, v0
	v_mbcnt_lo_u32_b32 v9, -1, 0
	s_mov_b32 s17, s3
	s_waitcnt lgkmcnt(0)
	s_lshl_b64 s[6:7], s[6:7], 2
	s_delay_alu instid0(SALU_CYCLE_1) | instskip(SKIP_4) | instid1(SALU_CYCLE_1)
	s_add_u32 s18, s4, s6
	s_addc_u32 s19, s5, s7
	s_lshl_b32 s2, s16, 11
	s_lshr_b64 s[6:7], s[8:9], 11
	s_lshl_b64 s[4:5], s[2:3], 2
	s_add_u32 s18, s18, s4
	s_addc_u32 s19, s19, s5
	s_cmp_lg_u64 s[6:7], s[16:17]
	s_cbranch_scc0 .LBB429_6
; %bb.1:
	v_add_co_u32 v1, s3, s18, v10
	s_clause 0x1
	global_load_b32 v3, v10, s[18:19]
	global_load_b32 v4, v10, s[18:19] offset:1024
	v_add_co_ci_u32_e64 v2, null, s19, 0, s3
	v_add_co_u32 v1, vcc_lo, 0x1000, v1
	s_mov_b32 s3, exec_lo
	s_delay_alu instid0(VALU_DEP_2)
	v_add_co_ci_u32_e32 v2, vcc_lo, 0, v2, vcc_lo
	s_clause 0x5
	global_load_b32 v5, v10, s[18:19] offset:2048
	global_load_b32 v6, v10, s[18:19] offset:3072
	global_load_b32 v7, v[1:2], off
	global_load_b32 v8, v[1:2], off offset:1024
	global_load_b32 v11, v[1:2], off offset:2048
	;; [unrolled: 1-line block ×3, first 2 shown]
	s_waitcnt vmcnt(6)
	v_dual_mov_b32 v3, 0 :: v_dual_add_nc_u32 v2, v4, v3
	s_waitcnt vmcnt(4)
	s_delay_alu instid0(VALU_DEP_1) | instskip(SKIP_1) | instid1(VALU_DEP_1)
	v_add3_u32 v2, v2, v5, v6
	s_waitcnt vmcnt(2)
	v_add3_u32 v2, v2, v7, v8
	s_waitcnt vmcnt(0)
	s_delay_alu instid0(VALU_DEP_1) | instskip(NEXT) | instid1(VALU_DEP_1)
	v_add3_u32 v1, v2, v11, v1
	v_mov_b32_dpp v2, v1 quad_perm:[1,0,3,2] row_mask:0xf bank_mask:0xf
	s_delay_alu instid0(VALU_DEP_1) | instskip(NEXT) | instid1(VALU_DEP_1)
	v_add_nc_u32_e32 v1, v2, v1
	v_mov_b32_dpp v2, v1 quad_perm:[2,3,0,1] row_mask:0xf bank_mask:0xf
	s_delay_alu instid0(VALU_DEP_1) | instskip(NEXT) | instid1(VALU_DEP_1)
	v_add_nc_u32_e32 v1, v1, v2
	v_mov_b32_dpp v2, v1 row_ror:4 row_mask:0xf bank_mask:0xf
	s_delay_alu instid0(VALU_DEP_1) | instskip(NEXT) | instid1(VALU_DEP_1)
	v_add_nc_u32_e32 v1, v1, v2
	v_mov_b32_dpp v2, v1 row_ror:8 row_mask:0xf bank_mask:0xf
	s_delay_alu instid0(VALU_DEP_1)
	v_add_nc_u32_e32 v1, v1, v2
	ds_swizzle_b32 v2, v1 offset:swizzle(BROADCAST,32,15)
	s_waitcnt lgkmcnt(0)
	v_add_nc_u32_e32 v1, v1, v2
	ds_bpermute_b32 v1, v3, v1 offset:124
	v_cmpx_eq_u32_e32 0, v9
	s_cbranch_execz .LBB429_3
; %bb.2:
	v_lshrrev_b32_e32 v2, 3, v0
	s_delay_alu instid0(VALU_DEP_1)
	v_and_b32_e32 v2, 28, v2
	s_waitcnt lgkmcnt(0)
	ds_store_b32 v2, v1
.LBB429_3:
	s_or_b32 exec_lo, exec_lo, s3
	s_delay_alu instid0(SALU_CYCLE_1)
	s_mov_b32 s3, exec_lo
	s_waitcnt lgkmcnt(0)
	s_barrier
	buffer_gl0_inv
	v_cmpx_gt_u32_e32 32, v0
	s_cbranch_execz .LBB429_5
; %bb.4:
	v_and_b32_e32 v1, 7, v9
	s_delay_alu instid0(VALU_DEP_1) | instskip(SKIP_4) | instid1(VALU_DEP_2)
	v_lshlrev_b32_e32 v2, 2, v1
	v_cmp_ne_u32_e32 vcc_lo, 7, v1
	ds_load_b32 v2, v2
	v_add_co_ci_u32_e32 v3, vcc_lo, 0, v9, vcc_lo
	v_cmp_gt_u32_e32 vcc_lo, 6, v1
	v_lshlrev_b32_e32 v3, 2, v3
	v_cndmask_b32_e64 v4, 0, 1, vcc_lo
	v_cmp_gt_u32_e32 vcc_lo, 4, v1
	s_delay_alu instid0(VALU_DEP_2) | instskip(SKIP_1) | instid1(VALU_DEP_2)
	v_lshlrev_b32_e32 v4, 1, v4
	v_cndmask_b32_e64 v1, 0, 1, vcc_lo
	v_add_lshl_u32 v4, v4, v9, 2
	s_delay_alu instid0(VALU_DEP_2)
	v_lshlrev_b32_e32 v1, 2, v1
	s_waitcnt lgkmcnt(0)
	ds_bpermute_b32 v3, v3, v2
	v_add_lshl_u32 v1, v1, v9, 2
	s_waitcnt lgkmcnt(0)
	v_add_nc_u32_e32 v2, v3, v2
	ds_bpermute_b32 v3, v4, v2
	s_waitcnt lgkmcnt(0)
	v_add_nc_u32_e32 v2, v3, v2
	ds_bpermute_b32 v1, v1, v2
	s_waitcnt lgkmcnt(0)
	v_add_nc_u32_e32 v1, v1, v2
.LBB429_5:
	s_or_b32 exec_lo, exec_lo, s3
	s_branch .LBB429_28
.LBB429_6:
                                        ; implicit-def: $vgpr1
	s_cbranch_execz .LBB429_28
; %bb.7:
	s_sub_i32 s20, s8, s2
	s_mov_b32 s2, exec_lo
                                        ; implicit-def: $vgpr1_vgpr2_vgpr3_vgpr4_vgpr5_vgpr6_vgpr7_vgpr8
	v_cmpx_gt_u32_e64 s20, v0
	s_cbranch_execz .LBB429_9
; %bb.8:
	global_load_b32 v1, v10, s[18:19]
.LBB429_9:
	s_or_b32 exec_lo, exec_lo, s2
	v_or_b32_e32 v11, 0x100, v0
	s_delay_alu instid0(VALU_DEP_1)
	v_cmp_gt_u32_e32 vcc_lo, s20, v11
	s_and_saveexec_b32 s2, vcc_lo
	s_cbranch_execz .LBB429_11
; %bb.10:
	global_load_b32 v2, v10, s[18:19] offset:1024
.LBB429_11:
	s_or_b32 exec_lo, exec_lo, s2
	v_or_b32_e32 v11, 0x200, v0
	s_delay_alu instid0(VALU_DEP_1) | instskip(NEXT) | instid1(VALU_DEP_1)
	v_cmp_gt_u32_e64 s2, s20, v11
	s_and_saveexec_b32 s3, s2
	s_cbranch_execz .LBB429_13
; %bb.12:
	global_load_b32 v3, v10, s[18:19] offset:2048
.LBB429_13:
	s_or_b32 exec_lo, exec_lo, s3
	v_or_b32_e32 v11, 0x300, v0
	s_delay_alu instid0(VALU_DEP_1) | instskip(NEXT) | instid1(VALU_DEP_1)
	v_cmp_gt_u32_e64 s3, s20, v11
	s_and_saveexec_b32 s4, s3
	;; [unrolled: 9-line block ×3, first 2 shown]
	s_cbranch_execz .LBB429_17
; %bb.16:
	v_lshlrev_b32_e32 v5, 2, v10
	global_load_b32 v5, v5, s[18:19]
.LBB429_17:
	s_or_b32 exec_lo, exec_lo, s5
	v_or_b32_e32 v10, 0x500, v0
	s_delay_alu instid0(VALU_DEP_1) | instskip(NEXT) | instid1(VALU_DEP_1)
	v_cmp_gt_u32_e64 s5, s20, v10
	s_and_saveexec_b32 s6, s5
	s_cbranch_execz .LBB429_19
; %bb.18:
	v_lshlrev_b32_e32 v6, 2, v10
	global_load_b32 v6, v6, s[18:19]
.LBB429_19:
	s_or_b32 exec_lo, exec_lo, s6
	v_or_b32_e32 v10, 0x600, v0
	s_delay_alu instid0(VALU_DEP_1) | instskip(NEXT) | instid1(VALU_DEP_1)
	v_cmp_gt_u32_e64 s6, s20, v10
	s_and_saveexec_b32 s7, s6
	;; [unrolled: 10-line block ×3, first 2 shown]
	s_cbranch_execz .LBB429_23
; %bb.22:
	v_lshlrev_b32_e32 v8, 2, v10
	global_load_b32 v8, v8, s[18:19]
.LBB429_23:
	s_or_b32 exec_lo, exec_lo, s21
	s_waitcnt vmcnt(0)
	v_cndmask_b32_e32 v2, 0, v2, vcc_lo
	v_cndmask_b32_e64 v3, 0, v3, s2
	v_cndmask_b32_e64 v4, 0, v4, s3
	v_cmp_ne_u32_e32 vcc_lo, 31, v9
	s_min_u32 s2, s20, 0x100
	v_add_nc_u32_e32 v1, v2, v1
	v_cndmask_b32_e64 v2, 0, v5, s4
	v_cndmask_b32_e64 v5, 0, v6, s5
	;; [unrolled: 1-line block ×3, first 2 shown]
	s_mov_b32 s3, exec_lo
	v_add3_u32 v1, v1, v3, v4
	v_cndmask_b32_e64 v3, 0, v8, s7
	v_add_co_ci_u32_e32 v4, vcc_lo, 0, v9, vcc_lo
	v_cmp_gt_u32_e32 vcc_lo, 30, v9
	s_delay_alu instid0(VALU_DEP_4) | instskip(NEXT) | instid1(VALU_DEP_3)
	v_add3_u32 v1, v1, v2, v5
	v_lshlrev_b32_e32 v2, 2, v4
	v_add_nc_u32_e32 v4, 1, v9
	v_cndmask_b32_e64 v5, 0, 1, vcc_lo
	s_delay_alu instid0(VALU_DEP_4) | instskip(SKIP_1) | instid1(VALU_DEP_3)
	v_add3_u32 v1, v1, v6, v3
	v_and_b32_e32 v3, 0xe0, v0
	v_lshlrev_b32_e32 v5, 1, v5
	ds_bpermute_b32 v2, v2, v1
	v_sub_nc_u32_e64 v3, s2, v3 clamp
	s_delay_alu instid0(VALU_DEP_1) | instskip(SKIP_4) | instid1(VALU_DEP_2)
	v_cmp_lt_u32_e32 vcc_lo, v4, v3
	v_add_lshl_u32 v4, v5, v9, 2
	s_waitcnt lgkmcnt(0)
	v_dual_cndmask_b32 v2, 0, v2 :: v_dual_add_nc_u32 v5, 2, v9
	v_cmp_gt_u32_e32 vcc_lo, 28, v9
	v_add_nc_u32_e32 v1, v1, v2
	ds_bpermute_b32 v2, v4, v1
	v_cndmask_b32_e64 v4, 0, 1, vcc_lo
	v_cmp_lt_u32_e32 vcc_lo, v5, v3
	v_add_nc_u32_e32 v5, 4, v9
	s_delay_alu instid0(VALU_DEP_3) | instskip(NEXT) | instid1(VALU_DEP_1)
	v_lshlrev_b32_e32 v4, 2, v4
	v_add_lshl_u32 v4, v4, v9, 2
	s_waitcnt lgkmcnt(0)
	v_cndmask_b32_e32 v2, 0, v2, vcc_lo
	v_cmp_gt_u32_e32 vcc_lo, 24, v9
	s_delay_alu instid0(VALU_DEP_2) | instskip(SKIP_4) | instid1(VALU_DEP_3)
	v_add_nc_u32_e32 v1, v1, v2
	ds_bpermute_b32 v2, v4, v1
	v_cndmask_b32_e64 v4, 0, 1, vcc_lo
	v_cmp_lt_u32_e32 vcc_lo, v5, v3
	v_add_nc_u32_e32 v5, 8, v9
	v_lshlrev_b32_e32 v4, 3, v4
	s_delay_alu instid0(VALU_DEP_1) | instskip(SKIP_3) | instid1(VALU_DEP_2)
	v_add_lshl_u32 v4, v4, v9, 2
	s_waitcnt lgkmcnt(0)
	v_cndmask_b32_e32 v2, 0, v2, vcc_lo
	v_cmp_gt_u32_e32 vcc_lo, 16, v9
	v_add_nc_u32_e32 v1, v1, v2
	ds_bpermute_b32 v2, v4, v1
	v_cndmask_b32_e64 v4, 0, 1, vcc_lo
	v_cmp_lt_u32_e32 vcc_lo, v5, v3
	s_delay_alu instid0(VALU_DEP_2) | instskip(NEXT) | instid1(VALU_DEP_1)
	v_lshlrev_b32_e32 v4, 4, v4
	v_add_lshl_u32 v4, v4, v9, 2
	s_waitcnt lgkmcnt(0)
	v_cndmask_b32_e32 v2, 0, v2, vcc_lo
	s_delay_alu instid0(VALU_DEP_1) | instskip(SKIP_2) | instid1(VALU_DEP_1)
	v_add_nc_u32_e32 v1, v1, v2
	ds_bpermute_b32 v2, v4, v1
	v_add_nc_u32_e32 v4, 16, v9
	v_cmp_lt_u32_e32 vcc_lo, v4, v3
	s_waitcnt lgkmcnt(0)
	v_cndmask_b32_e32 v2, 0, v2, vcc_lo
	s_delay_alu instid0(VALU_DEP_1)
	v_add_nc_u32_e32 v1, v1, v2
	v_cmpx_eq_u32_e32 0, v9
	s_cbranch_execz .LBB429_25
; %bb.24:
	v_lshrrev_b32_e32 v2, 3, v0
	s_delay_alu instid0(VALU_DEP_1)
	v_and_b32_e32 v2, 28, v2
	ds_store_b32 v2, v1 offset:32
.LBB429_25:
	s_or_b32 exec_lo, exec_lo, s3
	s_delay_alu instid0(SALU_CYCLE_1)
	s_mov_b32 s3, exec_lo
	s_waitcnt lgkmcnt(0)
	s_barrier
	buffer_gl0_inv
	v_cmpx_gt_u32_e32 8, v0
	s_cbranch_execz .LBB429_27
; %bb.26:
	v_lshlrev_b32_e32 v1, 2, v9
	v_and_b32_e32 v2, 7, v9
	s_add_i32 s2, s2, 31
	s_delay_alu instid0(SALU_CYCLE_1)
	s_lshr_b32 s2, s2, 5
	ds_load_b32 v1, v1 offset:32
	v_cmp_ne_u32_e32 vcc_lo, 7, v2
	v_add_nc_u32_e32 v5, 1, v2
	v_add_co_ci_u32_e32 v3, vcc_lo, 0, v9, vcc_lo
	v_cmp_gt_u32_e32 vcc_lo, 6, v2
	s_delay_alu instid0(VALU_DEP_2) | instskip(SKIP_2) | instid1(VALU_DEP_2)
	v_lshlrev_b32_e32 v3, 2, v3
	v_cndmask_b32_e64 v4, 0, 1, vcc_lo
	v_cmp_gt_u32_e32 vcc_lo, s2, v5
	v_lshlrev_b32_e32 v4, 1, v4
	s_waitcnt lgkmcnt(0)
	ds_bpermute_b32 v3, v3, v1
	v_add_lshl_u32 v4, v4, v9, 2
	s_waitcnt lgkmcnt(0)
	v_cndmask_b32_e32 v3, 0, v3, vcc_lo
	v_cmp_gt_u32_e32 vcc_lo, 4, v2
	s_delay_alu instid0(VALU_DEP_2) | instskip(SKIP_4) | instid1(VALU_DEP_2)
	v_add_nc_u32_e32 v1, v3, v1
	v_cndmask_b32_e64 v5, 0, 1, vcc_lo
	ds_bpermute_b32 v3, v4, v1
	v_add_nc_u32_e32 v4, 2, v2
	v_add_nc_u32_e32 v2, 4, v2
	v_cmp_gt_u32_e32 vcc_lo, s2, v4
	s_waitcnt lgkmcnt(0)
	v_dual_cndmask_b32 v3, 0, v3 :: v_dual_lshlrev_b32 v4, 2, v5
	s_delay_alu instid0(VALU_DEP_3) | instskip(NEXT) | instid1(VALU_DEP_2)
	v_cmp_gt_u32_e32 vcc_lo, s2, v2
	v_add_nc_u32_e32 v1, v1, v3
	s_delay_alu instid0(VALU_DEP_3) | instskip(SKIP_3) | instid1(VALU_DEP_1)
	v_add_lshl_u32 v3, v4, v9, 2
	ds_bpermute_b32 v3, v3, v1
	s_waitcnt lgkmcnt(0)
	v_cndmask_b32_e32 v2, 0, v3, vcc_lo
	v_add_nc_u32_e32 v1, v1, v2
.LBB429_27:
	s_or_b32 exec_lo, exec_lo, s3
.LBB429_28:
	s_load_b32 s0, s[0:1], 0x30
	s_mov_b32 s1, exec_lo
	v_cmpx_eq_u32_e32 0, v0
	s_cbranch_execz .LBB429_30
; %bb.29:
	s_mul_i32 s1, s14, s13
	s_mul_hi_u32 s2, s14, s12
	s_mul_i32 s3, s15, s12
	s_add_i32 s1, s2, s1
	s_mul_i32 s2, s14, s12
	s_add_i32 s3, s1, s3
	s_delay_alu instid0(SALU_CYCLE_1) | instskip(NEXT) | instid1(SALU_CYCLE_1)
	s_lshl_b64 s[2:3], s[2:3], 2
	s_add_u32 s2, s10, s2
	s_addc_u32 s3, s11, s3
	s_cmp_eq_u64 s[8:9], 0
	s_cselect_b32 s1, -1, 0
	s_waitcnt lgkmcnt(0)
	v_cndmask_b32_e64 v0, v1, s0, s1
	s_lshl_b64 s[0:1], s[16:17], 2
	v_mov_b32_e32 v1, 0
	s_add_u32 s0, s2, s0
	s_addc_u32 s1, s3, s1
	global_store_b32 v1, v0, s[0:1]
.LBB429_30:
	s_nop 0
	s_sendmsg sendmsg(MSG_DEALLOC_VGPRS)
	s_endpgm
	.section	.rodata,"a",@progbits
	.p2align	6, 0x0
	.amdhsa_kernel _ZN7rocprim17ROCPRIM_400000_NS6detail17trampoline_kernelINS0_14default_configENS1_22reduce_config_selectorIiEEZNS1_11reduce_implILb1ES3_PiS7_iN6hipcub16HIPCUB_304000_NS6detail34convert_binary_result_type_wrapperINS9_3SumENS9_22TransformInputIteratorIbN2at6native12_GLOBAL__N_19NonZeroOpIfEEPKflEEiEEEE10hipError_tPvRmT1_T2_T3_mT4_P12ihipStream_tbEUlT_E0_NS1_11comp_targetILNS1_3genE9ELNS1_11target_archE1100ELNS1_3gpuE3ELNS1_3repE0EEENS1_30default_config_static_selectorELNS0_4arch9wavefront6targetE0EEEvSQ_
		.amdhsa_group_segment_fixed_size 64
		.amdhsa_private_segment_fixed_size 0
		.amdhsa_kernarg_size 56
		.amdhsa_user_sgpr_count 15
		.amdhsa_user_sgpr_dispatch_ptr 0
		.amdhsa_user_sgpr_queue_ptr 0
		.amdhsa_user_sgpr_kernarg_segment_ptr 1
		.amdhsa_user_sgpr_dispatch_id 0
		.amdhsa_user_sgpr_private_segment_size 0
		.amdhsa_wavefront_size32 1
		.amdhsa_uses_dynamic_stack 0
		.amdhsa_enable_private_segment 0
		.amdhsa_system_sgpr_workgroup_id_x 1
		.amdhsa_system_sgpr_workgroup_id_y 0
		.amdhsa_system_sgpr_workgroup_id_z 0
		.amdhsa_system_sgpr_workgroup_info 0
		.amdhsa_system_vgpr_workitem_id 0
		.amdhsa_next_free_vgpr 12
		.amdhsa_next_free_sgpr 22
		.amdhsa_reserve_vcc 1
		.amdhsa_float_round_mode_32 0
		.amdhsa_float_round_mode_16_64 0
		.amdhsa_float_denorm_mode_32 3
		.amdhsa_float_denorm_mode_16_64 3
		.amdhsa_dx10_clamp 1
		.amdhsa_ieee_mode 1
		.amdhsa_fp16_overflow 0
		.amdhsa_workgroup_processor_mode 1
		.amdhsa_memory_ordered 1
		.amdhsa_forward_progress 0
		.amdhsa_shared_vgpr_count 0
		.amdhsa_exception_fp_ieee_invalid_op 0
		.amdhsa_exception_fp_denorm_src 0
		.amdhsa_exception_fp_ieee_div_zero 0
		.amdhsa_exception_fp_ieee_overflow 0
		.amdhsa_exception_fp_ieee_underflow 0
		.amdhsa_exception_fp_ieee_inexact 0
		.amdhsa_exception_int_div_zero 0
	.end_amdhsa_kernel
	.section	.text._ZN7rocprim17ROCPRIM_400000_NS6detail17trampoline_kernelINS0_14default_configENS1_22reduce_config_selectorIiEEZNS1_11reduce_implILb1ES3_PiS7_iN6hipcub16HIPCUB_304000_NS6detail34convert_binary_result_type_wrapperINS9_3SumENS9_22TransformInputIteratorIbN2at6native12_GLOBAL__N_19NonZeroOpIfEEPKflEEiEEEE10hipError_tPvRmT1_T2_T3_mT4_P12ihipStream_tbEUlT_E0_NS1_11comp_targetILNS1_3genE9ELNS1_11target_archE1100ELNS1_3gpuE3ELNS1_3repE0EEENS1_30default_config_static_selectorELNS0_4arch9wavefront6targetE0EEEvSQ_,"axG",@progbits,_ZN7rocprim17ROCPRIM_400000_NS6detail17trampoline_kernelINS0_14default_configENS1_22reduce_config_selectorIiEEZNS1_11reduce_implILb1ES3_PiS7_iN6hipcub16HIPCUB_304000_NS6detail34convert_binary_result_type_wrapperINS9_3SumENS9_22TransformInputIteratorIbN2at6native12_GLOBAL__N_19NonZeroOpIfEEPKflEEiEEEE10hipError_tPvRmT1_T2_T3_mT4_P12ihipStream_tbEUlT_E0_NS1_11comp_targetILNS1_3genE9ELNS1_11target_archE1100ELNS1_3gpuE3ELNS1_3repE0EEENS1_30default_config_static_selectorELNS0_4arch9wavefront6targetE0EEEvSQ_,comdat
.Lfunc_end429:
	.size	_ZN7rocprim17ROCPRIM_400000_NS6detail17trampoline_kernelINS0_14default_configENS1_22reduce_config_selectorIiEEZNS1_11reduce_implILb1ES3_PiS7_iN6hipcub16HIPCUB_304000_NS6detail34convert_binary_result_type_wrapperINS9_3SumENS9_22TransformInputIteratorIbN2at6native12_GLOBAL__N_19NonZeroOpIfEEPKflEEiEEEE10hipError_tPvRmT1_T2_T3_mT4_P12ihipStream_tbEUlT_E0_NS1_11comp_targetILNS1_3genE9ELNS1_11target_archE1100ELNS1_3gpuE3ELNS1_3repE0EEENS1_30default_config_static_selectorELNS0_4arch9wavefront6targetE0EEEvSQ_, .Lfunc_end429-_ZN7rocprim17ROCPRIM_400000_NS6detail17trampoline_kernelINS0_14default_configENS1_22reduce_config_selectorIiEEZNS1_11reduce_implILb1ES3_PiS7_iN6hipcub16HIPCUB_304000_NS6detail34convert_binary_result_type_wrapperINS9_3SumENS9_22TransformInputIteratorIbN2at6native12_GLOBAL__N_19NonZeroOpIfEEPKflEEiEEEE10hipError_tPvRmT1_T2_T3_mT4_P12ihipStream_tbEUlT_E0_NS1_11comp_targetILNS1_3genE9ELNS1_11target_archE1100ELNS1_3gpuE3ELNS1_3repE0EEENS1_30default_config_static_selectorELNS0_4arch9wavefront6targetE0EEEvSQ_
                                        ; -- End function
	.section	.AMDGPU.csdata,"",@progbits
; Kernel info:
; codeLenInByte = 1664
; NumSgprs: 24
; NumVgprs: 12
; ScratchSize: 0
; MemoryBound: 0
; FloatMode: 240
; IeeeMode: 1
; LDSByteSize: 64 bytes/workgroup (compile time only)
; SGPRBlocks: 2
; VGPRBlocks: 1
; NumSGPRsForWavesPerEU: 24
; NumVGPRsForWavesPerEU: 12
; Occupancy: 16
; WaveLimiterHint : 1
; COMPUTE_PGM_RSRC2:SCRATCH_EN: 0
; COMPUTE_PGM_RSRC2:USER_SGPR: 15
; COMPUTE_PGM_RSRC2:TRAP_HANDLER: 0
; COMPUTE_PGM_RSRC2:TGID_X_EN: 1
; COMPUTE_PGM_RSRC2:TGID_Y_EN: 0
; COMPUTE_PGM_RSRC2:TGID_Z_EN: 0
; COMPUTE_PGM_RSRC2:TIDIG_COMP_CNT: 0
	.section	.text._ZN7rocprim17ROCPRIM_400000_NS6detail17trampoline_kernelINS0_14default_configENS1_22reduce_config_selectorIiEEZNS1_11reduce_implILb1ES3_PiS7_iN6hipcub16HIPCUB_304000_NS6detail34convert_binary_result_type_wrapperINS9_3SumENS9_22TransformInputIteratorIbN2at6native12_GLOBAL__N_19NonZeroOpIfEEPKflEEiEEEE10hipError_tPvRmT1_T2_T3_mT4_P12ihipStream_tbEUlT_E0_NS1_11comp_targetILNS1_3genE8ELNS1_11target_archE1030ELNS1_3gpuE2ELNS1_3repE0EEENS1_30default_config_static_selectorELNS0_4arch9wavefront6targetE0EEEvSQ_,"axG",@progbits,_ZN7rocprim17ROCPRIM_400000_NS6detail17trampoline_kernelINS0_14default_configENS1_22reduce_config_selectorIiEEZNS1_11reduce_implILb1ES3_PiS7_iN6hipcub16HIPCUB_304000_NS6detail34convert_binary_result_type_wrapperINS9_3SumENS9_22TransformInputIteratorIbN2at6native12_GLOBAL__N_19NonZeroOpIfEEPKflEEiEEEE10hipError_tPvRmT1_T2_T3_mT4_P12ihipStream_tbEUlT_E0_NS1_11comp_targetILNS1_3genE8ELNS1_11target_archE1030ELNS1_3gpuE2ELNS1_3repE0EEENS1_30default_config_static_selectorELNS0_4arch9wavefront6targetE0EEEvSQ_,comdat
	.globl	_ZN7rocprim17ROCPRIM_400000_NS6detail17trampoline_kernelINS0_14default_configENS1_22reduce_config_selectorIiEEZNS1_11reduce_implILb1ES3_PiS7_iN6hipcub16HIPCUB_304000_NS6detail34convert_binary_result_type_wrapperINS9_3SumENS9_22TransformInputIteratorIbN2at6native12_GLOBAL__N_19NonZeroOpIfEEPKflEEiEEEE10hipError_tPvRmT1_T2_T3_mT4_P12ihipStream_tbEUlT_E0_NS1_11comp_targetILNS1_3genE8ELNS1_11target_archE1030ELNS1_3gpuE2ELNS1_3repE0EEENS1_30default_config_static_selectorELNS0_4arch9wavefront6targetE0EEEvSQ_ ; -- Begin function _ZN7rocprim17ROCPRIM_400000_NS6detail17trampoline_kernelINS0_14default_configENS1_22reduce_config_selectorIiEEZNS1_11reduce_implILb1ES3_PiS7_iN6hipcub16HIPCUB_304000_NS6detail34convert_binary_result_type_wrapperINS9_3SumENS9_22TransformInputIteratorIbN2at6native12_GLOBAL__N_19NonZeroOpIfEEPKflEEiEEEE10hipError_tPvRmT1_T2_T3_mT4_P12ihipStream_tbEUlT_E0_NS1_11comp_targetILNS1_3genE8ELNS1_11target_archE1030ELNS1_3gpuE2ELNS1_3repE0EEENS1_30default_config_static_selectorELNS0_4arch9wavefront6targetE0EEEvSQ_
	.p2align	8
	.type	_ZN7rocprim17ROCPRIM_400000_NS6detail17trampoline_kernelINS0_14default_configENS1_22reduce_config_selectorIiEEZNS1_11reduce_implILb1ES3_PiS7_iN6hipcub16HIPCUB_304000_NS6detail34convert_binary_result_type_wrapperINS9_3SumENS9_22TransformInputIteratorIbN2at6native12_GLOBAL__N_19NonZeroOpIfEEPKflEEiEEEE10hipError_tPvRmT1_T2_T3_mT4_P12ihipStream_tbEUlT_E0_NS1_11comp_targetILNS1_3genE8ELNS1_11target_archE1030ELNS1_3gpuE2ELNS1_3repE0EEENS1_30default_config_static_selectorELNS0_4arch9wavefront6targetE0EEEvSQ_,@function
_ZN7rocprim17ROCPRIM_400000_NS6detail17trampoline_kernelINS0_14default_configENS1_22reduce_config_selectorIiEEZNS1_11reduce_implILb1ES3_PiS7_iN6hipcub16HIPCUB_304000_NS6detail34convert_binary_result_type_wrapperINS9_3SumENS9_22TransformInputIteratorIbN2at6native12_GLOBAL__N_19NonZeroOpIfEEPKflEEiEEEE10hipError_tPvRmT1_T2_T3_mT4_P12ihipStream_tbEUlT_E0_NS1_11comp_targetILNS1_3genE8ELNS1_11target_archE1030ELNS1_3gpuE2ELNS1_3repE0EEENS1_30default_config_static_selectorELNS0_4arch9wavefront6targetE0EEEvSQ_: ; @_ZN7rocprim17ROCPRIM_400000_NS6detail17trampoline_kernelINS0_14default_configENS1_22reduce_config_selectorIiEEZNS1_11reduce_implILb1ES3_PiS7_iN6hipcub16HIPCUB_304000_NS6detail34convert_binary_result_type_wrapperINS9_3SumENS9_22TransformInputIteratorIbN2at6native12_GLOBAL__N_19NonZeroOpIfEEPKflEEiEEEE10hipError_tPvRmT1_T2_T3_mT4_P12ihipStream_tbEUlT_E0_NS1_11comp_targetILNS1_3genE8ELNS1_11target_archE1030ELNS1_3gpuE2ELNS1_3repE0EEENS1_30default_config_static_selectorELNS0_4arch9wavefront6targetE0EEEvSQ_
; %bb.0:
	.section	.rodata,"a",@progbits
	.p2align	6, 0x0
	.amdhsa_kernel _ZN7rocprim17ROCPRIM_400000_NS6detail17trampoline_kernelINS0_14default_configENS1_22reduce_config_selectorIiEEZNS1_11reduce_implILb1ES3_PiS7_iN6hipcub16HIPCUB_304000_NS6detail34convert_binary_result_type_wrapperINS9_3SumENS9_22TransformInputIteratorIbN2at6native12_GLOBAL__N_19NonZeroOpIfEEPKflEEiEEEE10hipError_tPvRmT1_T2_T3_mT4_P12ihipStream_tbEUlT_E0_NS1_11comp_targetILNS1_3genE8ELNS1_11target_archE1030ELNS1_3gpuE2ELNS1_3repE0EEENS1_30default_config_static_selectorELNS0_4arch9wavefront6targetE0EEEvSQ_
		.amdhsa_group_segment_fixed_size 0
		.amdhsa_private_segment_fixed_size 0
		.amdhsa_kernarg_size 56
		.amdhsa_user_sgpr_count 15
		.amdhsa_user_sgpr_dispatch_ptr 0
		.amdhsa_user_sgpr_queue_ptr 0
		.amdhsa_user_sgpr_kernarg_segment_ptr 1
		.amdhsa_user_sgpr_dispatch_id 0
		.amdhsa_user_sgpr_private_segment_size 0
		.amdhsa_wavefront_size32 1
		.amdhsa_uses_dynamic_stack 0
		.amdhsa_enable_private_segment 0
		.amdhsa_system_sgpr_workgroup_id_x 1
		.amdhsa_system_sgpr_workgroup_id_y 0
		.amdhsa_system_sgpr_workgroup_id_z 0
		.amdhsa_system_sgpr_workgroup_info 0
		.amdhsa_system_vgpr_workitem_id 0
		.amdhsa_next_free_vgpr 1
		.amdhsa_next_free_sgpr 1
		.amdhsa_reserve_vcc 0
		.amdhsa_float_round_mode_32 0
		.amdhsa_float_round_mode_16_64 0
		.amdhsa_float_denorm_mode_32 3
		.amdhsa_float_denorm_mode_16_64 3
		.amdhsa_dx10_clamp 1
		.amdhsa_ieee_mode 1
		.amdhsa_fp16_overflow 0
		.amdhsa_workgroup_processor_mode 1
		.amdhsa_memory_ordered 1
		.amdhsa_forward_progress 0
		.amdhsa_shared_vgpr_count 0
		.amdhsa_exception_fp_ieee_invalid_op 0
		.amdhsa_exception_fp_denorm_src 0
		.amdhsa_exception_fp_ieee_div_zero 0
		.amdhsa_exception_fp_ieee_overflow 0
		.amdhsa_exception_fp_ieee_underflow 0
		.amdhsa_exception_fp_ieee_inexact 0
		.amdhsa_exception_int_div_zero 0
	.end_amdhsa_kernel
	.section	.text._ZN7rocprim17ROCPRIM_400000_NS6detail17trampoline_kernelINS0_14default_configENS1_22reduce_config_selectorIiEEZNS1_11reduce_implILb1ES3_PiS7_iN6hipcub16HIPCUB_304000_NS6detail34convert_binary_result_type_wrapperINS9_3SumENS9_22TransformInputIteratorIbN2at6native12_GLOBAL__N_19NonZeroOpIfEEPKflEEiEEEE10hipError_tPvRmT1_T2_T3_mT4_P12ihipStream_tbEUlT_E0_NS1_11comp_targetILNS1_3genE8ELNS1_11target_archE1030ELNS1_3gpuE2ELNS1_3repE0EEENS1_30default_config_static_selectorELNS0_4arch9wavefront6targetE0EEEvSQ_,"axG",@progbits,_ZN7rocprim17ROCPRIM_400000_NS6detail17trampoline_kernelINS0_14default_configENS1_22reduce_config_selectorIiEEZNS1_11reduce_implILb1ES3_PiS7_iN6hipcub16HIPCUB_304000_NS6detail34convert_binary_result_type_wrapperINS9_3SumENS9_22TransformInputIteratorIbN2at6native12_GLOBAL__N_19NonZeroOpIfEEPKflEEiEEEE10hipError_tPvRmT1_T2_T3_mT4_P12ihipStream_tbEUlT_E0_NS1_11comp_targetILNS1_3genE8ELNS1_11target_archE1030ELNS1_3gpuE2ELNS1_3repE0EEENS1_30default_config_static_selectorELNS0_4arch9wavefront6targetE0EEEvSQ_,comdat
.Lfunc_end430:
	.size	_ZN7rocprim17ROCPRIM_400000_NS6detail17trampoline_kernelINS0_14default_configENS1_22reduce_config_selectorIiEEZNS1_11reduce_implILb1ES3_PiS7_iN6hipcub16HIPCUB_304000_NS6detail34convert_binary_result_type_wrapperINS9_3SumENS9_22TransformInputIteratorIbN2at6native12_GLOBAL__N_19NonZeroOpIfEEPKflEEiEEEE10hipError_tPvRmT1_T2_T3_mT4_P12ihipStream_tbEUlT_E0_NS1_11comp_targetILNS1_3genE8ELNS1_11target_archE1030ELNS1_3gpuE2ELNS1_3repE0EEENS1_30default_config_static_selectorELNS0_4arch9wavefront6targetE0EEEvSQ_, .Lfunc_end430-_ZN7rocprim17ROCPRIM_400000_NS6detail17trampoline_kernelINS0_14default_configENS1_22reduce_config_selectorIiEEZNS1_11reduce_implILb1ES3_PiS7_iN6hipcub16HIPCUB_304000_NS6detail34convert_binary_result_type_wrapperINS9_3SumENS9_22TransformInputIteratorIbN2at6native12_GLOBAL__N_19NonZeroOpIfEEPKflEEiEEEE10hipError_tPvRmT1_T2_T3_mT4_P12ihipStream_tbEUlT_E0_NS1_11comp_targetILNS1_3genE8ELNS1_11target_archE1030ELNS1_3gpuE2ELNS1_3repE0EEENS1_30default_config_static_selectorELNS0_4arch9wavefront6targetE0EEEvSQ_
                                        ; -- End function
	.section	.AMDGPU.csdata,"",@progbits
; Kernel info:
; codeLenInByte = 0
; NumSgprs: 0
; NumVgprs: 0
; ScratchSize: 0
; MemoryBound: 0
; FloatMode: 240
; IeeeMode: 1
; LDSByteSize: 0 bytes/workgroup (compile time only)
; SGPRBlocks: 0
; VGPRBlocks: 0
; NumSGPRsForWavesPerEU: 1
; NumVGPRsForWavesPerEU: 1
; Occupancy: 16
; WaveLimiterHint : 0
; COMPUTE_PGM_RSRC2:SCRATCH_EN: 0
; COMPUTE_PGM_RSRC2:USER_SGPR: 15
; COMPUTE_PGM_RSRC2:TRAP_HANDLER: 0
; COMPUTE_PGM_RSRC2:TGID_X_EN: 1
; COMPUTE_PGM_RSRC2:TGID_Y_EN: 0
; COMPUTE_PGM_RSRC2:TGID_Z_EN: 0
; COMPUTE_PGM_RSRC2:TIDIG_COMP_CNT: 0
	.section	.text._ZN7rocprim17ROCPRIM_400000_NS6detail17trampoline_kernelINS0_14default_configENS1_22reduce_config_selectorIiEEZNS1_11reduce_implILb1ES3_PiS7_iN6hipcub16HIPCUB_304000_NS6detail34convert_binary_result_type_wrapperINS9_3SumENS9_22TransformInputIteratorIbN2at6native12_GLOBAL__N_19NonZeroOpIfEEPKflEEiEEEE10hipError_tPvRmT1_T2_T3_mT4_P12ihipStream_tbEUlT_E1_NS1_11comp_targetILNS1_3genE0ELNS1_11target_archE4294967295ELNS1_3gpuE0ELNS1_3repE0EEENS1_30default_config_static_selectorELNS0_4arch9wavefront6targetE0EEEvSQ_,"axG",@progbits,_ZN7rocprim17ROCPRIM_400000_NS6detail17trampoline_kernelINS0_14default_configENS1_22reduce_config_selectorIiEEZNS1_11reduce_implILb1ES3_PiS7_iN6hipcub16HIPCUB_304000_NS6detail34convert_binary_result_type_wrapperINS9_3SumENS9_22TransformInputIteratorIbN2at6native12_GLOBAL__N_19NonZeroOpIfEEPKflEEiEEEE10hipError_tPvRmT1_T2_T3_mT4_P12ihipStream_tbEUlT_E1_NS1_11comp_targetILNS1_3genE0ELNS1_11target_archE4294967295ELNS1_3gpuE0ELNS1_3repE0EEENS1_30default_config_static_selectorELNS0_4arch9wavefront6targetE0EEEvSQ_,comdat
	.globl	_ZN7rocprim17ROCPRIM_400000_NS6detail17trampoline_kernelINS0_14default_configENS1_22reduce_config_selectorIiEEZNS1_11reduce_implILb1ES3_PiS7_iN6hipcub16HIPCUB_304000_NS6detail34convert_binary_result_type_wrapperINS9_3SumENS9_22TransformInputIteratorIbN2at6native12_GLOBAL__N_19NonZeroOpIfEEPKflEEiEEEE10hipError_tPvRmT1_T2_T3_mT4_P12ihipStream_tbEUlT_E1_NS1_11comp_targetILNS1_3genE0ELNS1_11target_archE4294967295ELNS1_3gpuE0ELNS1_3repE0EEENS1_30default_config_static_selectorELNS0_4arch9wavefront6targetE0EEEvSQ_ ; -- Begin function _ZN7rocprim17ROCPRIM_400000_NS6detail17trampoline_kernelINS0_14default_configENS1_22reduce_config_selectorIiEEZNS1_11reduce_implILb1ES3_PiS7_iN6hipcub16HIPCUB_304000_NS6detail34convert_binary_result_type_wrapperINS9_3SumENS9_22TransformInputIteratorIbN2at6native12_GLOBAL__N_19NonZeroOpIfEEPKflEEiEEEE10hipError_tPvRmT1_T2_T3_mT4_P12ihipStream_tbEUlT_E1_NS1_11comp_targetILNS1_3genE0ELNS1_11target_archE4294967295ELNS1_3gpuE0ELNS1_3repE0EEENS1_30default_config_static_selectorELNS0_4arch9wavefront6targetE0EEEvSQ_
	.p2align	8
	.type	_ZN7rocprim17ROCPRIM_400000_NS6detail17trampoline_kernelINS0_14default_configENS1_22reduce_config_selectorIiEEZNS1_11reduce_implILb1ES3_PiS7_iN6hipcub16HIPCUB_304000_NS6detail34convert_binary_result_type_wrapperINS9_3SumENS9_22TransformInputIteratorIbN2at6native12_GLOBAL__N_19NonZeroOpIfEEPKflEEiEEEE10hipError_tPvRmT1_T2_T3_mT4_P12ihipStream_tbEUlT_E1_NS1_11comp_targetILNS1_3genE0ELNS1_11target_archE4294967295ELNS1_3gpuE0ELNS1_3repE0EEENS1_30default_config_static_selectorELNS0_4arch9wavefront6targetE0EEEvSQ_,@function
_ZN7rocprim17ROCPRIM_400000_NS6detail17trampoline_kernelINS0_14default_configENS1_22reduce_config_selectorIiEEZNS1_11reduce_implILb1ES3_PiS7_iN6hipcub16HIPCUB_304000_NS6detail34convert_binary_result_type_wrapperINS9_3SumENS9_22TransformInputIteratorIbN2at6native12_GLOBAL__N_19NonZeroOpIfEEPKflEEiEEEE10hipError_tPvRmT1_T2_T3_mT4_P12ihipStream_tbEUlT_E1_NS1_11comp_targetILNS1_3genE0ELNS1_11target_archE4294967295ELNS1_3gpuE0ELNS1_3repE0EEENS1_30default_config_static_selectorELNS0_4arch9wavefront6targetE0EEEvSQ_: ; @_ZN7rocprim17ROCPRIM_400000_NS6detail17trampoline_kernelINS0_14default_configENS1_22reduce_config_selectorIiEEZNS1_11reduce_implILb1ES3_PiS7_iN6hipcub16HIPCUB_304000_NS6detail34convert_binary_result_type_wrapperINS9_3SumENS9_22TransformInputIteratorIbN2at6native12_GLOBAL__N_19NonZeroOpIfEEPKflEEiEEEE10hipError_tPvRmT1_T2_T3_mT4_P12ihipStream_tbEUlT_E1_NS1_11comp_targetILNS1_3genE0ELNS1_11target_archE4294967295ELNS1_3gpuE0ELNS1_3repE0EEENS1_30default_config_static_selectorELNS0_4arch9wavefront6targetE0EEEvSQ_
; %bb.0:
	.section	.rodata,"a",@progbits
	.p2align	6, 0x0
	.amdhsa_kernel _ZN7rocprim17ROCPRIM_400000_NS6detail17trampoline_kernelINS0_14default_configENS1_22reduce_config_selectorIiEEZNS1_11reduce_implILb1ES3_PiS7_iN6hipcub16HIPCUB_304000_NS6detail34convert_binary_result_type_wrapperINS9_3SumENS9_22TransformInputIteratorIbN2at6native12_GLOBAL__N_19NonZeroOpIfEEPKflEEiEEEE10hipError_tPvRmT1_T2_T3_mT4_P12ihipStream_tbEUlT_E1_NS1_11comp_targetILNS1_3genE0ELNS1_11target_archE4294967295ELNS1_3gpuE0ELNS1_3repE0EEENS1_30default_config_static_selectorELNS0_4arch9wavefront6targetE0EEEvSQ_
		.amdhsa_group_segment_fixed_size 0
		.amdhsa_private_segment_fixed_size 0
		.amdhsa_kernarg_size 40
		.amdhsa_user_sgpr_count 15
		.amdhsa_user_sgpr_dispatch_ptr 0
		.amdhsa_user_sgpr_queue_ptr 0
		.amdhsa_user_sgpr_kernarg_segment_ptr 1
		.amdhsa_user_sgpr_dispatch_id 0
		.amdhsa_user_sgpr_private_segment_size 0
		.amdhsa_wavefront_size32 1
		.amdhsa_uses_dynamic_stack 0
		.amdhsa_enable_private_segment 0
		.amdhsa_system_sgpr_workgroup_id_x 1
		.amdhsa_system_sgpr_workgroup_id_y 0
		.amdhsa_system_sgpr_workgroup_id_z 0
		.amdhsa_system_sgpr_workgroup_info 0
		.amdhsa_system_vgpr_workitem_id 0
		.amdhsa_next_free_vgpr 1
		.amdhsa_next_free_sgpr 1
		.amdhsa_reserve_vcc 0
		.amdhsa_float_round_mode_32 0
		.amdhsa_float_round_mode_16_64 0
		.amdhsa_float_denorm_mode_32 3
		.amdhsa_float_denorm_mode_16_64 3
		.amdhsa_dx10_clamp 1
		.amdhsa_ieee_mode 1
		.amdhsa_fp16_overflow 0
		.amdhsa_workgroup_processor_mode 1
		.amdhsa_memory_ordered 1
		.amdhsa_forward_progress 0
		.amdhsa_shared_vgpr_count 0
		.amdhsa_exception_fp_ieee_invalid_op 0
		.amdhsa_exception_fp_denorm_src 0
		.amdhsa_exception_fp_ieee_div_zero 0
		.amdhsa_exception_fp_ieee_overflow 0
		.amdhsa_exception_fp_ieee_underflow 0
		.amdhsa_exception_fp_ieee_inexact 0
		.amdhsa_exception_int_div_zero 0
	.end_amdhsa_kernel
	.section	.text._ZN7rocprim17ROCPRIM_400000_NS6detail17trampoline_kernelINS0_14default_configENS1_22reduce_config_selectorIiEEZNS1_11reduce_implILb1ES3_PiS7_iN6hipcub16HIPCUB_304000_NS6detail34convert_binary_result_type_wrapperINS9_3SumENS9_22TransformInputIteratorIbN2at6native12_GLOBAL__N_19NonZeroOpIfEEPKflEEiEEEE10hipError_tPvRmT1_T2_T3_mT4_P12ihipStream_tbEUlT_E1_NS1_11comp_targetILNS1_3genE0ELNS1_11target_archE4294967295ELNS1_3gpuE0ELNS1_3repE0EEENS1_30default_config_static_selectorELNS0_4arch9wavefront6targetE0EEEvSQ_,"axG",@progbits,_ZN7rocprim17ROCPRIM_400000_NS6detail17trampoline_kernelINS0_14default_configENS1_22reduce_config_selectorIiEEZNS1_11reduce_implILb1ES3_PiS7_iN6hipcub16HIPCUB_304000_NS6detail34convert_binary_result_type_wrapperINS9_3SumENS9_22TransformInputIteratorIbN2at6native12_GLOBAL__N_19NonZeroOpIfEEPKflEEiEEEE10hipError_tPvRmT1_T2_T3_mT4_P12ihipStream_tbEUlT_E1_NS1_11comp_targetILNS1_3genE0ELNS1_11target_archE4294967295ELNS1_3gpuE0ELNS1_3repE0EEENS1_30default_config_static_selectorELNS0_4arch9wavefront6targetE0EEEvSQ_,comdat
.Lfunc_end431:
	.size	_ZN7rocprim17ROCPRIM_400000_NS6detail17trampoline_kernelINS0_14default_configENS1_22reduce_config_selectorIiEEZNS1_11reduce_implILb1ES3_PiS7_iN6hipcub16HIPCUB_304000_NS6detail34convert_binary_result_type_wrapperINS9_3SumENS9_22TransformInputIteratorIbN2at6native12_GLOBAL__N_19NonZeroOpIfEEPKflEEiEEEE10hipError_tPvRmT1_T2_T3_mT4_P12ihipStream_tbEUlT_E1_NS1_11comp_targetILNS1_3genE0ELNS1_11target_archE4294967295ELNS1_3gpuE0ELNS1_3repE0EEENS1_30default_config_static_selectorELNS0_4arch9wavefront6targetE0EEEvSQ_, .Lfunc_end431-_ZN7rocprim17ROCPRIM_400000_NS6detail17trampoline_kernelINS0_14default_configENS1_22reduce_config_selectorIiEEZNS1_11reduce_implILb1ES3_PiS7_iN6hipcub16HIPCUB_304000_NS6detail34convert_binary_result_type_wrapperINS9_3SumENS9_22TransformInputIteratorIbN2at6native12_GLOBAL__N_19NonZeroOpIfEEPKflEEiEEEE10hipError_tPvRmT1_T2_T3_mT4_P12ihipStream_tbEUlT_E1_NS1_11comp_targetILNS1_3genE0ELNS1_11target_archE4294967295ELNS1_3gpuE0ELNS1_3repE0EEENS1_30default_config_static_selectorELNS0_4arch9wavefront6targetE0EEEvSQ_
                                        ; -- End function
	.section	.AMDGPU.csdata,"",@progbits
; Kernel info:
; codeLenInByte = 0
; NumSgprs: 0
; NumVgprs: 0
; ScratchSize: 0
; MemoryBound: 0
; FloatMode: 240
; IeeeMode: 1
; LDSByteSize: 0 bytes/workgroup (compile time only)
; SGPRBlocks: 0
; VGPRBlocks: 0
; NumSGPRsForWavesPerEU: 1
; NumVGPRsForWavesPerEU: 1
; Occupancy: 16
; WaveLimiterHint : 0
; COMPUTE_PGM_RSRC2:SCRATCH_EN: 0
; COMPUTE_PGM_RSRC2:USER_SGPR: 15
; COMPUTE_PGM_RSRC2:TRAP_HANDLER: 0
; COMPUTE_PGM_RSRC2:TGID_X_EN: 1
; COMPUTE_PGM_RSRC2:TGID_Y_EN: 0
; COMPUTE_PGM_RSRC2:TGID_Z_EN: 0
; COMPUTE_PGM_RSRC2:TIDIG_COMP_CNT: 0
	.section	.text._ZN7rocprim17ROCPRIM_400000_NS6detail17trampoline_kernelINS0_14default_configENS1_22reduce_config_selectorIiEEZNS1_11reduce_implILb1ES3_PiS7_iN6hipcub16HIPCUB_304000_NS6detail34convert_binary_result_type_wrapperINS9_3SumENS9_22TransformInputIteratorIbN2at6native12_GLOBAL__N_19NonZeroOpIfEEPKflEEiEEEE10hipError_tPvRmT1_T2_T3_mT4_P12ihipStream_tbEUlT_E1_NS1_11comp_targetILNS1_3genE5ELNS1_11target_archE942ELNS1_3gpuE9ELNS1_3repE0EEENS1_30default_config_static_selectorELNS0_4arch9wavefront6targetE0EEEvSQ_,"axG",@progbits,_ZN7rocprim17ROCPRIM_400000_NS6detail17trampoline_kernelINS0_14default_configENS1_22reduce_config_selectorIiEEZNS1_11reduce_implILb1ES3_PiS7_iN6hipcub16HIPCUB_304000_NS6detail34convert_binary_result_type_wrapperINS9_3SumENS9_22TransformInputIteratorIbN2at6native12_GLOBAL__N_19NonZeroOpIfEEPKflEEiEEEE10hipError_tPvRmT1_T2_T3_mT4_P12ihipStream_tbEUlT_E1_NS1_11comp_targetILNS1_3genE5ELNS1_11target_archE942ELNS1_3gpuE9ELNS1_3repE0EEENS1_30default_config_static_selectorELNS0_4arch9wavefront6targetE0EEEvSQ_,comdat
	.globl	_ZN7rocprim17ROCPRIM_400000_NS6detail17trampoline_kernelINS0_14default_configENS1_22reduce_config_selectorIiEEZNS1_11reduce_implILb1ES3_PiS7_iN6hipcub16HIPCUB_304000_NS6detail34convert_binary_result_type_wrapperINS9_3SumENS9_22TransformInputIteratorIbN2at6native12_GLOBAL__N_19NonZeroOpIfEEPKflEEiEEEE10hipError_tPvRmT1_T2_T3_mT4_P12ihipStream_tbEUlT_E1_NS1_11comp_targetILNS1_3genE5ELNS1_11target_archE942ELNS1_3gpuE9ELNS1_3repE0EEENS1_30default_config_static_selectorELNS0_4arch9wavefront6targetE0EEEvSQ_ ; -- Begin function _ZN7rocprim17ROCPRIM_400000_NS6detail17trampoline_kernelINS0_14default_configENS1_22reduce_config_selectorIiEEZNS1_11reduce_implILb1ES3_PiS7_iN6hipcub16HIPCUB_304000_NS6detail34convert_binary_result_type_wrapperINS9_3SumENS9_22TransformInputIteratorIbN2at6native12_GLOBAL__N_19NonZeroOpIfEEPKflEEiEEEE10hipError_tPvRmT1_T2_T3_mT4_P12ihipStream_tbEUlT_E1_NS1_11comp_targetILNS1_3genE5ELNS1_11target_archE942ELNS1_3gpuE9ELNS1_3repE0EEENS1_30default_config_static_selectorELNS0_4arch9wavefront6targetE0EEEvSQ_
	.p2align	8
	.type	_ZN7rocprim17ROCPRIM_400000_NS6detail17trampoline_kernelINS0_14default_configENS1_22reduce_config_selectorIiEEZNS1_11reduce_implILb1ES3_PiS7_iN6hipcub16HIPCUB_304000_NS6detail34convert_binary_result_type_wrapperINS9_3SumENS9_22TransformInputIteratorIbN2at6native12_GLOBAL__N_19NonZeroOpIfEEPKflEEiEEEE10hipError_tPvRmT1_T2_T3_mT4_P12ihipStream_tbEUlT_E1_NS1_11comp_targetILNS1_3genE5ELNS1_11target_archE942ELNS1_3gpuE9ELNS1_3repE0EEENS1_30default_config_static_selectorELNS0_4arch9wavefront6targetE0EEEvSQ_,@function
_ZN7rocprim17ROCPRIM_400000_NS6detail17trampoline_kernelINS0_14default_configENS1_22reduce_config_selectorIiEEZNS1_11reduce_implILb1ES3_PiS7_iN6hipcub16HIPCUB_304000_NS6detail34convert_binary_result_type_wrapperINS9_3SumENS9_22TransformInputIteratorIbN2at6native12_GLOBAL__N_19NonZeroOpIfEEPKflEEiEEEE10hipError_tPvRmT1_T2_T3_mT4_P12ihipStream_tbEUlT_E1_NS1_11comp_targetILNS1_3genE5ELNS1_11target_archE942ELNS1_3gpuE9ELNS1_3repE0EEENS1_30default_config_static_selectorELNS0_4arch9wavefront6targetE0EEEvSQ_: ; @_ZN7rocprim17ROCPRIM_400000_NS6detail17trampoline_kernelINS0_14default_configENS1_22reduce_config_selectorIiEEZNS1_11reduce_implILb1ES3_PiS7_iN6hipcub16HIPCUB_304000_NS6detail34convert_binary_result_type_wrapperINS9_3SumENS9_22TransformInputIteratorIbN2at6native12_GLOBAL__N_19NonZeroOpIfEEPKflEEiEEEE10hipError_tPvRmT1_T2_T3_mT4_P12ihipStream_tbEUlT_E1_NS1_11comp_targetILNS1_3genE5ELNS1_11target_archE942ELNS1_3gpuE9ELNS1_3repE0EEENS1_30default_config_static_selectorELNS0_4arch9wavefront6targetE0EEEvSQ_
; %bb.0:
	.section	.rodata,"a",@progbits
	.p2align	6, 0x0
	.amdhsa_kernel _ZN7rocprim17ROCPRIM_400000_NS6detail17trampoline_kernelINS0_14default_configENS1_22reduce_config_selectorIiEEZNS1_11reduce_implILb1ES3_PiS7_iN6hipcub16HIPCUB_304000_NS6detail34convert_binary_result_type_wrapperINS9_3SumENS9_22TransformInputIteratorIbN2at6native12_GLOBAL__N_19NonZeroOpIfEEPKflEEiEEEE10hipError_tPvRmT1_T2_T3_mT4_P12ihipStream_tbEUlT_E1_NS1_11comp_targetILNS1_3genE5ELNS1_11target_archE942ELNS1_3gpuE9ELNS1_3repE0EEENS1_30default_config_static_selectorELNS0_4arch9wavefront6targetE0EEEvSQ_
		.amdhsa_group_segment_fixed_size 0
		.amdhsa_private_segment_fixed_size 0
		.amdhsa_kernarg_size 40
		.amdhsa_user_sgpr_count 15
		.amdhsa_user_sgpr_dispatch_ptr 0
		.amdhsa_user_sgpr_queue_ptr 0
		.amdhsa_user_sgpr_kernarg_segment_ptr 1
		.amdhsa_user_sgpr_dispatch_id 0
		.amdhsa_user_sgpr_private_segment_size 0
		.amdhsa_wavefront_size32 1
		.amdhsa_uses_dynamic_stack 0
		.amdhsa_enable_private_segment 0
		.amdhsa_system_sgpr_workgroup_id_x 1
		.amdhsa_system_sgpr_workgroup_id_y 0
		.amdhsa_system_sgpr_workgroup_id_z 0
		.amdhsa_system_sgpr_workgroup_info 0
		.amdhsa_system_vgpr_workitem_id 0
		.amdhsa_next_free_vgpr 1
		.amdhsa_next_free_sgpr 1
		.amdhsa_reserve_vcc 0
		.amdhsa_float_round_mode_32 0
		.amdhsa_float_round_mode_16_64 0
		.amdhsa_float_denorm_mode_32 3
		.amdhsa_float_denorm_mode_16_64 3
		.amdhsa_dx10_clamp 1
		.amdhsa_ieee_mode 1
		.amdhsa_fp16_overflow 0
		.amdhsa_workgroup_processor_mode 1
		.amdhsa_memory_ordered 1
		.amdhsa_forward_progress 0
		.amdhsa_shared_vgpr_count 0
		.amdhsa_exception_fp_ieee_invalid_op 0
		.amdhsa_exception_fp_denorm_src 0
		.amdhsa_exception_fp_ieee_div_zero 0
		.amdhsa_exception_fp_ieee_overflow 0
		.amdhsa_exception_fp_ieee_underflow 0
		.amdhsa_exception_fp_ieee_inexact 0
		.amdhsa_exception_int_div_zero 0
	.end_amdhsa_kernel
	.section	.text._ZN7rocprim17ROCPRIM_400000_NS6detail17trampoline_kernelINS0_14default_configENS1_22reduce_config_selectorIiEEZNS1_11reduce_implILb1ES3_PiS7_iN6hipcub16HIPCUB_304000_NS6detail34convert_binary_result_type_wrapperINS9_3SumENS9_22TransformInputIteratorIbN2at6native12_GLOBAL__N_19NonZeroOpIfEEPKflEEiEEEE10hipError_tPvRmT1_T2_T3_mT4_P12ihipStream_tbEUlT_E1_NS1_11comp_targetILNS1_3genE5ELNS1_11target_archE942ELNS1_3gpuE9ELNS1_3repE0EEENS1_30default_config_static_selectorELNS0_4arch9wavefront6targetE0EEEvSQ_,"axG",@progbits,_ZN7rocprim17ROCPRIM_400000_NS6detail17trampoline_kernelINS0_14default_configENS1_22reduce_config_selectorIiEEZNS1_11reduce_implILb1ES3_PiS7_iN6hipcub16HIPCUB_304000_NS6detail34convert_binary_result_type_wrapperINS9_3SumENS9_22TransformInputIteratorIbN2at6native12_GLOBAL__N_19NonZeroOpIfEEPKflEEiEEEE10hipError_tPvRmT1_T2_T3_mT4_P12ihipStream_tbEUlT_E1_NS1_11comp_targetILNS1_3genE5ELNS1_11target_archE942ELNS1_3gpuE9ELNS1_3repE0EEENS1_30default_config_static_selectorELNS0_4arch9wavefront6targetE0EEEvSQ_,comdat
.Lfunc_end432:
	.size	_ZN7rocprim17ROCPRIM_400000_NS6detail17trampoline_kernelINS0_14default_configENS1_22reduce_config_selectorIiEEZNS1_11reduce_implILb1ES3_PiS7_iN6hipcub16HIPCUB_304000_NS6detail34convert_binary_result_type_wrapperINS9_3SumENS9_22TransformInputIteratorIbN2at6native12_GLOBAL__N_19NonZeroOpIfEEPKflEEiEEEE10hipError_tPvRmT1_T2_T3_mT4_P12ihipStream_tbEUlT_E1_NS1_11comp_targetILNS1_3genE5ELNS1_11target_archE942ELNS1_3gpuE9ELNS1_3repE0EEENS1_30default_config_static_selectorELNS0_4arch9wavefront6targetE0EEEvSQ_, .Lfunc_end432-_ZN7rocprim17ROCPRIM_400000_NS6detail17trampoline_kernelINS0_14default_configENS1_22reduce_config_selectorIiEEZNS1_11reduce_implILb1ES3_PiS7_iN6hipcub16HIPCUB_304000_NS6detail34convert_binary_result_type_wrapperINS9_3SumENS9_22TransformInputIteratorIbN2at6native12_GLOBAL__N_19NonZeroOpIfEEPKflEEiEEEE10hipError_tPvRmT1_T2_T3_mT4_P12ihipStream_tbEUlT_E1_NS1_11comp_targetILNS1_3genE5ELNS1_11target_archE942ELNS1_3gpuE9ELNS1_3repE0EEENS1_30default_config_static_selectorELNS0_4arch9wavefront6targetE0EEEvSQ_
                                        ; -- End function
	.section	.AMDGPU.csdata,"",@progbits
; Kernel info:
; codeLenInByte = 0
; NumSgprs: 0
; NumVgprs: 0
; ScratchSize: 0
; MemoryBound: 0
; FloatMode: 240
; IeeeMode: 1
; LDSByteSize: 0 bytes/workgroup (compile time only)
; SGPRBlocks: 0
; VGPRBlocks: 0
; NumSGPRsForWavesPerEU: 1
; NumVGPRsForWavesPerEU: 1
; Occupancy: 16
; WaveLimiterHint : 0
; COMPUTE_PGM_RSRC2:SCRATCH_EN: 0
; COMPUTE_PGM_RSRC2:USER_SGPR: 15
; COMPUTE_PGM_RSRC2:TRAP_HANDLER: 0
; COMPUTE_PGM_RSRC2:TGID_X_EN: 1
; COMPUTE_PGM_RSRC2:TGID_Y_EN: 0
; COMPUTE_PGM_RSRC2:TGID_Z_EN: 0
; COMPUTE_PGM_RSRC2:TIDIG_COMP_CNT: 0
	.section	.text._ZN7rocprim17ROCPRIM_400000_NS6detail17trampoline_kernelINS0_14default_configENS1_22reduce_config_selectorIiEEZNS1_11reduce_implILb1ES3_PiS7_iN6hipcub16HIPCUB_304000_NS6detail34convert_binary_result_type_wrapperINS9_3SumENS9_22TransformInputIteratorIbN2at6native12_GLOBAL__N_19NonZeroOpIfEEPKflEEiEEEE10hipError_tPvRmT1_T2_T3_mT4_P12ihipStream_tbEUlT_E1_NS1_11comp_targetILNS1_3genE4ELNS1_11target_archE910ELNS1_3gpuE8ELNS1_3repE0EEENS1_30default_config_static_selectorELNS0_4arch9wavefront6targetE0EEEvSQ_,"axG",@progbits,_ZN7rocprim17ROCPRIM_400000_NS6detail17trampoline_kernelINS0_14default_configENS1_22reduce_config_selectorIiEEZNS1_11reduce_implILb1ES3_PiS7_iN6hipcub16HIPCUB_304000_NS6detail34convert_binary_result_type_wrapperINS9_3SumENS9_22TransformInputIteratorIbN2at6native12_GLOBAL__N_19NonZeroOpIfEEPKflEEiEEEE10hipError_tPvRmT1_T2_T3_mT4_P12ihipStream_tbEUlT_E1_NS1_11comp_targetILNS1_3genE4ELNS1_11target_archE910ELNS1_3gpuE8ELNS1_3repE0EEENS1_30default_config_static_selectorELNS0_4arch9wavefront6targetE0EEEvSQ_,comdat
	.globl	_ZN7rocprim17ROCPRIM_400000_NS6detail17trampoline_kernelINS0_14default_configENS1_22reduce_config_selectorIiEEZNS1_11reduce_implILb1ES3_PiS7_iN6hipcub16HIPCUB_304000_NS6detail34convert_binary_result_type_wrapperINS9_3SumENS9_22TransformInputIteratorIbN2at6native12_GLOBAL__N_19NonZeroOpIfEEPKflEEiEEEE10hipError_tPvRmT1_T2_T3_mT4_P12ihipStream_tbEUlT_E1_NS1_11comp_targetILNS1_3genE4ELNS1_11target_archE910ELNS1_3gpuE8ELNS1_3repE0EEENS1_30default_config_static_selectorELNS0_4arch9wavefront6targetE0EEEvSQ_ ; -- Begin function _ZN7rocprim17ROCPRIM_400000_NS6detail17trampoline_kernelINS0_14default_configENS1_22reduce_config_selectorIiEEZNS1_11reduce_implILb1ES3_PiS7_iN6hipcub16HIPCUB_304000_NS6detail34convert_binary_result_type_wrapperINS9_3SumENS9_22TransformInputIteratorIbN2at6native12_GLOBAL__N_19NonZeroOpIfEEPKflEEiEEEE10hipError_tPvRmT1_T2_T3_mT4_P12ihipStream_tbEUlT_E1_NS1_11comp_targetILNS1_3genE4ELNS1_11target_archE910ELNS1_3gpuE8ELNS1_3repE0EEENS1_30default_config_static_selectorELNS0_4arch9wavefront6targetE0EEEvSQ_
	.p2align	8
	.type	_ZN7rocprim17ROCPRIM_400000_NS6detail17trampoline_kernelINS0_14default_configENS1_22reduce_config_selectorIiEEZNS1_11reduce_implILb1ES3_PiS7_iN6hipcub16HIPCUB_304000_NS6detail34convert_binary_result_type_wrapperINS9_3SumENS9_22TransformInputIteratorIbN2at6native12_GLOBAL__N_19NonZeroOpIfEEPKflEEiEEEE10hipError_tPvRmT1_T2_T3_mT4_P12ihipStream_tbEUlT_E1_NS1_11comp_targetILNS1_3genE4ELNS1_11target_archE910ELNS1_3gpuE8ELNS1_3repE0EEENS1_30default_config_static_selectorELNS0_4arch9wavefront6targetE0EEEvSQ_,@function
_ZN7rocprim17ROCPRIM_400000_NS6detail17trampoline_kernelINS0_14default_configENS1_22reduce_config_selectorIiEEZNS1_11reduce_implILb1ES3_PiS7_iN6hipcub16HIPCUB_304000_NS6detail34convert_binary_result_type_wrapperINS9_3SumENS9_22TransformInputIteratorIbN2at6native12_GLOBAL__N_19NonZeroOpIfEEPKflEEiEEEE10hipError_tPvRmT1_T2_T3_mT4_P12ihipStream_tbEUlT_E1_NS1_11comp_targetILNS1_3genE4ELNS1_11target_archE910ELNS1_3gpuE8ELNS1_3repE0EEENS1_30default_config_static_selectorELNS0_4arch9wavefront6targetE0EEEvSQ_: ; @_ZN7rocprim17ROCPRIM_400000_NS6detail17trampoline_kernelINS0_14default_configENS1_22reduce_config_selectorIiEEZNS1_11reduce_implILb1ES3_PiS7_iN6hipcub16HIPCUB_304000_NS6detail34convert_binary_result_type_wrapperINS9_3SumENS9_22TransformInputIteratorIbN2at6native12_GLOBAL__N_19NonZeroOpIfEEPKflEEiEEEE10hipError_tPvRmT1_T2_T3_mT4_P12ihipStream_tbEUlT_E1_NS1_11comp_targetILNS1_3genE4ELNS1_11target_archE910ELNS1_3gpuE8ELNS1_3repE0EEENS1_30default_config_static_selectorELNS0_4arch9wavefront6targetE0EEEvSQ_
; %bb.0:
	.section	.rodata,"a",@progbits
	.p2align	6, 0x0
	.amdhsa_kernel _ZN7rocprim17ROCPRIM_400000_NS6detail17trampoline_kernelINS0_14default_configENS1_22reduce_config_selectorIiEEZNS1_11reduce_implILb1ES3_PiS7_iN6hipcub16HIPCUB_304000_NS6detail34convert_binary_result_type_wrapperINS9_3SumENS9_22TransformInputIteratorIbN2at6native12_GLOBAL__N_19NonZeroOpIfEEPKflEEiEEEE10hipError_tPvRmT1_T2_T3_mT4_P12ihipStream_tbEUlT_E1_NS1_11comp_targetILNS1_3genE4ELNS1_11target_archE910ELNS1_3gpuE8ELNS1_3repE0EEENS1_30default_config_static_selectorELNS0_4arch9wavefront6targetE0EEEvSQ_
		.amdhsa_group_segment_fixed_size 0
		.amdhsa_private_segment_fixed_size 0
		.amdhsa_kernarg_size 40
		.amdhsa_user_sgpr_count 15
		.amdhsa_user_sgpr_dispatch_ptr 0
		.amdhsa_user_sgpr_queue_ptr 0
		.amdhsa_user_sgpr_kernarg_segment_ptr 1
		.amdhsa_user_sgpr_dispatch_id 0
		.amdhsa_user_sgpr_private_segment_size 0
		.amdhsa_wavefront_size32 1
		.amdhsa_uses_dynamic_stack 0
		.amdhsa_enable_private_segment 0
		.amdhsa_system_sgpr_workgroup_id_x 1
		.amdhsa_system_sgpr_workgroup_id_y 0
		.amdhsa_system_sgpr_workgroup_id_z 0
		.amdhsa_system_sgpr_workgroup_info 0
		.amdhsa_system_vgpr_workitem_id 0
		.amdhsa_next_free_vgpr 1
		.amdhsa_next_free_sgpr 1
		.amdhsa_reserve_vcc 0
		.amdhsa_float_round_mode_32 0
		.amdhsa_float_round_mode_16_64 0
		.amdhsa_float_denorm_mode_32 3
		.amdhsa_float_denorm_mode_16_64 3
		.amdhsa_dx10_clamp 1
		.amdhsa_ieee_mode 1
		.amdhsa_fp16_overflow 0
		.amdhsa_workgroup_processor_mode 1
		.amdhsa_memory_ordered 1
		.amdhsa_forward_progress 0
		.amdhsa_shared_vgpr_count 0
		.amdhsa_exception_fp_ieee_invalid_op 0
		.amdhsa_exception_fp_denorm_src 0
		.amdhsa_exception_fp_ieee_div_zero 0
		.amdhsa_exception_fp_ieee_overflow 0
		.amdhsa_exception_fp_ieee_underflow 0
		.amdhsa_exception_fp_ieee_inexact 0
		.amdhsa_exception_int_div_zero 0
	.end_amdhsa_kernel
	.section	.text._ZN7rocprim17ROCPRIM_400000_NS6detail17trampoline_kernelINS0_14default_configENS1_22reduce_config_selectorIiEEZNS1_11reduce_implILb1ES3_PiS7_iN6hipcub16HIPCUB_304000_NS6detail34convert_binary_result_type_wrapperINS9_3SumENS9_22TransformInputIteratorIbN2at6native12_GLOBAL__N_19NonZeroOpIfEEPKflEEiEEEE10hipError_tPvRmT1_T2_T3_mT4_P12ihipStream_tbEUlT_E1_NS1_11comp_targetILNS1_3genE4ELNS1_11target_archE910ELNS1_3gpuE8ELNS1_3repE0EEENS1_30default_config_static_selectorELNS0_4arch9wavefront6targetE0EEEvSQ_,"axG",@progbits,_ZN7rocprim17ROCPRIM_400000_NS6detail17trampoline_kernelINS0_14default_configENS1_22reduce_config_selectorIiEEZNS1_11reduce_implILb1ES3_PiS7_iN6hipcub16HIPCUB_304000_NS6detail34convert_binary_result_type_wrapperINS9_3SumENS9_22TransformInputIteratorIbN2at6native12_GLOBAL__N_19NonZeroOpIfEEPKflEEiEEEE10hipError_tPvRmT1_T2_T3_mT4_P12ihipStream_tbEUlT_E1_NS1_11comp_targetILNS1_3genE4ELNS1_11target_archE910ELNS1_3gpuE8ELNS1_3repE0EEENS1_30default_config_static_selectorELNS0_4arch9wavefront6targetE0EEEvSQ_,comdat
.Lfunc_end433:
	.size	_ZN7rocprim17ROCPRIM_400000_NS6detail17trampoline_kernelINS0_14default_configENS1_22reduce_config_selectorIiEEZNS1_11reduce_implILb1ES3_PiS7_iN6hipcub16HIPCUB_304000_NS6detail34convert_binary_result_type_wrapperINS9_3SumENS9_22TransformInputIteratorIbN2at6native12_GLOBAL__N_19NonZeroOpIfEEPKflEEiEEEE10hipError_tPvRmT1_T2_T3_mT4_P12ihipStream_tbEUlT_E1_NS1_11comp_targetILNS1_3genE4ELNS1_11target_archE910ELNS1_3gpuE8ELNS1_3repE0EEENS1_30default_config_static_selectorELNS0_4arch9wavefront6targetE0EEEvSQ_, .Lfunc_end433-_ZN7rocprim17ROCPRIM_400000_NS6detail17trampoline_kernelINS0_14default_configENS1_22reduce_config_selectorIiEEZNS1_11reduce_implILb1ES3_PiS7_iN6hipcub16HIPCUB_304000_NS6detail34convert_binary_result_type_wrapperINS9_3SumENS9_22TransformInputIteratorIbN2at6native12_GLOBAL__N_19NonZeroOpIfEEPKflEEiEEEE10hipError_tPvRmT1_T2_T3_mT4_P12ihipStream_tbEUlT_E1_NS1_11comp_targetILNS1_3genE4ELNS1_11target_archE910ELNS1_3gpuE8ELNS1_3repE0EEENS1_30default_config_static_selectorELNS0_4arch9wavefront6targetE0EEEvSQ_
                                        ; -- End function
	.section	.AMDGPU.csdata,"",@progbits
; Kernel info:
; codeLenInByte = 0
; NumSgprs: 0
; NumVgprs: 0
; ScratchSize: 0
; MemoryBound: 0
; FloatMode: 240
; IeeeMode: 1
; LDSByteSize: 0 bytes/workgroup (compile time only)
; SGPRBlocks: 0
; VGPRBlocks: 0
; NumSGPRsForWavesPerEU: 1
; NumVGPRsForWavesPerEU: 1
; Occupancy: 16
; WaveLimiterHint : 0
; COMPUTE_PGM_RSRC2:SCRATCH_EN: 0
; COMPUTE_PGM_RSRC2:USER_SGPR: 15
; COMPUTE_PGM_RSRC2:TRAP_HANDLER: 0
; COMPUTE_PGM_RSRC2:TGID_X_EN: 1
; COMPUTE_PGM_RSRC2:TGID_Y_EN: 0
; COMPUTE_PGM_RSRC2:TGID_Z_EN: 0
; COMPUTE_PGM_RSRC2:TIDIG_COMP_CNT: 0
	.section	.text._ZN7rocprim17ROCPRIM_400000_NS6detail17trampoline_kernelINS0_14default_configENS1_22reduce_config_selectorIiEEZNS1_11reduce_implILb1ES3_PiS7_iN6hipcub16HIPCUB_304000_NS6detail34convert_binary_result_type_wrapperINS9_3SumENS9_22TransformInputIteratorIbN2at6native12_GLOBAL__N_19NonZeroOpIfEEPKflEEiEEEE10hipError_tPvRmT1_T2_T3_mT4_P12ihipStream_tbEUlT_E1_NS1_11comp_targetILNS1_3genE3ELNS1_11target_archE908ELNS1_3gpuE7ELNS1_3repE0EEENS1_30default_config_static_selectorELNS0_4arch9wavefront6targetE0EEEvSQ_,"axG",@progbits,_ZN7rocprim17ROCPRIM_400000_NS6detail17trampoline_kernelINS0_14default_configENS1_22reduce_config_selectorIiEEZNS1_11reduce_implILb1ES3_PiS7_iN6hipcub16HIPCUB_304000_NS6detail34convert_binary_result_type_wrapperINS9_3SumENS9_22TransformInputIteratorIbN2at6native12_GLOBAL__N_19NonZeroOpIfEEPKflEEiEEEE10hipError_tPvRmT1_T2_T3_mT4_P12ihipStream_tbEUlT_E1_NS1_11comp_targetILNS1_3genE3ELNS1_11target_archE908ELNS1_3gpuE7ELNS1_3repE0EEENS1_30default_config_static_selectorELNS0_4arch9wavefront6targetE0EEEvSQ_,comdat
	.globl	_ZN7rocprim17ROCPRIM_400000_NS6detail17trampoline_kernelINS0_14default_configENS1_22reduce_config_selectorIiEEZNS1_11reduce_implILb1ES3_PiS7_iN6hipcub16HIPCUB_304000_NS6detail34convert_binary_result_type_wrapperINS9_3SumENS9_22TransformInputIteratorIbN2at6native12_GLOBAL__N_19NonZeroOpIfEEPKflEEiEEEE10hipError_tPvRmT1_T2_T3_mT4_P12ihipStream_tbEUlT_E1_NS1_11comp_targetILNS1_3genE3ELNS1_11target_archE908ELNS1_3gpuE7ELNS1_3repE0EEENS1_30default_config_static_selectorELNS0_4arch9wavefront6targetE0EEEvSQ_ ; -- Begin function _ZN7rocprim17ROCPRIM_400000_NS6detail17trampoline_kernelINS0_14default_configENS1_22reduce_config_selectorIiEEZNS1_11reduce_implILb1ES3_PiS7_iN6hipcub16HIPCUB_304000_NS6detail34convert_binary_result_type_wrapperINS9_3SumENS9_22TransformInputIteratorIbN2at6native12_GLOBAL__N_19NonZeroOpIfEEPKflEEiEEEE10hipError_tPvRmT1_T2_T3_mT4_P12ihipStream_tbEUlT_E1_NS1_11comp_targetILNS1_3genE3ELNS1_11target_archE908ELNS1_3gpuE7ELNS1_3repE0EEENS1_30default_config_static_selectorELNS0_4arch9wavefront6targetE0EEEvSQ_
	.p2align	8
	.type	_ZN7rocprim17ROCPRIM_400000_NS6detail17trampoline_kernelINS0_14default_configENS1_22reduce_config_selectorIiEEZNS1_11reduce_implILb1ES3_PiS7_iN6hipcub16HIPCUB_304000_NS6detail34convert_binary_result_type_wrapperINS9_3SumENS9_22TransformInputIteratorIbN2at6native12_GLOBAL__N_19NonZeroOpIfEEPKflEEiEEEE10hipError_tPvRmT1_T2_T3_mT4_P12ihipStream_tbEUlT_E1_NS1_11comp_targetILNS1_3genE3ELNS1_11target_archE908ELNS1_3gpuE7ELNS1_3repE0EEENS1_30default_config_static_selectorELNS0_4arch9wavefront6targetE0EEEvSQ_,@function
_ZN7rocprim17ROCPRIM_400000_NS6detail17trampoline_kernelINS0_14default_configENS1_22reduce_config_selectorIiEEZNS1_11reduce_implILb1ES3_PiS7_iN6hipcub16HIPCUB_304000_NS6detail34convert_binary_result_type_wrapperINS9_3SumENS9_22TransformInputIteratorIbN2at6native12_GLOBAL__N_19NonZeroOpIfEEPKflEEiEEEE10hipError_tPvRmT1_T2_T3_mT4_P12ihipStream_tbEUlT_E1_NS1_11comp_targetILNS1_3genE3ELNS1_11target_archE908ELNS1_3gpuE7ELNS1_3repE0EEENS1_30default_config_static_selectorELNS0_4arch9wavefront6targetE0EEEvSQ_: ; @_ZN7rocprim17ROCPRIM_400000_NS6detail17trampoline_kernelINS0_14default_configENS1_22reduce_config_selectorIiEEZNS1_11reduce_implILb1ES3_PiS7_iN6hipcub16HIPCUB_304000_NS6detail34convert_binary_result_type_wrapperINS9_3SumENS9_22TransformInputIteratorIbN2at6native12_GLOBAL__N_19NonZeroOpIfEEPKflEEiEEEE10hipError_tPvRmT1_T2_T3_mT4_P12ihipStream_tbEUlT_E1_NS1_11comp_targetILNS1_3genE3ELNS1_11target_archE908ELNS1_3gpuE7ELNS1_3repE0EEENS1_30default_config_static_selectorELNS0_4arch9wavefront6targetE0EEEvSQ_
; %bb.0:
	.section	.rodata,"a",@progbits
	.p2align	6, 0x0
	.amdhsa_kernel _ZN7rocprim17ROCPRIM_400000_NS6detail17trampoline_kernelINS0_14default_configENS1_22reduce_config_selectorIiEEZNS1_11reduce_implILb1ES3_PiS7_iN6hipcub16HIPCUB_304000_NS6detail34convert_binary_result_type_wrapperINS9_3SumENS9_22TransformInputIteratorIbN2at6native12_GLOBAL__N_19NonZeroOpIfEEPKflEEiEEEE10hipError_tPvRmT1_T2_T3_mT4_P12ihipStream_tbEUlT_E1_NS1_11comp_targetILNS1_3genE3ELNS1_11target_archE908ELNS1_3gpuE7ELNS1_3repE0EEENS1_30default_config_static_selectorELNS0_4arch9wavefront6targetE0EEEvSQ_
		.amdhsa_group_segment_fixed_size 0
		.amdhsa_private_segment_fixed_size 0
		.amdhsa_kernarg_size 40
		.amdhsa_user_sgpr_count 15
		.amdhsa_user_sgpr_dispatch_ptr 0
		.amdhsa_user_sgpr_queue_ptr 0
		.amdhsa_user_sgpr_kernarg_segment_ptr 1
		.amdhsa_user_sgpr_dispatch_id 0
		.amdhsa_user_sgpr_private_segment_size 0
		.amdhsa_wavefront_size32 1
		.amdhsa_uses_dynamic_stack 0
		.amdhsa_enable_private_segment 0
		.amdhsa_system_sgpr_workgroup_id_x 1
		.amdhsa_system_sgpr_workgroup_id_y 0
		.amdhsa_system_sgpr_workgroup_id_z 0
		.amdhsa_system_sgpr_workgroup_info 0
		.amdhsa_system_vgpr_workitem_id 0
		.amdhsa_next_free_vgpr 1
		.amdhsa_next_free_sgpr 1
		.amdhsa_reserve_vcc 0
		.amdhsa_float_round_mode_32 0
		.amdhsa_float_round_mode_16_64 0
		.amdhsa_float_denorm_mode_32 3
		.amdhsa_float_denorm_mode_16_64 3
		.amdhsa_dx10_clamp 1
		.amdhsa_ieee_mode 1
		.amdhsa_fp16_overflow 0
		.amdhsa_workgroup_processor_mode 1
		.amdhsa_memory_ordered 1
		.amdhsa_forward_progress 0
		.amdhsa_shared_vgpr_count 0
		.amdhsa_exception_fp_ieee_invalid_op 0
		.amdhsa_exception_fp_denorm_src 0
		.amdhsa_exception_fp_ieee_div_zero 0
		.amdhsa_exception_fp_ieee_overflow 0
		.amdhsa_exception_fp_ieee_underflow 0
		.amdhsa_exception_fp_ieee_inexact 0
		.amdhsa_exception_int_div_zero 0
	.end_amdhsa_kernel
	.section	.text._ZN7rocprim17ROCPRIM_400000_NS6detail17trampoline_kernelINS0_14default_configENS1_22reduce_config_selectorIiEEZNS1_11reduce_implILb1ES3_PiS7_iN6hipcub16HIPCUB_304000_NS6detail34convert_binary_result_type_wrapperINS9_3SumENS9_22TransformInputIteratorIbN2at6native12_GLOBAL__N_19NonZeroOpIfEEPKflEEiEEEE10hipError_tPvRmT1_T2_T3_mT4_P12ihipStream_tbEUlT_E1_NS1_11comp_targetILNS1_3genE3ELNS1_11target_archE908ELNS1_3gpuE7ELNS1_3repE0EEENS1_30default_config_static_selectorELNS0_4arch9wavefront6targetE0EEEvSQ_,"axG",@progbits,_ZN7rocprim17ROCPRIM_400000_NS6detail17trampoline_kernelINS0_14default_configENS1_22reduce_config_selectorIiEEZNS1_11reduce_implILb1ES3_PiS7_iN6hipcub16HIPCUB_304000_NS6detail34convert_binary_result_type_wrapperINS9_3SumENS9_22TransformInputIteratorIbN2at6native12_GLOBAL__N_19NonZeroOpIfEEPKflEEiEEEE10hipError_tPvRmT1_T2_T3_mT4_P12ihipStream_tbEUlT_E1_NS1_11comp_targetILNS1_3genE3ELNS1_11target_archE908ELNS1_3gpuE7ELNS1_3repE0EEENS1_30default_config_static_selectorELNS0_4arch9wavefront6targetE0EEEvSQ_,comdat
.Lfunc_end434:
	.size	_ZN7rocprim17ROCPRIM_400000_NS6detail17trampoline_kernelINS0_14default_configENS1_22reduce_config_selectorIiEEZNS1_11reduce_implILb1ES3_PiS7_iN6hipcub16HIPCUB_304000_NS6detail34convert_binary_result_type_wrapperINS9_3SumENS9_22TransformInputIteratorIbN2at6native12_GLOBAL__N_19NonZeroOpIfEEPKflEEiEEEE10hipError_tPvRmT1_T2_T3_mT4_P12ihipStream_tbEUlT_E1_NS1_11comp_targetILNS1_3genE3ELNS1_11target_archE908ELNS1_3gpuE7ELNS1_3repE0EEENS1_30default_config_static_selectorELNS0_4arch9wavefront6targetE0EEEvSQ_, .Lfunc_end434-_ZN7rocprim17ROCPRIM_400000_NS6detail17trampoline_kernelINS0_14default_configENS1_22reduce_config_selectorIiEEZNS1_11reduce_implILb1ES3_PiS7_iN6hipcub16HIPCUB_304000_NS6detail34convert_binary_result_type_wrapperINS9_3SumENS9_22TransformInputIteratorIbN2at6native12_GLOBAL__N_19NonZeroOpIfEEPKflEEiEEEE10hipError_tPvRmT1_T2_T3_mT4_P12ihipStream_tbEUlT_E1_NS1_11comp_targetILNS1_3genE3ELNS1_11target_archE908ELNS1_3gpuE7ELNS1_3repE0EEENS1_30default_config_static_selectorELNS0_4arch9wavefront6targetE0EEEvSQ_
                                        ; -- End function
	.section	.AMDGPU.csdata,"",@progbits
; Kernel info:
; codeLenInByte = 0
; NumSgprs: 0
; NumVgprs: 0
; ScratchSize: 0
; MemoryBound: 0
; FloatMode: 240
; IeeeMode: 1
; LDSByteSize: 0 bytes/workgroup (compile time only)
; SGPRBlocks: 0
; VGPRBlocks: 0
; NumSGPRsForWavesPerEU: 1
; NumVGPRsForWavesPerEU: 1
; Occupancy: 16
; WaveLimiterHint : 0
; COMPUTE_PGM_RSRC2:SCRATCH_EN: 0
; COMPUTE_PGM_RSRC2:USER_SGPR: 15
; COMPUTE_PGM_RSRC2:TRAP_HANDLER: 0
; COMPUTE_PGM_RSRC2:TGID_X_EN: 1
; COMPUTE_PGM_RSRC2:TGID_Y_EN: 0
; COMPUTE_PGM_RSRC2:TGID_Z_EN: 0
; COMPUTE_PGM_RSRC2:TIDIG_COMP_CNT: 0
	.section	.text._ZN7rocprim17ROCPRIM_400000_NS6detail17trampoline_kernelINS0_14default_configENS1_22reduce_config_selectorIiEEZNS1_11reduce_implILb1ES3_PiS7_iN6hipcub16HIPCUB_304000_NS6detail34convert_binary_result_type_wrapperINS9_3SumENS9_22TransformInputIteratorIbN2at6native12_GLOBAL__N_19NonZeroOpIfEEPKflEEiEEEE10hipError_tPvRmT1_T2_T3_mT4_P12ihipStream_tbEUlT_E1_NS1_11comp_targetILNS1_3genE2ELNS1_11target_archE906ELNS1_3gpuE6ELNS1_3repE0EEENS1_30default_config_static_selectorELNS0_4arch9wavefront6targetE0EEEvSQ_,"axG",@progbits,_ZN7rocprim17ROCPRIM_400000_NS6detail17trampoline_kernelINS0_14default_configENS1_22reduce_config_selectorIiEEZNS1_11reduce_implILb1ES3_PiS7_iN6hipcub16HIPCUB_304000_NS6detail34convert_binary_result_type_wrapperINS9_3SumENS9_22TransformInputIteratorIbN2at6native12_GLOBAL__N_19NonZeroOpIfEEPKflEEiEEEE10hipError_tPvRmT1_T2_T3_mT4_P12ihipStream_tbEUlT_E1_NS1_11comp_targetILNS1_3genE2ELNS1_11target_archE906ELNS1_3gpuE6ELNS1_3repE0EEENS1_30default_config_static_selectorELNS0_4arch9wavefront6targetE0EEEvSQ_,comdat
	.globl	_ZN7rocprim17ROCPRIM_400000_NS6detail17trampoline_kernelINS0_14default_configENS1_22reduce_config_selectorIiEEZNS1_11reduce_implILb1ES3_PiS7_iN6hipcub16HIPCUB_304000_NS6detail34convert_binary_result_type_wrapperINS9_3SumENS9_22TransformInputIteratorIbN2at6native12_GLOBAL__N_19NonZeroOpIfEEPKflEEiEEEE10hipError_tPvRmT1_T2_T3_mT4_P12ihipStream_tbEUlT_E1_NS1_11comp_targetILNS1_3genE2ELNS1_11target_archE906ELNS1_3gpuE6ELNS1_3repE0EEENS1_30default_config_static_selectorELNS0_4arch9wavefront6targetE0EEEvSQ_ ; -- Begin function _ZN7rocprim17ROCPRIM_400000_NS6detail17trampoline_kernelINS0_14default_configENS1_22reduce_config_selectorIiEEZNS1_11reduce_implILb1ES3_PiS7_iN6hipcub16HIPCUB_304000_NS6detail34convert_binary_result_type_wrapperINS9_3SumENS9_22TransformInputIteratorIbN2at6native12_GLOBAL__N_19NonZeroOpIfEEPKflEEiEEEE10hipError_tPvRmT1_T2_T3_mT4_P12ihipStream_tbEUlT_E1_NS1_11comp_targetILNS1_3genE2ELNS1_11target_archE906ELNS1_3gpuE6ELNS1_3repE0EEENS1_30default_config_static_selectorELNS0_4arch9wavefront6targetE0EEEvSQ_
	.p2align	8
	.type	_ZN7rocprim17ROCPRIM_400000_NS6detail17trampoline_kernelINS0_14default_configENS1_22reduce_config_selectorIiEEZNS1_11reduce_implILb1ES3_PiS7_iN6hipcub16HIPCUB_304000_NS6detail34convert_binary_result_type_wrapperINS9_3SumENS9_22TransformInputIteratorIbN2at6native12_GLOBAL__N_19NonZeroOpIfEEPKflEEiEEEE10hipError_tPvRmT1_T2_T3_mT4_P12ihipStream_tbEUlT_E1_NS1_11comp_targetILNS1_3genE2ELNS1_11target_archE906ELNS1_3gpuE6ELNS1_3repE0EEENS1_30default_config_static_selectorELNS0_4arch9wavefront6targetE0EEEvSQ_,@function
_ZN7rocprim17ROCPRIM_400000_NS6detail17trampoline_kernelINS0_14default_configENS1_22reduce_config_selectorIiEEZNS1_11reduce_implILb1ES3_PiS7_iN6hipcub16HIPCUB_304000_NS6detail34convert_binary_result_type_wrapperINS9_3SumENS9_22TransformInputIteratorIbN2at6native12_GLOBAL__N_19NonZeroOpIfEEPKflEEiEEEE10hipError_tPvRmT1_T2_T3_mT4_P12ihipStream_tbEUlT_E1_NS1_11comp_targetILNS1_3genE2ELNS1_11target_archE906ELNS1_3gpuE6ELNS1_3repE0EEENS1_30default_config_static_selectorELNS0_4arch9wavefront6targetE0EEEvSQ_: ; @_ZN7rocprim17ROCPRIM_400000_NS6detail17trampoline_kernelINS0_14default_configENS1_22reduce_config_selectorIiEEZNS1_11reduce_implILb1ES3_PiS7_iN6hipcub16HIPCUB_304000_NS6detail34convert_binary_result_type_wrapperINS9_3SumENS9_22TransformInputIteratorIbN2at6native12_GLOBAL__N_19NonZeroOpIfEEPKflEEiEEEE10hipError_tPvRmT1_T2_T3_mT4_P12ihipStream_tbEUlT_E1_NS1_11comp_targetILNS1_3genE2ELNS1_11target_archE906ELNS1_3gpuE6ELNS1_3repE0EEENS1_30default_config_static_selectorELNS0_4arch9wavefront6targetE0EEEvSQ_
; %bb.0:
	.section	.rodata,"a",@progbits
	.p2align	6, 0x0
	.amdhsa_kernel _ZN7rocprim17ROCPRIM_400000_NS6detail17trampoline_kernelINS0_14default_configENS1_22reduce_config_selectorIiEEZNS1_11reduce_implILb1ES3_PiS7_iN6hipcub16HIPCUB_304000_NS6detail34convert_binary_result_type_wrapperINS9_3SumENS9_22TransformInputIteratorIbN2at6native12_GLOBAL__N_19NonZeroOpIfEEPKflEEiEEEE10hipError_tPvRmT1_T2_T3_mT4_P12ihipStream_tbEUlT_E1_NS1_11comp_targetILNS1_3genE2ELNS1_11target_archE906ELNS1_3gpuE6ELNS1_3repE0EEENS1_30default_config_static_selectorELNS0_4arch9wavefront6targetE0EEEvSQ_
		.amdhsa_group_segment_fixed_size 0
		.amdhsa_private_segment_fixed_size 0
		.amdhsa_kernarg_size 40
		.amdhsa_user_sgpr_count 15
		.amdhsa_user_sgpr_dispatch_ptr 0
		.amdhsa_user_sgpr_queue_ptr 0
		.amdhsa_user_sgpr_kernarg_segment_ptr 1
		.amdhsa_user_sgpr_dispatch_id 0
		.amdhsa_user_sgpr_private_segment_size 0
		.amdhsa_wavefront_size32 1
		.amdhsa_uses_dynamic_stack 0
		.amdhsa_enable_private_segment 0
		.amdhsa_system_sgpr_workgroup_id_x 1
		.amdhsa_system_sgpr_workgroup_id_y 0
		.amdhsa_system_sgpr_workgroup_id_z 0
		.amdhsa_system_sgpr_workgroup_info 0
		.amdhsa_system_vgpr_workitem_id 0
		.amdhsa_next_free_vgpr 1
		.amdhsa_next_free_sgpr 1
		.amdhsa_reserve_vcc 0
		.amdhsa_float_round_mode_32 0
		.amdhsa_float_round_mode_16_64 0
		.amdhsa_float_denorm_mode_32 3
		.amdhsa_float_denorm_mode_16_64 3
		.amdhsa_dx10_clamp 1
		.amdhsa_ieee_mode 1
		.amdhsa_fp16_overflow 0
		.amdhsa_workgroup_processor_mode 1
		.amdhsa_memory_ordered 1
		.amdhsa_forward_progress 0
		.amdhsa_shared_vgpr_count 0
		.amdhsa_exception_fp_ieee_invalid_op 0
		.amdhsa_exception_fp_denorm_src 0
		.amdhsa_exception_fp_ieee_div_zero 0
		.amdhsa_exception_fp_ieee_overflow 0
		.amdhsa_exception_fp_ieee_underflow 0
		.amdhsa_exception_fp_ieee_inexact 0
		.amdhsa_exception_int_div_zero 0
	.end_amdhsa_kernel
	.section	.text._ZN7rocprim17ROCPRIM_400000_NS6detail17trampoline_kernelINS0_14default_configENS1_22reduce_config_selectorIiEEZNS1_11reduce_implILb1ES3_PiS7_iN6hipcub16HIPCUB_304000_NS6detail34convert_binary_result_type_wrapperINS9_3SumENS9_22TransformInputIteratorIbN2at6native12_GLOBAL__N_19NonZeroOpIfEEPKflEEiEEEE10hipError_tPvRmT1_T2_T3_mT4_P12ihipStream_tbEUlT_E1_NS1_11comp_targetILNS1_3genE2ELNS1_11target_archE906ELNS1_3gpuE6ELNS1_3repE0EEENS1_30default_config_static_selectorELNS0_4arch9wavefront6targetE0EEEvSQ_,"axG",@progbits,_ZN7rocprim17ROCPRIM_400000_NS6detail17trampoline_kernelINS0_14default_configENS1_22reduce_config_selectorIiEEZNS1_11reduce_implILb1ES3_PiS7_iN6hipcub16HIPCUB_304000_NS6detail34convert_binary_result_type_wrapperINS9_3SumENS9_22TransformInputIteratorIbN2at6native12_GLOBAL__N_19NonZeroOpIfEEPKflEEiEEEE10hipError_tPvRmT1_T2_T3_mT4_P12ihipStream_tbEUlT_E1_NS1_11comp_targetILNS1_3genE2ELNS1_11target_archE906ELNS1_3gpuE6ELNS1_3repE0EEENS1_30default_config_static_selectorELNS0_4arch9wavefront6targetE0EEEvSQ_,comdat
.Lfunc_end435:
	.size	_ZN7rocprim17ROCPRIM_400000_NS6detail17trampoline_kernelINS0_14default_configENS1_22reduce_config_selectorIiEEZNS1_11reduce_implILb1ES3_PiS7_iN6hipcub16HIPCUB_304000_NS6detail34convert_binary_result_type_wrapperINS9_3SumENS9_22TransformInputIteratorIbN2at6native12_GLOBAL__N_19NonZeroOpIfEEPKflEEiEEEE10hipError_tPvRmT1_T2_T3_mT4_P12ihipStream_tbEUlT_E1_NS1_11comp_targetILNS1_3genE2ELNS1_11target_archE906ELNS1_3gpuE6ELNS1_3repE0EEENS1_30default_config_static_selectorELNS0_4arch9wavefront6targetE0EEEvSQ_, .Lfunc_end435-_ZN7rocprim17ROCPRIM_400000_NS6detail17trampoline_kernelINS0_14default_configENS1_22reduce_config_selectorIiEEZNS1_11reduce_implILb1ES3_PiS7_iN6hipcub16HIPCUB_304000_NS6detail34convert_binary_result_type_wrapperINS9_3SumENS9_22TransformInputIteratorIbN2at6native12_GLOBAL__N_19NonZeroOpIfEEPKflEEiEEEE10hipError_tPvRmT1_T2_T3_mT4_P12ihipStream_tbEUlT_E1_NS1_11comp_targetILNS1_3genE2ELNS1_11target_archE906ELNS1_3gpuE6ELNS1_3repE0EEENS1_30default_config_static_selectorELNS0_4arch9wavefront6targetE0EEEvSQ_
                                        ; -- End function
	.section	.AMDGPU.csdata,"",@progbits
; Kernel info:
; codeLenInByte = 0
; NumSgprs: 0
; NumVgprs: 0
; ScratchSize: 0
; MemoryBound: 0
; FloatMode: 240
; IeeeMode: 1
; LDSByteSize: 0 bytes/workgroup (compile time only)
; SGPRBlocks: 0
; VGPRBlocks: 0
; NumSGPRsForWavesPerEU: 1
; NumVGPRsForWavesPerEU: 1
; Occupancy: 16
; WaveLimiterHint : 0
; COMPUTE_PGM_RSRC2:SCRATCH_EN: 0
; COMPUTE_PGM_RSRC2:USER_SGPR: 15
; COMPUTE_PGM_RSRC2:TRAP_HANDLER: 0
; COMPUTE_PGM_RSRC2:TGID_X_EN: 1
; COMPUTE_PGM_RSRC2:TGID_Y_EN: 0
; COMPUTE_PGM_RSRC2:TGID_Z_EN: 0
; COMPUTE_PGM_RSRC2:TIDIG_COMP_CNT: 0
	.section	.text._ZN7rocprim17ROCPRIM_400000_NS6detail17trampoline_kernelINS0_14default_configENS1_22reduce_config_selectorIiEEZNS1_11reduce_implILb1ES3_PiS7_iN6hipcub16HIPCUB_304000_NS6detail34convert_binary_result_type_wrapperINS9_3SumENS9_22TransformInputIteratorIbN2at6native12_GLOBAL__N_19NonZeroOpIfEEPKflEEiEEEE10hipError_tPvRmT1_T2_T3_mT4_P12ihipStream_tbEUlT_E1_NS1_11comp_targetILNS1_3genE10ELNS1_11target_archE1201ELNS1_3gpuE5ELNS1_3repE0EEENS1_30default_config_static_selectorELNS0_4arch9wavefront6targetE0EEEvSQ_,"axG",@progbits,_ZN7rocprim17ROCPRIM_400000_NS6detail17trampoline_kernelINS0_14default_configENS1_22reduce_config_selectorIiEEZNS1_11reduce_implILb1ES3_PiS7_iN6hipcub16HIPCUB_304000_NS6detail34convert_binary_result_type_wrapperINS9_3SumENS9_22TransformInputIteratorIbN2at6native12_GLOBAL__N_19NonZeroOpIfEEPKflEEiEEEE10hipError_tPvRmT1_T2_T3_mT4_P12ihipStream_tbEUlT_E1_NS1_11comp_targetILNS1_3genE10ELNS1_11target_archE1201ELNS1_3gpuE5ELNS1_3repE0EEENS1_30default_config_static_selectorELNS0_4arch9wavefront6targetE0EEEvSQ_,comdat
	.globl	_ZN7rocprim17ROCPRIM_400000_NS6detail17trampoline_kernelINS0_14default_configENS1_22reduce_config_selectorIiEEZNS1_11reduce_implILb1ES3_PiS7_iN6hipcub16HIPCUB_304000_NS6detail34convert_binary_result_type_wrapperINS9_3SumENS9_22TransformInputIteratorIbN2at6native12_GLOBAL__N_19NonZeroOpIfEEPKflEEiEEEE10hipError_tPvRmT1_T2_T3_mT4_P12ihipStream_tbEUlT_E1_NS1_11comp_targetILNS1_3genE10ELNS1_11target_archE1201ELNS1_3gpuE5ELNS1_3repE0EEENS1_30default_config_static_selectorELNS0_4arch9wavefront6targetE0EEEvSQ_ ; -- Begin function _ZN7rocprim17ROCPRIM_400000_NS6detail17trampoline_kernelINS0_14default_configENS1_22reduce_config_selectorIiEEZNS1_11reduce_implILb1ES3_PiS7_iN6hipcub16HIPCUB_304000_NS6detail34convert_binary_result_type_wrapperINS9_3SumENS9_22TransformInputIteratorIbN2at6native12_GLOBAL__N_19NonZeroOpIfEEPKflEEiEEEE10hipError_tPvRmT1_T2_T3_mT4_P12ihipStream_tbEUlT_E1_NS1_11comp_targetILNS1_3genE10ELNS1_11target_archE1201ELNS1_3gpuE5ELNS1_3repE0EEENS1_30default_config_static_selectorELNS0_4arch9wavefront6targetE0EEEvSQ_
	.p2align	8
	.type	_ZN7rocprim17ROCPRIM_400000_NS6detail17trampoline_kernelINS0_14default_configENS1_22reduce_config_selectorIiEEZNS1_11reduce_implILb1ES3_PiS7_iN6hipcub16HIPCUB_304000_NS6detail34convert_binary_result_type_wrapperINS9_3SumENS9_22TransformInputIteratorIbN2at6native12_GLOBAL__N_19NonZeroOpIfEEPKflEEiEEEE10hipError_tPvRmT1_T2_T3_mT4_P12ihipStream_tbEUlT_E1_NS1_11comp_targetILNS1_3genE10ELNS1_11target_archE1201ELNS1_3gpuE5ELNS1_3repE0EEENS1_30default_config_static_selectorELNS0_4arch9wavefront6targetE0EEEvSQ_,@function
_ZN7rocprim17ROCPRIM_400000_NS6detail17trampoline_kernelINS0_14default_configENS1_22reduce_config_selectorIiEEZNS1_11reduce_implILb1ES3_PiS7_iN6hipcub16HIPCUB_304000_NS6detail34convert_binary_result_type_wrapperINS9_3SumENS9_22TransformInputIteratorIbN2at6native12_GLOBAL__N_19NonZeroOpIfEEPKflEEiEEEE10hipError_tPvRmT1_T2_T3_mT4_P12ihipStream_tbEUlT_E1_NS1_11comp_targetILNS1_3genE10ELNS1_11target_archE1201ELNS1_3gpuE5ELNS1_3repE0EEENS1_30default_config_static_selectorELNS0_4arch9wavefront6targetE0EEEvSQ_: ; @_ZN7rocprim17ROCPRIM_400000_NS6detail17trampoline_kernelINS0_14default_configENS1_22reduce_config_selectorIiEEZNS1_11reduce_implILb1ES3_PiS7_iN6hipcub16HIPCUB_304000_NS6detail34convert_binary_result_type_wrapperINS9_3SumENS9_22TransformInputIteratorIbN2at6native12_GLOBAL__N_19NonZeroOpIfEEPKflEEiEEEE10hipError_tPvRmT1_T2_T3_mT4_P12ihipStream_tbEUlT_E1_NS1_11comp_targetILNS1_3genE10ELNS1_11target_archE1201ELNS1_3gpuE5ELNS1_3repE0EEENS1_30default_config_static_selectorELNS0_4arch9wavefront6targetE0EEEvSQ_
; %bb.0:
	.section	.rodata,"a",@progbits
	.p2align	6, 0x0
	.amdhsa_kernel _ZN7rocprim17ROCPRIM_400000_NS6detail17trampoline_kernelINS0_14default_configENS1_22reduce_config_selectorIiEEZNS1_11reduce_implILb1ES3_PiS7_iN6hipcub16HIPCUB_304000_NS6detail34convert_binary_result_type_wrapperINS9_3SumENS9_22TransformInputIteratorIbN2at6native12_GLOBAL__N_19NonZeroOpIfEEPKflEEiEEEE10hipError_tPvRmT1_T2_T3_mT4_P12ihipStream_tbEUlT_E1_NS1_11comp_targetILNS1_3genE10ELNS1_11target_archE1201ELNS1_3gpuE5ELNS1_3repE0EEENS1_30default_config_static_selectorELNS0_4arch9wavefront6targetE0EEEvSQ_
		.amdhsa_group_segment_fixed_size 0
		.amdhsa_private_segment_fixed_size 0
		.amdhsa_kernarg_size 40
		.amdhsa_user_sgpr_count 15
		.amdhsa_user_sgpr_dispatch_ptr 0
		.amdhsa_user_sgpr_queue_ptr 0
		.amdhsa_user_sgpr_kernarg_segment_ptr 1
		.amdhsa_user_sgpr_dispatch_id 0
		.amdhsa_user_sgpr_private_segment_size 0
		.amdhsa_wavefront_size32 1
		.amdhsa_uses_dynamic_stack 0
		.amdhsa_enable_private_segment 0
		.amdhsa_system_sgpr_workgroup_id_x 1
		.amdhsa_system_sgpr_workgroup_id_y 0
		.amdhsa_system_sgpr_workgroup_id_z 0
		.amdhsa_system_sgpr_workgroup_info 0
		.amdhsa_system_vgpr_workitem_id 0
		.amdhsa_next_free_vgpr 1
		.amdhsa_next_free_sgpr 1
		.amdhsa_reserve_vcc 0
		.amdhsa_float_round_mode_32 0
		.amdhsa_float_round_mode_16_64 0
		.amdhsa_float_denorm_mode_32 3
		.amdhsa_float_denorm_mode_16_64 3
		.amdhsa_dx10_clamp 1
		.amdhsa_ieee_mode 1
		.amdhsa_fp16_overflow 0
		.amdhsa_workgroup_processor_mode 1
		.amdhsa_memory_ordered 1
		.amdhsa_forward_progress 0
		.amdhsa_shared_vgpr_count 0
		.amdhsa_exception_fp_ieee_invalid_op 0
		.amdhsa_exception_fp_denorm_src 0
		.amdhsa_exception_fp_ieee_div_zero 0
		.amdhsa_exception_fp_ieee_overflow 0
		.amdhsa_exception_fp_ieee_underflow 0
		.amdhsa_exception_fp_ieee_inexact 0
		.amdhsa_exception_int_div_zero 0
	.end_amdhsa_kernel
	.section	.text._ZN7rocprim17ROCPRIM_400000_NS6detail17trampoline_kernelINS0_14default_configENS1_22reduce_config_selectorIiEEZNS1_11reduce_implILb1ES3_PiS7_iN6hipcub16HIPCUB_304000_NS6detail34convert_binary_result_type_wrapperINS9_3SumENS9_22TransformInputIteratorIbN2at6native12_GLOBAL__N_19NonZeroOpIfEEPKflEEiEEEE10hipError_tPvRmT1_T2_T3_mT4_P12ihipStream_tbEUlT_E1_NS1_11comp_targetILNS1_3genE10ELNS1_11target_archE1201ELNS1_3gpuE5ELNS1_3repE0EEENS1_30default_config_static_selectorELNS0_4arch9wavefront6targetE0EEEvSQ_,"axG",@progbits,_ZN7rocprim17ROCPRIM_400000_NS6detail17trampoline_kernelINS0_14default_configENS1_22reduce_config_selectorIiEEZNS1_11reduce_implILb1ES3_PiS7_iN6hipcub16HIPCUB_304000_NS6detail34convert_binary_result_type_wrapperINS9_3SumENS9_22TransformInputIteratorIbN2at6native12_GLOBAL__N_19NonZeroOpIfEEPKflEEiEEEE10hipError_tPvRmT1_T2_T3_mT4_P12ihipStream_tbEUlT_E1_NS1_11comp_targetILNS1_3genE10ELNS1_11target_archE1201ELNS1_3gpuE5ELNS1_3repE0EEENS1_30default_config_static_selectorELNS0_4arch9wavefront6targetE0EEEvSQ_,comdat
.Lfunc_end436:
	.size	_ZN7rocprim17ROCPRIM_400000_NS6detail17trampoline_kernelINS0_14default_configENS1_22reduce_config_selectorIiEEZNS1_11reduce_implILb1ES3_PiS7_iN6hipcub16HIPCUB_304000_NS6detail34convert_binary_result_type_wrapperINS9_3SumENS9_22TransformInputIteratorIbN2at6native12_GLOBAL__N_19NonZeroOpIfEEPKflEEiEEEE10hipError_tPvRmT1_T2_T3_mT4_P12ihipStream_tbEUlT_E1_NS1_11comp_targetILNS1_3genE10ELNS1_11target_archE1201ELNS1_3gpuE5ELNS1_3repE0EEENS1_30default_config_static_selectorELNS0_4arch9wavefront6targetE0EEEvSQ_, .Lfunc_end436-_ZN7rocprim17ROCPRIM_400000_NS6detail17trampoline_kernelINS0_14default_configENS1_22reduce_config_selectorIiEEZNS1_11reduce_implILb1ES3_PiS7_iN6hipcub16HIPCUB_304000_NS6detail34convert_binary_result_type_wrapperINS9_3SumENS9_22TransformInputIteratorIbN2at6native12_GLOBAL__N_19NonZeroOpIfEEPKflEEiEEEE10hipError_tPvRmT1_T2_T3_mT4_P12ihipStream_tbEUlT_E1_NS1_11comp_targetILNS1_3genE10ELNS1_11target_archE1201ELNS1_3gpuE5ELNS1_3repE0EEENS1_30default_config_static_selectorELNS0_4arch9wavefront6targetE0EEEvSQ_
                                        ; -- End function
	.section	.AMDGPU.csdata,"",@progbits
; Kernel info:
; codeLenInByte = 0
; NumSgprs: 0
; NumVgprs: 0
; ScratchSize: 0
; MemoryBound: 0
; FloatMode: 240
; IeeeMode: 1
; LDSByteSize: 0 bytes/workgroup (compile time only)
; SGPRBlocks: 0
; VGPRBlocks: 0
; NumSGPRsForWavesPerEU: 1
; NumVGPRsForWavesPerEU: 1
; Occupancy: 16
; WaveLimiterHint : 0
; COMPUTE_PGM_RSRC2:SCRATCH_EN: 0
; COMPUTE_PGM_RSRC2:USER_SGPR: 15
; COMPUTE_PGM_RSRC2:TRAP_HANDLER: 0
; COMPUTE_PGM_RSRC2:TGID_X_EN: 1
; COMPUTE_PGM_RSRC2:TGID_Y_EN: 0
; COMPUTE_PGM_RSRC2:TGID_Z_EN: 0
; COMPUTE_PGM_RSRC2:TIDIG_COMP_CNT: 0
	.section	.text._ZN7rocprim17ROCPRIM_400000_NS6detail17trampoline_kernelINS0_14default_configENS1_22reduce_config_selectorIiEEZNS1_11reduce_implILb1ES3_PiS7_iN6hipcub16HIPCUB_304000_NS6detail34convert_binary_result_type_wrapperINS9_3SumENS9_22TransformInputIteratorIbN2at6native12_GLOBAL__N_19NonZeroOpIfEEPKflEEiEEEE10hipError_tPvRmT1_T2_T3_mT4_P12ihipStream_tbEUlT_E1_NS1_11comp_targetILNS1_3genE10ELNS1_11target_archE1200ELNS1_3gpuE4ELNS1_3repE0EEENS1_30default_config_static_selectorELNS0_4arch9wavefront6targetE0EEEvSQ_,"axG",@progbits,_ZN7rocprim17ROCPRIM_400000_NS6detail17trampoline_kernelINS0_14default_configENS1_22reduce_config_selectorIiEEZNS1_11reduce_implILb1ES3_PiS7_iN6hipcub16HIPCUB_304000_NS6detail34convert_binary_result_type_wrapperINS9_3SumENS9_22TransformInputIteratorIbN2at6native12_GLOBAL__N_19NonZeroOpIfEEPKflEEiEEEE10hipError_tPvRmT1_T2_T3_mT4_P12ihipStream_tbEUlT_E1_NS1_11comp_targetILNS1_3genE10ELNS1_11target_archE1200ELNS1_3gpuE4ELNS1_3repE0EEENS1_30default_config_static_selectorELNS0_4arch9wavefront6targetE0EEEvSQ_,comdat
	.globl	_ZN7rocprim17ROCPRIM_400000_NS6detail17trampoline_kernelINS0_14default_configENS1_22reduce_config_selectorIiEEZNS1_11reduce_implILb1ES3_PiS7_iN6hipcub16HIPCUB_304000_NS6detail34convert_binary_result_type_wrapperINS9_3SumENS9_22TransformInputIteratorIbN2at6native12_GLOBAL__N_19NonZeroOpIfEEPKflEEiEEEE10hipError_tPvRmT1_T2_T3_mT4_P12ihipStream_tbEUlT_E1_NS1_11comp_targetILNS1_3genE10ELNS1_11target_archE1200ELNS1_3gpuE4ELNS1_3repE0EEENS1_30default_config_static_selectorELNS0_4arch9wavefront6targetE0EEEvSQ_ ; -- Begin function _ZN7rocprim17ROCPRIM_400000_NS6detail17trampoline_kernelINS0_14default_configENS1_22reduce_config_selectorIiEEZNS1_11reduce_implILb1ES3_PiS7_iN6hipcub16HIPCUB_304000_NS6detail34convert_binary_result_type_wrapperINS9_3SumENS9_22TransformInputIteratorIbN2at6native12_GLOBAL__N_19NonZeroOpIfEEPKflEEiEEEE10hipError_tPvRmT1_T2_T3_mT4_P12ihipStream_tbEUlT_E1_NS1_11comp_targetILNS1_3genE10ELNS1_11target_archE1200ELNS1_3gpuE4ELNS1_3repE0EEENS1_30default_config_static_selectorELNS0_4arch9wavefront6targetE0EEEvSQ_
	.p2align	8
	.type	_ZN7rocprim17ROCPRIM_400000_NS6detail17trampoline_kernelINS0_14default_configENS1_22reduce_config_selectorIiEEZNS1_11reduce_implILb1ES3_PiS7_iN6hipcub16HIPCUB_304000_NS6detail34convert_binary_result_type_wrapperINS9_3SumENS9_22TransformInputIteratorIbN2at6native12_GLOBAL__N_19NonZeroOpIfEEPKflEEiEEEE10hipError_tPvRmT1_T2_T3_mT4_P12ihipStream_tbEUlT_E1_NS1_11comp_targetILNS1_3genE10ELNS1_11target_archE1200ELNS1_3gpuE4ELNS1_3repE0EEENS1_30default_config_static_selectorELNS0_4arch9wavefront6targetE0EEEvSQ_,@function
_ZN7rocprim17ROCPRIM_400000_NS6detail17trampoline_kernelINS0_14default_configENS1_22reduce_config_selectorIiEEZNS1_11reduce_implILb1ES3_PiS7_iN6hipcub16HIPCUB_304000_NS6detail34convert_binary_result_type_wrapperINS9_3SumENS9_22TransformInputIteratorIbN2at6native12_GLOBAL__N_19NonZeroOpIfEEPKflEEiEEEE10hipError_tPvRmT1_T2_T3_mT4_P12ihipStream_tbEUlT_E1_NS1_11comp_targetILNS1_3genE10ELNS1_11target_archE1200ELNS1_3gpuE4ELNS1_3repE0EEENS1_30default_config_static_selectorELNS0_4arch9wavefront6targetE0EEEvSQ_: ; @_ZN7rocprim17ROCPRIM_400000_NS6detail17trampoline_kernelINS0_14default_configENS1_22reduce_config_selectorIiEEZNS1_11reduce_implILb1ES3_PiS7_iN6hipcub16HIPCUB_304000_NS6detail34convert_binary_result_type_wrapperINS9_3SumENS9_22TransformInputIteratorIbN2at6native12_GLOBAL__N_19NonZeroOpIfEEPKflEEiEEEE10hipError_tPvRmT1_T2_T3_mT4_P12ihipStream_tbEUlT_E1_NS1_11comp_targetILNS1_3genE10ELNS1_11target_archE1200ELNS1_3gpuE4ELNS1_3repE0EEENS1_30default_config_static_selectorELNS0_4arch9wavefront6targetE0EEEvSQ_
; %bb.0:
	.section	.rodata,"a",@progbits
	.p2align	6, 0x0
	.amdhsa_kernel _ZN7rocprim17ROCPRIM_400000_NS6detail17trampoline_kernelINS0_14default_configENS1_22reduce_config_selectorIiEEZNS1_11reduce_implILb1ES3_PiS7_iN6hipcub16HIPCUB_304000_NS6detail34convert_binary_result_type_wrapperINS9_3SumENS9_22TransformInputIteratorIbN2at6native12_GLOBAL__N_19NonZeroOpIfEEPKflEEiEEEE10hipError_tPvRmT1_T2_T3_mT4_P12ihipStream_tbEUlT_E1_NS1_11comp_targetILNS1_3genE10ELNS1_11target_archE1200ELNS1_3gpuE4ELNS1_3repE0EEENS1_30default_config_static_selectorELNS0_4arch9wavefront6targetE0EEEvSQ_
		.amdhsa_group_segment_fixed_size 0
		.amdhsa_private_segment_fixed_size 0
		.amdhsa_kernarg_size 40
		.amdhsa_user_sgpr_count 15
		.amdhsa_user_sgpr_dispatch_ptr 0
		.amdhsa_user_sgpr_queue_ptr 0
		.amdhsa_user_sgpr_kernarg_segment_ptr 1
		.amdhsa_user_sgpr_dispatch_id 0
		.amdhsa_user_sgpr_private_segment_size 0
		.amdhsa_wavefront_size32 1
		.amdhsa_uses_dynamic_stack 0
		.amdhsa_enable_private_segment 0
		.amdhsa_system_sgpr_workgroup_id_x 1
		.amdhsa_system_sgpr_workgroup_id_y 0
		.amdhsa_system_sgpr_workgroup_id_z 0
		.amdhsa_system_sgpr_workgroup_info 0
		.amdhsa_system_vgpr_workitem_id 0
		.amdhsa_next_free_vgpr 1
		.amdhsa_next_free_sgpr 1
		.amdhsa_reserve_vcc 0
		.amdhsa_float_round_mode_32 0
		.amdhsa_float_round_mode_16_64 0
		.amdhsa_float_denorm_mode_32 3
		.amdhsa_float_denorm_mode_16_64 3
		.amdhsa_dx10_clamp 1
		.amdhsa_ieee_mode 1
		.amdhsa_fp16_overflow 0
		.amdhsa_workgroup_processor_mode 1
		.amdhsa_memory_ordered 1
		.amdhsa_forward_progress 0
		.amdhsa_shared_vgpr_count 0
		.amdhsa_exception_fp_ieee_invalid_op 0
		.amdhsa_exception_fp_denorm_src 0
		.amdhsa_exception_fp_ieee_div_zero 0
		.amdhsa_exception_fp_ieee_overflow 0
		.amdhsa_exception_fp_ieee_underflow 0
		.amdhsa_exception_fp_ieee_inexact 0
		.amdhsa_exception_int_div_zero 0
	.end_amdhsa_kernel
	.section	.text._ZN7rocprim17ROCPRIM_400000_NS6detail17trampoline_kernelINS0_14default_configENS1_22reduce_config_selectorIiEEZNS1_11reduce_implILb1ES3_PiS7_iN6hipcub16HIPCUB_304000_NS6detail34convert_binary_result_type_wrapperINS9_3SumENS9_22TransformInputIteratorIbN2at6native12_GLOBAL__N_19NonZeroOpIfEEPKflEEiEEEE10hipError_tPvRmT1_T2_T3_mT4_P12ihipStream_tbEUlT_E1_NS1_11comp_targetILNS1_3genE10ELNS1_11target_archE1200ELNS1_3gpuE4ELNS1_3repE0EEENS1_30default_config_static_selectorELNS0_4arch9wavefront6targetE0EEEvSQ_,"axG",@progbits,_ZN7rocprim17ROCPRIM_400000_NS6detail17trampoline_kernelINS0_14default_configENS1_22reduce_config_selectorIiEEZNS1_11reduce_implILb1ES3_PiS7_iN6hipcub16HIPCUB_304000_NS6detail34convert_binary_result_type_wrapperINS9_3SumENS9_22TransformInputIteratorIbN2at6native12_GLOBAL__N_19NonZeroOpIfEEPKflEEiEEEE10hipError_tPvRmT1_T2_T3_mT4_P12ihipStream_tbEUlT_E1_NS1_11comp_targetILNS1_3genE10ELNS1_11target_archE1200ELNS1_3gpuE4ELNS1_3repE0EEENS1_30default_config_static_selectorELNS0_4arch9wavefront6targetE0EEEvSQ_,comdat
.Lfunc_end437:
	.size	_ZN7rocprim17ROCPRIM_400000_NS6detail17trampoline_kernelINS0_14default_configENS1_22reduce_config_selectorIiEEZNS1_11reduce_implILb1ES3_PiS7_iN6hipcub16HIPCUB_304000_NS6detail34convert_binary_result_type_wrapperINS9_3SumENS9_22TransformInputIteratorIbN2at6native12_GLOBAL__N_19NonZeroOpIfEEPKflEEiEEEE10hipError_tPvRmT1_T2_T3_mT4_P12ihipStream_tbEUlT_E1_NS1_11comp_targetILNS1_3genE10ELNS1_11target_archE1200ELNS1_3gpuE4ELNS1_3repE0EEENS1_30default_config_static_selectorELNS0_4arch9wavefront6targetE0EEEvSQ_, .Lfunc_end437-_ZN7rocprim17ROCPRIM_400000_NS6detail17trampoline_kernelINS0_14default_configENS1_22reduce_config_selectorIiEEZNS1_11reduce_implILb1ES3_PiS7_iN6hipcub16HIPCUB_304000_NS6detail34convert_binary_result_type_wrapperINS9_3SumENS9_22TransformInputIteratorIbN2at6native12_GLOBAL__N_19NonZeroOpIfEEPKflEEiEEEE10hipError_tPvRmT1_T2_T3_mT4_P12ihipStream_tbEUlT_E1_NS1_11comp_targetILNS1_3genE10ELNS1_11target_archE1200ELNS1_3gpuE4ELNS1_3repE0EEENS1_30default_config_static_selectorELNS0_4arch9wavefront6targetE0EEEvSQ_
                                        ; -- End function
	.section	.AMDGPU.csdata,"",@progbits
; Kernel info:
; codeLenInByte = 0
; NumSgprs: 0
; NumVgprs: 0
; ScratchSize: 0
; MemoryBound: 0
; FloatMode: 240
; IeeeMode: 1
; LDSByteSize: 0 bytes/workgroup (compile time only)
; SGPRBlocks: 0
; VGPRBlocks: 0
; NumSGPRsForWavesPerEU: 1
; NumVGPRsForWavesPerEU: 1
; Occupancy: 16
; WaveLimiterHint : 0
; COMPUTE_PGM_RSRC2:SCRATCH_EN: 0
; COMPUTE_PGM_RSRC2:USER_SGPR: 15
; COMPUTE_PGM_RSRC2:TRAP_HANDLER: 0
; COMPUTE_PGM_RSRC2:TGID_X_EN: 1
; COMPUTE_PGM_RSRC2:TGID_Y_EN: 0
; COMPUTE_PGM_RSRC2:TGID_Z_EN: 0
; COMPUTE_PGM_RSRC2:TIDIG_COMP_CNT: 0
	.section	.text._ZN7rocprim17ROCPRIM_400000_NS6detail17trampoline_kernelINS0_14default_configENS1_22reduce_config_selectorIiEEZNS1_11reduce_implILb1ES3_PiS7_iN6hipcub16HIPCUB_304000_NS6detail34convert_binary_result_type_wrapperINS9_3SumENS9_22TransformInputIteratorIbN2at6native12_GLOBAL__N_19NonZeroOpIfEEPKflEEiEEEE10hipError_tPvRmT1_T2_T3_mT4_P12ihipStream_tbEUlT_E1_NS1_11comp_targetILNS1_3genE9ELNS1_11target_archE1100ELNS1_3gpuE3ELNS1_3repE0EEENS1_30default_config_static_selectorELNS0_4arch9wavefront6targetE0EEEvSQ_,"axG",@progbits,_ZN7rocprim17ROCPRIM_400000_NS6detail17trampoline_kernelINS0_14default_configENS1_22reduce_config_selectorIiEEZNS1_11reduce_implILb1ES3_PiS7_iN6hipcub16HIPCUB_304000_NS6detail34convert_binary_result_type_wrapperINS9_3SumENS9_22TransformInputIteratorIbN2at6native12_GLOBAL__N_19NonZeroOpIfEEPKflEEiEEEE10hipError_tPvRmT1_T2_T3_mT4_P12ihipStream_tbEUlT_E1_NS1_11comp_targetILNS1_3genE9ELNS1_11target_archE1100ELNS1_3gpuE3ELNS1_3repE0EEENS1_30default_config_static_selectorELNS0_4arch9wavefront6targetE0EEEvSQ_,comdat
	.globl	_ZN7rocprim17ROCPRIM_400000_NS6detail17trampoline_kernelINS0_14default_configENS1_22reduce_config_selectorIiEEZNS1_11reduce_implILb1ES3_PiS7_iN6hipcub16HIPCUB_304000_NS6detail34convert_binary_result_type_wrapperINS9_3SumENS9_22TransformInputIteratorIbN2at6native12_GLOBAL__N_19NonZeroOpIfEEPKflEEiEEEE10hipError_tPvRmT1_T2_T3_mT4_P12ihipStream_tbEUlT_E1_NS1_11comp_targetILNS1_3genE9ELNS1_11target_archE1100ELNS1_3gpuE3ELNS1_3repE0EEENS1_30default_config_static_selectorELNS0_4arch9wavefront6targetE0EEEvSQ_ ; -- Begin function _ZN7rocprim17ROCPRIM_400000_NS6detail17trampoline_kernelINS0_14default_configENS1_22reduce_config_selectorIiEEZNS1_11reduce_implILb1ES3_PiS7_iN6hipcub16HIPCUB_304000_NS6detail34convert_binary_result_type_wrapperINS9_3SumENS9_22TransformInputIteratorIbN2at6native12_GLOBAL__N_19NonZeroOpIfEEPKflEEiEEEE10hipError_tPvRmT1_T2_T3_mT4_P12ihipStream_tbEUlT_E1_NS1_11comp_targetILNS1_3genE9ELNS1_11target_archE1100ELNS1_3gpuE3ELNS1_3repE0EEENS1_30default_config_static_selectorELNS0_4arch9wavefront6targetE0EEEvSQ_
	.p2align	8
	.type	_ZN7rocprim17ROCPRIM_400000_NS6detail17trampoline_kernelINS0_14default_configENS1_22reduce_config_selectorIiEEZNS1_11reduce_implILb1ES3_PiS7_iN6hipcub16HIPCUB_304000_NS6detail34convert_binary_result_type_wrapperINS9_3SumENS9_22TransformInputIteratorIbN2at6native12_GLOBAL__N_19NonZeroOpIfEEPKflEEiEEEE10hipError_tPvRmT1_T2_T3_mT4_P12ihipStream_tbEUlT_E1_NS1_11comp_targetILNS1_3genE9ELNS1_11target_archE1100ELNS1_3gpuE3ELNS1_3repE0EEENS1_30default_config_static_selectorELNS0_4arch9wavefront6targetE0EEEvSQ_,@function
_ZN7rocprim17ROCPRIM_400000_NS6detail17trampoline_kernelINS0_14default_configENS1_22reduce_config_selectorIiEEZNS1_11reduce_implILb1ES3_PiS7_iN6hipcub16HIPCUB_304000_NS6detail34convert_binary_result_type_wrapperINS9_3SumENS9_22TransformInputIteratorIbN2at6native12_GLOBAL__N_19NonZeroOpIfEEPKflEEiEEEE10hipError_tPvRmT1_T2_T3_mT4_P12ihipStream_tbEUlT_E1_NS1_11comp_targetILNS1_3genE9ELNS1_11target_archE1100ELNS1_3gpuE3ELNS1_3repE0EEENS1_30default_config_static_selectorELNS0_4arch9wavefront6targetE0EEEvSQ_: ; @_ZN7rocprim17ROCPRIM_400000_NS6detail17trampoline_kernelINS0_14default_configENS1_22reduce_config_selectorIiEEZNS1_11reduce_implILb1ES3_PiS7_iN6hipcub16HIPCUB_304000_NS6detail34convert_binary_result_type_wrapperINS9_3SumENS9_22TransformInputIteratorIbN2at6native12_GLOBAL__N_19NonZeroOpIfEEPKflEEiEEEE10hipError_tPvRmT1_T2_T3_mT4_P12ihipStream_tbEUlT_E1_NS1_11comp_targetILNS1_3genE9ELNS1_11target_archE1100ELNS1_3gpuE3ELNS1_3repE0EEENS1_30default_config_static_selectorELNS0_4arch9wavefront6targetE0EEEvSQ_
; %bb.0:
	s_clause 0x1
	s_load_b32 s24, s[0:1], 0x4
	s_load_b128 s[16:19], s[0:1], 0x8
	s_mov_b32 s20, s15
	s_waitcnt lgkmcnt(0)
	s_cmp_lt_i32 s24, 8
	s_cbranch_scc1 .LBB438_11
; %bb.1:
	s_cmp_gt_i32 s24, 15
	s_cbranch_scc0 .LBB438_12
; %bb.2:
	s_cmp_gt_i32 s24, 31
	s_cbranch_scc0 .LBB438_13
; %bb.3:
	s_cmp_eq_u32 s24, 32
	s_mov_b32 s6, 0
	s_cbranch_scc0 .LBB438_14
; %bb.4:
	s_mov_b32 s21, 0
	s_lshl_b32 s4, s20, 13
	s_mov_b32 s5, s21
	s_lshr_b64 s[8:9], s[18:19], 13
	s_lshl_b64 s[2:3], s[4:5], 2
	s_delay_alu instid0(SALU_CYCLE_1)
	s_add_u32 s2, s16, s2
	s_addc_u32 s3, s17, s3
	s_cmp_lg_u64 s[8:9], s[20:21]
	s_cbranch_scc0 .LBB438_23
; %bb.5:
	v_lshlrev_b32_e32 v5, 2, v0
	s_clause 0x1
	global_load_b32 v9, v5, s[2:3]
	global_load_b32 v10, v5, s[2:3] offset:1024
	v_add_co_u32 v7, s5, s2, v5
	s_delay_alu instid0(VALU_DEP_1) | instskip(SKIP_1) | instid1(VALU_DEP_2)
	v_add_co_ci_u32_e64 v8, null, s3, 0, s5
	s_mov_b32 s5, exec_lo
	v_add_co_u32 v1, vcc_lo, 0x1000, v7
	s_delay_alu instid0(VALU_DEP_2)
	v_add_co_ci_u32_e32 v2, vcc_lo, 0, v8, vcc_lo
	s_clause 0x2
	global_load_b32 v11, v5, s[2:3] offset:2048
	global_load_b32 v12, v5, s[2:3] offset:3072
	global_load_b32 v13, v[1:2], off offset:1024
	v_add_co_u32 v3, vcc_lo, v7, 0x2000
	v_add_co_ci_u32_e32 v4, vcc_lo, 0, v8, vcc_lo
	v_add_co_u32 v5, vcc_lo, 0x2000, v7
	v_add_co_ci_u32_e32 v6, vcc_lo, 0, v8, vcc_lo
	s_clause 0x4
	global_load_b32 v14, v[3:4], off offset:-4096
	global_load_b32 v15, v[3:4], off
	global_load_b32 v16, v[1:2], off offset:2048
	global_load_b32 v17, v[1:2], off offset:3072
	;; [unrolled: 1-line block ×3, first 2 shown]
	v_add_co_u32 v1, vcc_lo, 0x3000, v7
	v_add_co_ci_u32_e32 v2, vcc_lo, 0, v8, vcc_lo
	s_clause 0x2
	global_load_b32 v19, v[5:6], off offset:2048
	global_load_b32 v20, v[5:6], off offset:3072
	;; [unrolled: 1-line block ×3, first 2 shown]
	v_add_co_u32 v3, vcc_lo, v7, 0x4000
	v_add_co_ci_u32_e32 v4, vcc_lo, 0, v8, vcc_lo
	v_add_co_u32 v5, vcc_lo, 0x4000, v7
	v_add_co_ci_u32_e32 v6, vcc_lo, 0, v8, vcc_lo
	s_clause 0x4
	global_load_b32 v22, v[3:4], off offset:-4096
	global_load_b32 v23, v[3:4], off
	global_load_b32 v24, v[1:2], off offset:2048
	global_load_b32 v25, v[1:2], off offset:3072
	;; [unrolled: 1-line block ×3, first 2 shown]
	v_add_co_u32 v1, vcc_lo, 0x5000, v7
	v_add_co_ci_u32_e32 v2, vcc_lo, 0, v8, vcc_lo
	v_add_co_u32 v3, vcc_lo, v7, 0x6000
	v_add_co_ci_u32_e32 v4, vcc_lo, 0, v8, vcc_lo
	s_clause 0x3
	global_load_b32 v27, v[5:6], off offset:2048
	global_load_b32 v28, v[5:6], off offset:3072
	global_load_b32 v29, v[3:4], off offset:-4096
	global_load_b32 v30, v[1:2], off offset:1024
	v_add_co_u32 v5, vcc_lo, 0x6000, v7
	v_add_co_ci_u32_e32 v6, vcc_lo, 0, v8, vcc_lo
	s_clause 0x3
	global_load_b32 v31, v[1:2], off offset:2048
	global_load_b32 v32, v[1:2], off offset:3072
	global_load_b32 v3, v[3:4], off
	global_load_b32 v4, v[5:6], off offset:1024
	v_add_co_u32 v1, vcc_lo, 0x7000, v7
	v_add_co_ci_u32_e32 v2, vcc_lo, 0, v8, vcc_lo
	s_clause 0x5
	global_load_b32 v7, v[5:6], off offset:2048
	global_load_b32 v5, v[5:6], off offset:3072
	global_load_b32 v6, v[1:2], off
	global_load_b32 v8, v[1:2], off offset:1024
	global_load_b32 v33, v[1:2], off offset:2048
	;; [unrolled: 1-line block ×3, first 2 shown]
	s_waitcnt vmcnt(30)
	v_add_nc_u32_e32 v2, v10, v9
	s_waitcnt vmcnt(28)
	s_delay_alu instid0(VALU_DEP_1) | instskip(SKIP_1) | instid1(VALU_DEP_1)
	v_add3_u32 v2, v2, v11, v12
	s_waitcnt vmcnt(26)
	v_add3_u32 v2, v2, v14, v13
	s_waitcnt vmcnt(23)
	s_delay_alu instid0(VALU_DEP_1) | instskip(SKIP_1) | instid1(VALU_DEP_1)
	v_add3_u32 v2, v2, v16, v17
	s_waitcnt vmcnt(22)
	v_add3_u32 v2, v2, v15, v18
	;; [unrolled: 5-line block ×6, first 2 shown]
	v_mov_b32_e32 v3, 0
	s_waitcnt vmcnt(4)
	s_delay_alu instid0(VALU_DEP_2) | instskip(SKIP_1) | instid1(VALU_DEP_1)
	v_add3_u32 v2, v2, v7, v5
	s_waitcnt vmcnt(2)
	v_add3_u32 v2, v2, v6, v8
	s_waitcnt vmcnt(0)
	s_delay_alu instid0(VALU_DEP_1) | instskip(NEXT) | instid1(VALU_DEP_1)
	v_add3_u32 v1, v2, v33, v1
	v_mov_b32_dpp v2, v1 quad_perm:[1,0,3,2] row_mask:0xf bank_mask:0xf
	s_delay_alu instid0(VALU_DEP_1) | instskip(NEXT) | instid1(VALU_DEP_1)
	v_add_nc_u32_e32 v1, v2, v1
	v_mov_b32_dpp v2, v1 quad_perm:[2,3,0,1] row_mask:0xf bank_mask:0xf
	s_delay_alu instid0(VALU_DEP_1) | instskip(NEXT) | instid1(VALU_DEP_1)
	v_add_nc_u32_e32 v1, v1, v2
	v_mov_b32_dpp v2, v1 row_ror:4 row_mask:0xf bank_mask:0xf
	s_delay_alu instid0(VALU_DEP_1) | instskip(NEXT) | instid1(VALU_DEP_1)
	v_add_nc_u32_e32 v1, v1, v2
	v_mov_b32_dpp v2, v1 row_ror:8 row_mask:0xf bank_mask:0xf
	s_delay_alu instid0(VALU_DEP_1)
	v_add_nc_u32_e32 v1, v1, v2
	ds_swizzle_b32 v2, v1 offset:swizzle(BROADCAST,32,15)
	s_waitcnt lgkmcnt(0)
	v_add_nc_u32_e32 v1, v1, v2
	v_mbcnt_lo_u32_b32 v2, -1, 0
	ds_bpermute_b32 v1, v3, v1 offset:124
	v_cmpx_eq_u32_e32 0, v2
	s_cbranch_execz .LBB438_7
; %bb.6:
	v_lshrrev_b32_e32 v3, 3, v0
	s_delay_alu instid0(VALU_DEP_1)
	v_and_b32_e32 v3, 28, v3
	s_waitcnt lgkmcnt(0)
	ds_store_b32 v3, v1 offset:96
.LBB438_7:
	s_or_b32 exec_lo, exec_lo, s5
	s_delay_alu instid0(SALU_CYCLE_1)
	s_mov_b32 s5, exec_lo
	s_waitcnt lgkmcnt(0)
	s_barrier
	buffer_gl0_inv
	v_cmpx_gt_u32_e32 32, v0
	s_cbranch_execz .LBB438_9
; %bb.8:
	v_lshl_or_b32 v1, v2, 2, 0x60
	v_and_b32_e32 v3, 7, v2
	ds_load_b32 v1, v1
	v_cmp_ne_u32_e32 vcc_lo, 7, v3
	v_add_co_ci_u32_e32 v4, vcc_lo, 0, v2, vcc_lo
	v_cmp_gt_u32_e32 vcc_lo, 6, v3
	s_delay_alu instid0(VALU_DEP_2) | instskip(SKIP_2) | instid1(VALU_DEP_2)
	v_lshlrev_b32_e32 v4, 2, v4
	v_cndmask_b32_e64 v5, 0, 1, vcc_lo
	v_cmp_gt_u32_e32 vcc_lo, 4, v3
	v_lshlrev_b32_e32 v5, 1, v5
	v_cndmask_b32_e64 v3, 0, 1, vcc_lo
	s_waitcnt lgkmcnt(0)
	ds_bpermute_b32 v4, v4, v1
	v_add_lshl_u32 v5, v5, v2, 2
	v_lshlrev_b32_e32 v3, 2, v3
	s_delay_alu instid0(VALU_DEP_1)
	v_add_lshl_u32 v2, v3, v2, 2
	s_waitcnt lgkmcnt(0)
	v_add_nc_u32_e32 v1, v4, v1
	ds_bpermute_b32 v4, v5, v1
	s_waitcnt lgkmcnt(0)
	v_add_nc_u32_e32 v1, v4, v1
	ds_bpermute_b32 v2, v2, v1
	s_waitcnt lgkmcnt(0)
	v_add_nc_u32_e32 v1, v2, v1
.LBB438_9:
	s_or_b32 exec_lo, exec_lo, s5
.LBB438_10:
	v_cmp_eq_u32_e64 s2, 0, v0
	s_and_b32 vcc_lo, exec_lo, s6
	s_cbranch_vccnz .LBB438_15
	s_branch .LBB438_93
.LBB438_11:
	s_mov_b32 s2, 0
                                        ; implicit-def: $vgpr1
	s_cbranch_execnz .LBB438_166
	s_branch .LBB438_224
.LBB438_12:
	s_mov_b32 s2, 0
                                        ; implicit-def: $vgpr1
	s_cbranch_execnz .LBB438_134
	s_branch .LBB438_142
.LBB438_13:
	s_mov_b32 s6, -1
.LBB438_14:
	s_mov_b32 s2, 0
                                        ; implicit-def: $vgpr1
	s_and_b32 vcc_lo, exec_lo, s6
	s_cbranch_vccz .LBB438_93
.LBB438_15:
	s_cmp_eq_u32 s24, 16
	s_cbranch_scc0 .LBB438_22
; %bb.16:
	s_mov_b32 s21, 0
	s_lshl_b32 s2, s20, 12
	s_mov_b32 s3, s21
	s_lshr_b64 s[6:7], s[18:19], 12
	s_lshl_b64 s[4:5], s[2:3], 2
	s_delay_alu instid0(SALU_CYCLE_1)
	s_add_u32 s22, s16, s4
	s_addc_u32 s23, s17, s5
	s_cmp_lg_u64 s[6:7], s[20:21]
	s_cbranch_scc0 .LBB438_94
; %bb.17:
	v_lshlrev_b32_e32 v5, 2, v0
	s_clause 0x1
	global_load_b32 v9, v5, s[22:23]
	global_load_b32 v10, v5, s[22:23] offset:1024
	v_add_co_u32 v7, s3, s22, v5
	s_delay_alu instid0(VALU_DEP_1) | instskip(SKIP_1) | instid1(VALU_DEP_2)
	v_add_co_ci_u32_e64 v8, null, s23, 0, s3
	s_mov_b32 s3, exec_lo
	v_add_co_u32 v1, vcc_lo, 0x1000, v7
	s_delay_alu instid0(VALU_DEP_2)
	v_add_co_ci_u32_e32 v2, vcc_lo, 0, v8, vcc_lo
	v_add_co_u32 v3, vcc_lo, v7, 0x2000
	v_add_co_ci_u32_e32 v4, vcc_lo, 0, v8, vcc_lo
	s_clause 0x3
	global_load_b32 v11, v5, s[22:23] offset:2048
	global_load_b32 v12, v5, s[22:23] offset:3072
	global_load_b32 v13, v[3:4], off offset:-4096
	global_load_b32 v14, v[1:2], off offset:1024
	v_add_co_u32 v5, vcc_lo, 0x2000, v7
	v_add_co_ci_u32_e32 v6, vcc_lo, 0, v8, vcc_lo
	s_clause 0x3
	global_load_b32 v15, v[1:2], off offset:2048
	global_load_b32 v16, v[1:2], off offset:3072
	global_load_b32 v3, v[3:4], off
	global_load_b32 v4, v[5:6], off offset:1024
	v_add_co_u32 v1, vcc_lo, 0x3000, v7
	v_add_co_ci_u32_e32 v2, vcc_lo, 0, v8, vcc_lo
	s_clause 0x5
	global_load_b32 v7, v[5:6], off offset:2048
	global_load_b32 v5, v[5:6], off offset:3072
	global_load_b32 v6, v[1:2], off
	global_load_b32 v8, v[1:2], off offset:1024
	global_load_b32 v17, v[1:2], off offset:2048
	;; [unrolled: 1-line block ×3, first 2 shown]
	s_waitcnt vmcnt(14)
	v_add_nc_u32_e32 v2, v10, v9
	s_waitcnt vmcnt(12)
	s_delay_alu instid0(VALU_DEP_1) | instskip(SKIP_1) | instid1(VALU_DEP_1)
	v_add3_u32 v2, v2, v11, v12
	s_waitcnt vmcnt(10)
	v_add3_u32 v2, v2, v13, v14
	s_waitcnt vmcnt(8)
	s_delay_alu instid0(VALU_DEP_1) | instskip(SKIP_1) | instid1(VALU_DEP_1)
	v_add3_u32 v2, v2, v15, v16
	s_waitcnt vmcnt(6)
	v_add3_u32 v2, v2, v3, v4
	v_mov_b32_e32 v3, 0
	s_waitcnt vmcnt(4)
	s_delay_alu instid0(VALU_DEP_2) | instskip(SKIP_1) | instid1(VALU_DEP_1)
	v_add3_u32 v2, v2, v7, v5
	s_waitcnt vmcnt(2)
	v_add3_u32 v2, v2, v6, v8
	s_waitcnt vmcnt(0)
	s_delay_alu instid0(VALU_DEP_1) | instskip(NEXT) | instid1(VALU_DEP_1)
	v_add3_u32 v1, v2, v17, v1
	v_mov_b32_dpp v2, v1 quad_perm:[1,0,3,2] row_mask:0xf bank_mask:0xf
	s_delay_alu instid0(VALU_DEP_1) | instskip(NEXT) | instid1(VALU_DEP_1)
	v_add_nc_u32_e32 v1, v2, v1
	v_mov_b32_dpp v2, v1 quad_perm:[2,3,0,1] row_mask:0xf bank_mask:0xf
	s_delay_alu instid0(VALU_DEP_1) | instskip(NEXT) | instid1(VALU_DEP_1)
	v_add_nc_u32_e32 v1, v1, v2
	v_mov_b32_dpp v2, v1 row_ror:4 row_mask:0xf bank_mask:0xf
	s_delay_alu instid0(VALU_DEP_1) | instskip(NEXT) | instid1(VALU_DEP_1)
	v_add_nc_u32_e32 v1, v1, v2
	v_mov_b32_dpp v2, v1 row_ror:8 row_mask:0xf bank_mask:0xf
	s_delay_alu instid0(VALU_DEP_1)
	v_add_nc_u32_e32 v1, v1, v2
	ds_swizzle_b32 v2, v1 offset:swizzle(BROADCAST,32,15)
	s_waitcnt lgkmcnt(0)
	v_add_nc_u32_e32 v1, v1, v2
	v_mbcnt_lo_u32_b32 v2, -1, 0
	ds_bpermute_b32 v1, v3, v1 offset:124
	v_cmpx_eq_u32_e32 0, v2
	s_cbranch_execz .LBB438_19
; %bb.18:
	v_lshrrev_b32_e32 v3, 3, v0
	s_delay_alu instid0(VALU_DEP_1)
	v_and_b32_e32 v3, 28, v3
	s_waitcnt lgkmcnt(0)
	ds_store_b32 v3, v1
.LBB438_19:
	s_or_b32 exec_lo, exec_lo, s3
	s_delay_alu instid0(SALU_CYCLE_1)
	s_mov_b32 s3, exec_lo
	s_waitcnt lgkmcnt(0)
	s_barrier
	buffer_gl0_inv
	v_cmpx_gt_u32_e32 32, v0
	s_cbranch_execz .LBB438_21
; %bb.20:
	v_and_b32_e32 v1, 7, v2
	s_delay_alu instid0(VALU_DEP_1) | instskip(SKIP_4) | instid1(VALU_DEP_2)
	v_lshlrev_b32_e32 v3, 2, v1
	v_cmp_ne_u32_e32 vcc_lo, 7, v1
	ds_load_b32 v3, v3
	v_add_co_ci_u32_e32 v4, vcc_lo, 0, v2, vcc_lo
	v_cmp_gt_u32_e32 vcc_lo, 6, v1
	v_lshlrev_b32_e32 v4, 2, v4
	v_cndmask_b32_e64 v5, 0, 1, vcc_lo
	v_cmp_gt_u32_e32 vcc_lo, 4, v1
	s_delay_alu instid0(VALU_DEP_2) | instskip(SKIP_1) | instid1(VALU_DEP_2)
	v_lshlrev_b32_e32 v5, 1, v5
	v_cndmask_b32_e64 v1, 0, 1, vcc_lo
	v_add_lshl_u32 v5, v5, v2, 2
	s_delay_alu instid0(VALU_DEP_2)
	v_lshlrev_b32_e32 v1, 2, v1
	s_waitcnt lgkmcnt(0)
	ds_bpermute_b32 v4, v4, v3
	v_add_lshl_u32 v1, v1, v2, 2
	s_waitcnt lgkmcnt(0)
	v_add_nc_u32_e32 v3, v4, v3
	ds_bpermute_b32 v4, v5, v3
	s_waitcnt lgkmcnt(0)
	v_add_nc_u32_e32 v3, v4, v3
	ds_bpermute_b32 v1, v1, v3
	s_waitcnt lgkmcnt(0)
	v_add_nc_u32_e32 v1, v1, v3
.LBB438_21:
	s_or_b32 exec_lo, exec_lo, s3
	s_mov_b32 s3, 0
	s_branch .LBB438_95
.LBB438_22:
                                        ; implicit-def: $vgpr1
	s_branch .LBB438_142
.LBB438_23:
                                        ; implicit-def: $vgpr1
	s_cbranch_execz .LBB438_10
; %bb.24:
	s_sub_i32 s4, s18, s4
	s_mov_b32 s5, exec_lo
                                        ; implicit-def: $vgpr1
	v_cmpx_gt_u32_e64 s4, v0
	s_cbranch_execz .LBB438_26
; %bb.25:
	v_lshlrev_b32_e32 v1, 2, v0
	global_load_b32 v1, v1, s[2:3]
.LBB438_26:
	s_or_b32 exec_lo, exec_lo, s5
	v_or_b32_e32 v3, 0x100, v0
	v_mov_b32_e32 v2, 0
	s_delay_alu instid0(VALU_DEP_2)
	v_cmp_gt_u32_e32 vcc_lo, s4, v3
	v_mov_b32_e32 v3, 0
	s_and_saveexec_b32 s5, vcc_lo
	s_cbranch_execz .LBB438_28
; %bb.27:
	v_lshlrev_b32_e32 v3, 2, v0
	global_load_b32 v3, v3, s[2:3] offset:1024
.LBB438_28:
	s_or_b32 exec_lo, exec_lo, s5
	v_or_b32_e32 v4, 0x200, v0
	s_mov_b32 s5, exec_lo
	s_delay_alu instid0(VALU_DEP_1)
	v_cmpx_gt_u32_e64 s4, v4
	s_cbranch_execz .LBB438_30
; %bb.29:
	v_lshlrev_b32_e32 v2, 2, v0
	global_load_b32 v2, v2, s[2:3] offset:2048
.LBB438_30:
	s_or_b32 exec_lo, exec_lo, s5
	v_or_b32_e32 v5, 0x300, v0
	v_mov_b32_e32 v4, 0
	s_delay_alu instid0(VALU_DEP_2)
	v_cmp_gt_u32_e32 vcc_lo, s4, v5
	v_mov_b32_e32 v5, 0
	s_and_saveexec_b32 s5, vcc_lo
	s_cbranch_execz .LBB438_32
; %bb.31:
	v_lshlrev_b32_e32 v5, 2, v0
	global_load_b32 v5, v5, s[2:3] offset:3072
.LBB438_32:
	s_or_b32 exec_lo, exec_lo, s5
	v_or_b32_e32 v6, 0x400, v0
	s_mov_b32 s5, exec_lo
	s_delay_alu instid0(VALU_DEP_1)
	v_cmpx_gt_u32_e64 s4, v6
	s_cbranch_execz .LBB438_34
; %bb.33:
	v_lshlrev_b32_e32 v4, 2, v6
	global_load_b32 v4, v4, s[2:3]
.LBB438_34:
	s_or_b32 exec_lo, exec_lo, s5
	v_or_b32_e32 v8, 0x500, v0
	v_dual_mov_b32 v6, 0 :: v_dual_mov_b32 v7, 0
	s_mov_b32 s5, exec_lo
	s_delay_alu instid0(VALU_DEP_2)
	v_cmpx_gt_u32_e64 s4, v8
	s_cbranch_execz .LBB438_36
; %bb.35:
	v_lshlrev_b32_e32 v7, 2, v8
	global_load_b32 v7, v7, s[2:3]
.LBB438_36:
	s_or_b32 exec_lo, exec_lo, s5
	v_or_b32_e32 v8, 0x600, v0
	s_mov_b32 s5, exec_lo
	s_delay_alu instid0(VALU_DEP_1)
	v_cmpx_gt_u32_e64 s4, v8
	s_cbranch_execz .LBB438_38
; %bb.37:
	v_lshlrev_b32_e32 v6, 2, v8
	global_load_b32 v6, v6, s[2:3]
.LBB438_38:
	s_or_b32 exec_lo, exec_lo, s5
	v_or_b32_e32 v10, 0x700, v0
	v_dual_mov_b32 v8, 0 :: v_dual_mov_b32 v9, 0
	s_mov_b32 s5, exec_lo
	s_delay_alu instid0(VALU_DEP_2)
	v_cmpx_gt_u32_e64 s4, v10
	s_cbranch_execz .LBB438_40
; %bb.39:
	v_lshlrev_b32_e32 v9, 2, v10
	global_load_b32 v9, v9, s[2:3]
.LBB438_40:
	;; [unrolled: 21-line block ×13, first 2 shown]
	s_or_b32 exec_lo, exec_lo, s5
	v_or_b32_e32 v32, 0x1e00, v0
	s_mov_b32 s5, exec_lo
	s_delay_alu instid0(VALU_DEP_1)
	v_cmpx_gt_u32_e64 s4, v32
	s_cbranch_execz .LBB438_86
; %bb.85:
	v_lshlrev_b32_e32 v30, 2, v32
	global_load_b32 v30, v30, s[2:3]
.LBB438_86:
	s_or_b32 exec_lo, exec_lo, s5
	v_or_b32_e32 v33, 0x1f00, v0
	v_mov_b32_e32 v32, 0
	s_mov_b32 s5, exec_lo
	s_delay_alu instid0(VALU_DEP_2)
	v_cmpx_gt_u32_e64 s4, v33
	s_cbranch_execz .LBB438_88
; %bb.87:
	v_lshlrev_b32_e32 v32, 2, v33
	global_load_b32 v32, v32, s[2:3]
.LBB438_88:
	s_or_b32 exec_lo, exec_lo, s5
	s_waitcnt vmcnt(0)
	v_add_nc_u32_e32 v1, v3, v1
	s_min_u32 s2, s4, 0x100
	s_mov_b32 s3, exec_lo
	s_delay_alu instid0(VALU_DEP_1) | instskip(SKIP_1) | instid1(VALU_DEP_2)
	v_add3_u32 v1, v1, v2, v5
	v_mbcnt_lo_u32_b32 v2, -1, 0
	v_add3_u32 v1, v1, v4, v7
	s_delay_alu instid0(VALU_DEP_2) | instskip(NEXT) | instid1(VALU_DEP_2)
	v_cmp_ne_u32_e32 vcc_lo, 31, v2
	v_add3_u32 v1, v1, v6, v9
	v_add_co_ci_u32_e32 v3, vcc_lo, 0, v2, vcc_lo
	v_cmp_gt_u32_e32 vcc_lo, 30, v2
	v_add_nc_u32_e32 v6, 1, v2
	s_delay_alu instid0(VALU_DEP_4) | instskip(NEXT) | instid1(VALU_DEP_4)
	v_add3_u32 v1, v1, v8, v11
	v_lshlrev_b32_e32 v3, 2, v3
	v_cndmask_b32_e64 v5, 0, 1, vcc_lo
	s_delay_alu instid0(VALU_DEP_3) | instskip(NEXT) | instid1(VALU_DEP_2)
	v_add3_u32 v1, v1, v10, v13
	v_lshlrev_b32_e32 v5, 1, v5
	s_delay_alu instid0(VALU_DEP_2) | instskip(NEXT) | instid1(VALU_DEP_2)
	v_add3_u32 v1, v1, v12, v15
	v_add_lshl_u32 v5, v5, v2, 2
	s_delay_alu instid0(VALU_DEP_2) | instskip(NEXT) | instid1(VALU_DEP_1)
	v_add3_u32 v1, v1, v14, v17
	v_add3_u32 v1, v1, v16, v19
	s_delay_alu instid0(VALU_DEP_1) | instskip(NEXT) | instid1(VALU_DEP_1)
	v_add3_u32 v1, v1, v18, v21
	v_add3_u32 v1, v1, v20, v23
	s_delay_alu instid0(VALU_DEP_1) | instskip(NEXT) | instid1(VALU_DEP_1)
	;; [unrolled: 3-line block ×3, first 2 shown]
	v_add3_u32 v1, v1, v26, v29
	v_add3_u32 v1, v1, v28, v31
	s_delay_alu instid0(VALU_DEP_1) | instskip(SKIP_2) | instid1(VALU_DEP_1)
	v_add3_u32 v1, v1, v30, v32
	ds_bpermute_b32 v3, v3, v1
	v_and_b32_e32 v4, 0xe0, v0
	v_sub_nc_u32_e64 v4, s2, v4 clamp
	s_delay_alu instid0(VALU_DEP_1) | instskip(SKIP_3) | instid1(VALU_DEP_2)
	v_cmp_lt_u32_e32 vcc_lo, v6, v4
	s_waitcnt lgkmcnt(0)
	v_dual_cndmask_b32 v3, 0, v3 :: v_dual_add_nc_u32 v6, 2, v2
	v_cmp_gt_u32_e32 vcc_lo, 28, v2
	v_add_nc_u32_e32 v1, v3, v1
	ds_bpermute_b32 v3, v5, v1
	v_cndmask_b32_e64 v5, 0, 1, vcc_lo
	v_cmp_lt_u32_e32 vcc_lo, v6, v4
	v_add_nc_u32_e32 v6, 4, v2
	s_delay_alu instid0(VALU_DEP_3) | instskip(NEXT) | instid1(VALU_DEP_1)
	v_lshlrev_b32_e32 v5, 2, v5
	v_add_lshl_u32 v5, v5, v2, 2
	s_waitcnt lgkmcnt(0)
	v_cndmask_b32_e32 v3, 0, v3, vcc_lo
	v_cmp_gt_u32_e32 vcc_lo, 24, v2
	s_delay_alu instid0(VALU_DEP_2) | instskip(SKIP_4) | instid1(VALU_DEP_3)
	v_add_nc_u32_e32 v1, v1, v3
	ds_bpermute_b32 v3, v5, v1
	v_cndmask_b32_e64 v5, 0, 1, vcc_lo
	v_cmp_lt_u32_e32 vcc_lo, v6, v4
	v_add_nc_u32_e32 v6, 8, v2
	v_lshlrev_b32_e32 v5, 3, v5
	s_delay_alu instid0(VALU_DEP_1) | instskip(SKIP_3) | instid1(VALU_DEP_2)
	v_add_lshl_u32 v5, v5, v2, 2
	s_waitcnt lgkmcnt(0)
	v_cndmask_b32_e32 v3, 0, v3, vcc_lo
	v_cmp_gt_u32_e32 vcc_lo, 16, v2
	v_add_nc_u32_e32 v1, v1, v3
	ds_bpermute_b32 v3, v5, v1
	v_cndmask_b32_e64 v5, 0, 1, vcc_lo
	v_cmp_lt_u32_e32 vcc_lo, v6, v4
	s_delay_alu instid0(VALU_DEP_2) | instskip(NEXT) | instid1(VALU_DEP_1)
	v_lshlrev_b32_e32 v5, 4, v5
	v_add_lshl_u32 v5, v5, v2, 2
	s_waitcnt lgkmcnt(0)
	v_cndmask_b32_e32 v3, 0, v3, vcc_lo
	s_delay_alu instid0(VALU_DEP_1) | instskip(SKIP_2) | instid1(VALU_DEP_1)
	v_add_nc_u32_e32 v1, v1, v3
	ds_bpermute_b32 v3, v5, v1
	v_add_nc_u32_e32 v5, 16, v2
	v_cmp_lt_u32_e32 vcc_lo, v5, v4
	s_waitcnt lgkmcnt(0)
	v_cndmask_b32_e32 v3, 0, v3, vcc_lo
	s_delay_alu instid0(VALU_DEP_1)
	v_add_nc_u32_e32 v1, v1, v3
	v_cmpx_eq_u32_e32 0, v2
	s_cbranch_execz .LBB438_90
; %bb.89:
	v_lshrrev_b32_e32 v3, 3, v0
	s_delay_alu instid0(VALU_DEP_1)
	v_and_b32_e32 v3, 28, v3
	ds_store_b32 v3, v1 offset:192
.LBB438_90:
	s_or_b32 exec_lo, exec_lo, s3
	s_delay_alu instid0(SALU_CYCLE_1)
	s_mov_b32 s3, exec_lo
	s_waitcnt lgkmcnt(0)
	s_barrier
	buffer_gl0_inv
	v_cmpx_gt_u32_e32 8, v0
	s_cbranch_execz .LBB438_92
; %bb.91:
	v_and_b32_e32 v3, 7, v2
	s_add_i32 s2, s2, 31
	s_delay_alu instid0(SALU_CYCLE_1) | instskip(NEXT) | instid1(VALU_DEP_1)
	s_lshr_b32 s2, s2, 5
	v_cmp_ne_u32_e32 vcc_lo, 7, v3
	v_add_nc_u32_e32 v6, 1, v3
	v_add_co_ci_u32_e32 v4, vcc_lo, 0, v2, vcc_lo
	v_cmp_gt_u32_e32 vcc_lo, 6, v3
	s_delay_alu instid0(VALU_DEP_2) | instskip(SKIP_3) | instid1(VALU_DEP_3)
	v_lshlrev_b32_e32 v4, 2, v4
	v_cndmask_b32_e64 v5, 0, 1, vcc_lo
	v_cmp_gt_u32_e32 vcc_lo, s2, v6
	v_lshlrev_b32_e32 v1, 2, v2
	v_lshlrev_b32_e32 v5, 1, v5
	ds_load_b32 v1, v1 offset:192
	v_add_lshl_u32 v5, v5, v2, 2
	s_waitcnt lgkmcnt(0)
	ds_bpermute_b32 v4, v4, v1
	s_waitcnt lgkmcnt(0)
	v_cndmask_b32_e32 v4, 0, v4, vcc_lo
	v_cmp_gt_u32_e32 vcc_lo, 4, v3
	s_delay_alu instid0(VALU_DEP_2) | instskip(SKIP_3) | instid1(VALU_DEP_1)
	v_add_nc_u32_e32 v1, v4, v1
	v_cndmask_b32_e64 v6, 0, 1, vcc_lo
	ds_bpermute_b32 v4, v5, v1
	v_add_nc_u32_e32 v5, 2, v3
	v_cmp_gt_u32_e32 vcc_lo, s2, v5
	v_lshlrev_b32_e32 v5, 2, v6
	s_delay_alu instid0(VALU_DEP_1) | instskip(SKIP_2) | instid1(VALU_DEP_1)
	v_add_lshl_u32 v2, v5, v2, 2
	s_waitcnt lgkmcnt(0)
	v_dual_cndmask_b32 v4, 0, v4 :: v_dual_add_nc_u32 v3, 4, v3
	v_add_nc_u32_e32 v1, v1, v4
	s_delay_alu instid0(VALU_DEP_2) | instskip(SKIP_3) | instid1(VALU_DEP_1)
	v_cmp_gt_u32_e32 vcc_lo, s2, v3
	ds_bpermute_b32 v2, v2, v1
	s_waitcnt lgkmcnt(0)
	v_cndmask_b32_e32 v2, 0, v2, vcc_lo
	v_add_nc_u32_e32 v1, v1, v2
.LBB438_92:
	s_or_b32 exec_lo, exec_lo, s3
	v_cmp_eq_u32_e64 s2, 0, v0
	s_and_b32 vcc_lo, exec_lo, s6
	s_cbranch_vccnz .LBB438_15
.LBB438_93:
	s_branch .LBB438_142
.LBB438_94:
	s_mov_b32 s3, -1
                                        ; implicit-def: $vgpr1
.LBB438_95:
	s_delay_alu instid0(SALU_CYCLE_1)
	s_and_b32 vcc_lo, exec_lo, s3
	s_cbranch_vccz .LBB438_133
; %bb.96:
	s_sub_i32 s25, s18, s2
	s_mov_b32 s2, exec_lo
                                        ; implicit-def: $vgpr1_vgpr2_vgpr3_vgpr4_vgpr5_vgpr6_vgpr7_vgpr8_vgpr9_vgpr10_vgpr11_vgpr12_vgpr13_vgpr14_vgpr15_vgpr16
	v_cmpx_gt_u32_e64 s25, v0
	s_cbranch_execz .LBB438_98
; %bb.97:
	v_lshlrev_b32_e32 v1, 2, v0
	global_load_b32 v1, v1, s[22:23]
.LBB438_98:
	s_or_b32 exec_lo, exec_lo, s2
	v_or_b32_e32 v17, 0x100, v0
	s_delay_alu instid0(VALU_DEP_1)
	v_cmp_gt_u32_e32 vcc_lo, s25, v17
	s_and_saveexec_b32 s2, vcc_lo
	s_cbranch_execz .LBB438_100
; %bb.99:
	v_lshlrev_b32_e32 v2, 2, v0
	global_load_b32 v2, v2, s[22:23] offset:1024
.LBB438_100:
	s_or_b32 exec_lo, exec_lo, s2
	v_or_b32_e32 v17, 0x200, v0
	s_delay_alu instid0(VALU_DEP_1) | instskip(NEXT) | instid1(VALU_DEP_1)
	v_cmp_gt_u32_e64 s2, s25, v17
	s_and_saveexec_b32 s3, s2
	s_cbranch_execz .LBB438_102
; %bb.101:
	v_lshlrev_b32_e32 v3, 2, v0
	global_load_b32 v3, v3, s[22:23] offset:2048
.LBB438_102:
	s_or_b32 exec_lo, exec_lo, s3
	v_or_b32_e32 v17, 0x300, v0
	s_delay_alu instid0(VALU_DEP_1) | instskip(NEXT) | instid1(VALU_DEP_1)
	v_cmp_gt_u32_e64 s3, s25, v17
	s_and_saveexec_b32 s4, s3
	;; [unrolled: 10-line block ×3, first 2 shown]
	s_cbranch_execz .LBB438_106
; %bb.105:
	v_lshlrev_b32_e32 v5, 2, v17
	global_load_b32 v5, v5, s[22:23]
.LBB438_106:
	s_or_b32 exec_lo, exec_lo, s5
	v_or_b32_e32 v17, 0x500, v0
	s_delay_alu instid0(VALU_DEP_1) | instskip(NEXT) | instid1(VALU_DEP_1)
	v_cmp_gt_u32_e64 s5, s25, v17
	s_and_saveexec_b32 s6, s5
	s_cbranch_execz .LBB438_108
; %bb.107:
	v_lshlrev_b32_e32 v6, 2, v17
	global_load_b32 v6, v6, s[22:23]
.LBB438_108:
	s_or_b32 exec_lo, exec_lo, s6
	v_or_b32_e32 v17, 0x600, v0
	s_delay_alu instid0(VALU_DEP_1) | instskip(NEXT) | instid1(VALU_DEP_1)
	v_cmp_gt_u32_e64 s6, s25, v17
	s_and_saveexec_b32 s7, s6
	;; [unrolled: 10-line block ×11, first 2 shown]
	s_cbranch_execz .LBB438_128
; %bb.127:
	v_lshlrev_b32_e32 v16, 2, v17
	global_load_b32 v16, v16, s[22:23]
.LBB438_128:
	s_or_b32 exec_lo, exec_lo, s26
	s_waitcnt vmcnt(0)
	v_cndmask_b32_e32 v2, 0, v2, vcc_lo
	v_cndmask_b32_e64 v3, 0, v3, s2
	v_cndmask_b32_e64 v4, 0, v4, s3
	s_min_u32 s2, s25, 0x100
	s_mov_b32 s3, exec_lo
	v_add_nc_u32_e32 v1, v2, v1
	v_cndmask_b32_e64 v2, 0, v5, s4
	v_cndmask_b32_e64 v5, 0, v6, s5
	;; [unrolled: 1-line block ×3, first 2 shown]
	s_delay_alu instid0(VALU_DEP_4) | instskip(SKIP_3) | instid1(VALU_DEP_4)
	v_add3_u32 v1, v1, v3, v4
	v_cndmask_b32_e64 v3, 0, v7, s6
	v_cndmask_b32_e64 v4, 0, v8, s7
	v_cndmask_b32_e64 v7, 0, v15, s14
	v_add3_u32 v1, v1, v2, v5
	v_cndmask_b32_e64 v2, 0, v9, s8
	v_cndmask_b32_e64 v5, 0, v10, s9
	s_delay_alu instid0(VALU_DEP_3) | instskip(SKIP_2) | instid1(VALU_DEP_3)
	v_add3_u32 v1, v1, v3, v4
	v_cndmask_b32_e64 v3, 0, v11, s10
	v_cndmask_b32_e64 v4, 0, v12, s11
	v_add3_u32 v1, v1, v2, v5
	v_mbcnt_lo_u32_b32 v2, -1, 0
	v_cndmask_b32_e64 v5, 0, v13, s12
	s_delay_alu instid0(VALU_DEP_3) | instskip(NEXT) | instid1(VALU_DEP_3)
	v_add3_u32 v1, v1, v3, v4
	v_cmp_ne_u32_e32 vcc_lo, 31, v2
	v_cndmask_b32_e64 v3, 0, v16, s15
	s_delay_alu instid0(VALU_DEP_3) | instskip(SKIP_3) | instid1(VALU_DEP_4)
	v_add3_u32 v1, v1, v5, v6
	v_add_co_ci_u32_e32 v4, vcc_lo, 0, v2, vcc_lo
	v_cmp_gt_u32_e32 vcc_lo, 30, v2
	v_add_nc_u32_e32 v6, 1, v2
	v_add3_u32 v1, v1, v7, v3
	s_delay_alu instid0(VALU_DEP_4) | instskip(SKIP_4) | instid1(VALU_DEP_2)
	v_lshlrev_b32_e32 v4, 2, v4
	v_cndmask_b32_e64 v5, 0, 1, vcc_lo
	ds_bpermute_b32 v3, v4, v1
	v_and_b32_e32 v4, 0xe0, v0
	v_lshlrev_b32_e32 v5, 1, v5
	v_sub_nc_u32_e64 v4, s2, v4 clamp
	s_delay_alu instid0(VALU_DEP_2) | instskip(NEXT) | instid1(VALU_DEP_2)
	v_add_lshl_u32 v5, v5, v2, 2
	v_cmp_lt_u32_e32 vcc_lo, v6, v4
	s_waitcnt lgkmcnt(0)
	v_dual_cndmask_b32 v3, 0, v3 :: v_dual_add_nc_u32 v6, 2, v2
	v_cmp_gt_u32_e32 vcc_lo, 28, v2
	s_delay_alu instid0(VALU_DEP_2) | instskip(SKIP_4) | instid1(VALU_DEP_3)
	v_add_nc_u32_e32 v1, v1, v3
	ds_bpermute_b32 v3, v5, v1
	v_cndmask_b32_e64 v5, 0, 1, vcc_lo
	v_cmp_lt_u32_e32 vcc_lo, v6, v4
	v_add_nc_u32_e32 v6, 4, v2
	v_lshlrev_b32_e32 v5, 2, v5
	s_delay_alu instid0(VALU_DEP_1) | instskip(SKIP_3) | instid1(VALU_DEP_2)
	v_add_lshl_u32 v5, v5, v2, 2
	s_waitcnt lgkmcnt(0)
	v_cndmask_b32_e32 v3, 0, v3, vcc_lo
	v_cmp_gt_u32_e32 vcc_lo, 24, v2
	v_add_nc_u32_e32 v1, v1, v3
	ds_bpermute_b32 v3, v5, v1
	v_cndmask_b32_e64 v5, 0, 1, vcc_lo
	v_cmp_lt_u32_e32 vcc_lo, v6, v4
	v_add_nc_u32_e32 v6, 8, v2
	s_delay_alu instid0(VALU_DEP_3) | instskip(NEXT) | instid1(VALU_DEP_1)
	v_lshlrev_b32_e32 v5, 3, v5
	v_add_lshl_u32 v5, v5, v2, 2
	s_waitcnt lgkmcnt(0)
	v_cndmask_b32_e32 v3, 0, v3, vcc_lo
	v_cmp_gt_u32_e32 vcc_lo, 16, v2
	s_delay_alu instid0(VALU_DEP_2) | instskip(SKIP_3) | instid1(VALU_DEP_2)
	v_add_nc_u32_e32 v1, v1, v3
	ds_bpermute_b32 v3, v5, v1
	v_cndmask_b32_e64 v5, 0, 1, vcc_lo
	v_cmp_lt_u32_e32 vcc_lo, v6, v4
	v_lshlrev_b32_e32 v5, 4, v5
	s_delay_alu instid0(VALU_DEP_1) | instskip(SKIP_2) | instid1(VALU_DEP_1)
	v_add_lshl_u32 v5, v5, v2, 2
	s_waitcnt lgkmcnt(0)
	v_cndmask_b32_e32 v3, 0, v3, vcc_lo
	v_add_nc_u32_e32 v1, v1, v3
	ds_bpermute_b32 v3, v5, v1
	v_add_nc_u32_e32 v5, 16, v2
	s_delay_alu instid0(VALU_DEP_1) | instskip(SKIP_2) | instid1(VALU_DEP_1)
	v_cmp_lt_u32_e32 vcc_lo, v5, v4
	s_waitcnt lgkmcnt(0)
	v_cndmask_b32_e32 v3, 0, v3, vcc_lo
	v_add_nc_u32_e32 v1, v1, v3
	v_cmpx_eq_u32_e32 0, v2
	s_cbranch_execz .LBB438_130
; %bb.129:
	v_lshrrev_b32_e32 v3, 3, v0
	s_delay_alu instid0(VALU_DEP_1)
	v_and_b32_e32 v3, 28, v3
	ds_store_b32 v3, v1 offset:192
.LBB438_130:
	s_or_b32 exec_lo, exec_lo, s3
	s_delay_alu instid0(SALU_CYCLE_1)
	s_mov_b32 s3, exec_lo
	s_waitcnt lgkmcnt(0)
	s_barrier
	buffer_gl0_inv
	v_cmpx_gt_u32_e32 8, v0
	s_cbranch_execz .LBB438_132
; %bb.131:
	v_and_b32_e32 v3, 7, v2
	s_add_i32 s2, s2, 31
	s_delay_alu instid0(SALU_CYCLE_1) | instskip(NEXT) | instid1(VALU_DEP_1)
	s_lshr_b32 s2, s2, 5
	v_cmp_ne_u32_e32 vcc_lo, 7, v3
	v_add_nc_u32_e32 v6, 1, v3
	v_add_co_ci_u32_e32 v4, vcc_lo, 0, v2, vcc_lo
	v_cmp_gt_u32_e32 vcc_lo, 6, v3
	s_delay_alu instid0(VALU_DEP_2) | instskip(SKIP_3) | instid1(VALU_DEP_3)
	v_lshlrev_b32_e32 v4, 2, v4
	v_cndmask_b32_e64 v5, 0, 1, vcc_lo
	v_cmp_gt_u32_e32 vcc_lo, s2, v6
	v_lshlrev_b32_e32 v1, 2, v2
	v_lshlrev_b32_e32 v5, 1, v5
	ds_load_b32 v1, v1 offset:192
	v_add_lshl_u32 v5, v5, v2, 2
	s_waitcnt lgkmcnt(0)
	ds_bpermute_b32 v4, v4, v1
	s_waitcnt lgkmcnt(0)
	v_cndmask_b32_e32 v4, 0, v4, vcc_lo
	v_cmp_gt_u32_e32 vcc_lo, 4, v3
	s_delay_alu instid0(VALU_DEP_2) | instskip(SKIP_3) | instid1(VALU_DEP_1)
	v_add_nc_u32_e32 v1, v4, v1
	v_cndmask_b32_e64 v6, 0, 1, vcc_lo
	ds_bpermute_b32 v4, v5, v1
	v_add_nc_u32_e32 v5, 2, v3
	v_cmp_gt_u32_e32 vcc_lo, s2, v5
	v_lshlrev_b32_e32 v5, 2, v6
	s_delay_alu instid0(VALU_DEP_1) | instskip(SKIP_2) | instid1(VALU_DEP_1)
	v_add_lshl_u32 v2, v5, v2, 2
	s_waitcnt lgkmcnt(0)
	v_dual_cndmask_b32 v4, 0, v4 :: v_dual_add_nc_u32 v3, 4, v3
	v_add_nc_u32_e32 v1, v1, v4
	s_delay_alu instid0(VALU_DEP_2) | instskip(SKIP_3) | instid1(VALU_DEP_1)
	v_cmp_gt_u32_e32 vcc_lo, s2, v3
	ds_bpermute_b32 v2, v2, v1
	s_waitcnt lgkmcnt(0)
	v_cndmask_b32_e32 v2, 0, v2, vcc_lo
	v_add_nc_u32_e32 v1, v1, v2
.LBB438_132:
	s_or_b32 exec_lo, exec_lo, s3
.LBB438_133:
	v_cmp_eq_u32_e64 s2, 0, v0
	s_branch .LBB438_142
.LBB438_134:
	s_cmp_eq_u32 s24, 8
	s_cbranch_scc0 .LBB438_141
; %bb.135:
	s_mov_b32 s21, 0
	s_lshl_b32 s2, s20, 11
	s_mov_b32 s3, s21
	s_lshr_b64 s[6:7], s[18:19], 11
	s_lshl_b64 s[4:5], s[2:3], 2
	s_delay_alu instid0(SALU_CYCLE_1)
	s_add_u32 s8, s16, s4
	s_addc_u32 s9, s17, s5
	s_cmp_lg_u64 s[6:7], s[20:21]
	s_cbranch_scc0 .LBB438_143
; %bb.136:
	v_lshlrev_b32_e32 v3, 2, v0
	s_clause 0x1
	global_load_b32 v4, v3, s[8:9]
	global_load_b32 v5, v3, s[8:9] offset:1024
	v_add_co_u32 v1, s3, s8, v3
	s_delay_alu instid0(VALU_DEP_1) | instskip(SKIP_1) | instid1(VALU_DEP_2)
	v_add_co_ci_u32_e64 v2, null, s9, 0, s3
	s_mov_b32 s3, exec_lo
	v_add_co_u32 v1, vcc_lo, 0x1000, v1
	s_delay_alu instid0(VALU_DEP_2)
	v_add_co_ci_u32_e32 v2, vcc_lo, 0, v2, vcc_lo
	s_clause 0x5
	global_load_b32 v6, v3, s[8:9] offset:2048
	global_load_b32 v3, v3, s[8:9] offset:3072
	global_load_b32 v7, v[1:2], off
	global_load_b32 v8, v[1:2], off offset:1024
	global_load_b32 v9, v[1:2], off offset:2048
	;; [unrolled: 1-line block ×3, first 2 shown]
	s_waitcnt vmcnt(6)
	v_add_nc_u32_e32 v2, v5, v4
	s_waitcnt vmcnt(4)
	s_delay_alu instid0(VALU_DEP_1) | instskip(SKIP_2) | instid1(VALU_DEP_2)
	v_add3_u32 v2, v2, v6, v3
	v_mov_b32_e32 v3, 0
	s_waitcnt vmcnt(2)
	v_add3_u32 v2, v2, v7, v8
	s_waitcnt vmcnt(0)
	s_delay_alu instid0(VALU_DEP_1) | instskip(NEXT) | instid1(VALU_DEP_1)
	v_add3_u32 v1, v2, v9, v1
	v_mov_b32_dpp v2, v1 quad_perm:[1,0,3,2] row_mask:0xf bank_mask:0xf
	s_delay_alu instid0(VALU_DEP_1) | instskip(NEXT) | instid1(VALU_DEP_1)
	v_add_nc_u32_e32 v1, v2, v1
	v_mov_b32_dpp v2, v1 quad_perm:[2,3,0,1] row_mask:0xf bank_mask:0xf
	s_delay_alu instid0(VALU_DEP_1) | instskip(NEXT) | instid1(VALU_DEP_1)
	v_add_nc_u32_e32 v1, v1, v2
	v_mov_b32_dpp v2, v1 row_ror:4 row_mask:0xf bank_mask:0xf
	s_delay_alu instid0(VALU_DEP_1) | instskip(NEXT) | instid1(VALU_DEP_1)
	v_add_nc_u32_e32 v1, v1, v2
	v_mov_b32_dpp v2, v1 row_ror:8 row_mask:0xf bank_mask:0xf
	s_delay_alu instid0(VALU_DEP_1)
	v_add_nc_u32_e32 v1, v1, v2
	ds_swizzle_b32 v2, v1 offset:swizzle(BROADCAST,32,15)
	s_waitcnt lgkmcnt(0)
	v_add_nc_u32_e32 v1, v1, v2
	v_mbcnt_lo_u32_b32 v2, -1, 0
	ds_bpermute_b32 v1, v3, v1 offset:124
	v_cmpx_eq_u32_e32 0, v2
	s_cbranch_execz .LBB438_138
; %bb.137:
	v_lshrrev_b32_e32 v3, 3, v0
	s_delay_alu instid0(VALU_DEP_1)
	v_and_b32_e32 v3, 28, v3
	s_waitcnt lgkmcnt(0)
	ds_store_b32 v3, v1 offset:160
.LBB438_138:
	s_or_b32 exec_lo, exec_lo, s3
	s_delay_alu instid0(SALU_CYCLE_1)
	s_mov_b32 s3, exec_lo
	s_waitcnt lgkmcnt(0)
	s_barrier
	buffer_gl0_inv
	v_cmpx_gt_u32_e32 32, v0
	s_cbranch_execz .LBB438_140
; %bb.139:
	v_and_b32_e32 v1, 7, v2
	s_delay_alu instid0(VALU_DEP_1) | instskip(SKIP_4) | instid1(VALU_DEP_2)
	v_lshlrev_b32_e32 v3, 2, v1
	v_cmp_ne_u32_e32 vcc_lo, 7, v1
	ds_load_b32 v3, v3 offset:160
	v_add_co_ci_u32_e32 v4, vcc_lo, 0, v2, vcc_lo
	v_cmp_gt_u32_e32 vcc_lo, 6, v1
	v_lshlrev_b32_e32 v4, 2, v4
	v_cndmask_b32_e64 v5, 0, 1, vcc_lo
	v_cmp_gt_u32_e32 vcc_lo, 4, v1
	s_delay_alu instid0(VALU_DEP_2) | instskip(SKIP_1) | instid1(VALU_DEP_2)
	v_lshlrev_b32_e32 v5, 1, v5
	v_cndmask_b32_e64 v1, 0, 1, vcc_lo
	v_add_lshl_u32 v5, v5, v2, 2
	s_delay_alu instid0(VALU_DEP_2)
	v_lshlrev_b32_e32 v1, 2, v1
	s_waitcnt lgkmcnt(0)
	ds_bpermute_b32 v4, v4, v3
	v_add_lshl_u32 v1, v1, v2, 2
	s_waitcnt lgkmcnt(0)
	v_add_nc_u32_e32 v3, v4, v3
	ds_bpermute_b32 v4, v5, v3
	s_waitcnt lgkmcnt(0)
	v_add_nc_u32_e32 v3, v4, v3
	ds_bpermute_b32 v1, v1, v3
	s_waitcnt lgkmcnt(0)
	v_add_nc_u32_e32 v1, v1, v3
.LBB438_140:
	s_or_b32 exec_lo, exec_lo, s3
	s_branch .LBB438_165
.LBB438_141:
                                        ; implicit-def: $vgpr1
.LBB438_142:
	s_branch .LBB438_224
.LBB438_143:
                                        ; implicit-def: $vgpr1
	s_cbranch_execz .LBB438_165
; %bb.144:
	s_sub_i32 s10, s18, s2
	s_mov_b32 s2, exec_lo
                                        ; implicit-def: $vgpr1_vgpr2_vgpr3_vgpr4_vgpr5_vgpr6_vgpr7_vgpr8
	v_cmpx_gt_u32_e64 s10, v0
	s_cbranch_execz .LBB438_146
; %bb.145:
	v_lshlrev_b32_e32 v1, 2, v0
	global_load_b32 v1, v1, s[8:9]
.LBB438_146:
	s_or_b32 exec_lo, exec_lo, s2
	v_or_b32_e32 v9, 0x100, v0
	s_delay_alu instid0(VALU_DEP_1)
	v_cmp_gt_u32_e32 vcc_lo, s10, v9
	s_and_saveexec_b32 s2, vcc_lo
	s_cbranch_execz .LBB438_148
; %bb.147:
	v_lshlrev_b32_e32 v2, 2, v0
	global_load_b32 v2, v2, s[8:9] offset:1024
.LBB438_148:
	s_or_b32 exec_lo, exec_lo, s2
	v_or_b32_e32 v9, 0x200, v0
	s_delay_alu instid0(VALU_DEP_1) | instskip(NEXT) | instid1(VALU_DEP_1)
	v_cmp_gt_u32_e64 s2, s10, v9
	s_and_saveexec_b32 s3, s2
	s_cbranch_execz .LBB438_150
; %bb.149:
	v_lshlrev_b32_e32 v3, 2, v0
	global_load_b32 v3, v3, s[8:9] offset:2048
.LBB438_150:
	s_or_b32 exec_lo, exec_lo, s3
	v_or_b32_e32 v9, 0x300, v0
	s_delay_alu instid0(VALU_DEP_1) | instskip(NEXT) | instid1(VALU_DEP_1)
	v_cmp_gt_u32_e64 s3, s10, v9
	s_and_saveexec_b32 s4, s3
	;; [unrolled: 10-line block ×3, first 2 shown]
	s_cbranch_execz .LBB438_154
; %bb.153:
	v_lshlrev_b32_e32 v5, 2, v9
	global_load_b32 v5, v5, s[8:9]
.LBB438_154:
	s_or_b32 exec_lo, exec_lo, s5
	v_or_b32_e32 v9, 0x500, v0
	s_delay_alu instid0(VALU_DEP_1) | instskip(NEXT) | instid1(VALU_DEP_1)
	v_cmp_gt_u32_e64 s5, s10, v9
	s_and_saveexec_b32 s6, s5
	s_cbranch_execz .LBB438_156
; %bb.155:
	v_lshlrev_b32_e32 v6, 2, v9
	global_load_b32 v6, v6, s[8:9]
.LBB438_156:
	s_or_b32 exec_lo, exec_lo, s6
	v_or_b32_e32 v9, 0x600, v0
	s_delay_alu instid0(VALU_DEP_1) | instskip(NEXT) | instid1(VALU_DEP_1)
	v_cmp_gt_u32_e64 s6, s10, v9
	s_and_saveexec_b32 s7, s6
	;; [unrolled: 10-line block ×3, first 2 shown]
	s_cbranch_execz .LBB438_160
; %bb.159:
	v_lshlrev_b32_e32 v8, 2, v9
	global_load_b32 v8, v8, s[8:9]
.LBB438_160:
	s_or_b32 exec_lo, exec_lo, s11
	s_waitcnt vmcnt(0)
	v_cndmask_b32_e32 v2, 0, v2, vcc_lo
	v_cndmask_b32_e64 v3, 0, v3, s2
	v_cndmask_b32_e64 v4, 0, v4, s3
	;; [unrolled: 1-line block ×4, first 2 shown]
	v_add_nc_u32_e32 v1, v2, v1
	v_mbcnt_lo_u32_b32 v2, -1, 0
	v_cndmask_b32_e64 v7, 0, v7, s6
	s_min_u32 s2, s10, 0x100
	s_mov_b32 s3, exec_lo
	v_add3_u32 v1, v1, v3, v4
	v_cmp_ne_u32_e32 vcc_lo, 31, v2
	v_cndmask_b32_e64 v3, 0, v8, s7
	s_delay_alu instid0(VALU_DEP_3) | instskip(SKIP_3) | instid1(VALU_DEP_4)
	v_add3_u32 v1, v1, v5, v6
	v_add_co_ci_u32_e32 v4, vcc_lo, 0, v2, vcc_lo
	v_cmp_gt_u32_e32 vcc_lo, 30, v2
	v_add_nc_u32_e32 v6, 1, v2
	v_add3_u32 v1, v1, v7, v3
	s_delay_alu instid0(VALU_DEP_4) | instskip(SKIP_4) | instid1(VALU_DEP_2)
	v_lshlrev_b32_e32 v4, 2, v4
	v_cndmask_b32_e64 v5, 0, 1, vcc_lo
	ds_bpermute_b32 v3, v4, v1
	v_and_b32_e32 v4, 0xe0, v0
	v_lshlrev_b32_e32 v5, 1, v5
	v_sub_nc_u32_e64 v4, s2, v4 clamp
	s_delay_alu instid0(VALU_DEP_2) | instskip(NEXT) | instid1(VALU_DEP_2)
	v_add_lshl_u32 v5, v5, v2, 2
	v_cmp_lt_u32_e32 vcc_lo, v6, v4
	s_waitcnt lgkmcnt(0)
	v_dual_cndmask_b32 v3, 0, v3 :: v_dual_add_nc_u32 v6, 2, v2
	v_cmp_gt_u32_e32 vcc_lo, 28, v2
	s_delay_alu instid0(VALU_DEP_2) | instskip(SKIP_4) | instid1(VALU_DEP_3)
	v_add_nc_u32_e32 v1, v1, v3
	ds_bpermute_b32 v3, v5, v1
	v_cndmask_b32_e64 v5, 0, 1, vcc_lo
	v_cmp_lt_u32_e32 vcc_lo, v6, v4
	v_add_nc_u32_e32 v6, 4, v2
	v_lshlrev_b32_e32 v5, 2, v5
	s_delay_alu instid0(VALU_DEP_1) | instskip(SKIP_3) | instid1(VALU_DEP_2)
	v_add_lshl_u32 v5, v5, v2, 2
	s_waitcnt lgkmcnt(0)
	v_cndmask_b32_e32 v3, 0, v3, vcc_lo
	v_cmp_gt_u32_e32 vcc_lo, 24, v2
	v_add_nc_u32_e32 v1, v1, v3
	ds_bpermute_b32 v3, v5, v1
	v_cndmask_b32_e64 v5, 0, 1, vcc_lo
	v_cmp_lt_u32_e32 vcc_lo, v6, v4
	v_add_nc_u32_e32 v6, 8, v2
	s_delay_alu instid0(VALU_DEP_3) | instskip(NEXT) | instid1(VALU_DEP_1)
	v_lshlrev_b32_e32 v5, 3, v5
	v_add_lshl_u32 v5, v5, v2, 2
	s_waitcnt lgkmcnt(0)
	v_cndmask_b32_e32 v3, 0, v3, vcc_lo
	v_cmp_gt_u32_e32 vcc_lo, 16, v2
	s_delay_alu instid0(VALU_DEP_2) | instskip(SKIP_3) | instid1(VALU_DEP_2)
	v_add_nc_u32_e32 v1, v1, v3
	ds_bpermute_b32 v3, v5, v1
	v_cndmask_b32_e64 v5, 0, 1, vcc_lo
	v_cmp_lt_u32_e32 vcc_lo, v6, v4
	v_lshlrev_b32_e32 v5, 4, v5
	s_delay_alu instid0(VALU_DEP_1) | instskip(SKIP_2) | instid1(VALU_DEP_1)
	v_add_lshl_u32 v5, v5, v2, 2
	s_waitcnt lgkmcnt(0)
	v_cndmask_b32_e32 v3, 0, v3, vcc_lo
	v_add_nc_u32_e32 v1, v1, v3
	ds_bpermute_b32 v3, v5, v1
	v_add_nc_u32_e32 v5, 16, v2
	s_delay_alu instid0(VALU_DEP_1) | instskip(SKIP_2) | instid1(VALU_DEP_1)
	v_cmp_lt_u32_e32 vcc_lo, v5, v4
	s_waitcnt lgkmcnt(0)
	v_cndmask_b32_e32 v3, 0, v3, vcc_lo
	v_add_nc_u32_e32 v1, v1, v3
	v_cmpx_eq_u32_e32 0, v2
	s_cbranch_execz .LBB438_162
; %bb.161:
	v_lshrrev_b32_e32 v3, 3, v0
	s_delay_alu instid0(VALU_DEP_1)
	v_and_b32_e32 v3, 28, v3
	ds_store_b32 v3, v1 offset:192
.LBB438_162:
	s_or_b32 exec_lo, exec_lo, s3
	s_delay_alu instid0(SALU_CYCLE_1)
	s_mov_b32 s3, exec_lo
	s_waitcnt lgkmcnt(0)
	s_barrier
	buffer_gl0_inv
	v_cmpx_gt_u32_e32 8, v0
	s_cbranch_execz .LBB438_164
; %bb.163:
	v_and_b32_e32 v3, 7, v2
	s_add_i32 s2, s2, 31
	s_delay_alu instid0(SALU_CYCLE_1) | instskip(NEXT) | instid1(VALU_DEP_1)
	s_lshr_b32 s2, s2, 5
	v_cmp_ne_u32_e32 vcc_lo, 7, v3
	v_add_nc_u32_e32 v6, 1, v3
	v_add_co_ci_u32_e32 v4, vcc_lo, 0, v2, vcc_lo
	v_cmp_gt_u32_e32 vcc_lo, 6, v3
	s_delay_alu instid0(VALU_DEP_2) | instskip(SKIP_3) | instid1(VALU_DEP_3)
	v_lshlrev_b32_e32 v4, 2, v4
	v_cndmask_b32_e64 v5, 0, 1, vcc_lo
	v_cmp_gt_u32_e32 vcc_lo, s2, v6
	v_lshlrev_b32_e32 v1, 2, v2
	v_lshlrev_b32_e32 v5, 1, v5
	ds_load_b32 v1, v1 offset:192
	v_add_lshl_u32 v5, v5, v2, 2
	s_waitcnt lgkmcnt(0)
	ds_bpermute_b32 v4, v4, v1
	s_waitcnt lgkmcnt(0)
	v_cndmask_b32_e32 v4, 0, v4, vcc_lo
	v_cmp_gt_u32_e32 vcc_lo, 4, v3
	s_delay_alu instid0(VALU_DEP_2) | instskip(SKIP_3) | instid1(VALU_DEP_1)
	v_add_nc_u32_e32 v1, v4, v1
	v_cndmask_b32_e64 v6, 0, 1, vcc_lo
	ds_bpermute_b32 v4, v5, v1
	v_add_nc_u32_e32 v5, 2, v3
	v_cmp_gt_u32_e32 vcc_lo, s2, v5
	v_lshlrev_b32_e32 v5, 2, v6
	s_delay_alu instid0(VALU_DEP_1) | instskip(SKIP_2) | instid1(VALU_DEP_1)
	v_add_lshl_u32 v2, v5, v2, 2
	s_waitcnt lgkmcnt(0)
	v_dual_cndmask_b32 v4, 0, v4 :: v_dual_add_nc_u32 v3, 4, v3
	v_add_nc_u32_e32 v1, v1, v4
	s_delay_alu instid0(VALU_DEP_2) | instskip(SKIP_3) | instid1(VALU_DEP_1)
	v_cmp_gt_u32_e32 vcc_lo, s2, v3
	ds_bpermute_b32 v2, v2, v1
	s_waitcnt lgkmcnt(0)
	v_cndmask_b32_e32 v2, 0, v2, vcc_lo
	v_add_nc_u32_e32 v1, v1, v2
.LBB438_164:
	s_or_b32 exec_lo, exec_lo, s3
.LBB438_165:
	v_cmp_eq_u32_e64 s2, 0, v0
	s_branch .LBB438_224
.LBB438_166:
	s_cmp_gt_i32 s24, 1
	s_cbranch_scc0 .LBB438_175
; %bb.167:
	s_cmp_gt_i32 s24, 3
	s_cbranch_scc0 .LBB438_176
; %bb.168:
	s_cmp_eq_u32 s24, 4
	s_cbranch_scc0 .LBB438_177
; %bb.169:
	s_mov_b32 s21, 0
	s_lshl_b32 s2, s20, 10
	s_mov_b32 s3, s21
	s_lshr_b64 s[6:7], s[18:19], 10
	s_lshl_b64 s[4:5], s[2:3], 2
	s_delay_alu instid0(SALU_CYCLE_1)
	s_add_u32 s4, s16, s4
	s_addc_u32 s5, s17, s5
	s_cmp_lg_u64 s[6:7], s[20:21]
	s_cbranch_scc0 .LBB438_179
; %bb.170:
	v_lshlrev_b32_e32 v1, 2, v0
	s_mov_b32 s3, exec_lo
	s_clause 0x3
	global_load_b32 v2, v1, s[4:5]
	global_load_b32 v3, v1, s[4:5] offset:1024
	global_load_b32 v4, v1, s[4:5] offset:2048
	;; [unrolled: 1-line block ×3, first 2 shown]
	s_waitcnt vmcnt(2)
	v_add_nc_u32_e32 v2, v3, v2
	s_waitcnt vmcnt(0)
	s_delay_alu instid0(VALU_DEP_1) | instskip(NEXT) | instid1(VALU_DEP_1)
	v_add3_u32 v1, v2, v4, v1
	v_mov_b32_dpp v2, v1 quad_perm:[1,0,3,2] row_mask:0xf bank_mask:0xf
	s_delay_alu instid0(VALU_DEP_1) | instskip(NEXT) | instid1(VALU_DEP_1)
	v_add_nc_u32_e32 v1, v2, v1
	v_mov_b32_dpp v2, v1 quad_perm:[2,3,0,1] row_mask:0xf bank_mask:0xf
	s_delay_alu instid0(VALU_DEP_1) | instskip(NEXT) | instid1(VALU_DEP_1)
	v_add_nc_u32_e32 v1, v1, v2
	v_mov_b32_dpp v2, v1 row_ror:4 row_mask:0xf bank_mask:0xf
	s_delay_alu instid0(VALU_DEP_1) | instskip(NEXT) | instid1(VALU_DEP_1)
	v_add_nc_u32_e32 v1, v1, v2
	v_mov_b32_dpp v2, v1 row_ror:8 row_mask:0xf bank_mask:0xf
	s_delay_alu instid0(VALU_DEP_1)
	v_add_nc_u32_e32 v1, v1, v2
	ds_swizzle_b32 v2, v1 offset:swizzle(BROADCAST,32,15)
	s_waitcnt lgkmcnt(0)
	v_dual_mov_b32 v2, 0 :: v_dual_add_nc_u32 v1, v1, v2
	ds_bpermute_b32 v1, v2, v1 offset:124
	v_mbcnt_lo_u32_b32 v2, -1, 0
	s_delay_alu instid0(VALU_DEP_1)
	v_cmpx_eq_u32_e32 0, v2
	s_cbranch_execz .LBB438_172
; %bb.171:
	v_lshrrev_b32_e32 v3, 3, v0
	s_delay_alu instid0(VALU_DEP_1)
	v_and_b32_e32 v3, 28, v3
	s_waitcnt lgkmcnt(0)
	ds_store_b32 v3, v1 offset:128
.LBB438_172:
	s_or_b32 exec_lo, exec_lo, s3
	s_delay_alu instid0(SALU_CYCLE_1)
	s_mov_b32 s3, exec_lo
	s_waitcnt lgkmcnt(0)
	s_barrier
	buffer_gl0_inv
	v_cmpx_gt_u32_e32 32, v0
	s_cbranch_execz .LBB438_174
; %bb.173:
	v_and_b32_e32 v1, 7, v2
	s_delay_alu instid0(VALU_DEP_1) | instskip(SKIP_4) | instid1(VALU_DEP_2)
	v_lshlrev_b32_e32 v3, 2, v1
	v_cmp_ne_u32_e32 vcc_lo, 7, v1
	ds_load_b32 v3, v3 offset:128
	v_add_co_ci_u32_e32 v4, vcc_lo, 0, v2, vcc_lo
	v_cmp_gt_u32_e32 vcc_lo, 6, v1
	v_lshlrev_b32_e32 v4, 2, v4
	v_cndmask_b32_e64 v5, 0, 1, vcc_lo
	v_cmp_gt_u32_e32 vcc_lo, 4, v1
	s_delay_alu instid0(VALU_DEP_2) | instskip(SKIP_1) | instid1(VALU_DEP_2)
	v_lshlrev_b32_e32 v5, 1, v5
	v_cndmask_b32_e64 v1, 0, 1, vcc_lo
	v_add_lshl_u32 v5, v5, v2, 2
	s_delay_alu instid0(VALU_DEP_2)
	v_lshlrev_b32_e32 v1, 2, v1
	s_waitcnt lgkmcnt(0)
	ds_bpermute_b32 v4, v4, v3
	v_add_lshl_u32 v1, v1, v2, 2
	s_waitcnt lgkmcnt(0)
	v_add_nc_u32_e32 v3, v4, v3
	ds_bpermute_b32 v4, v5, v3
	s_waitcnt lgkmcnt(0)
	v_add_nc_u32_e32 v3, v4, v3
	ds_bpermute_b32 v1, v1, v3
	s_waitcnt lgkmcnt(0)
	v_add_nc_u32_e32 v1, v1, v3
.LBB438_174:
	s_or_b32 exec_lo, exec_lo, s3
	s_mov_b32 s3, 0
	s_branch .LBB438_180
.LBB438_175:
                                        ; implicit-def: $vgpr1
	s_cbranch_execnz .LBB438_215
	s_branch .LBB438_224
.LBB438_176:
                                        ; implicit-def: $vgpr1
	s_cbranch_execz .LBB438_178
	s_branch .LBB438_195
.LBB438_177:
                                        ; implicit-def: $vgpr1
.LBB438_178:
	s_branch .LBB438_224
.LBB438_179:
	s_mov_b32 s3, -1
                                        ; implicit-def: $vgpr1
.LBB438_180:
	s_delay_alu instid0(SALU_CYCLE_1)
	s_and_b32 vcc_lo, exec_lo, s3
	s_cbranch_vccz .LBB438_194
; %bb.181:
	s_sub_i32 s6, s18, s2
	s_mov_b32 s2, exec_lo
                                        ; implicit-def: $vgpr1_vgpr2_vgpr3_vgpr4
	v_cmpx_gt_u32_e64 s6, v0
	s_cbranch_execz .LBB438_183
; %bb.182:
	v_lshlrev_b32_e32 v1, 2, v0
	global_load_b32 v1, v1, s[4:5]
.LBB438_183:
	s_or_b32 exec_lo, exec_lo, s2
	v_or_b32_e32 v5, 0x100, v0
	s_delay_alu instid0(VALU_DEP_1)
	v_cmp_gt_u32_e32 vcc_lo, s6, v5
	s_and_saveexec_b32 s2, vcc_lo
	s_cbranch_execz .LBB438_185
; %bb.184:
	v_lshlrev_b32_e32 v2, 2, v0
	global_load_b32 v2, v2, s[4:5] offset:1024
.LBB438_185:
	s_or_b32 exec_lo, exec_lo, s2
	v_or_b32_e32 v5, 0x200, v0
	s_delay_alu instid0(VALU_DEP_1) | instskip(NEXT) | instid1(VALU_DEP_1)
	v_cmp_gt_u32_e64 s2, s6, v5
	s_and_saveexec_b32 s3, s2
	s_cbranch_execz .LBB438_187
; %bb.186:
	v_lshlrev_b32_e32 v3, 2, v0
	global_load_b32 v3, v3, s[4:5] offset:2048
.LBB438_187:
	s_or_b32 exec_lo, exec_lo, s3
	v_or_b32_e32 v5, 0x300, v0
	s_delay_alu instid0(VALU_DEP_1) | instskip(NEXT) | instid1(VALU_DEP_1)
	v_cmp_gt_u32_e64 s3, s6, v5
	s_and_saveexec_b32 s7, s3
	s_cbranch_execz .LBB438_189
; %bb.188:
	v_lshlrev_b32_e32 v4, 2, v0
	global_load_b32 v4, v4, s[4:5] offset:3072
.LBB438_189:
	s_or_b32 exec_lo, exec_lo, s7
	s_waitcnt vmcnt(0)
	v_cndmask_b32_e32 v5, 0, v2, vcc_lo
	v_mbcnt_lo_u32_b32 v2, -1, 0
	v_cndmask_b32_e64 v3, 0, v3, s2
	v_cndmask_b32_e64 v4, 0, v4, s3
	s_min_u32 s2, s6, 0x100
	v_add_nc_u32_e32 v1, v5, v1
	v_cmp_ne_u32_e32 vcc_lo, 31, v2
	s_mov_b32 s3, exec_lo
	s_delay_alu instid0(VALU_DEP_2) | instskip(SKIP_3) | instid1(VALU_DEP_3)
	v_add3_u32 v1, v1, v3, v4
	v_and_b32_e32 v4, 0xe0, v0
	v_add_co_ci_u32_e32 v5, vcc_lo, 0, v2, vcc_lo
	v_cmp_gt_u32_e32 vcc_lo, 30, v2
	v_sub_nc_u32_e64 v4, s2, v4 clamp
	s_delay_alu instid0(VALU_DEP_3) | instskip(SKIP_4) | instid1(VALU_DEP_2)
	v_lshlrev_b32_e32 v3, 2, v5
	v_cndmask_b32_e64 v5, 0, 1, vcc_lo
	ds_bpermute_b32 v3, v3, v1
	v_add_nc_u32_e32 v6, 1, v2
	v_lshlrev_b32_e32 v5, 1, v5
	v_cmp_lt_u32_e32 vcc_lo, v6, v4
	s_delay_alu instid0(VALU_DEP_2) | instskip(SKIP_3) | instid1(VALU_DEP_2)
	v_add_lshl_u32 v5, v5, v2, 2
	s_waitcnt lgkmcnt(0)
	v_cndmask_b32_e32 v3, 0, v3, vcc_lo
	v_cmp_gt_u32_e32 vcc_lo, 28, v2
	v_add_nc_u32_e32 v1, v3, v1
	ds_bpermute_b32 v3, v5, v1
	v_add_nc_u32_e32 v6, 2, v2
	v_cndmask_b32_e64 v5, 0, 1, vcc_lo
	s_delay_alu instid0(VALU_DEP_2) | instskip(NEXT) | instid1(VALU_DEP_2)
	v_cmp_lt_u32_e32 vcc_lo, v6, v4
	v_lshlrev_b32_e32 v5, 2, v5
	s_delay_alu instid0(VALU_DEP_1) | instskip(SKIP_3) | instid1(VALU_DEP_2)
	v_add_lshl_u32 v5, v5, v2, 2
	s_waitcnt lgkmcnt(0)
	v_cndmask_b32_e32 v3, 0, v3, vcc_lo
	v_cmp_gt_u32_e32 vcc_lo, 24, v2
	v_add_nc_u32_e32 v1, v1, v3
	ds_bpermute_b32 v3, v5, v1
	v_add_nc_u32_e32 v6, 4, v2
	v_cndmask_b32_e64 v5, 0, 1, vcc_lo
	s_delay_alu instid0(VALU_DEP_2) | instskip(NEXT) | instid1(VALU_DEP_2)
	v_cmp_lt_u32_e32 vcc_lo, v6, v4
	v_lshlrev_b32_e32 v5, 3, v5
	s_delay_alu instid0(VALU_DEP_1) | instskip(SKIP_3) | instid1(VALU_DEP_2)
	v_add_lshl_u32 v5, v5, v2, 2
	s_waitcnt lgkmcnt(0)
	v_cndmask_b32_e32 v3, 0, v3, vcc_lo
	v_cmp_gt_u32_e32 vcc_lo, 16, v2
	v_add_nc_u32_e32 v1, v1, v3
	ds_bpermute_b32 v3, v5, v1
	v_add_nc_u32_e32 v6, 8, v2
	v_cndmask_b32_e64 v5, 0, 1, vcc_lo
	s_delay_alu instid0(VALU_DEP_2) | instskip(NEXT) | instid1(VALU_DEP_2)
	v_cmp_lt_u32_e32 vcc_lo, v6, v4
	v_lshlrev_b32_e32 v5, 4, v5
	s_delay_alu instid0(VALU_DEP_1) | instskip(SKIP_2) | instid1(VALU_DEP_1)
	v_add_lshl_u32 v5, v5, v2, 2
	s_waitcnt lgkmcnt(0)
	v_cndmask_b32_e32 v3, 0, v3, vcc_lo
	v_add_nc_u32_e32 v1, v1, v3
	ds_bpermute_b32 v3, v5, v1
	v_add_nc_u32_e32 v5, 16, v2
	s_delay_alu instid0(VALU_DEP_1) | instskip(SKIP_2) | instid1(VALU_DEP_1)
	v_cmp_lt_u32_e32 vcc_lo, v5, v4
	s_waitcnt lgkmcnt(0)
	v_cndmask_b32_e32 v3, 0, v3, vcc_lo
	v_add_nc_u32_e32 v1, v1, v3
	v_cmpx_eq_u32_e32 0, v2
	s_cbranch_execz .LBB438_191
; %bb.190:
	v_lshrrev_b32_e32 v3, 3, v0
	s_delay_alu instid0(VALU_DEP_1)
	v_and_b32_e32 v3, 28, v3
	ds_store_b32 v3, v1 offset:192
.LBB438_191:
	s_or_b32 exec_lo, exec_lo, s3
	s_delay_alu instid0(SALU_CYCLE_1)
	s_mov_b32 s3, exec_lo
	s_waitcnt lgkmcnt(0)
	s_barrier
	buffer_gl0_inv
	v_cmpx_gt_u32_e32 8, v0
	s_cbranch_execz .LBB438_193
; %bb.192:
	v_and_b32_e32 v3, 7, v2
	s_add_i32 s2, s2, 31
	s_delay_alu instid0(SALU_CYCLE_1) | instskip(NEXT) | instid1(VALU_DEP_1)
	s_lshr_b32 s2, s2, 5
	v_cmp_ne_u32_e32 vcc_lo, 7, v3
	v_add_nc_u32_e32 v6, 1, v3
	v_add_co_ci_u32_e32 v4, vcc_lo, 0, v2, vcc_lo
	v_cmp_gt_u32_e32 vcc_lo, 6, v3
	s_delay_alu instid0(VALU_DEP_2) | instskip(SKIP_3) | instid1(VALU_DEP_3)
	v_lshlrev_b32_e32 v4, 2, v4
	v_cndmask_b32_e64 v5, 0, 1, vcc_lo
	v_cmp_gt_u32_e32 vcc_lo, s2, v6
	v_lshlrev_b32_e32 v1, 2, v2
	v_lshlrev_b32_e32 v5, 1, v5
	ds_load_b32 v1, v1 offset:192
	v_add_lshl_u32 v5, v5, v2, 2
	s_waitcnt lgkmcnt(0)
	ds_bpermute_b32 v4, v4, v1
	s_waitcnt lgkmcnt(0)
	v_cndmask_b32_e32 v4, 0, v4, vcc_lo
	v_cmp_gt_u32_e32 vcc_lo, 4, v3
	s_delay_alu instid0(VALU_DEP_2) | instskip(SKIP_3) | instid1(VALU_DEP_1)
	v_add_nc_u32_e32 v1, v4, v1
	v_cndmask_b32_e64 v6, 0, 1, vcc_lo
	ds_bpermute_b32 v4, v5, v1
	v_add_nc_u32_e32 v5, 2, v3
	v_cmp_gt_u32_e32 vcc_lo, s2, v5
	v_lshlrev_b32_e32 v5, 2, v6
	s_delay_alu instid0(VALU_DEP_1) | instskip(SKIP_2) | instid1(VALU_DEP_1)
	v_add_lshl_u32 v2, v5, v2, 2
	s_waitcnt lgkmcnt(0)
	v_dual_cndmask_b32 v4, 0, v4 :: v_dual_add_nc_u32 v3, 4, v3
	v_add_nc_u32_e32 v1, v1, v4
	s_delay_alu instid0(VALU_DEP_2) | instskip(SKIP_3) | instid1(VALU_DEP_1)
	v_cmp_gt_u32_e32 vcc_lo, s2, v3
	ds_bpermute_b32 v2, v2, v1
	s_waitcnt lgkmcnt(0)
	v_cndmask_b32_e32 v2, 0, v2, vcc_lo
	v_add_nc_u32_e32 v1, v1, v2
.LBB438_193:
	s_or_b32 exec_lo, exec_lo, s3
.LBB438_194:
	v_cmp_eq_u32_e64 s2, 0, v0
	s_branch .LBB438_178
.LBB438_195:
	s_cmp_eq_u32 s24, 2
	s_cbranch_scc0 .LBB438_202
; %bb.196:
	s_mov_b32 s21, 0
	s_lshl_b32 s4, s20, 9
	s_mov_b32 s5, s21
	s_lshr_b64 s[6:7], s[18:19], 9
	s_lshl_b64 s[2:3], s[4:5], 2
	s_delay_alu instid0(SALU_CYCLE_1)
	s_add_u32 s2, s16, s2
	s_addc_u32 s3, s17, s3
	s_cmp_lg_u64 s[6:7], s[20:21]
	s_cbranch_scc0 .LBB438_203
; %bb.197:
	v_lshlrev_b32_e32 v1, 2, v0
	s_mov_b32 s5, exec_lo
	s_clause 0x1
	global_load_b32 v2, v1, s[2:3]
	global_load_b32 v1, v1, s[2:3] offset:1024
	s_waitcnt vmcnt(0)
	v_add_nc_u32_e32 v1, v1, v2
	s_delay_alu instid0(VALU_DEP_1) | instskip(NEXT) | instid1(VALU_DEP_1)
	v_mov_b32_dpp v2, v1 quad_perm:[1,0,3,2] row_mask:0xf bank_mask:0xf
	v_add_nc_u32_e32 v1, v2, v1
	s_delay_alu instid0(VALU_DEP_1) | instskip(NEXT) | instid1(VALU_DEP_1)
	v_mov_b32_dpp v2, v1 quad_perm:[2,3,0,1] row_mask:0xf bank_mask:0xf
	v_add_nc_u32_e32 v1, v1, v2
	s_delay_alu instid0(VALU_DEP_1) | instskip(NEXT) | instid1(VALU_DEP_1)
	v_mov_b32_dpp v2, v1 row_ror:4 row_mask:0xf bank_mask:0xf
	v_add_nc_u32_e32 v1, v1, v2
	s_delay_alu instid0(VALU_DEP_1) | instskip(NEXT) | instid1(VALU_DEP_1)
	v_mov_b32_dpp v2, v1 row_ror:8 row_mask:0xf bank_mask:0xf
	v_add_nc_u32_e32 v1, v1, v2
	ds_swizzle_b32 v2, v1 offset:swizzle(BROADCAST,32,15)
	s_waitcnt lgkmcnt(0)
	v_dual_mov_b32 v2, 0 :: v_dual_add_nc_u32 v1, v1, v2
	ds_bpermute_b32 v1, v2, v1 offset:124
	v_mbcnt_lo_u32_b32 v2, -1, 0
	s_delay_alu instid0(VALU_DEP_1)
	v_cmpx_eq_u32_e32 0, v2
	s_cbranch_execz .LBB438_199
; %bb.198:
	v_lshrrev_b32_e32 v3, 3, v0
	s_delay_alu instid0(VALU_DEP_1)
	v_and_b32_e32 v3, 28, v3
	s_waitcnt lgkmcnt(0)
	ds_store_b32 v3, v1 offset:64
.LBB438_199:
	s_or_b32 exec_lo, exec_lo, s5
	s_delay_alu instid0(SALU_CYCLE_1)
	s_mov_b32 s5, exec_lo
	s_waitcnt lgkmcnt(0)
	s_barrier
	buffer_gl0_inv
	v_cmpx_gt_u32_e32 32, v0
	s_cbranch_execz .LBB438_201
; %bb.200:
	v_and_b32_e32 v1, 7, v2
	s_delay_alu instid0(VALU_DEP_1) | instskip(SKIP_4) | instid1(VALU_DEP_2)
	v_lshlrev_b32_e32 v3, 2, v1
	v_cmp_ne_u32_e32 vcc_lo, 7, v1
	ds_load_b32 v3, v3 offset:64
	v_add_co_ci_u32_e32 v4, vcc_lo, 0, v2, vcc_lo
	v_cmp_gt_u32_e32 vcc_lo, 6, v1
	v_lshlrev_b32_e32 v4, 2, v4
	v_cndmask_b32_e64 v5, 0, 1, vcc_lo
	v_cmp_gt_u32_e32 vcc_lo, 4, v1
	s_delay_alu instid0(VALU_DEP_2) | instskip(SKIP_1) | instid1(VALU_DEP_2)
	v_lshlrev_b32_e32 v5, 1, v5
	v_cndmask_b32_e64 v1, 0, 1, vcc_lo
	v_add_lshl_u32 v5, v5, v2, 2
	s_delay_alu instid0(VALU_DEP_2)
	v_lshlrev_b32_e32 v1, 2, v1
	s_waitcnt lgkmcnt(0)
	ds_bpermute_b32 v4, v4, v3
	v_add_lshl_u32 v1, v1, v2, 2
	s_waitcnt lgkmcnt(0)
	v_add_nc_u32_e32 v3, v4, v3
	ds_bpermute_b32 v4, v5, v3
	s_waitcnt lgkmcnt(0)
	v_add_nc_u32_e32 v3, v4, v3
	ds_bpermute_b32 v1, v1, v3
	s_waitcnt lgkmcnt(0)
	v_add_nc_u32_e32 v1, v1, v3
.LBB438_201:
	s_or_b32 exec_lo, exec_lo, s5
	s_mov_b32 s5, 0
	s_branch .LBB438_204
.LBB438_202:
                                        ; implicit-def: $vgpr1
	s_branch .LBB438_224
.LBB438_203:
	s_mov_b32 s5, -1
                                        ; implicit-def: $vgpr1
.LBB438_204:
	s_delay_alu instid0(SALU_CYCLE_1)
	s_and_b32 vcc_lo, exec_lo, s5
	s_cbranch_vccz .LBB438_214
; %bb.205:
	s_sub_i32 s4, s18, s4
	s_mov_b32 s5, exec_lo
                                        ; implicit-def: $vgpr1_vgpr2
	v_cmpx_gt_u32_e64 s4, v0
	s_cbranch_execz .LBB438_207
; %bb.206:
	v_lshlrev_b32_e32 v1, 2, v0
	global_load_b32 v1, v1, s[2:3]
.LBB438_207:
	s_or_b32 exec_lo, exec_lo, s5
	v_or_b32_e32 v3, 0x100, v0
	s_delay_alu instid0(VALU_DEP_1)
	v_cmp_gt_u32_e32 vcc_lo, s4, v3
	s_and_saveexec_b32 s5, vcc_lo
	s_cbranch_execz .LBB438_209
; %bb.208:
	v_lshlrev_b32_e32 v2, 2, v0
	global_load_b32 v2, v2, s[2:3] offset:1024
.LBB438_209:
	s_or_b32 exec_lo, exec_lo, s5
	v_mbcnt_lo_u32_b32 v3, -1, 0
	s_waitcnt vmcnt(0)
	v_cndmask_b32_e32 v2, 0, v2, vcc_lo
	s_min_u32 s2, s4, 0x100
	s_mov_b32 s3, exec_lo
	v_cmp_ne_u32_e32 vcc_lo, 31, v3
	v_add_nc_u32_e32 v6, 1, v3
	v_add_co_ci_u32_e32 v4, vcc_lo, 0, v3, vcc_lo
	v_cmp_gt_u32_e32 vcc_lo, 30, v3
	v_cndmask_b32_e64 v5, 0, 1, vcc_lo
	s_delay_alu instid0(VALU_DEP_1) | instskip(SKIP_3) | instid1(VALU_DEP_4)
	v_lshlrev_b32_e32 v5, 1, v5
	v_add_nc_u32_e32 v1, v2, v1
	v_lshlrev_b32_e32 v2, 2, v4
	v_and_b32_e32 v4, 0xe0, v0
	v_add_lshl_u32 v5, v5, v3, 2
	ds_bpermute_b32 v2, v2, v1
	v_sub_nc_u32_e64 v4, s2, v4 clamp
	s_delay_alu instid0(VALU_DEP_1) | instskip(SKIP_4) | instid1(VALU_DEP_2)
	v_cmp_lt_u32_e32 vcc_lo, v6, v4
	v_add_nc_u32_e32 v6, 2, v3
	s_waitcnt lgkmcnt(0)
	v_cndmask_b32_e32 v2, 0, v2, vcc_lo
	v_cmp_gt_u32_e32 vcc_lo, 28, v3
	v_add_nc_u32_e32 v1, v2, v1
	ds_bpermute_b32 v2, v5, v1
	v_cndmask_b32_e64 v5, 0, 1, vcc_lo
	v_cmp_lt_u32_e32 vcc_lo, v6, v4
	v_add_nc_u32_e32 v6, 4, v3
	s_delay_alu instid0(VALU_DEP_3) | instskip(NEXT) | instid1(VALU_DEP_1)
	v_lshlrev_b32_e32 v5, 2, v5
	v_add_lshl_u32 v5, v5, v3, 2
	s_waitcnt lgkmcnt(0)
	v_cndmask_b32_e32 v2, 0, v2, vcc_lo
	v_cmp_gt_u32_e32 vcc_lo, 24, v3
	s_delay_alu instid0(VALU_DEP_2) | instskip(SKIP_4) | instid1(VALU_DEP_3)
	v_add_nc_u32_e32 v1, v1, v2
	ds_bpermute_b32 v2, v5, v1
	v_cndmask_b32_e64 v5, 0, 1, vcc_lo
	v_cmp_lt_u32_e32 vcc_lo, v6, v4
	v_add_nc_u32_e32 v6, 8, v3
	v_lshlrev_b32_e32 v5, 3, v5
	s_delay_alu instid0(VALU_DEP_1) | instskip(SKIP_3) | instid1(VALU_DEP_2)
	v_add_lshl_u32 v5, v5, v3, 2
	s_waitcnt lgkmcnt(0)
	v_cndmask_b32_e32 v2, 0, v2, vcc_lo
	v_cmp_gt_u32_e32 vcc_lo, 16, v3
	v_add_nc_u32_e32 v1, v1, v2
	ds_bpermute_b32 v2, v5, v1
	v_cndmask_b32_e64 v5, 0, 1, vcc_lo
	v_cmp_lt_u32_e32 vcc_lo, v6, v4
	s_delay_alu instid0(VALU_DEP_2) | instskip(NEXT) | instid1(VALU_DEP_1)
	v_lshlrev_b32_e32 v5, 4, v5
	v_add_lshl_u32 v5, v5, v3, 2
	s_waitcnt lgkmcnt(0)
	v_cndmask_b32_e32 v2, 0, v2, vcc_lo
	s_delay_alu instid0(VALU_DEP_1) | instskip(SKIP_2) | instid1(VALU_DEP_1)
	v_add_nc_u32_e32 v1, v1, v2
	ds_bpermute_b32 v2, v5, v1
	v_add_nc_u32_e32 v5, 16, v3
	v_cmp_lt_u32_e32 vcc_lo, v5, v4
	s_waitcnt lgkmcnt(0)
	v_cndmask_b32_e32 v2, 0, v2, vcc_lo
	s_delay_alu instid0(VALU_DEP_1)
	v_add_nc_u32_e32 v1, v1, v2
	v_cmpx_eq_u32_e32 0, v3
	s_cbranch_execz .LBB438_211
; %bb.210:
	v_lshrrev_b32_e32 v2, 3, v0
	s_delay_alu instid0(VALU_DEP_1)
	v_and_b32_e32 v2, 28, v2
	ds_store_b32 v2, v1 offset:192
.LBB438_211:
	s_or_b32 exec_lo, exec_lo, s3
	s_delay_alu instid0(SALU_CYCLE_1)
	s_mov_b32 s3, exec_lo
	s_waitcnt lgkmcnt(0)
	s_barrier
	buffer_gl0_inv
	v_cmpx_gt_u32_e32 8, v0
	s_cbranch_execz .LBB438_213
; %bb.212:
	v_and_b32_e32 v2, 7, v3
	s_add_i32 s2, s2, 31
	s_delay_alu instid0(SALU_CYCLE_1) | instskip(NEXT) | instid1(VALU_DEP_1)
	s_lshr_b32 s2, s2, 5
	v_cmp_ne_u32_e32 vcc_lo, 7, v2
	v_add_nc_u32_e32 v6, 1, v2
	v_add_co_ci_u32_e32 v4, vcc_lo, 0, v3, vcc_lo
	v_cmp_gt_u32_e32 vcc_lo, 6, v2
	s_delay_alu instid0(VALU_DEP_2) | instskip(SKIP_3) | instid1(VALU_DEP_3)
	v_lshlrev_b32_e32 v4, 2, v4
	v_cndmask_b32_e64 v5, 0, 1, vcc_lo
	v_cmp_gt_u32_e32 vcc_lo, s2, v6
	v_lshlrev_b32_e32 v1, 2, v3
	v_lshlrev_b32_e32 v5, 1, v5
	ds_load_b32 v1, v1 offset:192
	v_add_lshl_u32 v5, v5, v3, 2
	s_waitcnt lgkmcnt(0)
	ds_bpermute_b32 v4, v4, v1
	s_waitcnt lgkmcnt(0)
	v_cndmask_b32_e32 v4, 0, v4, vcc_lo
	v_cmp_gt_u32_e32 vcc_lo, 4, v2
	s_delay_alu instid0(VALU_DEP_2) | instskip(SKIP_4) | instid1(VALU_DEP_2)
	v_add_nc_u32_e32 v1, v4, v1
	v_cndmask_b32_e64 v6, 0, 1, vcc_lo
	ds_bpermute_b32 v4, v5, v1
	v_add_nc_u32_e32 v5, 2, v2
	v_add_nc_u32_e32 v2, 4, v2
	v_cmp_gt_u32_e32 vcc_lo, s2, v5
	v_lshlrev_b32_e32 v5, 2, v6
	s_delay_alu instid0(VALU_DEP_1) | instskip(SKIP_3) | instid1(VALU_DEP_2)
	v_add_lshl_u32 v3, v5, v3, 2
	s_waitcnt lgkmcnt(0)
	v_cndmask_b32_e32 v4, 0, v4, vcc_lo
	v_cmp_gt_u32_e32 vcc_lo, s2, v2
	v_add_nc_u32_e32 v1, v1, v4
	ds_bpermute_b32 v3, v3, v1
	s_waitcnt lgkmcnt(0)
	v_cndmask_b32_e32 v2, 0, v3, vcc_lo
	s_delay_alu instid0(VALU_DEP_1)
	v_add_nc_u32_e32 v1, v1, v2
.LBB438_213:
	s_or_b32 exec_lo, exec_lo, s3
.LBB438_214:
	v_cmp_eq_u32_e64 s2, 0, v0
	s_branch .LBB438_224
.LBB438_215:
	s_cmp_eq_u32 s24, 1
	s_cbranch_scc0 .LBB438_223
; %bb.216:
	s_mov_b32 s3, 0
	v_mbcnt_lo_u32_b32 v2, -1, 0
	s_lshr_b64 s[4:5], s[18:19], 8
	s_mov_b32 s21, s3
	s_lshl_b32 s2, s20, 8
	s_cmp_lg_u64 s[4:5], s[20:21]
	s_cbranch_scc0 .LBB438_227
; %bb.217:
	s_lshl_b64 s[4:5], s[2:3], 2
	v_lshlrev_b32_e32 v1, 2, v0
	s_add_u32 s4, s16, s4
	s_addc_u32 s5, s17, s5
	global_load_b32 v1, v1, s[4:5]
	s_mov_b32 s4, exec_lo
	s_waitcnt vmcnt(0)
	v_mov_b32_dpp v3, v1 quad_perm:[1,0,3,2] row_mask:0xf bank_mask:0xf
	s_delay_alu instid0(VALU_DEP_1) | instskip(NEXT) | instid1(VALU_DEP_1)
	v_add_nc_u32_e32 v1, v3, v1
	v_mov_b32_dpp v3, v1 quad_perm:[2,3,0,1] row_mask:0xf bank_mask:0xf
	s_delay_alu instid0(VALU_DEP_1) | instskip(NEXT) | instid1(VALU_DEP_1)
	v_add_nc_u32_e32 v1, v1, v3
	v_mov_b32_dpp v3, v1 row_ror:4 row_mask:0xf bank_mask:0xf
	s_delay_alu instid0(VALU_DEP_1) | instskip(NEXT) | instid1(VALU_DEP_1)
	v_add_nc_u32_e32 v1, v1, v3
	v_mov_b32_dpp v3, v1 row_ror:8 row_mask:0xf bank_mask:0xf
	s_delay_alu instid0(VALU_DEP_1)
	v_add_nc_u32_e32 v1, v1, v3
	ds_swizzle_b32 v3, v1 offset:swizzle(BROADCAST,32,15)
	s_waitcnt lgkmcnt(0)
	v_add_nc_u32_e32 v1, v1, v3
	v_mov_b32_e32 v3, 0
	ds_bpermute_b32 v1, v3, v1 offset:124
	v_cmpx_eq_u32_e32 0, v2
	s_cbranch_execz .LBB438_219
; %bb.218:
	v_lshrrev_b32_e32 v3, 3, v0
	s_delay_alu instid0(VALU_DEP_1)
	v_and_b32_e32 v3, 28, v3
	s_waitcnt lgkmcnt(0)
	ds_store_b32 v3, v1 offset:32
.LBB438_219:
	s_or_b32 exec_lo, exec_lo, s4
	s_delay_alu instid0(SALU_CYCLE_1)
	s_mov_b32 s4, exec_lo
	s_waitcnt lgkmcnt(0)
	s_barrier
	buffer_gl0_inv
	v_cmpx_gt_u32_e32 32, v0
	s_cbranch_execz .LBB438_221
; %bb.220:
	v_and_b32_e32 v1, 7, v2
	s_delay_alu instid0(VALU_DEP_1) | instskip(SKIP_4) | instid1(VALU_DEP_2)
	v_lshlrev_b32_e32 v3, 2, v1
	v_cmp_ne_u32_e32 vcc_lo, 7, v1
	ds_load_b32 v3, v3 offset:32
	v_add_co_ci_u32_e32 v4, vcc_lo, 0, v2, vcc_lo
	v_cmp_gt_u32_e32 vcc_lo, 6, v1
	v_lshlrev_b32_e32 v4, 2, v4
	v_cndmask_b32_e64 v5, 0, 1, vcc_lo
	v_cmp_gt_u32_e32 vcc_lo, 4, v1
	s_delay_alu instid0(VALU_DEP_2) | instskip(SKIP_1) | instid1(VALU_DEP_2)
	v_lshlrev_b32_e32 v5, 1, v5
	v_cndmask_b32_e64 v1, 0, 1, vcc_lo
	v_add_lshl_u32 v5, v5, v2, 2
	s_delay_alu instid0(VALU_DEP_2)
	v_lshlrev_b32_e32 v1, 2, v1
	s_waitcnt lgkmcnt(0)
	ds_bpermute_b32 v4, v4, v3
	v_add_lshl_u32 v1, v1, v2, 2
	s_waitcnt lgkmcnt(0)
	v_add_nc_u32_e32 v3, v4, v3
	ds_bpermute_b32 v4, v5, v3
	s_waitcnt lgkmcnt(0)
	v_add_nc_u32_e32 v3, v4, v3
	ds_bpermute_b32 v1, v1, v3
	s_waitcnt lgkmcnt(0)
	v_add_nc_u32_e32 v1, v1, v3
.LBB438_221:
	s_or_b32 exec_lo, exec_lo, s4
.LBB438_222:
	v_cmp_eq_u32_e64 s2, 0, v0
	s_delay_alu instid0(VALU_DEP_1)
	s_and_saveexec_b32 s3, s2
	s_cbranch_execnz .LBB438_225
	s_branch .LBB438_226
.LBB438_223:
                                        ; implicit-def: $vgpr1
                                        ; implicit-def: $sgpr20_sgpr21
.LBB438_224:
	s_delay_alu instid0(VALU_DEP_1)
	s_and_saveexec_b32 s3, s2
	s_cbranch_execz .LBB438_226
.LBB438_225:
	s_clause 0x1
	s_load_b64 s[2:3], s[0:1], 0x18
	s_load_b32 s4, s[0:1], 0x20
	s_lshl_b64 s[0:1], s[20:21], 2
	s_waitcnt lgkmcnt(0)
	s_add_u32 s0, s2, s0
	s_addc_u32 s1, s3, s1
	s_cmp_lg_u64 s[18:19], 0
	s_cselect_b32 vcc_lo, -1, 0
	v_dual_cndmask_b32 v0, 0, v1 :: v_dual_mov_b32 v1, 0
	s_delay_alu instid0(VALU_DEP_1)
	v_add_nc_u32_e32 v0, s4, v0
	global_store_b32 v1, v0, s[0:1]
.LBB438_226:
	s_nop 0
	s_sendmsg sendmsg(MSG_DEALLOC_VGPRS)
	s_endpgm
.LBB438_227:
                                        ; implicit-def: $vgpr1
	s_cbranch_execz .LBB438_222
; %bb.228:
	s_sub_i32 s4, s18, s2
	s_mov_b32 s5, exec_lo
                                        ; implicit-def: $vgpr1
	v_cmpx_gt_u32_e64 s4, v0
	s_cbranch_execz .LBB438_230
; %bb.229:
	s_lshl_b64 s[2:3], s[2:3], 2
	v_lshlrev_b32_e32 v1, 2, v0
	s_add_u32 s2, s16, s2
	s_addc_u32 s3, s17, s3
	global_load_b32 v1, v1, s[2:3]
.LBB438_230:
	s_or_b32 exec_lo, exec_lo, s5
	v_cmp_ne_u32_e32 vcc_lo, 31, v2
	s_min_u32 s2, s4, 0x100
	v_add_nc_u32_e32 v5, 1, v2
	s_mov_b32 s3, exec_lo
	v_add_co_ci_u32_e32 v3, vcc_lo, 0, v2, vcc_lo
	v_cmp_gt_u32_e32 vcc_lo, 30, v2
	s_delay_alu instid0(VALU_DEP_2)
	v_lshlrev_b32_e32 v3, 2, v3
	v_cndmask_b32_e64 v6, 0, 1, vcc_lo
	s_waitcnt vmcnt(0)
	ds_bpermute_b32 v3, v3, v1
	v_and_b32_e32 v4, 0xe0, v0
	v_lshlrev_b32_e32 v6, 1, v6
	s_delay_alu instid0(VALU_DEP_2) | instskip(NEXT) | instid1(VALU_DEP_1)
	v_sub_nc_u32_e64 v4, s2, v4 clamp
	v_cmp_lt_u32_e32 vcc_lo, v5, v4
	s_delay_alu instid0(VALU_DEP_3) | instskip(SKIP_3) | instid1(VALU_DEP_2)
	v_add_lshl_u32 v5, v6, v2, 2
	s_waitcnt lgkmcnt(0)
	v_dual_cndmask_b32 v3, 0, v3 :: v_dual_add_nc_u32 v6, 2, v2
	v_cmp_gt_u32_e32 vcc_lo, 28, v2
	v_add_nc_u32_e32 v1, v3, v1
	ds_bpermute_b32 v3, v5, v1
	v_cndmask_b32_e64 v5, 0, 1, vcc_lo
	v_cmp_lt_u32_e32 vcc_lo, v6, v4
	v_add_nc_u32_e32 v6, 4, v2
	s_delay_alu instid0(VALU_DEP_3) | instskip(NEXT) | instid1(VALU_DEP_1)
	v_lshlrev_b32_e32 v5, 2, v5
	v_add_lshl_u32 v5, v5, v2, 2
	s_waitcnt lgkmcnt(0)
	v_cndmask_b32_e32 v3, 0, v3, vcc_lo
	v_cmp_gt_u32_e32 vcc_lo, 24, v2
	s_delay_alu instid0(VALU_DEP_2) | instskip(SKIP_4) | instid1(VALU_DEP_3)
	v_add_nc_u32_e32 v1, v1, v3
	ds_bpermute_b32 v3, v5, v1
	v_cndmask_b32_e64 v5, 0, 1, vcc_lo
	v_cmp_lt_u32_e32 vcc_lo, v6, v4
	v_add_nc_u32_e32 v6, 8, v2
	v_lshlrev_b32_e32 v5, 3, v5
	s_delay_alu instid0(VALU_DEP_1) | instskip(SKIP_3) | instid1(VALU_DEP_2)
	v_add_lshl_u32 v5, v5, v2, 2
	s_waitcnt lgkmcnt(0)
	v_cndmask_b32_e32 v3, 0, v3, vcc_lo
	v_cmp_gt_u32_e32 vcc_lo, 16, v2
	v_add_nc_u32_e32 v1, v1, v3
	ds_bpermute_b32 v3, v5, v1
	v_cndmask_b32_e64 v5, 0, 1, vcc_lo
	v_cmp_lt_u32_e32 vcc_lo, v6, v4
	s_delay_alu instid0(VALU_DEP_2) | instskip(NEXT) | instid1(VALU_DEP_1)
	v_lshlrev_b32_e32 v5, 4, v5
	v_add_lshl_u32 v5, v5, v2, 2
	s_waitcnt lgkmcnt(0)
	v_cndmask_b32_e32 v3, 0, v3, vcc_lo
	s_delay_alu instid0(VALU_DEP_1) | instskip(SKIP_2) | instid1(VALU_DEP_1)
	v_add_nc_u32_e32 v1, v1, v3
	ds_bpermute_b32 v3, v5, v1
	v_add_nc_u32_e32 v5, 16, v2
	v_cmp_lt_u32_e32 vcc_lo, v5, v4
	s_waitcnt lgkmcnt(0)
	v_cndmask_b32_e32 v3, 0, v3, vcc_lo
	s_delay_alu instid0(VALU_DEP_1)
	v_add_nc_u32_e32 v1, v1, v3
	v_cmpx_eq_u32_e32 0, v2
	s_cbranch_execz .LBB438_232
; %bb.231:
	v_lshrrev_b32_e32 v3, 3, v0
	s_delay_alu instid0(VALU_DEP_1)
	v_and_b32_e32 v3, 28, v3
	ds_store_b32 v3, v1 offset:192
.LBB438_232:
	s_or_b32 exec_lo, exec_lo, s3
	s_delay_alu instid0(SALU_CYCLE_1)
	s_mov_b32 s3, exec_lo
	s_waitcnt lgkmcnt(0)
	s_barrier
	buffer_gl0_inv
	v_cmpx_gt_u32_e32 8, v0
	s_cbranch_execz .LBB438_234
; %bb.233:
	v_and_b32_e32 v3, 7, v2
	s_add_i32 s2, s2, 31
	s_delay_alu instid0(SALU_CYCLE_1) | instskip(NEXT) | instid1(VALU_DEP_1)
	s_lshr_b32 s2, s2, 5
	v_cmp_ne_u32_e32 vcc_lo, 7, v3
	v_add_nc_u32_e32 v6, 1, v3
	v_add_co_ci_u32_e32 v4, vcc_lo, 0, v2, vcc_lo
	v_cmp_gt_u32_e32 vcc_lo, 6, v3
	s_delay_alu instid0(VALU_DEP_2) | instskip(SKIP_3) | instid1(VALU_DEP_3)
	v_lshlrev_b32_e32 v4, 2, v4
	v_cndmask_b32_e64 v5, 0, 1, vcc_lo
	v_cmp_gt_u32_e32 vcc_lo, s2, v6
	v_lshlrev_b32_e32 v1, 2, v2
	v_lshlrev_b32_e32 v5, 1, v5
	ds_load_b32 v1, v1 offset:192
	v_add_lshl_u32 v5, v5, v2, 2
	s_waitcnt lgkmcnt(0)
	ds_bpermute_b32 v4, v4, v1
	s_waitcnt lgkmcnt(0)
	v_cndmask_b32_e32 v4, 0, v4, vcc_lo
	v_cmp_gt_u32_e32 vcc_lo, 4, v3
	s_delay_alu instid0(VALU_DEP_2) | instskip(SKIP_3) | instid1(VALU_DEP_1)
	v_add_nc_u32_e32 v1, v4, v1
	v_cndmask_b32_e64 v6, 0, 1, vcc_lo
	ds_bpermute_b32 v4, v5, v1
	v_add_nc_u32_e32 v5, 2, v3
	v_cmp_gt_u32_e32 vcc_lo, s2, v5
	v_lshlrev_b32_e32 v5, 2, v6
	s_delay_alu instid0(VALU_DEP_1) | instskip(SKIP_2) | instid1(VALU_DEP_1)
	v_add_lshl_u32 v2, v5, v2, 2
	s_waitcnt lgkmcnt(0)
	v_dual_cndmask_b32 v4, 0, v4 :: v_dual_add_nc_u32 v3, 4, v3
	v_add_nc_u32_e32 v1, v1, v4
	s_delay_alu instid0(VALU_DEP_2) | instskip(SKIP_3) | instid1(VALU_DEP_1)
	v_cmp_gt_u32_e32 vcc_lo, s2, v3
	ds_bpermute_b32 v2, v2, v1
	s_waitcnt lgkmcnt(0)
	v_cndmask_b32_e32 v2, 0, v2, vcc_lo
	v_add_nc_u32_e32 v1, v1, v2
.LBB438_234:
	s_or_b32 exec_lo, exec_lo, s3
	v_cmp_eq_u32_e64 s2, 0, v0
	s_delay_alu instid0(VALU_DEP_1)
	s_and_saveexec_b32 s3, s2
	s_cbranch_execnz .LBB438_225
	s_branch .LBB438_226
	.section	.rodata,"a",@progbits
	.p2align	6, 0x0
	.amdhsa_kernel _ZN7rocprim17ROCPRIM_400000_NS6detail17trampoline_kernelINS0_14default_configENS1_22reduce_config_selectorIiEEZNS1_11reduce_implILb1ES3_PiS7_iN6hipcub16HIPCUB_304000_NS6detail34convert_binary_result_type_wrapperINS9_3SumENS9_22TransformInputIteratorIbN2at6native12_GLOBAL__N_19NonZeroOpIfEEPKflEEiEEEE10hipError_tPvRmT1_T2_T3_mT4_P12ihipStream_tbEUlT_E1_NS1_11comp_targetILNS1_3genE9ELNS1_11target_archE1100ELNS1_3gpuE3ELNS1_3repE0EEENS1_30default_config_static_selectorELNS0_4arch9wavefront6targetE0EEEvSQ_
		.amdhsa_group_segment_fixed_size 224
		.amdhsa_private_segment_fixed_size 0
		.amdhsa_kernarg_size 40
		.amdhsa_user_sgpr_count 15
		.amdhsa_user_sgpr_dispatch_ptr 0
		.amdhsa_user_sgpr_queue_ptr 0
		.amdhsa_user_sgpr_kernarg_segment_ptr 1
		.amdhsa_user_sgpr_dispatch_id 0
		.amdhsa_user_sgpr_private_segment_size 0
		.amdhsa_wavefront_size32 1
		.amdhsa_uses_dynamic_stack 0
		.amdhsa_enable_private_segment 0
		.amdhsa_system_sgpr_workgroup_id_x 1
		.amdhsa_system_sgpr_workgroup_id_y 0
		.amdhsa_system_sgpr_workgroup_id_z 0
		.amdhsa_system_sgpr_workgroup_info 0
		.amdhsa_system_vgpr_workitem_id 0
		.amdhsa_next_free_vgpr 34
		.amdhsa_next_free_sgpr 27
		.amdhsa_reserve_vcc 1
		.amdhsa_float_round_mode_32 0
		.amdhsa_float_round_mode_16_64 0
		.amdhsa_float_denorm_mode_32 3
		.amdhsa_float_denorm_mode_16_64 3
		.amdhsa_dx10_clamp 1
		.amdhsa_ieee_mode 1
		.amdhsa_fp16_overflow 0
		.amdhsa_workgroup_processor_mode 1
		.amdhsa_memory_ordered 1
		.amdhsa_forward_progress 0
		.amdhsa_shared_vgpr_count 0
		.amdhsa_exception_fp_ieee_invalid_op 0
		.amdhsa_exception_fp_denorm_src 0
		.amdhsa_exception_fp_ieee_div_zero 0
		.amdhsa_exception_fp_ieee_overflow 0
		.amdhsa_exception_fp_ieee_underflow 0
		.amdhsa_exception_fp_ieee_inexact 0
		.amdhsa_exception_int_div_zero 0
	.end_amdhsa_kernel
	.section	.text._ZN7rocprim17ROCPRIM_400000_NS6detail17trampoline_kernelINS0_14default_configENS1_22reduce_config_selectorIiEEZNS1_11reduce_implILb1ES3_PiS7_iN6hipcub16HIPCUB_304000_NS6detail34convert_binary_result_type_wrapperINS9_3SumENS9_22TransformInputIteratorIbN2at6native12_GLOBAL__N_19NonZeroOpIfEEPKflEEiEEEE10hipError_tPvRmT1_T2_T3_mT4_P12ihipStream_tbEUlT_E1_NS1_11comp_targetILNS1_3genE9ELNS1_11target_archE1100ELNS1_3gpuE3ELNS1_3repE0EEENS1_30default_config_static_selectorELNS0_4arch9wavefront6targetE0EEEvSQ_,"axG",@progbits,_ZN7rocprim17ROCPRIM_400000_NS6detail17trampoline_kernelINS0_14default_configENS1_22reduce_config_selectorIiEEZNS1_11reduce_implILb1ES3_PiS7_iN6hipcub16HIPCUB_304000_NS6detail34convert_binary_result_type_wrapperINS9_3SumENS9_22TransformInputIteratorIbN2at6native12_GLOBAL__N_19NonZeroOpIfEEPKflEEiEEEE10hipError_tPvRmT1_T2_T3_mT4_P12ihipStream_tbEUlT_E1_NS1_11comp_targetILNS1_3genE9ELNS1_11target_archE1100ELNS1_3gpuE3ELNS1_3repE0EEENS1_30default_config_static_selectorELNS0_4arch9wavefront6targetE0EEEvSQ_,comdat
.Lfunc_end438:
	.size	_ZN7rocprim17ROCPRIM_400000_NS6detail17trampoline_kernelINS0_14default_configENS1_22reduce_config_selectorIiEEZNS1_11reduce_implILb1ES3_PiS7_iN6hipcub16HIPCUB_304000_NS6detail34convert_binary_result_type_wrapperINS9_3SumENS9_22TransformInputIteratorIbN2at6native12_GLOBAL__N_19NonZeroOpIfEEPKflEEiEEEE10hipError_tPvRmT1_T2_T3_mT4_P12ihipStream_tbEUlT_E1_NS1_11comp_targetILNS1_3genE9ELNS1_11target_archE1100ELNS1_3gpuE3ELNS1_3repE0EEENS1_30default_config_static_selectorELNS0_4arch9wavefront6targetE0EEEvSQ_, .Lfunc_end438-_ZN7rocprim17ROCPRIM_400000_NS6detail17trampoline_kernelINS0_14default_configENS1_22reduce_config_selectorIiEEZNS1_11reduce_implILb1ES3_PiS7_iN6hipcub16HIPCUB_304000_NS6detail34convert_binary_result_type_wrapperINS9_3SumENS9_22TransformInputIteratorIbN2at6native12_GLOBAL__N_19NonZeroOpIfEEPKflEEiEEEE10hipError_tPvRmT1_T2_T3_mT4_P12ihipStream_tbEUlT_E1_NS1_11comp_targetILNS1_3genE9ELNS1_11target_archE1100ELNS1_3gpuE3ELNS1_3repE0EEENS1_30default_config_static_selectorELNS0_4arch9wavefront6targetE0EEEvSQ_
                                        ; -- End function
	.section	.AMDGPU.csdata,"",@progbits
; Kernel info:
; codeLenInByte = 10768
; NumSgprs: 29
; NumVgprs: 34
; ScratchSize: 0
; MemoryBound: 0
; FloatMode: 240
; IeeeMode: 1
; LDSByteSize: 224 bytes/workgroup (compile time only)
; SGPRBlocks: 3
; VGPRBlocks: 4
; NumSGPRsForWavesPerEU: 29
; NumVGPRsForWavesPerEU: 34
; Occupancy: 16
; WaveLimiterHint : 1
; COMPUTE_PGM_RSRC2:SCRATCH_EN: 0
; COMPUTE_PGM_RSRC2:USER_SGPR: 15
; COMPUTE_PGM_RSRC2:TRAP_HANDLER: 0
; COMPUTE_PGM_RSRC2:TGID_X_EN: 1
; COMPUTE_PGM_RSRC2:TGID_Y_EN: 0
; COMPUTE_PGM_RSRC2:TGID_Z_EN: 0
; COMPUTE_PGM_RSRC2:TIDIG_COMP_CNT: 0
	.section	.text._ZN7rocprim17ROCPRIM_400000_NS6detail17trampoline_kernelINS0_14default_configENS1_22reduce_config_selectorIiEEZNS1_11reduce_implILb1ES3_PiS7_iN6hipcub16HIPCUB_304000_NS6detail34convert_binary_result_type_wrapperINS9_3SumENS9_22TransformInputIteratorIbN2at6native12_GLOBAL__N_19NonZeroOpIfEEPKflEEiEEEE10hipError_tPvRmT1_T2_T3_mT4_P12ihipStream_tbEUlT_E1_NS1_11comp_targetILNS1_3genE8ELNS1_11target_archE1030ELNS1_3gpuE2ELNS1_3repE0EEENS1_30default_config_static_selectorELNS0_4arch9wavefront6targetE0EEEvSQ_,"axG",@progbits,_ZN7rocprim17ROCPRIM_400000_NS6detail17trampoline_kernelINS0_14default_configENS1_22reduce_config_selectorIiEEZNS1_11reduce_implILb1ES3_PiS7_iN6hipcub16HIPCUB_304000_NS6detail34convert_binary_result_type_wrapperINS9_3SumENS9_22TransformInputIteratorIbN2at6native12_GLOBAL__N_19NonZeroOpIfEEPKflEEiEEEE10hipError_tPvRmT1_T2_T3_mT4_P12ihipStream_tbEUlT_E1_NS1_11comp_targetILNS1_3genE8ELNS1_11target_archE1030ELNS1_3gpuE2ELNS1_3repE0EEENS1_30default_config_static_selectorELNS0_4arch9wavefront6targetE0EEEvSQ_,comdat
	.globl	_ZN7rocprim17ROCPRIM_400000_NS6detail17trampoline_kernelINS0_14default_configENS1_22reduce_config_selectorIiEEZNS1_11reduce_implILb1ES3_PiS7_iN6hipcub16HIPCUB_304000_NS6detail34convert_binary_result_type_wrapperINS9_3SumENS9_22TransformInputIteratorIbN2at6native12_GLOBAL__N_19NonZeroOpIfEEPKflEEiEEEE10hipError_tPvRmT1_T2_T3_mT4_P12ihipStream_tbEUlT_E1_NS1_11comp_targetILNS1_3genE8ELNS1_11target_archE1030ELNS1_3gpuE2ELNS1_3repE0EEENS1_30default_config_static_selectorELNS0_4arch9wavefront6targetE0EEEvSQ_ ; -- Begin function _ZN7rocprim17ROCPRIM_400000_NS6detail17trampoline_kernelINS0_14default_configENS1_22reduce_config_selectorIiEEZNS1_11reduce_implILb1ES3_PiS7_iN6hipcub16HIPCUB_304000_NS6detail34convert_binary_result_type_wrapperINS9_3SumENS9_22TransformInputIteratorIbN2at6native12_GLOBAL__N_19NonZeroOpIfEEPKflEEiEEEE10hipError_tPvRmT1_T2_T3_mT4_P12ihipStream_tbEUlT_E1_NS1_11comp_targetILNS1_3genE8ELNS1_11target_archE1030ELNS1_3gpuE2ELNS1_3repE0EEENS1_30default_config_static_selectorELNS0_4arch9wavefront6targetE0EEEvSQ_
	.p2align	8
	.type	_ZN7rocprim17ROCPRIM_400000_NS6detail17trampoline_kernelINS0_14default_configENS1_22reduce_config_selectorIiEEZNS1_11reduce_implILb1ES3_PiS7_iN6hipcub16HIPCUB_304000_NS6detail34convert_binary_result_type_wrapperINS9_3SumENS9_22TransformInputIteratorIbN2at6native12_GLOBAL__N_19NonZeroOpIfEEPKflEEiEEEE10hipError_tPvRmT1_T2_T3_mT4_P12ihipStream_tbEUlT_E1_NS1_11comp_targetILNS1_3genE8ELNS1_11target_archE1030ELNS1_3gpuE2ELNS1_3repE0EEENS1_30default_config_static_selectorELNS0_4arch9wavefront6targetE0EEEvSQ_,@function
_ZN7rocprim17ROCPRIM_400000_NS6detail17trampoline_kernelINS0_14default_configENS1_22reduce_config_selectorIiEEZNS1_11reduce_implILb1ES3_PiS7_iN6hipcub16HIPCUB_304000_NS6detail34convert_binary_result_type_wrapperINS9_3SumENS9_22TransformInputIteratorIbN2at6native12_GLOBAL__N_19NonZeroOpIfEEPKflEEiEEEE10hipError_tPvRmT1_T2_T3_mT4_P12ihipStream_tbEUlT_E1_NS1_11comp_targetILNS1_3genE8ELNS1_11target_archE1030ELNS1_3gpuE2ELNS1_3repE0EEENS1_30default_config_static_selectorELNS0_4arch9wavefront6targetE0EEEvSQ_: ; @_ZN7rocprim17ROCPRIM_400000_NS6detail17trampoline_kernelINS0_14default_configENS1_22reduce_config_selectorIiEEZNS1_11reduce_implILb1ES3_PiS7_iN6hipcub16HIPCUB_304000_NS6detail34convert_binary_result_type_wrapperINS9_3SumENS9_22TransformInputIteratorIbN2at6native12_GLOBAL__N_19NonZeroOpIfEEPKflEEiEEEE10hipError_tPvRmT1_T2_T3_mT4_P12ihipStream_tbEUlT_E1_NS1_11comp_targetILNS1_3genE8ELNS1_11target_archE1030ELNS1_3gpuE2ELNS1_3repE0EEENS1_30default_config_static_selectorELNS0_4arch9wavefront6targetE0EEEvSQ_
; %bb.0:
	.section	.rodata,"a",@progbits
	.p2align	6, 0x0
	.amdhsa_kernel _ZN7rocprim17ROCPRIM_400000_NS6detail17trampoline_kernelINS0_14default_configENS1_22reduce_config_selectorIiEEZNS1_11reduce_implILb1ES3_PiS7_iN6hipcub16HIPCUB_304000_NS6detail34convert_binary_result_type_wrapperINS9_3SumENS9_22TransformInputIteratorIbN2at6native12_GLOBAL__N_19NonZeroOpIfEEPKflEEiEEEE10hipError_tPvRmT1_T2_T3_mT4_P12ihipStream_tbEUlT_E1_NS1_11comp_targetILNS1_3genE8ELNS1_11target_archE1030ELNS1_3gpuE2ELNS1_3repE0EEENS1_30default_config_static_selectorELNS0_4arch9wavefront6targetE0EEEvSQ_
		.amdhsa_group_segment_fixed_size 0
		.amdhsa_private_segment_fixed_size 0
		.amdhsa_kernarg_size 40
		.amdhsa_user_sgpr_count 15
		.amdhsa_user_sgpr_dispatch_ptr 0
		.amdhsa_user_sgpr_queue_ptr 0
		.amdhsa_user_sgpr_kernarg_segment_ptr 1
		.amdhsa_user_sgpr_dispatch_id 0
		.amdhsa_user_sgpr_private_segment_size 0
		.amdhsa_wavefront_size32 1
		.amdhsa_uses_dynamic_stack 0
		.amdhsa_enable_private_segment 0
		.amdhsa_system_sgpr_workgroup_id_x 1
		.amdhsa_system_sgpr_workgroup_id_y 0
		.amdhsa_system_sgpr_workgroup_id_z 0
		.amdhsa_system_sgpr_workgroup_info 0
		.amdhsa_system_vgpr_workitem_id 0
		.amdhsa_next_free_vgpr 1
		.amdhsa_next_free_sgpr 1
		.amdhsa_reserve_vcc 0
		.amdhsa_float_round_mode_32 0
		.amdhsa_float_round_mode_16_64 0
		.amdhsa_float_denorm_mode_32 3
		.amdhsa_float_denorm_mode_16_64 3
		.amdhsa_dx10_clamp 1
		.amdhsa_ieee_mode 1
		.amdhsa_fp16_overflow 0
		.amdhsa_workgroup_processor_mode 1
		.amdhsa_memory_ordered 1
		.amdhsa_forward_progress 0
		.amdhsa_shared_vgpr_count 0
		.amdhsa_exception_fp_ieee_invalid_op 0
		.amdhsa_exception_fp_denorm_src 0
		.amdhsa_exception_fp_ieee_div_zero 0
		.amdhsa_exception_fp_ieee_overflow 0
		.amdhsa_exception_fp_ieee_underflow 0
		.amdhsa_exception_fp_ieee_inexact 0
		.amdhsa_exception_int_div_zero 0
	.end_amdhsa_kernel
	.section	.text._ZN7rocprim17ROCPRIM_400000_NS6detail17trampoline_kernelINS0_14default_configENS1_22reduce_config_selectorIiEEZNS1_11reduce_implILb1ES3_PiS7_iN6hipcub16HIPCUB_304000_NS6detail34convert_binary_result_type_wrapperINS9_3SumENS9_22TransformInputIteratorIbN2at6native12_GLOBAL__N_19NonZeroOpIfEEPKflEEiEEEE10hipError_tPvRmT1_T2_T3_mT4_P12ihipStream_tbEUlT_E1_NS1_11comp_targetILNS1_3genE8ELNS1_11target_archE1030ELNS1_3gpuE2ELNS1_3repE0EEENS1_30default_config_static_selectorELNS0_4arch9wavefront6targetE0EEEvSQ_,"axG",@progbits,_ZN7rocprim17ROCPRIM_400000_NS6detail17trampoline_kernelINS0_14default_configENS1_22reduce_config_selectorIiEEZNS1_11reduce_implILb1ES3_PiS7_iN6hipcub16HIPCUB_304000_NS6detail34convert_binary_result_type_wrapperINS9_3SumENS9_22TransformInputIteratorIbN2at6native12_GLOBAL__N_19NonZeroOpIfEEPKflEEiEEEE10hipError_tPvRmT1_T2_T3_mT4_P12ihipStream_tbEUlT_E1_NS1_11comp_targetILNS1_3genE8ELNS1_11target_archE1030ELNS1_3gpuE2ELNS1_3repE0EEENS1_30default_config_static_selectorELNS0_4arch9wavefront6targetE0EEEvSQ_,comdat
.Lfunc_end439:
	.size	_ZN7rocprim17ROCPRIM_400000_NS6detail17trampoline_kernelINS0_14default_configENS1_22reduce_config_selectorIiEEZNS1_11reduce_implILb1ES3_PiS7_iN6hipcub16HIPCUB_304000_NS6detail34convert_binary_result_type_wrapperINS9_3SumENS9_22TransformInputIteratorIbN2at6native12_GLOBAL__N_19NonZeroOpIfEEPKflEEiEEEE10hipError_tPvRmT1_T2_T3_mT4_P12ihipStream_tbEUlT_E1_NS1_11comp_targetILNS1_3genE8ELNS1_11target_archE1030ELNS1_3gpuE2ELNS1_3repE0EEENS1_30default_config_static_selectorELNS0_4arch9wavefront6targetE0EEEvSQ_, .Lfunc_end439-_ZN7rocprim17ROCPRIM_400000_NS6detail17trampoline_kernelINS0_14default_configENS1_22reduce_config_selectorIiEEZNS1_11reduce_implILb1ES3_PiS7_iN6hipcub16HIPCUB_304000_NS6detail34convert_binary_result_type_wrapperINS9_3SumENS9_22TransformInputIteratorIbN2at6native12_GLOBAL__N_19NonZeroOpIfEEPKflEEiEEEE10hipError_tPvRmT1_T2_T3_mT4_P12ihipStream_tbEUlT_E1_NS1_11comp_targetILNS1_3genE8ELNS1_11target_archE1030ELNS1_3gpuE2ELNS1_3repE0EEENS1_30default_config_static_selectorELNS0_4arch9wavefront6targetE0EEEvSQ_
                                        ; -- End function
	.section	.AMDGPU.csdata,"",@progbits
; Kernel info:
; codeLenInByte = 0
; NumSgprs: 0
; NumVgprs: 0
; ScratchSize: 0
; MemoryBound: 0
; FloatMode: 240
; IeeeMode: 1
; LDSByteSize: 0 bytes/workgroup (compile time only)
; SGPRBlocks: 0
; VGPRBlocks: 0
; NumSGPRsForWavesPerEU: 1
; NumVGPRsForWavesPerEU: 1
; Occupancy: 16
; WaveLimiterHint : 0
; COMPUTE_PGM_RSRC2:SCRATCH_EN: 0
; COMPUTE_PGM_RSRC2:USER_SGPR: 15
; COMPUTE_PGM_RSRC2:TRAP_HANDLER: 0
; COMPUTE_PGM_RSRC2:TGID_X_EN: 1
; COMPUTE_PGM_RSRC2:TGID_Y_EN: 0
; COMPUTE_PGM_RSRC2:TGID_Z_EN: 0
; COMPUTE_PGM_RSRC2:TIDIG_COMP_CNT: 0
	.section	.text._ZN7rocprim17ROCPRIM_400000_NS6detail17trampoline_kernelINS0_14default_configENS1_22reduce_config_selectorIbEEZNS1_11reduce_implILb1ES3_N6hipcub16HIPCUB_304000_NS22TransformInputIteratorIbN2at6native12_GLOBAL__N_19NonZeroOpIfEEPKflEEPiiNS8_6detail34convert_binary_result_type_wrapperINS8_3SumESH_iEEEE10hipError_tPvRmT1_T2_T3_mT4_P12ihipStream_tbEUlT_E0_NS1_11comp_targetILNS1_3genE0ELNS1_11target_archE4294967295ELNS1_3gpuE0ELNS1_3repE0EEENS1_30default_config_static_selectorELNS0_4arch9wavefront6targetE0EEEvSQ_,"axG",@progbits,_ZN7rocprim17ROCPRIM_400000_NS6detail17trampoline_kernelINS0_14default_configENS1_22reduce_config_selectorIbEEZNS1_11reduce_implILb1ES3_N6hipcub16HIPCUB_304000_NS22TransformInputIteratorIbN2at6native12_GLOBAL__N_19NonZeroOpIfEEPKflEEPiiNS8_6detail34convert_binary_result_type_wrapperINS8_3SumESH_iEEEE10hipError_tPvRmT1_T2_T3_mT4_P12ihipStream_tbEUlT_E0_NS1_11comp_targetILNS1_3genE0ELNS1_11target_archE4294967295ELNS1_3gpuE0ELNS1_3repE0EEENS1_30default_config_static_selectorELNS0_4arch9wavefront6targetE0EEEvSQ_,comdat
	.globl	_ZN7rocprim17ROCPRIM_400000_NS6detail17trampoline_kernelINS0_14default_configENS1_22reduce_config_selectorIbEEZNS1_11reduce_implILb1ES3_N6hipcub16HIPCUB_304000_NS22TransformInputIteratorIbN2at6native12_GLOBAL__N_19NonZeroOpIfEEPKflEEPiiNS8_6detail34convert_binary_result_type_wrapperINS8_3SumESH_iEEEE10hipError_tPvRmT1_T2_T3_mT4_P12ihipStream_tbEUlT_E0_NS1_11comp_targetILNS1_3genE0ELNS1_11target_archE4294967295ELNS1_3gpuE0ELNS1_3repE0EEENS1_30default_config_static_selectorELNS0_4arch9wavefront6targetE0EEEvSQ_ ; -- Begin function _ZN7rocprim17ROCPRIM_400000_NS6detail17trampoline_kernelINS0_14default_configENS1_22reduce_config_selectorIbEEZNS1_11reduce_implILb1ES3_N6hipcub16HIPCUB_304000_NS22TransformInputIteratorIbN2at6native12_GLOBAL__N_19NonZeroOpIfEEPKflEEPiiNS8_6detail34convert_binary_result_type_wrapperINS8_3SumESH_iEEEE10hipError_tPvRmT1_T2_T3_mT4_P12ihipStream_tbEUlT_E0_NS1_11comp_targetILNS1_3genE0ELNS1_11target_archE4294967295ELNS1_3gpuE0ELNS1_3repE0EEENS1_30default_config_static_selectorELNS0_4arch9wavefront6targetE0EEEvSQ_
	.p2align	8
	.type	_ZN7rocprim17ROCPRIM_400000_NS6detail17trampoline_kernelINS0_14default_configENS1_22reduce_config_selectorIbEEZNS1_11reduce_implILb1ES3_N6hipcub16HIPCUB_304000_NS22TransformInputIteratorIbN2at6native12_GLOBAL__N_19NonZeroOpIfEEPKflEEPiiNS8_6detail34convert_binary_result_type_wrapperINS8_3SumESH_iEEEE10hipError_tPvRmT1_T2_T3_mT4_P12ihipStream_tbEUlT_E0_NS1_11comp_targetILNS1_3genE0ELNS1_11target_archE4294967295ELNS1_3gpuE0ELNS1_3repE0EEENS1_30default_config_static_selectorELNS0_4arch9wavefront6targetE0EEEvSQ_,@function
_ZN7rocprim17ROCPRIM_400000_NS6detail17trampoline_kernelINS0_14default_configENS1_22reduce_config_selectorIbEEZNS1_11reduce_implILb1ES3_N6hipcub16HIPCUB_304000_NS22TransformInputIteratorIbN2at6native12_GLOBAL__N_19NonZeroOpIfEEPKflEEPiiNS8_6detail34convert_binary_result_type_wrapperINS8_3SumESH_iEEEE10hipError_tPvRmT1_T2_T3_mT4_P12ihipStream_tbEUlT_E0_NS1_11comp_targetILNS1_3genE0ELNS1_11target_archE4294967295ELNS1_3gpuE0ELNS1_3repE0EEENS1_30default_config_static_selectorELNS0_4arch9wavefront6targetE0EEEvSQ_: ; @_ZN7rocprim17ROCPRIM_400000_NS6detail17trampoline_kernelINS0_14default_configENS1_22reduce_config_selectorIbEEZNS1_11reduce_implILb1ES3_N6hipcub16HIPCUB_304000_NS22TransformInputIteratorIbN2at6native12_GLOBAL__N_19NonZeroOpIfEEPKflEEPiiNS8_6detail34convert_binary_result_type_wrapperINS8_3SumESH_iEEEE10hipError_tPvRmT1_T2_T3_mT4_P12ihipStream_tbEUlT_E0_NS1_11comp_targetILNS1_3genE0ELNS1_11target_archE4294967295ELNS1_3gpuE0ELNS1_3repE0EEENS1_30default_config_static_selectorELNS0_4arch9wavefront6targetE0EEEvSQ_
; %bb.0:
	.section	.rodata,"a",@progbits
	.p2align	6, 0x0
	.amdhsa_kernel _ZN7rocprim17ROCPRIM_400000_NS6detail17trampoline_kernelINS0_14default_configENS1_22reduce_config_selectorIbEEZNS1_11reduce_implILb1ES3_N6hipcub16HIPCUB_304000_NS22TransformInputIteratorIbN2at6native12_GLOBAL__N_19NonZeroOpIfEEPKflEEPiiNS8_6detail34convert_binary_result_type_wrapperINS8_3SumESH_iEEEE10hipError_tPvRmT1_T2_T3_mT4_P12ihipStream_tbEUlT_E0_NS1_11comp_targetILNS1_3genE0ELNS1_11target_archE4294967295ELNS1_3gpuE0ELNS1_3repE0EEENS1_30default_config_static_selectorELNS0_4arch9wavefront6targetE0EEEvSQ_
		.amdhsa_group_segment_fixed_size 0
		.amdhsa_private_segment_fixed_size 0
		.amdhsa_kernarg_size 64
		.amdhsa_user_sgpr_count 15
		.amdhsa_user_sgpr_dispatch_ptr 0
		.amdhsa_user_sgpr_queue_ptr 0
		.amdhsa_user_sgpr_kernarg_segment_ptr 1
		.amdhsa_user_sgpr_dispatch_id 0
		.amdhsa_user_sgpr_private_segment_size 0
		.amdhsa_wavefront_size32 1
		.amdhsa_uses_dynamic_stack 0
		.amdhsa_enable_private_segment 0
		.amdhsa_system_sgpr_workgroup_id_x 1
		.amdhsa_system_sgpr_workgroup_id_y 0
		.amdhsa_system_sgpr_workgroup_id_z 0
		.amdhsa_system_sgpr_workgroup_info 0
		.amdhsa_system_vgpr_workitem_id 0
		.amdhsa_next_free_vgpr 1
		.amdhsa_next_free_sgpr 1
		.amdhsa_reserve_vcc 0
		.amdhsa_float_round_mode_32 0
		.amdhsa_float_round_mode_16_64 0
		.amdhsa_float_denorm_mode_32 3
		.amdhsa_float_denorm_mode_16_64 3
		.amdhsa_dx10_clamp 1
		.amdhsa_ieee_mode 1
		.amdhsa_fp16_overflow 0
		.amdhsa_workgroup_processor_mode 1
		.amdhsa_memory_ordered 1
		.amdhsa_forward_progress 0
		.amdhsa_shared_vgpr_count 0
		.amdhsa_exception_fp_ieee_invalid_op 0
		.amdhsa_exception_fp_denorm_src 0
		.amdhsa_exception_fp_ieee_div_zero 0
		.amdhsa_exception_fp_ieee_overflow 0
		.amdhsa_exception_fp_ieee_underflow 0
		.amdhsa_exception_fp_ieee_inexact 0
		.amdhsa_exception_int_div_zero 0
	.end_amdhsa_kernel
	.section	.text._ZN7rocprim17ROCPRIM_400000_NS6detail17trampoline_kernelINS0_14default_configENS1_22reduce_config_selectorIbEEZNS1_11reduce_implILb1ES3_N6hipcub16HIPCUB_304000_NS22TransformInputIteratorIbN2at6native12_GLOBAL__N_19NonZeroOpIfEEPKflEEPiiNS8_6detail34convert_binary_result_type_wrapperINS8_3SumESH_iEEEE10hipError_tPvRmT1_T2_T3_mT4_P12ihipStream_tbEUlT_E0_NS1_11comp_targetILNS1_3genE0ELNS1_11target_archE4294967295ELNS1_3gpuE0ELNS1_3repE0EEENS1_30default_config_static_selectorELNS0_4arch9wavefront6targetE0EEEvSQ_,"axG",@progbits,_ZN7rocprim17ROCPRIM_400000_NS6detail17trampoline_kernelINS0_14default_configENS1_22reduce_config_selectorIbEEZNS1_11reduce_implILb1ES3_N6hipcub16HIPCUB_304000_NS22TransformInputIteratorIbN2at6native12_GLOBAL__N_19NonZeroOpIfEEPKflEEPiiNS8_6detail34convert_binary_result_type_wrapperINS8_3SumESH_iEEEE10hipError_tPvRmT1_T2_T3_mT4_P12ihipStream_tbEUlT_E0_NS1_11comp_targetILNS1_3genE0ELNS1_11target_archE4294967295ELNS1_3gpuE0ELNS1_3repE0EEENS1_30default_config_static_selectorELNS0_4arch9wavefront6targetE0EEEvSQ_,comdat
.Lfunc_end440:
	.size	_ZN7rocprim17ROCPRIM_400000_NS6detail17trampoline_kernelINS0_14default_configENS1_22reduce_config_selectorIbEEZNS1_11reduce_implILb1ES3_N6hipcub16HIPCUB_304000_NS22TransformInputIteratorIbN2at6native12_GLOBAL__N_19NonZeroOpIfEEPKflEEPiiNS8_6detail34convert_binary_result_type_wrapperINS8_3SumESH_iEEEE10hipError_tPvRmT1_T2_T3_mT4_P12ihipStream_tbEUlT_E0_NS1_11comp_targetILNS1_3genE0ELNS1_11target_archE4294967295ELNS1_3gpuE0ELNS1_3repE0EEENS1_30default_config_static_selectorELNS0_4arch9wavefront6targetE0EEEvSQ_, .Lfunc_end440-_ZN7rocprim17ROCPRIM_400000_NS6detail17trampoline_kernelINS0_14default_configENS1_22reduce_config_selectorIbEEZNS1_11reduce_implILb1ES3_N6hipcub16HIPCUB_304000_NS22TransformInputIteratorIbN2at6native12_GLOBAL__N_19NonZeroOpIfEEPKflEEPiiNS8_6detail34convert_binary_result_type_wrapperINS8_3SumESH_iEEEE10hipError_tPvRmT1_T2_T3_mT4_P12ihipStream_tbEUlT_E0_NS1_11comp_targetILNS1_3genE0ELNS1_11target_archE4294967295ELNS1_3gpuE0ELNS1_3repE0EEENS1_30default_config_static_selectorELNS0_4arch9wavefront6targetE0EEEvSQ_
                                        ; -- End function
	.section	.AMDGPU.csdata,"",@progbits
; Kernel info:
; codeLenInByte = 0
; NumSgprs: 0
; NumVgprs: 0
; ScratchSize: 0
; MemoryBound: 0
; FloatMode: 240
; IeeeMode: 1
; LDSByteSize: 0 bytes/workgroup (compile time only)
; SGPRBlocks: 0
; VGPRBlocks: 0
; NumSGPRsForWavesPerEU: 1
; NumVGPRsForWavesPerEU: 1
; Occupancy: 16
; WaveLimiterHint : 0
; COMPUTE_PGM_RSRC2:SCRATCH_EN: 0
; COMPUTE_PGM_RSRC2:USER_SGPR: 15
; COMPUTE_PGM_RSRC2:TRAP_HANDLER: 0
; COMPUTE_PGM_RSRC2:TGID_X_EN: 1
; COMPUTE_PGM_RSRC2:TGID_Y_EN: 0
; COMPUTE_PGM_RSRC2:TGID_Z_EN: 0
; COMPUTE_PGM_RSRC2:TIDIG_COMP_CNT: 0
	.section	.text._ZN7rocprim17ROCPRIM_400000_NS6detail17trampoline_kernelINS0_14default_configENS1_22reduce_config_selectorIbEEZNS1_11reduce_implILb1ES3_N6hipcub16HIPCUB_304000_NS22TransformInputIteratorIbN2at6native12_GLOBAL__N_19NonZeroOpIfEEPKflEEPiiNS8_6detail34convert_binary_result_type_wrapperINS8_3SumESH_iEEEE10hipError_tPvRmT1_T2_T3_mT4_P12ihipStream_tbEUlT_E0_NS1_11comp_targetILNS1_3genE5ELNS1_11target_archE942ELNS1_3gpuE9ELNS1_3repE0EEENS1_30default_config_static_selectorELNS0_4arch9wavefront6targetE0EEEvSQ_,"axG",@progbits,_ZN7rocprim17ROCPRIM_400000_NS6detail17trampoline_kernelINS0_14default_configENS1_22reduce_config_selectorIbEEZNS1_11reduce_implILb1ES3_N6hipcub16HIPCUB_304000_NS22TransformInputIteratorIbN2at6native12_GLOBAL__N_19NonZeroOpIfEEPKflEEPiiNS8_6detail34convert_binary_result_type_wrapperINS8_3SumESH_iEEEE10hipError_tPvRmT1_T2_T3_mT4_P12ihipStream_tbEUlT_E0_NS1_11comp_targetILNS1_3genE5ELNS1_11target_archE942ELNS1_3gpuE9ELNS1_3repE0EEENS1_30default_config_static_selectorELNS0_4arch9wavefront6targetE0EEEvSQ_,comdat
	.globl	_ZN7rocprim17ROCPRIM_400000_NS6detail17trampoline_kernelINS0_14default_configENS1_22reduce_config_selectorIbEEZNS1_11reduce_implILb1ES3_N6hipcub16HIPCUB_304000_NS22TransformInputIteratorIbN2at6native12_GLOBAL__N_19NonZeroOpIfEEPKflEEPiiNS8_6detail34convert_binary_result_type_wrapperINS8_3SumESH_iEEEE10hipError_tPvRmT1_T2_T3_mT4_P12ihipStream_tbEUlT_E0_NS1_11comp_targetILNS1_3genE5ELNS1_11target_archE942ELNS1_3gpuE9ELNS1_3repE0EEENS1_30default_config_static_selectorELNS0_4arch9wavefront6targetE0EEEvSQ_ ; -- Begin function _ZN7rocprim17ROCPRIM_400000_NS6detail17trampoline_kernelINS0_14default_configENS1_22reduce_config_selectorIbEEZNS1_11reduce_implILb1ES3_N6hipcub16HIPCUB_304000_NS22TransformInputIteratorIbN2at6native12_GLOBAL__N_19NonZeroOpIfEEPKflEEPiiNS8_6detail34convert_binary_result_type_wrapperINS8_3SumESH_iEEEE10hipError_tPvRmT1_T2_T3_mT4_P12ihipStream_tbEUlT_E0_NS1_11comp_targetILNS1_3genE5ELNS1_11target_archE942ELNS1_3gpuE9ELNS1_3repE0EEENS1_30default_config_static_selectorELNS0_4arch9wavefront6targetE0EEEvSQ_
	.p2align	8
	.type	_ZN7rocprim17ROCPRIM_400000_NS6detail17trampoline_kernelINS0_14default_configENS1_22reduce_config_selectorIbEEZNS1_11reduce_implILb1ES3_N6hipcub16HIPCUB_304000_NS22TransformInputIteratorIbN2at6native12_GLOBAL__N_19NonZeroOpIfEEPKflEEPiiNS8_6detail34convert_binary_result_type_wrapperINS8_3SumESH_iEEEE10hipError_tPvRmT1_T2_T3_mT4_P12ihipStream_tbEUlT_E0_NS1_11comp_targetILNS1_3genE5ELNS1_11target_archE942ELNS1_3gpuE9ELNS1_3repE0EEENS1_30default_config_static_selectorELNS0_4arch9wavefront6targetE0EEEvSQ_,@function
_ZN7rocprim17ROCPRIM_400000_NS6detail17trampoline_kernelINS0_14default_configENS1_22reduce_config_selectorIbEEZNS1_11reduce_implILb1ES3_N6hipcub16HIPCUB_304000_NS22TransformInputIteratorIbN2at6native12_GLOBAL__N_19NonZeroOpIfEEPKflEEPiiNS8_6detail34convert_binary_result_type_wrapperINS8_3SumESH_iEEEE10hipError_tPvRmT1_T2_T3_mT4_P12ihipStream_tbEUlT_E0_NS1_11comp_targetILNS1_3genE5ELNS1_11target_archE942ELNS1_3gpuE9ELNS1_3repE0EEENS1_30default_config_static_selectorELNS0_4arch9wavefront6targetE0EEEvSQ_: ; @_ZN7rocprim17ROCPRIM_400000_NS6detail17trampoline_kernelINS0_14default_configENS1_22reduce_config_selectorIbEEZNS1_11reduce_implILb1ES3_N6hipcub16HIPCUB_304000_NS22TransformInputIteratorIbN2at6native12_GLOBAL__N_19NonZeroOpIfEEPKflEEPiiNS8_6detail34convert_binary_result_type_wrapperINS8_3SumESH_iEEEE10hipError_tPvRmT1_T2_T3_mT4_P12ihipStream_tbEUlT_E0_NS1_11comp_targetILNS1_3genE5ELNS1_11target_archE942ELNS1_3gpuE9ELNS1_3repE0EEENS1_30default_config_static_selectorELNS0_4arch9wavefront6targetE0EEEvSQ_
; %bb.0:
	.section	.rodata,"a",@progbits
	.p2align	6, 0x0
	.amdhsa_kernel _ZN7rocprim17ROCPRIM_400000_NS6detail17trampoline_kernelINS0_14default_configENS1_22reduce_config_selectorIbEEZNS1_11reduce_implILb1ES3_N6hipcub16HIPCUB_304000_NS22TransformInputIteratorIbN2at6native12_GLOBAL__N_19NonZeroOpIfEEPKflEEPiiNS8_6detail34convert_binary_result_type_wrapperINS8_3SumESH_iEEEE10hipError_tPvRmT1_T2_T3_mT4_P12ihipStream_tbEUlT_E0_NS1_11comp_targetILNS1_3genE5ELNS1_11target_archE942ELNS1_3gpuE9ELNS1_3repE0EEENS1_30default_config_static_selectorELNS0_4arch9wavefront6targetE0EEEvSQ_
		.amdhsa_group_segment_fixed_size 0
		.amdhsa_private_segment_fixed_size 0
		.amdhsa_kernarg_size 64
		.amdhsa_user_sgpr_count 15
		.amdhsa_user_sgpr_dispatch_ptr 0
		.amdhsa_user_sgpr_queue_ptr 0
		.amdhsa_user_sgpr_kernarg_segment_ptr 1
		.amdhsa_user_sgpr_dispatch_id 0
		.amdhsa_user_sgpr_private_segment_size 0
		.amdhsa_wavefront_size32 1
		.amdhsa_uses_dynamic_stack 0
		.amdhsa_enable_private_segment 0
		.amdhsa_system_sgpr_workgroup_id_x 1
		.amdhsa_system_sgpr_workgroup_id_y 0
		.amdhsa_system_sgpr_workgroup_id_z 0
		.amdhsa_system_sgpr_workgroup_info 0
		.amdhsa_system_vgpr_workitem_id 0
		.amdhsa_next_free_vgpr 1
		.amdhsa_next_free_sgpr 1
		.amdhsa_reserve_vcc 0
		.amdhsa_float_round_mode_32 0
		.amdhsa_float_round_mode_16_64 0
		.amdhsa_float_denorm_mode_32 3
		.amdhsa_float_denorm_mode_16_64 3
		.amdhsa_dx10_clamp 1
		.amdhsa_ieee_mode 1
		.amdhsa_fp16_overflow 0
		.amdhsa_workgroup_processor_mode 1
		.amdhsa_memory_ordered 1
		.amdhsa_forward_progress 0
		.amdhsa_shared_vgpr_count 0
		.amdhsa_exception_fp_ieee_invalid_op 0
		.amdhsa_exception_fp_denorm_src 0
		.amdhsa_exception_fp_ieee_div_zero 0
		.amdhsa_exception_fp_ieee_overflow 0
		.amdhsa_exception_fp_ieee_underflow 0
		.amdhsa_exception_fp_ieee_inexact 0
		.amdhsa_exception_int_div_zero 0
	.end_amdhsa_kernel
	.section	.text._ZN7rocprim17ROCPRIM_400000_NS6detail17trampoline_kernelINS0_14default_configENS1_22reduce_config_selectorIbEEZNS1_11reduce_implILb1ES3_N6hipcub16HIPCUB_304000_NS22TransformInputIteratorIbN2at6native12_GLOBAL__N_19NonZeroOpIfEEPKflEEPiiNS8_6detail34convert_binary_result_type_wrapperINS8_3SumESH_iEEEE10hipError_tPvRmT1_T2_T3_mT4_P12ihipStream_tbEUlT_E0_NS1_11comp_targetILNS1_3genE5ELNS1_11target_archE942ELNS1_3gpuE9ELNS1_3repE0EEENS1_30default_config_static_selectorELNS0_4arch9wavefront6targetE0EEEvSQ_,"axG",@progbits,_ZN7rocprim17ROCPRIM_400000_NS6detail17trampoline_kernelINS0_14default_configENS1_22reduce_config_selectorIbEEZNS1_11reduce_implILb1ES3_N6hipcub16HIPCUB_304000_NS22TransformInputIteratorIbN2at6native12_GLOBAL__N_19NonZeroOpIfEEPKflEEPiiNS8_6detail34convert_binary_result_type_wrapperINS8_3SumESH_iEEEE10hipError_tPvRmT1_T2_T3_mT4_P12ihipStream_tbEUlT_E0_NS1_11comp_targetILNS1_3genE5ELNS1_11target_archE942ELNS1_3gpuE9ELNS1_3repE0EEENS1_30default_config_static_selectorELNS0_4arch9wavefront6targetE0EEEvSQ_,comdat
.Lfunc_end441:
	.size	_ZN7rocprim17ROCPRIM_400000_NS6detail17trampoline_kernelINS0_14default_configENS1_22reduce_config_selectorIbEEZNS1_11reduce_implILb1ES3_N6hipcub16HIPCUB_304000_NS22TransformInputIteratorIbN2at6native12_GLOBAL__N_19NonZeroOpIfEEPKflEEPiiNS8_6detail34convert_binary_result_type_wrapperINS8_3SumESH_iEEEE10hipError_tPvRmT1_T2_T3_mT4_P12ihipStream_tbEUlT_E0_NS1_11comp_targetILNS1_3genE5ELNS1_11target_archE942ELNS1_3gpuE9ELNS1_3repE0EEENS1_30default_config_static_selectorELNS0_4arch9wavefront6targetE0EEEvSQ_, .Lfunc_end441-_ZN7rocprim17ROCPRIM_400000_NS6detail17trampoline_kernelINS0_14default_configENS1_22reduce_config_selectorIbEEZNS1_11reduce_implILb1ES3_N6hipcub16HIPCUB_304000_NS22TransformInputIteratorIbN2at6native12_GLOBAL__N_19NonZeroOpIfEEPKflEEPiiNS8_6detail34convert_binary_result_type_wrapperINS8_3SumESH_iEEEE10hipError_tPvRmT1_T2_T3_mT4_P12ihipStream_tbEUlT_E0_NS1_11comp_targetILNS1_3genE5ELNS1_11target_archE942ELNS1_3gpuE9ELNS1_3repE0EEENS1_30default_config_static_selectorELNS0_4arch9wavefront6targetE0EEEvSQ_
                                        ; -- End function
	.section	.AMDGPU.csdata,"",@progbits
; Kernel info:
; codeLenInByte = 0
; NumSgprs: 0
; NumVgprs: 0
; ScratchSize: 0
; MemoryBound: 0
; FloatMode: 240
; IeeeMode: 1
; LDSByteSize: 0 bytes/workgroup (compile time only)
; SGPRBlocks: 0
; VGPRBlocks: 0
; NumSGPRsForWavesPerEU: 1
; NumVGPRsForWavesPerEU: 1
; Occupancy: 16
; WaveLimiterHint : 0
; COMPUTE_PGM_RSRC2:SCRATCH_EN: 0
; COMPUTE_PGM_RSRC2:USER_SGPR: 15
; COMPUTE_PGM_RSRC2:TRAP_HANDLER: 0
; COMPUTE_PGM_RSRC2:TGID_X_EN: 1
; COMPUTE_PGM_RSRC2:TGID_Y_EN: 0
; COMPUTE_PGM_RSRC2:TGID_Z_EN: 0
; COMPUTE_PGM_RSRC2:TIDIG_COMP_CNT: 0
	.section	.text._ZN7rocprim17ROCPRIM_400000_NS6detail17trampoline_kernelINS0_14default_configENS1_22reduce_config_selectorIbEEZNS1_11reduce_implILb1ES3_N6hipcub16HIPCUB_304000_NS22TransformInputIteratorIbN2at6native12_GLOBAL__N_19NonZeroOpIfEEPKflEEPiiNS8_6detail34convert_binary_result_type_wrapperINS8_3SumESH_iEEEE10hipError_tPvRmT1_T2_T3_mT4_P12ihipStream_tbEUlT_E0_NS1_11comp_targetILNS1_3genE4ELNS1_11target_archE910ELNS1_3gpuE8ELNS1_3repE0EEENS1_30default_config_static_selectorELNS0_4arch9wavefront6targetE0EEEvSQ_,"axG",@progbits,_ZN7rocprim17ROCPRIM_400000_NS6detail17trampoline_kernelINS0_14default_configENS1_22reduce_config_selectorIbEEZNS1_11reduce_implILb1ES3_N6hipcub16HIPCUB_304000_NS22TransformInputIteratorIbN2at6native12_GLOBAL__N_19NonZeroOpIfEEPKflEEPiiNS8_6detail34convert_binary_result_type_wrapperINS8_3SumESH_iEEEE10hipError_tPvRmT1_T2_T3_mT4_P12ihipStream_tbEUlT_E0_NS1_11comp_targetILNS1_3genE4ELNS1_11target_archE910ELNS1_3gpuE8ELNS1_3repE0EEENS1_30default_config_static_selectorELNS0_4arch9wavefront6targetE0EEEvSQ_,comdat
	.globl	_ZN7rocprim17ROCPRIM_400000_NS6detail17trampoline_kernelINS0_14default_configENS1_22reduce_config_selectorIbEEZNS1_11reduce_implILb1ES3_N6hipcub16HIPCUB_304000_NS22TransformInputIteratorIbN2at6native12_GLOBAL__N_19NonZeroOpIfEEPKflEEPiiNS8_6detail34convert_binary_result_type_wrapperINS8_3SumESH_iEEEE10hipError_tPvRmT1_T2_T3_mT4_P12ihipStream_tbEUlT_E0_NS1_11comp_targetILNS1_3genE4ELNS1_11target_archE910ELNS1_3gpuE8ELNS1_3repE0EEENS1_30default_config_static_selectorELNS0_4arch9wavefront6targetE0EEEvSQ_ ; -- Begin function _ZN7rocprim17ROCPRIM_400000_NS6detail17trampoline_kernelINS0_14default_configENS1_22reduce_config_selectorIbEEZNS1_11reduce_implILb1ES3_N6hipcub16HIPCUB_304000_NS22TransformInputIteratorIbN2at6native12_GLOBAL__N_19NonZeroOpIfEEPKflEEPiiNS8_6detail34convert_binary_result_type_wrapperINS8_3SumESH_iEEEE10hipError_tPvRmT1_T2_T3_mT4_P12ihipStream_tbEUlT_E0_NS1_11comp_targetILNS1_3genE4ELNS1_11target_archE910ELNS1_3gpuE8ELNS1_3repE0EEENS1_30default_config_static_selectorELNS0_4arch9wavefront6targetE0EEEvSQ_
	.p2align	8
	.type	_ZN7rocprim17ROCPRIM_400000_NS6detail17trampoline_kernelINS0_14default_configENS1_22reduce_config_selectorIbEEZNS1_11reduce_implILb1ES3_N6hipcub16HIPCUB_304000_NS22TransformInputIteratorIbN2at6native12_GLOBAL__N_19NonZeroOpIfEEPKflEEPiiNS8_6detail34convert_binary_result_type_wrapperINS8_3SumESH_iEEEE10hipError_tPvRmT1_T2_T3_mT4_P12ihipStream_tbEUlT_E0_NS1_11comp_targetILNS1_3genE4ELNS1_11target_archE910ELNS1_3gpuE8ELNS1_3repE0EEENS1_30default_config_static_selectorELNS0_4arch9wavefront6targetE0EEEvSQ_,@function
_ZN7rocprim17ROCPRIM_400000_NS6detail17trampoline_kernelINS0_14default_configENS1_22reduce_config_selectorIbEEZNS1_11reduce_implILb1ES3_N6hipcub16HIPCUB_304000_NS22TransformInputIteratorIbN2at6native12_GLOBAL__N_19NonZeroOpIfEEPKflEEPiiNS8_6detail34convert_binary_result_type_wrapperINS8_3SumESH_iEEEE10hipError_tPvRmT1_T2_T3_mT4_P12ihipStream_tbEUlT_E0_NS1_11comp_targetILNS1_3genE4ELNS1_11target_archE910ELNS1_3gpuE8ELNS1_3repE0EEENS1_30default_config_static_selectorELNS0_4arch9wavefront6targetE0EEEvSQ_: ; @_ZN7rocprim17ROCPRIM_400000_NS6detail17trampoline_kernelINS0_14default_configENS1_22reduce_config_selectorIbEEZNS1_11reduce_implILb1ES3_N6hipcub16HIPCUB_304000_NS22TransformInputIteratorIbN2at6native12_GLOBAL__N_19NonZeroOpIfEEPKflEEPiiNS8_6detail34convert_binary_result_type_wrapperINS8_3SumESH_iEEEE10hipError_tPvRmT1_T2_T3_mT4_P12ihipStream_tbEUlT_E0_NS1_11comp_targetILNS1_3genE4ELNS1_11target_archE910ELNS1_3gpuE8ELNS1_3repE0EEENS1_30default_config_static_selectorELNS0_4arch9wavefront6targetE0EEEvSQ_
; %bb.0:
	.section	.rodata,"a",@progbits
	.p2align	6, 0x0
	.amdhsa_kernel _ZN7rocprim17ROCPRIM_400000_NS6detail17trampoline_kernelINS0_14default_configENS1_22reduce_config_selectorIbEEZNS1_11reduce_implILb1ES3_N6hipcub16HIPCUB_304000_NS22TransformInputIteratorIbN2at6native12_GLOBAL__N_19NonZeroOpIfEEPKflEEPiiNS8_6detail34convert_binary_result_type_wrapperINS8_3SumESH_iEEEE10hipError_tPvRmT1_T2_T3_mT4_P12ihipStream_tbEUlT_E0_NS1_11comp_targetILNS1_3genE4ELNS1_11target_archE910ELNS1_3gpuE8ELNS1_3repE0EEENS1_30default_config_static_selectorELNS0_4arch9wavefront6targetE0EEEvSQ_
		.amdhsa_group_segment_fixed_size 0
		.amdhsa_private_segment_fixed_size 0
		.amdhsa_kernarg_size 64
		.amdhsa_user_sgpr_count 15
		.amdhsa_user_sgpr_dispatch_ptr 0
		.amdhsa_user_sgpr_queue_ptr 0
		.amdhsa_user_sgpr_kernarg_segment_ptr 1
		.amdhsa_user_sgpr_dispatch_id 0
		.amdhsa_user_sgpr_private_segment_size 0
		.amdhsa_wavefront_size32 1
		.amdhsa_uses_dynamic_stack 0
		.amdhsa_enable_private_segment 0
		.amdhsa_system_sgpr_workgroup_id_x 1
		.amdhsa_system_sgpr_workgroup_id_y 0
		.amdhsa_system_sgpr_workgroup_id_z 0
		.amdhsa_system_sgpr_workgroup_info 0
		.amdhsa_system_vgpr_workitem_id 0
		.amdhsa_next_free_vgpr 1
		.amdhsa_next_free_sgpr 1
		.amdhsa_reserve_vcc 0
		.amdhsa_float_round_mode_32 0
		.amdhsa_float_round_mode_16_64 0
		.amdhsa_float_denorm_mode_32 3
		.amdhsa_float_denorm_mode_16_64 3
		.amdhsa_dx10_clamp 1
		.amdhsa_ieee_mode 1
		.amdhsa_fp16_overflow 0
		.amdhsa_workgroup_processor_mode 1
		.amdhsa_memory_ordered 1
		.amdhsa_forward_progress 0
		.amdhsa_shared_vgpr_count 0
		.amdhsa_exception_fp_ieee_invalid_op 0
		.amdhsa_exception_fp_denorm_src 0
		.amdhsa_exception_fp_ieee_div_zero 0
		.amdhsa_exception_fp_ieee_overflow 0
		.amdhsa_exception_fp_ieee_underflow 0
		.amdhsa_exception_fp_ieee_inexact 0
		.amdhsa_exception_int_div_zero 0
	.end_amdhsa_kernel
	.section	.text._ZN7rocprim17ROCPRIM_400000_NS6detail17trampoline_kernelINS0_14default_configENS1_22reduce_config_selectorIbEEZNS1_11reduce_implILb1ES3_N6hipcub16HIPCUB_304000_NS22TransformInputIteratorIbN2at6native12_GLOBAL__N_19NonZeroOpIfEEPKflEEPiiNS8_6detail34convert_binary_result_type_wrapperINS8_3SumESH_iEEEE10hipError_tPvRmT1_T2_T3_mT4_P12ihipStream_tbEUlT_E0_NS1_11comp_targetILNS1_3genE4ELNS1_11target_archE910ELNS1_3gpuE8ELNS1_3repE0EEENS1_30default_config_static_selectorELNS0_4arch9wavefront6targetE0EEEvSQ_,"axG",@progbits,_ZN7rocprim17ROCPRIM_400000_NS6detail17trampoline_kernelINS0_14default_configENS1_22reduce_config_selectorIbEEZNS1_11reduce_implILb1ES3_N6hipcub16HIPCUB_304000_NS22TransformInputIteratorIbN2at6native12_GLOBAL__N_19NonZeroOpIfEEPKflEEPiiNS8_6detail34convert_binary_result_type_wrapperINS8_3SumESH_iEEEE10hipError_tPvRmT1_T2_T3_mT4_P12ihipStream_tbEUlT_E0_NS1_11comp_targetILNS1_3genE4ELNS1_11target_archE910ELNS1_3gpuE8ELNS1_3repE0EEENS1_30default_config_static_selectorELNS0_4arch9wavefront6targetE0EEEvSQ_,comdat
.Lfunc_end442:
	.size	_ZN7rocprim17ROCPRIM_400000_NS6detail17trampoline_kernelINS0_14default_configENS1_22reduce_config_selectorIbEEZNS1_11reduce_implILb1ES3_N6hipcub16HIPCUB_304000_NS22TransformInputIteratorIbN2at6native12_GLOBAL__N_19NonZeroOpIfEEPKflEEPiiNS8_6detail34convert_binary_result_type_wrapperINS8_3SumESH_iEEEE10hipError_tPvRmT1_T2_T3_mT4_P12ihipStream_tbEUlT_E0_NS1_11comp_targetILNS1_3genE4ELNS1_11target_archE910ELNS1_3gpuE8ELNS1_3repE0EEENS1_30default_config_static_selectorELNS0_4arch9wavefront6targetE0EEEvSQ_, .Lfunc_end442-_ZN7rocprim17ROCPRIM_400000_NS6detail17trampoline_kernelINS0_14default_configENS1_22reduce_config_selectorIbEEZNS1_11reduce_implILb1ES3_N6hipcub16HIPCUB_304000_NS22TransformInputIteratorIbN2at6native12_GLOBAL__N_19NonZeroOpIfEEPKflEEPiiNS8_6detail34convert_binary_result_type_wrapperINS8_3SumESH_iEEEE10hipError_tPvRmT1_T2_T3_mT4_P12ihipStream_tbEUlT_E0_NS1_11comp_targetILNS1_3genE4ELNS1_11target_archE910ELNS1_3gpuE8ELNS1_3repE0EEENS1_30default_config_static_selectorELNS0_4arch9wavefront6targetE0EEEvSQ_
                                        ; -- End function
	.section	.AMDGPU.csdata,"",@progbits
; Kernel info:
; codeLenInByte = 0
; NumSgprs: 0
; NumVgprs: 0
; ScratchSize: 0
; MemoryBound: 0
; FloatMode: 240
; IeeeMode: 1
; LDSByteSize: 0 bytes/workgroup (compile time only)
; SGPRBlocks: 0
; VGPRBlocks: 0
; NumSGPRsForWavesPerEU: 1
; NumVGPRsForWavesPerEU: 1
; Occupancy: 16
; WaveLimiterHint : 0
; COMPUTE_PGM_RSRC2:SCRATCH_EN: 0
; COMPUTE_PGM_RSRC2:USER_SGPR: 15
; COMPUTE_PGM_RSRC2:TRAP_HANDLER: 0
; COMPUTE_PGM_RSRC2:TGID_X_EN: 1
; COMPUTE_PGM_RSRC2:TGID_Y_EN: 0
; COMPUTE_PGM_RSRC2:TGID_Z_EN: 0
; COMPUTE_PGM_RSRC2:TIDIG_COMP_CNT: 0
	.section	.text._ZN7rocprim17ROCPRIM_400000_NS6detail17trampoline_kernelINS0_14default_configENS1_22reduce_config_selectorIbEEZNS1_11reduce_implILb1ES3_N6hipcub16HIPCUB_304000_NS22TransformInputIteratorIbN2at6native12_GLOBAL__N_19NonZeroOpIfEEPKflEEPiiNS8_6detail34convert_binary_result_type_wrapperINS8_3SumESH_iEEEE10hipError_tPvRmT1_T2_T3_mT4_P12ihipStream_tbEUlT_E0_NS1_11comp_targetILNS1_3genE3ELNS1_11target_archE908ELNS1_3gpuE7ELNS1_3repE0EEENS1_30default_config_static_selectorELNS0_4arch9wavefront6targetE0EEEvSQ_,"axG",@progbits,_ZN7rocprim17ROCPRIM_400000_NS6detail17trampoline_kernelINS0_14default_configENS1_22reduce_config_selectorIbEEZNS1_11reduce_implILb1ES3_N6hipcub16HIPCUB_304000_NS22TransformInputIteratorIbN2at6native12_GLOBAL__N_19NonZeroOpIfEEPKflEEPiiNS8_6detail34convert_binary_result_type_wrapperINS8_3SumESH_iEEEE10hipError_tPvRmT1_T2_T3_mT4_P12ihipStream_tbEUlT_E0_NS1_11comp_targetILNS1_3genE3ELNS1_11target_archE908ELNS1_3gpuE7ELNS1_3repE0EEENS1_30default_config_static_selectorELNS0_4arch9wavefront6targetE0EEEvSQ_,comdat
	.globl	_ZN7rocprim17ROCPRIM_400000_NS6detail17trampoline_kernelINS0_14default_configENS1_22reduce_config_selectorIbEEZNS1_11reduce_implILb1ES3_N6hipcub16HIPCUB_304000_NS22TransformInputIteratorIbN2at6native12_GLOBAL__N_19NonZeroOpIfEEPKflEEPiiNS8_6detail34convert_binary_result_type_wrapperINS8_3SumESH_iEEEE10hipError_tPvRmT1_T2_T3_mT4_P12ihipStream_tbEUlT_E0_NS1_11comp_targetILNS1_3genE3ELNS1_11target_archE908ELNS1_3gpuE7ELNS1_3repE0EEENS1_30default_config_static_selectorELNS0_4arch9wavefront6targetE0EEEvSQ_ ; -- Begin function _ZN7rocprim17ROCPRIM_400000_NS6detail17trampoline_kernelINS0_14default_configENS1_22reduce_config_selectorIbEEZNS1_11reduce_implILb1ES3_N6hipcub16HIPCUB_304000_NS22TransformInputIteratorIbN2at6native12_GLOBAL__N_19NonZeroOpIfEEPKflEEPiiNS8_6detail34convert_binary_result_type_wrapperINS8_3SumESH_iEEEE10hipError_tPvRmT1_T2_T3_mT4_P12ihipStream_tbEUlT_E0_NS1_11comp_targetILNS1_3genE3ELNS1_11target_archE908ELNS1_3gpuE7ELNS1_3repE0EEENS1_30default_config_static_selectorELNS0_4arch9wavefront6targetE0EEEvSQ_
	.p2align	8
	.type	_ZN7rocprim17ROCPRIM_400000_NS6detail17trampoline_kernelINS0_14default_configENS1_22reduce_config_selectorIbEEZNS1_11reduce_implILb1ES3_N6hipcub16HIPCUB_304000_NS22TransformInputIteratorIbN2at6native12_GLOBAL__N_19NonZeroOpIfEEPKflEEPiiNS8_6detail34convert_binary_result_type_wrapperINS8_3SumESH_iEEEE10hipError_tPvRmT1_T2_T3_mT4_P12ihipStream_tbEUlT_E0_NS1_11comp_targetILNS1_3genE3ELNS1_11target_archE908ELNS1_3gpuE7ELNS1_3repE0EEENS1_30default_config_static_selectorELNS0_4arch9wavefront6targetE0EEEvSQ_,@function
_ZN7rocprim17ROCPRIM_400000_NS6detail17trampoline_kernelINS0_14default_configENS1_22reduce_config_selectorIbEEZNS1_11reduce_implILb1ES3_N6hipcub16HIPCUB_304000_NS22TransformInputIteratorIbN2at6native12_GLOBAL__N_19NonZeroOpIfEEPKflEEPiiNS8_6detail34convert_binary_result_type_wrapperINS8_3SumESH_iEEEE10hipError_tPvRmT1_T2_T3_mT4_P12ihipStream_tbEUlT_E0_NS1_11comp_targetILNS1_3genE3ELNS1_11target_archE908ELNS1_3gpuE7ELNS1_3repE0EEENS1_30default_config_static_selectorELNS0_4arch9wavefront6targetE0EEEvSQ_: ; @_ZN7rocprim17ROCPRIM_400000_NS6detail17trampoline_kernelINS0_14default_configENS1_22reduce_config_selectorIbEEZNS1_11reduce_implILb1ES3_N6hipcub16HIPCUB_304000_NS22TransformInputIteratorIbN2at6native12_GLOBAL__N_19NonZeroOpIfEEPKflEEPiiNS8_6detail34convert_binary_result_type_wrapperINS8_3SumESH_iEEEE10hipError_tPvRmT1_T2_T3_mT4_P12ihipStream_tbEUlT_E0_NS1_11comp_targetILNS1_3genE3ELNS1_11target_archE908ELNS1_3gpuE7ELNS1_3repE0EEENS1_30default_config_static_selectorELNS0_4arch9wavefront6targetE0EEEvSQ_
; %bb.0:
	.section	.rodata,"a",@progbits
	.p2align	6, 0x0
	.amdhsa_kernel _ZN7rocprim17ROCPRIM_400000_NS6detail17trampoline_kernelINS0_14default_configENS1_22reduce_config_selectorIbEEZNS1_11reduce_implILb1ES3_N6hipcub16HIPCUB_304000_NS22TransformInputIteratorIbN2at6native12_GLOBAL__N_19NonZeroOpIfEEPKflEEPiiNS8_6detail34convert_binary_result_type_wrapperINS8_3SumESH_iEEEE10hipError_tPvRmT1_T2_T3_mT4_P12ihipStream_tbEUlT_E0_NS1_11comp_targetILNS1_3genE3ELNS1_11target_archE908ELNS1_3gpuE7ELNS1_3repE0EEENS1_30default_config_static_selectorELNS0_4arch9wavefront6targetE0EEEvSQ_
		.amdhsa_group_segment_fixed_size 0
		.amdhsa_private_segment_fixed_size 0
		.amdhsa_kernarg_size 64
		.amdhsa_user_sgpr_count 15
		.amdhsa_user_sgpr_dispatch_ptr 0
		.amdhsa_user_sgpr_queue_ptr 0
		.amdhsa_user_sgpr_kernarg_segment_ptr 1
		.amdhsa_user_sgpr_dispatch_id 0
		.amdhsa_user_sgpr_private_segment_size 0
		.amdhsa_wavefront_size32 1
		.amdhsa_uses_dynamic_stack 0
		.amdhsa_enable_private_segment 0
		.amdhsa_system_sgpr_workgroup_id_x 1
		.amdhsa_system_sgpr_workgroup_id_y 0
		.amdhsa_system_sgpr_workgroup_id_z 0
		.amdhsa_system_sgpr_workgroup_info 0
		.amdhsa_system_vgpr_workitem_id 0
		.amdhsa_next_free_vgpr 1
		.amdhsa_next_free_sgpr 1
		.amdhsa_reserve_vcc 0
		.amdhsa_float_round_mode_32 0
		.amdhsa_float_round_mode_16_64 0
		.amdhsa_float_denorm_mode_32 3
		.amdhsa_float_denorm_mode_16_64 3
		.amdhsa_dx10_clamp 1
		.amdhsa_ieee_mode 1
		.amdhsa_fp16_overflow 0
		.amdhsa_workgroup_processor_mode 1
		.amdhsa_memory_ordered 1
		.amdhsa_forward_progress 0
		.amdhsa_shared_vgpr_count 0
		.amdhsa_exception_fp_ieee_invalid_op 0
		.amdhsa_exception_fp_denorm_src 0
		.amdhsa_exception_fp_ieee_div_zero 0
		.amdhsa_exception_fp_ieee_overflow 0
		.amdhsa_exception_fp_ieee_underflow 0
		.amdhsa_exception_fp_ieee_inexact 0
		.amdhsa_exception_int_div_zero 0
	.end_amdhsa_kernel
	.section	.text._ZN7rocprim17ROCPRIM_400000_NS6detail17trampoline_kernelINS0_14default_configENS1_22reduce_config_selectorIbEEZNS1_11reduce_implILb1ES3_N6hipcub16HIPCUB_304000_NS22TransformInputIteratorIbN2at6native12_GLOBAL__N_19NonZeroOpIfEEPKflEEPiiNS8_6detail34convert_binary_result_type_wrapperINS8_3SumESH_iEEEE10hipError_tPvRmT1_T2_T3_mT4_P12ihipStream_tbEUlT_E0_NS1_11comp_targetILNS1_3genE3ELNS1_11target_archE908ELNS1_3gpuE7ELNS1_3repE0EEENS1_30default_config_static_selectorELNS0_4arch9wavefront6targetE0EEEvSQ_,"axG",@progbits,_ZN7rocprim17ROCPRIM_400000_NS6detail17trampoline_kernelINS0_14default_configENS1_22reduce_config_selectorIbEEZNS1_11reduce_implILb1ES3_N6hipcub16HIPCUB_304000_NS22TransformInputIteratorIbN2at6native12_GLOBAL__N_19NonZeroOpIfEEPKflEEPiiNS8_6detail34convert_binary_result_type_wrapperINS8_3SumESH_iEEEE10hipError_tPvRmT1_T2_T3_mT4_P12ihipStream_tbEUlT_E0_NS1_11comp_targetILNS1_3genE3ELNS1_11target_archE908ELNS1_3gpuE7ELNS1_3repE0EEENS1_30default_config_static_selectorELNS0_4arch9wavefront6targetE0EEEvSQ_,comdat
.Lfunc_end443:
	.size	_ZN7rocprim17ROCPRIM_400000_NS6detail17trampoline_kernelINS0_14default_configENS1_22reduce_config_selectorIbEEZNS1_11reduce_implILb1ES3_N6hipcub16HIPCUB_304000_NS22TransformInputIteratorIbN2at6native12_GLOBAL__N_19NonZeroOpIfEEPKflEEPiiNS8_6detail34convert_binary_result_type_wrapperINS8_3SumESH_iEEEE10hipError_tPvRmT1_T2_T3_mT4_P12ihipStream_tbEUlT_E0_NS1_11comp_targetILNS1_3genE3ELNS1_11target_archE908ELNS1_3gpuE7ELNS1_3repE0EEENS1_30default_config_static_selectorELNS0_4arch9wavefront6targetE0EEEvSQ_, .Lfunc_end443-_ZN7rocprim17ROCPRIM_400000_NS6detail17trampoline_kernelINS0_14default_configENS1_22reduce_config_selectorIbEEZNS1_11reduce_implILb1ES3_N6hipcub16HIPCUB_304000_NS22TransformInputIteratorIbN2at6native12_GLOBAL__N_19NonZeroOpIfEEPKflEEPiiNS8_6detail34convert_binary_result_type_wrapperINS8_3SumESH_iEEEE10hipError_tPvRmT1_T2_T3_mT4_P12ihipStream_tbEUlT_E0_NS1_11comp_targetILNS1_3genE3ELNS1_11target_archE908ELNS1_3gpuE7ELNS1_3repE0EEENS1_30default_config_static_selectorELNS0_4arch9wavefront6targetE0EEEvSQ_
                                        ; -- End function
	.section	.AMDGPU.csdata,"",@progbits
; Kernel info:
; codeLenInByte = 0
; NumSgprs: 0
; NumVgprs: 0
; ScratchSize: 0
; MemoryBound: 0
; FloatMode: 240
; IeeeMode: 1
; LDSByteSize: 0 bytes/workgroup (compile time only)
; SGPRBlocks: 0
; VGPRBlocks: 0
; NumSGPRsForWavesPerEU: 1
; NumVGPRsForWavesPerEU: 1
; Occupancy: 16
; WaveLimiterHint : 0
; COMPUTE_PGM_RSRC2:SCRATCH_EN: 0
; COMPUTE_PGM_RSRC2:USER_SGPR: 15
; COMPUTE_PGM_RSRC2:TRAP_HANDLER: 0
; COMPUTE_PGM_RSRC2:TGID_X_EN: 1
; COMPUTE_PGM_RSRC2:TGID_Y_EN: 0
; COMPUTE_PGM_RSRC2:TGID_Z_EN: 0
; COMPUTE_PGM_RSRC2:TIDIG_COMP_CNT: 0
	.section	.text._ZN7rocprim17ROCPRIM_400000_NS6detail17trampoline_kernelINS0_14default_configENS1_22reduce_config_selectorIbEEZNS1_11reduce_implILb1ES3_N6hipcub16HIPCUB_304000_NS22TransformInputIteratorIbN2at6native12_GLOBAL__N_19NonZeroOpIfEEPKflEEPiiNS8_6detail34convert_binary_result_type_wrapperINS8_3SumESH_iEEEE10hipError_tPvRmT1_T2_T3_mT4_P12ihipStream_tbEUlT_E0_NS1_11comp_targetILNS1_3genE2ELNS1_11target_archE906ELNS1_3gpuE6ELNS1_3repE0EEENS1_30default_config_static_selectorELNS0_4arch9wavefront6targetE0EEEvSQ_,"axG",@progbits,_ZN7rocprim17ROCPRIM_400000_NS6detail17trampoline_kernelINS0_14default_configENS1_22reduce_config_selectorIbEEZNS1_11reduce_implILb1ES3_N6hipcub16HIPCUB_304000_NS22TransformInputIteratorIbN2at6native12_GLOBAL__N_19NonZeroOpIfEEPKflEEPiiNS8_6detail34convert_binary_result_type_wrapperINS8_3SumESH_iEEEE10hipError_tPvRmT1_T2_T3_mT4_P12ihipStream_tbEUlT_E0_NS1_11comp_targetILNS1_3genE2ELNS1_11target_archE906ELNS1_3gpuE6ELNS1_3repE0EEENS1_30default_config_static_selectorELNS0_4arch9wavefront6targetE0EEEvSQ_,comdat
	.globl	_ZN7rocprim17ROCPRIM_400000_NS6detail17trampoline_kernelINS0_14default_configENS1_22reduce_config_selectorIbEEZNS1_11reduce_implILb1ES3_N6hipcub16HIPCUB_304000_NS22TransformInputIteratorIbN2at6native12_GLOBAL__N_19NonZeroOpIfEEPKflEEPiiNS8_6detail34convert_binary_result_type_wrapperINS8_3SumESH_iEEEE10hipError_tPvRmT1_T2_T3_mT4_P12ihipStream_tbEUlT_E0_NS1_11comp_targetILNS1_3genE2ELNS1_11target_archE906ELNS1_3gpuE6ELNS1_3repE0EEENS1_30default_config_static_selectorELNS0_4arch9wavefront6targetE0EEEvSQ_ ; -- Begin function _ZN7rocprim17ROCPRIM_400000_NS6detail17trampoline_kernelINS0_14default_configENS1_22reduce_config_selectorIbEEZNS1_11reduce_implILb1ES3_N6hipcub16HIPCUB_304000_NS22TransformInputIteratorIbN2at6native12_GLOBAL__N_19NonZeroOpIfEEPKflEEPiiNS8_6detail34convert_binary_result_type_wrapperINS8_3SumESH_iEEEE10hipError_tPvRmT1_T2_T3_mT4_P12ihipStream_tbEUlT_E0_NS1_11comp_targetILNS1_3genE2ELNS1_11target_archE906ELNS1_3gpuE6ELNS1_3repE0EEENS1_30default_config_static_selectorELNS0_4arch9wavefront6targetE0EEEvSQ_
	.p2align	8
	.type	_ZN7rocprim17ROCPRIM_400000_NS6detail17trampoline_kernelINS0_14default_configENS1_22reduce_config_selectorIbEEZNS1_11reduce_implILb1ES3_N6hipcub16HIPCUB_304000_NS22TransformInputIteratorIbN2at6native12_GLOBAL__N_19NonZeroOpIfEEPKflEEPiiNS8_6detail34convert_binary_result_type_wrapperINS8_3SumESH_iEEEE10hipError_tPvRmT1_T2_T3_mT4_P12ihipStream_tbEUlT_E0_NS1_11comp_targetILNS1_3genE2ELNS1_11target_archE906ELNS1_3gpuE6ELNS1_3repE0EEENS1_30default_config_static_selectorELNS0_4arch9wavefront6targetE0EEEvSQ_,@function
_ZN7rocprim17ROCPRIM_400000_NS6detail17trampoline_kernelINS0_14default_configENS1_22reduce_config_selectorIbEEZNS1_11reduce_implILb1ES3_N6hipcub16HIPCUB_304000_NS22TransformInputIteratorIbN2at6native12_GLOBAL__N_19NonZeroOpIfEEPKflEEPiiNS8_6detail34convert_binary_result_type_wrapperINS8_3SumESH_iEEEE10hipError_tPvRmT1_T2_T3_mT4_P12ihipStream_tbEUlT_E0_NS1_11comp_targetILNS1_3genE2ELNS1_11target_archE906ELNS1_3gpuE6ELNS1_3repE0EEENS1_30default_config_static_selectorELNS0_4arch9wavefront6targetE0EEEvSQ_: ; @_ZN7rocprim17ROCPRIM_400000_NS6detail17trampoline_kernelINS0_14default_configENS1_22reduce_config_selectorIbEEZNS1_11reduce_implILb1ES3_N6hipcub16HIPCUB_304000_NS22TransformInputIteratorIbN2at6native12_GLOBAL__N_19NonZeroOpIfEEPKflEEPiiNS8_6detail34convert_binary_result_type_wrapperINS8_3SumESH_iEEEE10hipError_tPvRmT1_T2_T3_mT4_P12ihipStream_tbEUlT_E0_NS1_11comp_targetILNS1_3genE2ELNS1_11target_archE906ELNS1_3gpuE6ELNS1_3repE0EEENS1_30default_config_static_selectorELNS0_4arch9wavefront6targetE0EEEvSQ_
; %bb.0:
	.section	.rodata,"a",@progbits
	.p2align	6, 0x0
	.amdhsa_kernel _ZN7rocprim17ROCPRIM_400000_NS6detail17trampoline_kernelINS0_14default_configENS1_22reduce_config_selectorIbEEZNS1_11reduce_implILb1ES3_N6hipcub16HIPCUB_304000_NS22TransformInputIteratorIbN2at6native12_GLOBAL__N_19NonZeroOpIfEEPKflEEPiiNS8_6detail34convert_binary_result_type_wrapperINS8_3SumESH_iEEEE10hipError_tPvRmT1_T2_T3_mT4_P12ihipStream_tbEUlT_E0_NS1_11comp_targetILNS1_3genE2ELNS1_11target_archE906ELNS1_3gpuE6ELNS1_3repE0EEENS1_30default_config_static_selectorELNS0_4arch9wavefront6targetE0EEEvSQ_
		.amdhsa_group_segment_fixed_size 0
		.amdhsa_private_segment_fixed_size 0
		.amdhsa_kernarg_size 64
		.amdhsa_user_sgpr_count 15
		.amdhsa_user_sgpr_dispatch_ptr 0
		.amdhsa_user_sgpr_queue_ptr 0
		.amdhsa_user_sgpr_kernarg_segment_ptr 1
		.amdhsa_user_sgpr_dispatch_id 0
		.amdhsa_user_sgpr_private_segment_size 0
		.amdhsa_wavefront_size32 1
		.amdhsa_uses_dynamic_stack 0
		.amdhsa_enable_private_segment 0
		.amdhsa_system_sgpr_workgroup_id_x 1
		.amdhsa_system_sgpr_workgroup_id_y 0
		.amdhsa_system_sgpr_workgroup_id_z 0
		.amdhsa_system_sgpr_workgroup_info 0
		.amdhsa_system_vgpr_workitem_id 0
		.amdhsa_next_free_vgpr 1
		.amdhsa_next_free_sgpr 1
		.amdhsa_reserve_vcc 0
		.amdhsa_float_round_mode_32 0
		.amdhsa_float_round_mode_16_64 0
		.amdhsa_float_denorm_mode_32 3
		.amdhsa_float_denorm_mode_16_64 3
		.amdhsa_dx10_clamp 1
		.amdhsa_ieee_mode 1
		.amdhsa_fp16_overflow 0
		.amdhsa_workgroup_processor_mode 1
		.amdhsa_memory_ordered 1
		.amdhsa_forward_progress 0
		.amdhsa_shared_vgpr_count 0
		.amdhsa_exception_fp_ieee_invalid_op 0
		.amdhsa_exception_fp_denorm_src 0
		.amdhsa_exception_fp_ieee_div_zero 0
		.amdhsa_exception_fp_ieee_overflow 0
		.amdhsa_exception_fp_ieee_underflow 0
		.amdhsa_exception_fp_ieee_inexact 0
		.amdhsa_exception_int_div_zero 0
	.end_amdhsa_kernel
	.section	.text._ZN7rocprim17ROCPRIM_400000_NS6detail17trampoline_kernelINS0_14default_configENS1_22reduce_config_selectorIbEEZNS1_11reduce_implILb1ES3_N6hipcub16HIPCUB_304000_NS22TransformInputIteratorIbN2at6native12_GLOBAL__N_19NonZeroOpIfEEPKflEEPiiNS8_6detail34convert_binary_result_type_wrapperINS8_3SumESH_iEEEE10hipError_tPvRmT1_T2_T3_mT4_P12ihipStream_tbEUlT_E0_NS1_11comp_targetILNS1_3genE2ELNS1_11target_archE906ELNS1_3gpuE6ELNS1_3repE0EEENS1_30default_config_static_selectorELNS0_4arch9wavefront6targetE0EEEvSQ_,"axG",@progbits,_ZN7rocprim17ROCPRIM_400000_NS6detail17trampoline_kernelINS0_14default_configENS1_22reduce_config_selectorIbEEZNS1_11reduce_implILb1ES3_N6hipcub16HIPCUB_304000_NS22TransformInputIteratorIbN2at6native12_GLOBAL__N_19NonZeroOpIfEEPKflEEPiiNS8_6detail34convert_binary_result_type_wrapperINS8_3SumESH_iEEEE10hipError_tPvRmT1_T2_T3_mT4_P12ihipStream_tbEUlT_E0_NS1_11comp_targetILNS1_3genE2ELNS1_11target_archE906ELNS1_3gpuE6ELNS1_3repE0EEENS1_30default_config_static_selectorELNS0_4arch9wavefront6targetE0EEEvSQ_,comdat
.Lfunc_end444:
	.size	_ZN7rocprim17ROCPRIM_400000_NS6detail17trampoline_kernelINS0_14default_configENS1_22reduce_config_selectorIbEEZNS1_11reduce_implILb1ES3_N6hipcub16HIPCUB_304000_NS22TransformInputIteratorIbN2at6native12_GLOBAL__N_19NonZeroOpIfEEPKflEEPiiNS8_6detail34convert_binary_result_type_wrapperINS8_3SumESH_iEEEE10hipError_tPvRmT1_T2_T3_mT4_P12ihipStream_tbEUlT_E0_NS1_11comp_targetILNS1_3genE2ELNS1_11target_archE906ELNS1_3gpuE6ELNS1_3repE0EEENS1_30default_config_static_selectorELNS0_4arch9wavefront6targetE0EEEvSQ_, .Lfunc_end444-_ZN7rocprim17ROCPRIM_400000_NS6detail17trampoline_kernelINS0_14default_configENS1_22reduce_config_selectorIbEEZNS1_11reduce_implILb1ES3_N6hipcub16HIPCUB_304000_NS22TransformInputIteratorIbN2at6native12_GLOBAL__N_19NonZeroOpIfEEPKflEEPiiNS8_6detail34convert_binary_result_type_wrapperINS8_3SumESH_iEEEE10hipError_tPvRmT1_T2_T3_mT4_P12ihipStream_tbEUlT_E0_NS1_11comp_targetILNS1_3genE2ELNS1_11target_archE906ELNS1_3gpuE6ELNS1_3repE0EEENS1_30default_config_static_selectorELNS0_4arch9wavefront6targetE0EEEvSQ_
                                        ; -- End function
	.section	.AMDGPU.csdata,"",@progbits
; Kernel info:
; codeLenInByte = 0
; NumSgprs: 0
; NumVgprs: 0
; ScratchSize: 0
; MemoryBound: 0
; FloatMode: 240
; IeeeMode: 1
; LDSByteSize: 0 bytes/workgroup (compile time only)
; SGPRBlocks: 0
; VGPRBlocks: 0
; NumSGPRsForWavesPerEU: 1
; NumVGPRsForWavesPerEU: 1
; Occupancy: 16
; WaveLimiterHint : 0
; COMPUTE_PGM_RSRC2:SCRATCH_EN: 0
; COMPUTE_PGM_RSRC2:USER_SGPR: 15
; COMPUTE_PGM_RSRC2:TRAP_HANDLER: 0
; COMPUTE_PGM_RSRC2:TGID_X_EN: 1
; COMPUTE_PGM_RSRC2:TGID_Y_EN: 0
; COMPUTE_PGM_RSRC2:TGID_Z_EN: 0
; COMPUTE_PGM_RSRC2:TIDIG_COMP_CNT: 0
	.section	.text._ZN7rocprim17ROCPRIM_400000_NS6detail17trampoline_kernelINS0_14default_configENS1_22reduce_config_selectorIbEEZNS1_11reduce_implILb1ES3_N6hipcub16HIPCUB_304000_NS22TransformInputIteratorIbN2at6native12_GLOBAL__N_19NonZeroOpIfEEPKflEEPiiNS8_6detail34convert_binary_result_type_wrapperINS8_3SumESH_iEEEE10hipError_tPvRmT1_T2_T3_mT4_P12ihipStream_tbEUlT_E0_NS1_11comp_targetILNS1_3genE10ELNS1_11target_archE1201ELNS1_3gpuE5ELNS1_3repE0EEENS1_30default_config_static_selectorELNS0_4arch9wavefront6targetE0EEEvSQ_,"axG",@progbits,_ZN7rocprim17ROCPRIM_400000_NS6detail17trampoline_kernelINS0_14default_configENS1_22reduce_config_selectorIbEEZNS1_11reduce_implILb1ES3_N6hipcub16HIPCUB_304000_NS22TransformInputIteratorIbN2at6native12_GLOBAL__N_19NonZeroOpIfEEPKflEEPiiNS8_6detail34convert_binary_result_type_wrapperINS8_3SumESH_iEEEE10hipError_tPvRmT1_T2_T3_mT4_P12ihipStream_tbEUlT_E0_NS1_11comp_targetILNS1_3genE10ELNS1_11target_archE1201ELNS1_3gpuE5ELNS1_3repE0EEENS1_30default_config_static_selectorELNS0_4arch9wavefront6targetE0EEEvSQ_,comdat
	.globl	_ZN7rocprim17ROCPRIM_400000_NS6detail17trampoline_kernelINS0_14default_configENS1_22reduce_config_selectorIbEEZNS1_11reduce_implILb1ES3_N6hipcub16HIPCUB_304000_NS22TransformInputIteratorIbN2at6native12_GLOBAL__N_19NonZeroOpIfEEPKflEEPiiNS8_6detail34convert_binary_result_type_wrapperINS8_3SumESH_iEEEE10hipError_tPvRmT1_T2_T3_mT4_P12ihipStream_tbEUlT_E0_NS1_11comp_targetILNS1_3genE10ELNS1_11target_archE1201ELNS1_3gpuE5ELNS1_3repE0EEENS1_30default_config_static_selectorELNS0_4arch9wavefront6targetE0EEEvSQ_ ; -- Begin function _ZN7rocprim17ROCPRIM_400000_NS6detail17trampoline_kernelINS0_14default_configENS1_22reduce_config_selectorIbEEZNS1_11reduce_implILb1ES3_N6hipcub16HIPCUB_304000_NS22TransformInputIteratorIbN2at6native12_GLOBAL__N_19NonZeroOpIfEEPKflEEPiiNS8_6detail34convert_binary_result_type_wrapperINS8_3SumESH_iEEEE10hipError_tPvRmT1_T2_T3_mT4_P12ihipStream_tbEUlT_E0_NS1_11comp_targetILNS1_3genE10ELNS1_11target_archE1201ELNS1_3gpuE5ELNS1_3repE0EEENS1_30default_config_static_selectorELNS0_4arch9wavefront6targetE0EEEvSQ_
	.p2align	8
	.type	_ZN7rocprim17ROCPRIM_400000_NS6detail17trampoline_kernelINS0_14default_configENS1_22reduce_config_selectorIbEEZNS1_11reduce_implILb1ES3_N6hipcub16HIPCUB_304000_NS22TransformInputIteratorIbN2at6native12_GLOBAL__N_19NonZeroOpIfEEPKflEEPiiNS8_6detail34convert_binary_result_type_wrapperINS8_3SumESH_iEEEE10hipError_tPvRmT1_T2_T3_mT4_P12ihipStream_tbEUlT_E0_NS1_11comp_targetILNS1_3genE10ELNS1_11target_archE1201ELNS1_3gpuE5ELNS1_3repE0EEENS1_30default_config_static_selectorELNS0_4arch9wavefront6targetE0EEEvSQ_,@function
_ZN7rocprim17ROCPRIM_400000_NS6detail17trampoline_kernelINS0_14default_configENS1_22reduce_config_selectorIbEEZNS1_11reduce_implILb1ES3_N6hipcub16HIPCUB_304000_NS22TransformInputIteratorIbN2at6native12_GLOBAL__N_19NonZeroOpIfEEPKflEEPiiNS8_6detail34convert_binary_result_type_wrapperINS8_3SumESH_iEEEE10hipError_tPvRmT1_T2_T3_mT4_P12ihipStream_tbEUlT_E0_NS1_11comp_targetILNS1_3genE10ELNS1_11target_archE1201ELNS1_3gpuE5ELNS1_3repE0EEENS1_30default_config_static_selectorELNS0_4arch9wavefront6targetE0EEEvSQ_: ; @_ZN7rocprim17ROCPRIM_400000_NS6detail17trampoline_kernelINS0_14default_configENS1_22reduce_config_selectorIbEEZNS1_11reduce_implILb1ES3_N6hipcub16HIPCUB_304000_NS22TransformInputIteratorIbN2at6native12_GLOBAL__N_19NonZeroOpIfEEPKflEEPiiNS8_6detail34convert_binary_result_type_wrapperINS8_3SumESH_iEEEE10hipError_tPvRmT1_T2_T3_mT4_P12ihipStream_tbEUlT_E0_NS1_11comp_targetILNS1_3genE10ELNS1_11target_archE1201ELNS1_3gpuE5ELNS1_3repE0EEENS1_30default_config_static_selectorELNS0_4arch9wavefront6targetE0EEEvSQ_
; %bb.0:
	.section	.rodata,"a",@progbits
	.p2align	6, 0x0
	.amdhsa_kernel _ZN7rocprim17ROCPRIM_400000_NS6detail17trampoline_kernelINS0_14default_configENS1_22reduce_config_selectorIbEEZNS1_11reduce_implILb1ES3_N6hipcub16HIPCUB_304000_NS22TransformInputIteratorIbN2at6native12_GLOBAL__N_19NonZeroOpIfEEPKflEEPiiNS8_6detail34convert_binary_result_type_wrapperINS8_3SumESH_iEEEE10hipError_tPvRmT1_T2_T3_mT4_P12ihipStream_tbEUlT_E0_NS1_11comp_targetILNS1_3genE10ELNS1_11target_archE1201ELNS1_3gpuE5ELNS1_3repE0EEENS1_30default_config_static_selectorELNS0_4arch9wavefront6targetE0EEEvSQ_
		.amdhsa_group_segment_fixed_size 0
		.amdhsa_private_segment_fixed_size 0
		.amdhsa_kernarg_size 64
		.amdhsa_user_sgpr_count 15
		.amdhsa_user_sgpr_dispatch_ptr 0
		.amdhsa_user_sgpr_queue_ptr 0
		.amdhsa_user_sgpr_kernarg_segment_ptr 1
		.amdhsa_user_sgpr_dispatch_id 0
		.amdhsa_user_sgpr_private_segment_size 0
		.amdhsa_wavefront_size32 1
		.amdhsa_uses_dynamic_stack 0
		.amdhsa_enable_private_segment 0
		.amdhsa_system_sgpr_workgroup_id_x 1
		.amdhsa_system_sgpr_workgroup_id_y 0
		.amdhsa_system_sgpr_workgroup_id_z 0
		.amdhsa_system_sgpr_workgroup_info 0
		.amdhsa_system_vgpr_workitem_id 0
		.amdhsa_next_free_vgpr 1
		.amdhsa_next_free_sgpr 1
		.amdhsa_reserve_vcc 0
		.amdhsa_float_round_mode_32 0
		.amdhsa_float_round_mode_16_64 0
		.amdhsa_float_denorm_mode_32 3
		.amdhsa_float_denorm_mode_16_64 3
		.amdhsa_dx10_clamp 1
		.amdhsa_ieee_mode 1
		.amdhsa_fp16_overflow 0
		.amdhsa_workgroup_processor_mode 1
		.amdhsa_memory_ordered 1
		.amdhsa_forward_progress 0
		.amdhsa_shared_vgpr_count 0
		.amdhsa_exception_fp_ieee_invalid_op 0
		.amdhsa_exception_fp_denorm_src 0
		.amdhsa_exception_fp_ieee_div_zero 0
		.amdhsa_exception_fp_ieee_overflow 0
		.amdhsa_exception_fp_ieee_underflow 0
		.amdhsa_exception_fp_ieee_inexact 0
		.amdhsa_exception_int_div_zero 0
	.end_amdhsa_kernel
	.section	.text._ZN7rocprim17ROCPRIM_400000_NS6detail17trampoline_kernelINS0_14default_configENS1_22reduce_config_selectorIbEEZNS1_11reduce_implILb1ES3_N6hipcub16HIPCUB_304000_NS22TransformInputIteratorIbN2at6native12_GLOBAL__N_19NonZeroOpIfEEPKflEEPiiNS8_6detail34convert_binary_result_type_wrapperINS8_3SumESH_iEEEE10hipError_tPvRmT1_T2_T3_mT4_P12ihipStream_tbEUlT_E0_NS1_11comp_targetILNS1_3genE10ELNS1_11target_archE1201ELNS1_3gpuE5ELNS1_3repE0EEENS1_30default_config_static_selectorELNS0_4arch9wavefront6targetE0EEEvSQ_,"axG",@progbits,_ZN7rocprim17ROCPRIM_400000_NS6detail17trampoline_kernelINS0_14default_configENS1_22reduce_config_selectorIbEEZNS1_11reduce_implILb1ES3_N6hipcub16HIPCUB_304000_NS22TransformInputIteratorIbN2at6native12_GLOBAL__N_19NonZeroOpIfEEPKflEEPiiNS8_6detail34convert_binary_result_type_wrapperINS8_3SumESH_iEEEE10hipError_tPvRmT1_T2_T3_mT4_P12ihipStream_tbEUlT_E0_NS1_11comp_targetILNS1_3genE10ELNS1_11target_archE1201ELNS1_3gpuE5ELNS1_3repE0EEENS1_30default_config_static_selectorELNS0_4arch9wavefront6targetE0EEEvSQ_,comdat
.Lfunc_end445:
	.size	_ZN7rocprim17ROCPRIM_400000_NS6detail17trampoline_kernelINS0_14default_configENS1_22reduce_config_selectorIbEEZNS1_11reduce_implILb1ES3_N6hipcub16HIPCUB_304000_NS22TransformInputIteratorIbN2at6native12_GLOBAL__N_19NonZeroOpIfEEPKflEEPiiNS8_6detail34convert_binary_result_type_wrapperINS8_3SumESH_iEEEE10hipError_tPvRmT1_T2_T3_mT4_P12ihipStream_tbEUlT_E0_NS1_11comp_targetILNS1_3genE10ELNS1_11target_archE1201ELNS1_3gpuE5ELNS1_3repE0EEENS1_30default_config_static_selectorELNS0_4arch9wavefront6targetE0EEEvSQ_, .Lfunc_end445-_ZN7rocprim17ROCPRIM_400000_NS6detail17trampoline_kernelINS0_14default_configENS1_22reduce_config_selectorIbEEZNS1_11reduce_implILb1ES3_N6hipcub16HIPCUB_304000_NS22TransformInputIteratorIbN2at6native12_GLOBAL__N_19NonZeroOpIfEEPKflEEPiiNS8_6detail34convert_binary_result_type_wrapperINS8_3SumESH_iEEEE10hipError_tPvRmT1_T2_T3_mT4_P12ihipStream_tbEUlT_E0_NS1_11comp_targetILNS1_3genE10ELNS1_11target_archE1201ELNS1_3gpuE5ELNS1_3repE0EEENS1_30default_config_static_selectorELNS0_4arch9wavefront6targetE0EEEvSQ_
                                        ; -- End function
	.section	.AMDGPU.csdata,"",@progbits
; Kernel info:
; codeLenInByte = 0
; NumSgprs: 0
; NumVgprs: 0
; ScratchSize: 0
; MemoryBound: 0
; FloatMode: 240
; IeeeMode: 1
; LDSByteSize: 0 bytes/workgroup (compile time only)
; SGPRBlocks: 0
; VGPRBlocks: 0
; NumSGPRsForWavesPerEU: 1
; NumVGPRsForWavesPerEU: 1
; Occupancy: 16
; WaveLimiterHint : 0
; COMPUTE_PGM_RSRC2:SCRATCH_EN: 0
; COMPUTE_PGM_RSRC2:USER_SGPR: 15
; COMPUTE_PGM_RSRC2:TRAP_HANDLER: 0
; COMPUTE_PGM_RSRC2:TGID_X_EN: 1
; COMPUTE_PGM_RSRC2:TGID_Y_EN: 0
; COMPUTE_PGM_RSRC2:TGID_Z_EN: 0
; COMPUTE_PGM_RSRC2:TIDIG_COMP_CNT: 0
	.section	.text._ZN7rocprim17ROCPRIM_400000_NS6detail17trampoline_kernelINS0_14default_configENS1_22reduce_config_selectorIbEEZNS1_11reduce_implILb1ES3_N6hipcub16HIPCUB_304000_NS22TransformInputIteratorIbN2at6native12_GLOBAL__N_19NonZeroOpIfEEPKflEEPiiNS8_6detail34convert_binary_result_type_wrapperINS8_3SumESH_iEEEE10hipError_tPvRmT1_T2_T3_mT4_P12ihipStream_tbEUlT_E0_NS1_11comp_targetILNS1_3genE10ELNS1_11target_archE1200ELNS1_3gpuE4ELNS1_3repE0EEENS1_30default_config_static_selectorELNS0_4arch9wavefront6targetE0EEEvSQ_,"axG",@progbits,_ZN7rocprim17ROCPRIM_400000_NS6detail17trampoline_kernelINS0_14default_configENS1_22reduce_config_selectorIbEEZNS1_11reduce_implILb1ES3_N6hipcub16HIPCUB_304000_NS22TransformInputIteratorIbN2at6native12_GLOBAL__N_19NonZeroOpIfEEPKflEEPiiNS8_6detail34convert_binary_result_type_wrapperINS8_3SumESH_iEEEE10hipError_tPvRmT1_T2_T3_mT4_P12ihipStream_tbEUlT_E0_NS1_11comp_targetILNS1_3genE10ELNS1_11target_archE1200ELNS1_3gpuE4ELNS1_3repE0EEENS1_30default_config_static_selectorELNS0_4arch9wavefront6targetE0EEEvSQ_,comdat
	.globl	_ZN7rocprim17ROCPRIM_400000_NS6detail17trampoline_kernelINS0_14default_configENS1_22reduce_config_selectorIbEEZNS1_11reduce_implILb1ES3_N6hipcub16HIPCUB_304000_NS22TransformInputIteratorIbN2at6native12_GLOBAL__N_19NonZeroOpIfEEPKflEEPiiNS8_6detail34convert_binary_result_type_wrapperINS8_3SumESH_iEEEE10hipError_tPvRmT1_T2_T3_mT4_P12ihipStream_tbEUlT_E0_NS1_11comp_targetILNS1_3genE10ELNS1_11target_archE1200ELNS1_3gpuE4ELNS1_3repE0EEENS1_30default_config_static_selectorELNS0_4arch9wavefront6targetE0EEEvSQ_ ; -- Begin function _ZN7rocprim17ROCPRIM_400000_NS6detail17trampoline_kernelINS0_14default_configENS1_22reduce_config_selectorIbEEZNS1_11reduce_implILb1ES3_N6hipcub16HIPCUB_304000_NS22TransformInputIteratorIbN2at6native12_GLOBAL__N_19NonZeroOpIfEEPKflEEPiiNS8_6detail34convert_binary_result_type_wrapperINS8_3SumESH_iEEEE10hipError_tPvRmT1_T2_T3_mT4_P12ihipStream_tbEUlT_E0_NS1_11comp_targetILNS1_3genE10ELNS1_11target_archE1200ELNS1_3gpuE4ELNS1_3repE0EEENS1_30default_config_static_selectorELNS0_4arch9wavefront6targetE0EEEvSQ_
	.p2align	8
	.type	_ZN7rocprim17ROCPRIM_400000_NS6detail17trampoline_kernelINS0_14default_configENS1_22reduce_config_selectorIbEEZNS1_11reduce_implILb1ES3_N6hipcub16HIPCUB_304000_NS22TransformInputIteratorIbN2at6native12_GLOBAL__N_19NonZeroOpIfEEPKflEEPiiNS8_6detail34convert_binary_result_type_wrapperINS8_3SumESH_iEEEE10hipError_tPvRmT1_T2_T3_mT4_P12ihipStream_tbEUlT_E0_NS1_11comp_targetILNS1_3genE10ELNS1_11target_archE1200ELNS1_3gpuE4ELNS1_3repE0EEENS1_30default_config_static_selectorELNS0_4arch9wavefront6targetE0EEEvSQ_,@function
_ZN7rocprim17ROCPRIM_400000_NS6detail17trampoline_kernelINS0_14default_configENS1_22reduce_config_selectorIbEEZNS1_11reduce_implILb1ES3_N6hipcub16HIPCUB_304000_NS22TransformInputIteratorIbN2at6native12_GLOBAL__N_19NonZeroOpIfEEPKflEEPiiNS8_6detail34convert_binary_result_type_wrapperINS8_3SumESH_iEEEE10hipError_tPvRmT1_T2_T3_mT4_P12ihipStream_tbEUlT_E0_NS1_11comp_targetILNS1_3genE10ELNS1_11target_archE1200ELNS1_3gpuE4ELNS1_3repE0EEENS1_30default_config_static_selectorELNS0_4arch9wavefront6targetE0EEEvSQ_: ; @_ZN7rocprim17ROCPRIM_400000_NS6detail17trampoline_kernelINS0_14default_configENS1_22reduce_config_selectorIbEEZNS1_11reduce_implILb1ES3_N6hipcub16HIPCUB_304000_NS22TransformInputIteratorIbN2at6native12_GLOBAL__N_19NonZeroOpIfEEPKflEEPiiNS8_6detail34convert_binary_result_type_wrapperINS8_3SumESH_iEEEE10hipError_tPvRmT1_T2_T3_mT4_P12ihipStream_tbEUlT_E0_NS1_11comp_targetILNS1_3genE10ELNS1_11target_archE1200ELNS1_3gpuE4ELNS1_3repE0EEENS1_30default_config_static_selectorELNS0_4arch9wavefront6targetE0EEEvSQ_
; %bb.0:
	.section	.rodata,"a",@progbits
	.p2align	6, 0x0
	.amdhsa_kernel _ZN7rocprim17ROCPRIM_400000_NS6detail17trampoline_kernelINS0_14default_configENS1_22reduce_config_selectorIbEEZNS1_11reduce_implILb1ES3_N6hipcub16HIPCUB_304000_NS22TransformInputIteratorIbN2at6native12_GLOBAL__N_19NonZeroOpIfEEPKflEEPiiNS8_6detail34convert_binary_result_type_wrapperINS8_3SumESH_iEEEE10hipError_tPvRmT1_T2_T3_mT4_P12ihipStream_tbEUlT_E0_NS1_11comp_targetILNS1_3genE10ELNS1_11target_archE1200ELNS1_3gpuE4ELNS1_3repE0EEENS1_30default_config_static_selectorELNS0_4arch9wavefront6targetE0EEEvSQ_
		.amdhsa_group_segment_fixed_size 0
		.amdhsa_private_segment_fixed_size 0
		.amdhsa_kernarg_size 64
		.amdhsa_user_sgpr_count 15
		.amdhsa_user_sgpr_dispatch_ptr 0
		.amdhsa_user_sgpr_queue_ptr 0
		.amdhsa_user_sgpr_kernarg_segment_ptr 1
		.amdhsa_user_sgpr_dispatch_id 0
		.amdhsa_user_sgpr_private_segment_size 0
		.amdhsa_wavefront_size32 1
		.amdhsa_uses_dynamic_stack 0
		.amdhsa_enable_private_segment 0
		.amdhsa_system_sgpr_workgroup_id_x 1
		.amdhsa_system_sgpr_workgroup_id_y 0
		.amdhsa_system_sgpr_workgroup_id_z 0
		.amdhsa_system_sgpr_workgroup_info 0
		.amdhsa_system_vgpr_workitem_id 0
		.amdhsa_next_free_vgpr 1
		.amdhsa_next_free_sgpr 1
		.amdhsa_reserve_vcc 0
		.amdhsa_float_round_mode_32 0
		.amdhsa_float_round_mode_16_64 0
		.amdhsa_float_denorm_mode_32 3
		.amdhsa_float_denorm_mode_16_64 3
		.amdhsa_dx10_clamp 1
		.amdhsa_ieee_mode 1
		.amdhsa_fp16_overflow 0
		.amdhsa_workgroup_processor_mode 1
		.amdhsa_memory_ordered 1
		.amdhsa_forward_progress 0
		.amdhsa_shared_vgpr_count 0
		.amdhsa_exception_fp_ieee_invalid_op 0
		.amdhsa_exception_fp_denorm_src 0
		.amdhsa_exception_fp_ieee_div_zero 0
		.amdhsa_exception_fp_ieee_overflow 0
		.amdhsa_exception_fp_ieee_underflow 0
		.amdhsa_exception_fp_ieee_inexact 0
		.amdhsa_exception_int_div_zero 0
	.end_amdhsa_kernel
	.section	.text._ZN7rocprim17ROCPRIM_400000_NS6detail17trampoline_kernelINS0_14default_configENS1_22reduce_config_selectorIbEEZNS1_11reduce_implILb1ES3_N6hipcub16HIPCUB_304000_NS22TransformInputIteratorIbN2at6native12_GLOBAL__N_19NonZeroOpIfEEPKflEEPiiNS8_6detail34convert_binary_result_type_wrapperINS8_3SumESH_iEEEE10hipError_tPvRmT1_T2_T3_mT4_P12ihipStream_tbEUlT_E0_NS1_11comp_targetILNS1_3genE10ELNS1_11target_archE1200ELNS1_3gpuE4ELNS1_3repE0EEENS1_30default_config_static_selectorELNS0_4arch9wavefront6targetE0EEEvSQ_,"axG",@progbits,_ZN7rocprim17ROCPRIM_400000_NS6detail17trampoline_kernelINS0_14default_configENS1_22reduce_config_selectorIbEEZNS1_11reduce_implILb1ES3_N6hipcub16HIPCUB_304000_NS22TransformInputIteratorIbN2at6native12_GLOBAL__N_19NonZeroOpIfEEPKflEEPiiNS8_6detail34convert_binary_result_type_wrapperINS8_3SumESH_iEEEE10hipError_tPvRmT1_T2_T3_mT4_P12ihipStream_tbEUlT_E0_NS1_11comp_targetILNS1_3genE10ELNS1_11target_archE1200ELNS1_3gpuE4ELNS1_3repE0EEENS1_30default_config_static_selectorELNS0_4arch9wavefront6targetE0EEEvSQ_,comdat
.Lfunc_end446:
	.size	_ZN7rocprim17ROCPRIM_400000_NS6detail17trampoline_kernelINS0_14default_configENS1_22reduce_config_selectorIbEEZNS1_11reduce_implILb1ES3_N6hipcub16HIPCUB_304000_NS22TransformInputIteratorIbN2at6native12_GLOBAL__N_19NonZeroOpIfEEPKflEEPiiNS8_6detail34convert_binary_result_type_wrapperINS8_3SumESH_iEEEE10hipError_tPvRmT1_T2_T3_mT4_P12ihipStream_tbEUlT_E0_NS1_11comp_targetILNS1_3genE10ELNS1_11target_archE1200ELNS1_3gpuE4ELNS1_3repE0EEENS1_30default_config_static_selectorELNS0_4arch9wavefront6targetE0EEEvSQ_, .Lfunc_end446-_ZN7rocprim17ROCPRIM_400000_NS6detail17trampoline_kernelINS0_14default_configENS1_22reduce_config_selectorIbEEZNS1_11reduce_implILb1ES3_N6hipcub16HIPCUB_304000_NS22TransformInputIteratorIbN2at6native12_GLOBAL__N_19NonZeroOpIfEEPKflEEPiiNS8_6detail34convert_binary_result_type_wrapperINS8_3SumESH_iEEEE10hipError_tPvRmT1_T2_T3_mT4_P12ihipStream_tbEUlT_E0_NS1_11comp_targetILNS1_3genE10ELNS1_11target_archE1200ELNS1_3gpuE4ELNS1_3repE0EEENS1_30default_config_static_selectorELNS0_4arch9wavefront6targetE0EEEvSQ_
                                        ; -- End function
	.section	.AMDGPU.csdata,"",@progbits
; Kernel info:
; codeLenInByte = 0
; NumSgprs: 0
; NumVgprs: 0
; ScratchSize: 0
; MemoryBound: 0
; FloatMode: 240
; IeeeMode: 1
; LDSByteSize: 0 bytes/workgroup (compile time only)
; SGPRBlocks: 0
; VGPRBlocks: 0
; NumSGPRsForWavesPerEU: 1
; NumVGPRsForWavesPerEU: 1
; Occupancy: 16
; WaveLimiterHint : 0
; COMPUTE_PGM_RSRC2:SCRATCH_EN: 0
; COMPUTE_PGM_RSRC2:USER_SGPR: 15
; COMPUTE_PGM_RSRC2:TRAP_HANDLER: 0
; COMPUTE_PGM_RSRC2:TGID_X_EN: 1
; COMPUTE_PGM_RSRC2:TGID_Y_EN: 0
; COMPUTE_PGM_RSRC2:TGID_Z_EN: 0
; COMPUTE_PGM_RSRC2:TIDIG_COMP_CNT: 0
	.section	.text._ZN7rocprim17ROCPRIM_400000_NS6detail17trampoline_kernelINS0_14default_configENS1_22reduce_config_selectorIbEEZNS1_11reduce_implILb1ES3_N6hipcub16HIPCUB_304000_NS22TransformInputIteratorIbN2at6native12_GLOBAL__N_19NonZeroOpIfEEPKflEEPiiNS8_6detail34convert_binary_result_type_wrapperINS8_3SumESH_iEEEE10hipError_tPvRmT1_T2_T3_mT4_P12ihipStream_tbEUlT_E0_NS1_11comp_targetILNS1_3genE9ELNS1_11target_archE1100ELNS1_3gpuE3ELNS1_3repE0EEENS1_30default_config_static_selectorELNS0_4arch9wavefront6targetE0EEEvSQ_,"axG",@progbits,_ZN7rocprim17ROCPRIM_400000_NS6detail17trampoline_kernelINS0_14default_configENS1_22reduce_config_selectorIbEEZNS1_11reduce_implILb1ES3_N6hipcub16HIPCUB_304000_NS22TransformInputIteratorIbN2at6native12_GLOBAL__N_19NonZeroOpIfEEPKflEEPiiNS8_6detail34convert_binary_result_type_wrapperINS8_3SumESH_iEEEE10hipError_tPvRmT1_T2_T3_mT4_P12ihipStream_tbEUlT_E0_NS1_11comp_targetILNS1_3genE9ELNS1_11target_archE1100ELNS1_3gpuE3ELNS1_3repE0EEENS1_30default_config_static_selectorELNS0_4arch9wavefront6targetE0EEEvSQ_,comdat
	.globl	_ZN7rocprim17ROCPRIM_400000_NS6detail17trampoline_kernelINS0_14default_configENS1_22reduce_config_selectorIbEEZNS1_11reduce_implILb1ES3_N6hipcub16HIPCUB_304000_NS22TransformInputIteratorIbN2at6native12_GLOBAL__N_19NonZeroOpIfEEPKflEEPiiNS8_6detail34convert_binary_result_type_wrapperINS8_3SumESH_iEEEE10hipError_tPvRmT1_T2_T3_mT4_P12ihipStream_tbEUlT_E0_NS1_11comp_targetILNS1_3genE9ELNS1_11target_archE1100ELNS1_3gpuE3ELNS1_3repE0EEENS1_30default_config_static_selectorELNS0_4arch9wavefront6targetE0EEEvSQ_ ; -- Begin function _ZN7rocprim17ROCPRIM_400000_NS6detail17trampoline_kernelINS0_14default_configENS1_22reduce_config_selectorIbEEZNS1_11reduce_implILb1ES3_N6hipcub16HIPCUB_304000_NS22TransformInputIteratorIbN2at6native12_GLOBAL__N_19NonZeroOpIfEEPKflEEPiiNS8_6detail34convert_binary_result_type_wrapperINS8_3SumESH_iEEEE10hipError_tPvRmT1_T2_T3_mT4_P12ihipStream_tbEUlT_E0_NS1_11comp_targetILNS1_3genE9ELNS1_11target_archE1100ELNS1_3gpuE3ELNS1_3repE0EEENS1_30default_config_static_selectorELNS0_4arch9wavefront6targetE0EEEvSQ_
	.p2align	8
	.type	_ZN7rocprim17ROCPRIM_400000_NS6detail17trampoline_kernelINS0_14default_configENS1_22reduce_config_selectorIbEEZNS1_11reduce_implILb1ES3_N6hipcub16HIPCUB_304000_NS22TransformInputIteratorIbN2at6native12_GLOBAL__N_19NonZeroOpIfEEPKflEEPiiNS8_6detail34convert_binary_result_type_wrapperINS8_3SumESH_iEEEE10hipError_tPvRmT1_T2_T3_mT4_P12ihipStream_tbEUlT_E0_NS1_11comp_targetILNS1_3genE9ELNS1_11target_archE1100ELNS1_3gpuE3ELNS1_3repE0EEENS1_30default_config_static_selectorELNS0_4arch9wavefront6targetE0EEEvSQ_,@function
_ZN7rocprim17ROCPRIM_400000_NS6detail17trampoline_kernelINS0_14default_configENS1_22reduce_config_selectorIbEEZNS1_11reduce_implILb1ES3_N6hipcub16HIPCUB_304000_NS22TransformInputIteratorIbN2at6native12_GLOBAL__N_19NonZeroOpIfEEPKflEEPiiNS8_6detail34convert_binary_result_type_wrapperINS8_3SumESH_iEEEE10hipError_tPvRmT1_T2_T3_mT4_P12ihipStream_tbEUlT_E0_NS1_11comp_targetILNS1_3genE9ELNS1_11target_archE1100ELNS1_3gpuE3ELNS1_3repE0EEENS1_30default_config_static_selectorELNS0_4arch9wavefront6targetE0EEEvSQ_: ; @_ZN7rocprim17ROCPRIM_400000_NS6detail17trampoline_kernelINS0_14default_configENS1_22reduce_config_selectorIbEEZNS1_11reduce_implILb1ES3_N6hipcub16HIPCUB_304000_NS22TransformInputIteratorIbN2at6native12_GLOBAL__N_19NonZeroOpIfEEPKflEEPiiNS8_6detail34convert_binary_result_type_wrapperINS8_3SumESH_iEEEE10hipError_tPvRmT1_T2_T3_mT4_P12ihipStream_tbEUlT_E0_NS1_11comp_targetILNS1_3genE9ELNS1_11target_archE1100ELNS1_3gpuE3ELNS1_3repE0EEENS1_30default_config_static_selectorELNS0_4arch9wavefront6targetE0EEEvSQ_
; %bb.0:
	s_clause 0x2
	s_load_b256 s[16:23], s[0:1], 0x10
	s_load_b64 s[4:5], s[0:1], 0x0
	s_load_b64 s[26:27], s[0:1], 0x30
	s_mov_b32 s3, 0
	v_lshlrev_b32_e32 v18, 2, v0
	v_mbcnt_lo_u32_b32 v17, -1, 0
	s_mov_b32 s24, s15
	s_mov_b32 s25, s3
	s_waitcnt lgkmcnt(0)
	s_lshl_b64 s[6:7], s[16:17], 2
	s_delay_alu instid0(SALU_CYCLE_1) | instskip(SKIP_4) | instid1(SALU_CYCLE_1)
	s_add_u32 s8, s4, s6
	s_addc_u32 s9, s5, s7
	s_lshl_b32 s2, s15, 11
	s_lshr_b64 s[6:7], s[18:19], 11
	s_lshl_b64 s[4:5], s[2:3], 2
	s_add_u32 s16, s8, s4
	s_addc_u32 s17, s9, s5
	s_cmp_lg_u64 s[6:7], s[24:25]
	s_cbranch_scc0 .LBB447_6
; %bb.1:
	s_clause 0x5
	global_load_b32 v3, v18, s[16:17]
	global_load_b32 v4, v18, s[16:17] offset:512
	global_load_b32 v5, v18, s[16:17] offset:1024
	;; [unrolled: 1-line block ×5, first 2 shown]
	v_add_co_u32 v1, s3, s16, v18
	s_delay_alu instid0(VALU_DEP_1) | instskip(SKIP_1) | instid1(VALU_DEP_2)
	v_add_co_ci_u32_e64 v2, null, s17, 0, s3
	s_mov_b32 s3, exec_lo
	v_add_co_u32 v1, vcc_lo, 0x1000, v1
	s_delay_alu instid0(VALU_DEP_2)
	v_add_co_ci_u32_e32 v2, vcc_lo, 0, v2, vcc_lo
	s_clause 0x9
	global_load_b32 v9, v18, s[16:17] offset:2560
	global_load_b32 v10, v[1:2], off
	global_load_b32 v11, v18, s[16:17] offset:3584
	global_load_b32 v12, v[1:2], off offset:1024
	global_load_b32 v13, v[1:2], off offset:512
	global_load_b32 v14, v[1:2], off offset:2048
	global_load_b32 v15, v[1:2], off offset:1536
	global_load_b32 v16, v[1:2], off offset:3072
	global_load_b32 v19, v[1:2], off offset:2560
	global_load_b32 v1, v[1:2], off offset:3584
	s_waitcnt vmcnt(15)
	v_cmp_neq_f32_e32 vcc_lo, 0, v3
	v_cndmask_b32_e64 v2, 0, 1, vcc_lo
	s_waitcnt vmcnt(13)
	v_cmp_neq_f32_e32 vcc_lo, 0, v5
	v_cndmask_b32_e64 v3, 0, 1, vcc_lo
	v_cmp_neq_f32_e32 vcc_lo, 0, v4
	v_add_co_ci_u32_e32 v2, vcc_lo, 0, v2, vcc_lo
	s_waitcnt vmcnt(11)
	v_cmp_neq_f32_e32 vcc_lo, 0, v7
	v_cndmask_b32_e64 v4, 0, 1, vcc_lo
	v_cmp_neq_f32_e32 vcc_lo, 0, v6
	v_add_co_ci_u32_e32 v2, vcc_lo, v2, v3, vcc_lo
	s_waitcnt vmcnt(10)
	v_cmp_neq_f32_e32 vcc_lo, 0, v8
	v_cndmask_b32_e64 v3, 0, 1, vcc_lo
	s_waitcnt vmcnt(9)
	v_cmp_neq_f32_e32 vcc_lo, 0, v9
	v_add_co_ci_u32_e32 v2, vcc_lo, v2, v4, vcc_lo
	s_waitcnt vmcnt(8)
	v_cmp_neq_f32_e32 vcc_lo, 0, v10
	v_cndmask_b32_e64 v4, 0, 1, vcc_lo
	s_waitcnt vmcnt(7)
	;; [unrolled: 6-line block ×5, first 2 shown]
	v_cmp_neq_f32_e32 vcc_lo, 0, v19
	v_add_co_ci_u32_e32 v2, vcc_lo, v2, v4, vcc_lo
	s_waitcnt vmcnt(0)
	v_cmp_neq_f32_e32 vcc_lo, 0, v1
	s_delay_alu instid0(VALU_DEP_2) | instskip(SKIP_1) | instid1(VALU_DEP_2)
	v_add_co_ci_u32_e32 v1, vcc_lo, v2, v3, vcc_lo
	v_mov_b32_e32 v3, 0
	v_mov_b32_dpp v2, v1 quad_perm:[1,0,3,2] row_mask:0xf bank_mask:0xf
	s_delay_alu instid0(VALU_DEP_1) | instskip(NEXT) | instid1(VALU_DEP_1)
	v_add_nc_u32_e32 v1, v1, v2
	v_mov_b32_dpp v2, v1 quad_perm:[2,3,0,1] row_mask:0xf bank_mask:0xf
	s_delay_alu instid0(VALU_DEP_1) | instskip(NEXT) | instid1(VALU_DEP_1)
	v_add_nc_u32_e32 v1, v1, v2
	v_mov_b32_dpp v2, v1 row_ror:4 row_mask:0xf bank_mask:0xf
	s_delay_alu instid0(VALU_DEP_1) | instskip(NEXT) | instid1(VALU_DEP_1)
	v_add_nc_u32_e32 v1, v1, v2
	v_mov_b32_dpp v2, v1 row_ror:8 row_mask:0xf bank_mask:0xf
	s_delay_alu instid0(VALU_DEP_1)
	v_add_nc_u32_e32 v1, v1, v2
	ds_swizzle_b32 v2, v1 offset:swizzle(BROADCAST,32,15)
	s_waitcnt lgkmcnt(0)
	v_add_nc_u32_e32 v1, v1, v2
	ds_bpermute_b32 v1, v3, v1 offset:124
	v_cmpx_eq_u32_e32 0, v17
	s_cbranch_execz .LBB447_3
; %bb.2:
	v_lshrrev_b32_e32 v2, 3, v0
	s_delay_alu instid0(VALU_DEP_1)
	v_and_b32_e32 v2, 12, v2
	s_waitcnt lgkmcnt(0)
	ds_store_b32 v2, v1
.LBB447_3:
	s_or_b32 exec_lo, exec_lo, s3
	s_delay_alu instid0(SALU_CYCLE_1)
	s_mov_b32 s3, exec_lo
	s_waitcnt lgkmcnt(0)
	s_barrier
	buffer_gl0_inv
	v_cmpx_gt_u32_e32 32, v0
	s_cbranch_execz .LBB447_5
; %bb.4:
	v_and_b32_e32 v1, 3, v17
	s_delay_alu instid0(VALU_DEP_1) | instskip(SKIP_4) | instid1(VALU_DEP_2)
	v_lshlrev_b32_e32 v2, 2, v1
	v_cmp_ne_u32_e32 vcc_lo, 3, v1
	ds_load_b32 v2, v2
	v_add_co_ci_u32_e32 v3, vcc_lo, 0, v17, vcc_lo
	v_cmp_gt_u32_e32 vcc_lo, 2, v1
	v_lshlrev_b32_e32 v3, 2, v3
	v_cndmask_b32_e64 v1, 0, 1, vcc_lo
	s_delay_alu instid0(VALU_DEP_1) | instskip(NEXT) | instid1(VALU_DEP_1)
	v_lshlrev_b32_e32 v1, 1, v1
	v_add_lshl_u32 v1, v1, v17, 2
	s_waitcnt lgkmcnt(0)
	ds_bpermute_b32 v3, v3, v2
	s_waitcnt lgkmcnt(0)
	v_add_nc_u32_e32 v2, v3, v2
	ds_bpermute_b32 v1, v1, v2
	s_waitcnt lgkmcnt(0)
	v_add_nc_u32_e32 v1, v1, v2
.LBB447_5:
	s_or_b32 exec_lo, exec_lo, s3
	s_branch .LBB447_44
.LBB447_6:
                                        ; implicit-def: $vgpr1
	s_cbranch_execz .LBB447_44
; %bb.7:
	s_sub_i32 s28, s18, s2
	s_mov_b32 s2, exec_lo
                                        ; implicit-def: $vgpr1_vgpr2_vgpr3_vgpr4_vgpr5_vgpr6_vgpr7_vgpr8_vgpr9_vgpr10_vgpr11_vgpr12_vgpr13_vgpr14_vgpr15_vgpr16
	v_cmpx_gt_u32_e64 s28, v0
	s_cbranch_execz .LBB447_9
; %bb.8:
	global_load_b32 v1, v18, s[16:17]
	s_waitcnt vmcnt(0)
	v_cmp_neq_f32_e32 vcc_lo, 0, v1
	v_cndmask_b32_e64 v1, 0, 1, vcc_lo
.LBB447_9:
	s_or_b32 exec_lo, exec_lo, s2
	v_or_b32_e32 v19, 0x80, v0
	s_delay_alu instid0(VALU_DEP_1)
	v_cmp_gt_u32_e32 vcc_lo, s28, v19
	s_and_saveexec_b32 s3, vcc_lo
	s_cbranch_execz .LBB447_11
; %bb.10:
	global_load_b32 v2, v18, s[16:17] offset:512
	s_waitcnt vmcnt(0)
	v_cmp_neq_f32_e64 s2, 0, v2
	s_delay_alu instid0(VALU_DEP_1)
	v_cndmask_b32_e64 v2, 0, 1, s2
.LBB447_11:
	s_or_b32 exec_lo, exec_lo, s3
	v_or_b32_e32 v19, 0x100, v0
	s_delay_alu instid0(VALU_DEP_1) | instskip(NEXT) | instid1(VALU_DEP_1)
	v_cmp_gt_u32_e64 s2, s28, v19
	s_and_saveexec_b32 s4, s2
	s_cbranch_execz .LBB447_13
; %bb.12:
	global_load_b32 v3, v18, s[16:17] offset:1024
	s_waitcnt vmcnt(0)
	v_cmp_neq_f32_e64 s3, 0, v3
	s_delay_alu instid0(VALU_DEP_1)
	v_cndmask_b32_e64 v3, 0, 1, s3
.LBB447_13:
	s_or_b32 exec_lo, exec_lo, s4
	v_or_b32_e32 v19, 0x180, v0
	s_delay_alu instid0(VALU_DEP_1) | instskip(NEXT) | instid1(VALU_DEP_1)
	v_cmp_gt_u32_e64 s3, s28, v19
	s_and_saveexec_b32 s5, s3
	;; [unrolled: 13-line block ×7, first 2 shown]
	s_cbranch_execz .LBB447_25
; %bb.24:
	v_lshlrev_b32_e32 v9, 2, v18
	global_load_b32 v9, v9, s[16:17]
	s_waitcnt vmcnt(0)
	v_cmp_neq_f32_e64 s9, 0, v9
	s_delay_alu instid0(VALU_DEP_1)
	v_cndmask_b32_e64 v9, 0, 1, s9
.LBB447_25:
	s_or_b32 exec_lo, exec_lo, s10
	v_or_b32_e32 v18, 0x480, v0
	s_delay_alu instid0(VALU_DEP_1) | instskip(NEXT) | instid1(VALU_DEP_1)
	v_cmp_gt_u32_e64 s9, s28, v18
	s_and_saveexec_b32 s11, s9
	s_cbranch_execz .LBB447_27
; %bb.26:
	v_lshlrev_b32_e32 v10, 2, v18
	global_load_b32 v10, v10, s[16:17]
	s_waitcnt vmcnt(0)
	v_cmp_neq_f32_e64 s10, 0, v10
	s_delay_alu instid0(VALU_DEP_1)
	v_cndmask_b32_e64 v10, 0, 1, s10
.LBB447_27:
	s_or_b32 exec_lo, exec_lo, s11
	v_or_b32_e32 v18, 0x500, v0
	s_delay_alu instid0(VALU_DEP_1) | instskip(NEXT) | instid1(VALU_DEP_1)
	v_cmp_gt_u32_e64 s10, s28, v18
	s_and_saveexec_b32 s12, s10
	;; [unrolled: 14-line block ×7, first 2 shown]
	s_cbranch_execz .LBB447_39
; %bb.38:
	v_lshlrev_b32_e32 v16, 2, v18
	global_load_b32 v16, v16, s[16:17]
	s_waitcnt vmcnt(0)
	v_cmp_neq_f32_e64 s16, 0, v16
	s_delay_alu instid0(VALU_DEP_1)
	v_cndmask_b32_e64 v16, 0, 1, s16
.LBB447_39:
	s_or_b32 exec_lo, exec_lo, s29
	v_cndmask_b32_e32 v2, 0, v2, vcc_lo
	v_cndmask_b32_e64 v3, 0, v3, s2
	v_cndmask_b32_e64 v4, 0, v4, s3
	v_cmp_ne_u32_e32 vcc_lo, 31, v17
	s_min_u32 s2, s28, 0x80
	v_add_nc_u32_e32 v1, v2, v1
	v_cndmask_b32_e64 v2, 0, v5, s4
	v_cndmask_b32_e64 v5, 0, v6, s5
	;; [unrolled: 1-line block ×3, first 2 shown]
	s_mov_b32 s3, exec_lo
	v_add3_u32 v1, v1, v3, v4
	v_cndmask_b32_e64 v3, 0, v7, s6
	v_cndmask_b32_e64 v4, 0, v8, s7
	s_delay_alu instid0(VALU_DEP_3) | instskip(SKIP_2) | instid1(VALU_DEP_3)
	v_add3_u32 v1, v1, v2, v5
	v_cndmask_b32_e64 v2, 0, v9, s8
	v_cndmask_b32_e64 v5, 0, v10, s9
	v_add3_u32 v1, v1, v3, v4
	v_cndmask_b32_e64 v3, 0, v11, s10
	v_cndmask_b32_e64 v4, 0, v12, s11
	s_delay_alu instid0(VALU_DEP_3) | instskip(SKIP_2) | instid1(VALU_DEP_3)
	v_add3_u32 v1, v1, v2, v5
	v_cndmask_b32_e64 v2, 0, v13, s12
	v_cndmask_b32_e64 v5, 0, v14, s13
	v_add3_u32 v1, v1, v3, v4
	v_cndmask_b32_e64 v3, 0, v16, s15
	v_add_co_ci_u32_e32 v4, vcc_lo, 0, v17, vcc_lo
	v_cmp_gt_u32_e32 vcc_lo, 30, v17
	s_delay_alu instid0(VALU_DEP_4) | instskip(NEXT) | instid1(VALU_DEP_3)
	v_add3_u32 v1, v1, v2, v5
	v_lshlrev_b32_e32 v2, 2, v4
	v_add_nc_u32_e32 v4, 1, v17
	v_cndmask_b32_e64 v5, 0, 1, vcc_lo
	s_delay_alu instid0(VALU_DEP_4) | instskip(SKIP_1) | instid1(VALU_DEP_3)
	v_add3_u32 v1, v1, v6, v3
	v_and_b32_e32 v3, 0x60, v0
	v_lshlrev_b32_e32 v5, 1, v5
	ds_bpermute_b32 v2, v2, v1
	v_sub_nc_u32_e64 v3, s2, v3 clamp
	s_delay_alu instid0(VALU_DEP_1) | instskip(SKIP_4) | instid1(VALU_DEP_2)
	v_cmp_lt_u32_e32 vcc_lo, v4, v3
	v_add_lshl_u32 v4, v5, v17, 2
	s_waitcnt lgkmcnt(0)
	v_dual_cndmask_b32 v2, 0, v2 :: v_dual_add_nc_u32 v5, 2, v17
	v_cmp_gt_u32_e32 vcc_lo, 28, v17
	v_add_nc_u32_e32 v1, v1, v2
	ds_bpermute_b32 v2, v4, v1
	v_cndmask_b32_e64 v4, 0, 1, vcc_lo
	v_cmp_lt_u32_e32 vcc_lo, v5, v3
	v_add_nc_u32_e32 v5, 4, v17
	s_delay_alu instid0(VALU_DEP_3) | instskip(NEXT) | instid1(VALU_DEP_1)
	v_lshlrev_b32_e32 v4, 2, v4
	v_add_lshl_u32 v4, v4, v17, 2
	s_waitcnt lgkmcnt(0)
	v_cndmask_b32_e32 v2, 0, v2, vcc_lo
	v_cmp_gt_u32_e32 vcc_lo, 24, v17
	s_delay_alu instid0(VALU_DEP_2) | instskip(SKIP_4) | instid1(VALU_DEP_3)
	v_add_nc_u32_e32 v1, v1, v2
	ds_bpermute_b32 v2, v4, v1
	v_cndmask_b32_e64 v4, 0, 1, vcc_lo
	v_cmp_lt_u32_e32 vcc_lo, v5, v3
	v_add_nc_u32_e32 v5, 8, v17
	v_lshlrev_b32_e32 v4, 3, v4
	s_delay_alu instid0(VALU_DEP_1) | instskip(SKIP_3) | instid1(VALU_DEP_2)
	v_add_lshl_u32 v4, v4, v17, 2
	s_waitcnt lgkmcnt(0)
	v_cndmask_b32_e32 v2, 0, v2, vcc_lo
	v_cmp_gt_u32_e32 vcc_lo, 16, v17
	v_add_nc_u32_e32 v1, v1, v2
	ds_bpermute_b32 v2, v4, v1
	v_cndmask_b32_e64 v4, 0, 1, vcc_lo
	v_cmp_lt_u32_e32 vcc_lo, v5, v3
	s_delay_alu instid0(VALU_DEP_2) | instskip(NEXT) | instid1(VALU_DEP_1)
	v_lshlrev_b32_e32 v4, 4, v4
	v_add_lshl_u32 v4, v4, v17, 2
	s_waitcnt lgkmcnt(0)
	v_cndmask_b32_e32 v2, 0, v2, vcc_lo
	s_delay_alu instid0(VALU_DEP_1) | instskip(SKIP_2) | instid1(VALU_DEP_1)
	v_add_nc_u32_e32 v1, v1, v2
	ds_bpermute_b32 v2, v4, v1
	v_add_nc_u32_e32 v4, 16, v17
	v_cmp_lt_u32_e32 vcc_lo, v4, v3
	s_waitcnt lgkmcnt(0)
	v_cndmask_b32_e32 v2, 0, v2, vcc_lo
	s_delay_alu instid0(VALU_DEP_1)
	v_add_nc_u32_e32 v1, v1, v2
	v_cmpx_eq_u32_e32 0, v17
	s_cbranch_execz .LBB447_41
; %bb.40:
	v_lshrrev_b32_e32 v2, 3, v0
	s_delay_alu instid0(VALU_DEP_1)
	v_and_b32_e32 v2, 12, v2
	ds_store_b32 v2, v1 offset:16
.LBB447_41:
	s_or_b32 exec_lo, exec_lo, s3
	s_delay_alu instid0(SALU_CYCLE_1)
	s_mov_b32 s3, exec_lo
	s_waitcnt lgkmcnt(0)
	s_barrier
	buffer_gl0_inv
	v_cmpx_gt_u32_e32 4, v0
	s_cbranch_execz .LBB447_43
; %bb.42:
	v_lshlrev_b32_e32 v1, 2, v17
	v_and_b32_e32 v2, 3, v17
	s_add_i32 s2, s2, 31
	s_delay_alu instid0(SALU_CYCLE_1)
	s_lshr_b32 s2, s2, 5
	ds_load_b32 v1, v1 offset:16
	v_cmp_ne_u32_e32 vcc_lo, 3, v2
	v_add_nc_u32_e32 v4, 1, v2
	v_add_co_ci_u32_e32 v3, vcc_lo, 0, v17, vcc_lo
	v_cmp_gt_u32_e32 vcc_lo, 2, v2
	s_delay_alu instid0(VALU_DEP_2) | instskip(SKIP_2) | instid1(VALU_DEP_2)
	v_lshlrev_b32_e32 v3, 2, v3
	v_cndmask_b32_e64 v5, 0, 1, vcc_lo
	v_cmp_gt_u32_e32 vcc_lo, s2, v4
	v_lshlrev_b32_e32 v4, 1, v5
	s_waitcnt lgkmcnt(0)
	ds_bpermute_b32 v3, v3, v1
	s_waitcnt lgkmcnt(0)
	v_dual_cndmask_b32 v3, 0, v3 :: v_dual_add_nc_u32 v2, 2, v2
	s_delay_alu instid0(VALU_DEP_1) | instskip(SKIP_1) | instid1(VALU_DEP_3)
	v_add_nc_u32_e32 v1, v3, v1
	v_add_lshl_u32 v3, v4, v17, 2
	v_cmp_gt_u32_e32 vcc_lo, s2, v2
	ds_bpermute_b32 v3, v3, v1
	s_waitcnt lgkmcnt(0)
	v_cndmask_b32_e32 v2, 0, v3, vcc_lo
	s_delay_alu instid0(VALU_DEP_1)
	v_add_nc_u32_e32 v1, v1, v2
.LBB447_43:
	s_or_b32 exec_lo, exec_lo, s3
.LBB447_44:
	s_load_b32 s0, s[0:1], 0x38
	s_mov_b32 s1, exec_lo
	v_cmpx_eq_u32_e32 0, v0
	s_cbranch_execz .LBB447_46
; %bb.45:
	s_mul_i32 s1, s26, s23
	s_mul_hi_u32 s2, s26, s22
	s_mul_i32 s3, s27, s22
	s_add_i32 s1, s2, s1
	s_mul_i32 s2, s26, s22
	s_add_i32 s3, s1, s3
	s_delay_alu instid0(SALU_CYCLE_1) | instskip(NEXT) | instid1(SALU_CYCLE_1)
	s_lshl_b64 s[2:3], s[2:3], 2
	s_add_u32 s2, s20, s2
	s_addc_u32 s3, s21, s3
	s_cmp_eq_u64 s[18:19], 0
	s_cselect_b32 s1, -1, 0
	s_waitcnt lgkmcnt(0)
	v_cndmask_b32_e64 v0, v1, s0, s1
	s_lshl_b64 s[0:1], s[24:25], 2
	v_mov_b32_e32 v1, 0
	s_add_u32 s0, s2, s0
	s_addc_u32 s1, s3, s1
	global_store_b32 v1, v0, s[0:1]
.LBB447_46:
	s_nop 0
	s_sendmsg sendmsg(MSG_DEALLOC_VGPRS)
	s_endpgm
	.section	.rodata,"a",@progbits
	.p2align	6, 0x0
	.amdhsa_kernel _ZN7rocprim17ROCPRIM_400000_NS6detail17trampoline_kernelINS0_14default_configENS1_22reduce_config_selectorIbEEZNS1_11reduce_implILb1ES3_N6hipcub16HIPCUB_304000_NS22TransformInputIteratorIbN2at6native12_GLOBAL__N_19NonZeroOpIfEEPKflEEPiiNS8_6detail34convert_binary_result_type_wrapperINS8_3SumESH_iEEEE10hipError_tPvRmT1_T2_T3_mT4_P12ihipStream_tbEUlT_E0_NS1_11comp_targetILNS1_3genE9ELNS1_11target_archE1100ELNS1_3gpuE3ELNS1_3repE0EEENS1_30default_config_static_selectorELNS0_4arch9wavefront6targetE0EEEvSQ_
		.amdhsa_group_segment_fixed_size 32
		.amdhsa_private_segment_fixed_size 0
		.amdhsa_kernarg_size 64
		.amdhsa_user_sgpr_count 15
		.amdhsa_user_sgpr_dispatch_ptr 0
		.amdhsa_user_sgpr_queue_ptr 0
		.amdhsa_user_sgpr_kernarg_segment_ptr 1
		.amdhsa_user_sgpr_dispatch_id 0
		.amdhsa_user_sgpr_private_segment_size 0
		.amdhsa_wavefront_size32 1
		.amdhsa_uses_dynamic_stack 0
		.amdhsa_enable_private_segment 0
		.amdhsa_system_sgpr_workgroup_id_x 1
		.amdhsa_system_sgpr_workgroup_id_y 0
		.amdhsa_system_sgpr_workgroup_id_z 0
		.amdhsa_system_sgpr_workgroup_info 0
		.amdhsa_system_vgpr_workitem_id 0
		.amdhsa_next_free_vgpr 20
		.amdhsa_next_free_sgpr 30
		.amdhsa_reserve_vcc 1
		.amdhsa_float_round_mode_32 0
		.amdhsa_float_round_mode_16_64 0
		.amdhsa_float_denorm_mode_32 3
		.amdhsa_float_denorm_mode_16_64 3
		.amdhsa_dx10_clamp 1
		.amdhsa_ieee_mode 1
		.amdhsa_fp16_overflow 0
		.amdhsa_workgroup_processor_mode 1
		.amdhsa_memory_ordered 1
		.amdhsa_forward_progress 0
		.amdhsa_shared_vgpr_count 0
		.amdhsa_exception_fp_ieee_invalid_op 0
		.amdhsa_exception_fp_denorm_src 0
		.amdhsa_exception_fp_ieee_div_zero 0
		.amdhsa_exception_fp_ieee_overflow 0
		.amdhsa_exception_fp_ieee_underflow 0
		.amdhsa_exception_fp_ieee_inexact 0
		.amdhsa_exception_int_div_zero 0
	.end_amdhsa_kernel
	.section	.text._ZN7rocprim17ROCPRIM_400000_NS6detail17trampoline_kernelINS0_14default_configENS1_22reduce_config_selectorIbEEZNS1_11reduce_implILb1ES3_N6hipcub16HIPCUB_304000_NS22TransformInputIteratorIbN2at6native12_GLOBAL__N_19NonZeroOpIfEEPKflEEPiiNS8_6detail34convert_binary_result_type_wrapperINS8_3SumESH_iEEEE10hipError_tPvRmT1_T2_T3_mT4_P12ihipStream_tbEUlT_E0_NS1_11comp_targetILNS1_3genE9ELNS1_11target_archE1100ELNS1_3gpuE3ELNS1_3repE0EEENS1_30default_config_static_selectorELNS0_4arch9wavefront6targetE0EEEvSQ_,"axG",@progbits,_ZN7rocprim17ROCPRIM_400000_NS6detail17trampoline_kernelINS0_14default_configENS1_22reduce_config_selectorIbEEZNS1_11reduce_implILb1ES3_N6hipcub16HIPCUB_304000_NS22TransformInputIteratorIbN2at6native12_GLOBAL__N_19NonZeroOpIfEEPKflEEPiiNS8_6detail34convert_binary_result_type_wrapperINS8_3SumESH_iEEEE10hipError_tPvRmT1_T2_T3_mT4_P12ihipStream_tbEUlT_E0_NS1_11comp_targetILNS1_3genE9ELNS1_11target_archE1100ELNS1_3gpuE3ELNS1_3repE0EEENS1_30default_config_static_selectorELNS0_4arch9wavefront6targetE0EEEvSQ_,comdat
.Lfunc_end447:
	.size	_ZN7rocprim17ROCPRIM_400000_NS6detail17trampoline_kernelINS0_14default_configENS1_22reduce_config_selectorIbEEZNS1_11reduce_implILb1ES3_N6hipcub16HIPCUB_304000_NS22TransformInputIteratorIbN2at6native12_GLOBAL__N_19NonZeroOpIfEEPKflEEPiiNS8_6detail34convert_binary_result_type_wrapperINS8_3SumESH_iEEEE10hipError_tPvRmT1_T2_T3_mT4_P12ihipStream_tbEUlT_E0_NS1_11comp_targetILNS1_3genE9ELNS1_11target_archE1100ELNS1_3gpuE3ELNS1_3repE0EEENS1_30default_config_static_selectorELNS0_4arch9wavefront6targetE0EEEvSQ_, .Lfunc_end447-_ZN7rocprim17ROCPRIM_400000_NS6detail17trampoline_kernelINS0_14default_configENS1_22reduce_config_selectorIbEEZNS1_11reduce_implILb1ES3_N6hipcub16HIPCUB_304000_NS22TransformInputIteratorIbN2at6native12_GLOBAL__N_19NonZeroOpIfEEPKflEEPiiNS8_6detail34convert_binary_result_type_wrapperINS8_3SumESH_iEEEE10hipError_tPvRmT1_T2_T3_mT4_P12ihipStream_tbEUlT_E0_NS1_11comp_targetILNS1_3genE9ELNS1_11target_archE1100ELNS1_3gpuE3ELNS1_3repE0EEENS1_30default_config_static_selectorELNS0_4arch9wavefront6targetE0EEEvSQ_
                                        ; -- End function
	.section	.AMDGPU.csdata,"",@progbits
; Kernel info:
; codeLenInByte = 2620
; NumSgprs: 32
; NumVgprs: 20
; ScratchSize: 0
; MemoryBound: 0
; FloatMode: 240
; IeeeMode: 1
; LDSByteSize: 32 bytes/workgroup (compile time only)
; SGPRBlocks: 3
; VGPRBlocks: 2
; NumSGPRsForWavesPerEU: 32
; NumVGPRsForWavesPerEU: 20
; Occupancy: 16
; WaveLimiterHint : 1
; COMPUTE_PGM_RSRC2:SCRATCH_EN: 0
; COMPUTE_PGM_RSRC2:USER_SGPR: 15
; COMPUTE_PGM_RSRC2:TRAP_HANDLER: 0
; COMPUTE_PGM_RSRC2:TGID_X_EN: 1
; COMPUTE_PGM_RSRC2:TGID_Y_EN: 0
; COMPUTE_PGM_RSRC2:TGID_Z_EN: 0
; COMPUTE_PGM_RSRC2:TIDIG_COMP_CNT: 0
	.section	.text._ZN7rocprim17ROCPRIM_400000_NS6detail17trampoline_kernelINS0_14default_configENS1_22reduce_config_selectorIbEEZNS1_11reduce_implILb1ES3_N6hipcub16HIPCUB_304000_NS22TransformInputIteratorIbN2at6native12_GLOBAL__N_19NonZeroOpIfEEPKflEEPiiNS8_6detail34convert_binary_result_type_wrapperINS8_3SumESH_iEEEE10hipError_tPvRmT1_T2_T3_mT4_P12ihipStream_tbEUlT_E0_NS1_11comp_targetILNS1_3genE8ELNS1_11target_archE1030ELNS1_3gpuE2ELNS1_3repE0EEENS1_30default_config_static_selectorELNS0_4arch9wavefront6targetE0EEEvSQ_,"axG",@progbits,_ZN7rocprim17ROCPRIM_400000_NS6detail17trampoline_kernelINS0_14default_configENS1_22reduce_config_selectorIbEEZNS1_11reduce_implILb1ES3_N6hipcub16HIPCUB_304000_NS22TransformInputIteratorIbN2at6native12_GLOBAL__N_19NonZeroOpIfEEPKflEEPiiNS8_6detail34convert_binary_result_type_wrapperINS8_3SumESH_iEEEE10hipError_tPvRmT1_T2_T3_mT4_P12ihipStream_tbEUlT_E0_NS1_11comp_targetILNS1_3genE8ELNS1_11target_archE1030ELNS1_3gpuE2ELNS1_3repE0EEENS1_30default_config_static_selectorELNS0_4arch9wavefront6targetE0EEEvSQ_,comdat
	.globl	_ZN7rocprim17ROCPRIM_400000_NS6detail17trampoline_kernelINS0_14default_configENS1_22reduce_config_selectorIbEEZNS1_11reduce_implILb1ES3_N6hipcub16HIPCUB_304000_NS22TransformInputIteratorIbN2at6native12_GLOBAL__N_19NonZeroOpIfEEPKflEEPiiNS8_6detail34convert_binary_result_type_wrapperINS8_3SumESH_iEEEE10hipError_tPvRmT1_T2_T3_mT4_P12ihipStream_tbEUlT_E0_NS1_11comp_targetILNS1_3genE8ELNS1_11target_archE1030ELNS1_3gpuE2ELNS1_3repE0EEENS1_30default_config_static_selectorELNS0_4arch9wavefront6targetE0EEEvSQ_ ; -- Begin function _ZN7rocprim17ROCPRIM_400000_NS6detail17trampoline_kernelINS0_14default_configENS1_22reduce_config_selectorIbEEZNS1_11reduce_implILb1ES3_N6hipcub16HIPCUB_304000_NS22TransformInputIteratorIbN2at6native12_GLOBAL__N_19NonZeroOpIfEEPKflEEPiiNS8_6detail34convert_binary_result_type_wrapperINS8_3SumESH_iEEEE10hipError_tPvRmT1_T2_T3_mT4_P12ihipStream_tbEUlT_E0_NS1_11comp_targetILNS1_3genE8ELNS1_11target_archE1030ELNS1_3gpuE2ELNS1_3repE0EEENS1_30default_config_static_selectorELNS0_4arch9wavefront6targetE0EEEvSQ_
	.p2align	8
	.type	_ZN7rocprim17ROCPRIM_400000_NS6detail17trampoline_kernelINS0_14default_configENS1_22reduce_config_selectorIbEEZNS1_11reduce_implILb1ES3_N6hipcub16HIPCUB_304000_NS22TransformInputIteratorIbN2at6native12_GLOBAL__N_19NonZeroOpIfEEPKflEEPiiNS8_6detail34convert_binary_result_type_wrapperINS8_3SumESH_iEEEE10hipError_tPvRmT1_T2_T3_mT4_P12ihipStream_tbEUlT_E0_NS1_11comp_targetILNS1_3genE8ELNS1_11target_archE1030ELNS1_3gpuE2ELNS1_3repE0EEENS1_30default_config_static_selectorELNS0_4arch9wavefront6targetE0EEEvSQ_,@function
_ZN7rocprim17ROCPRIM_400000_NS6detail17trampoline_kernelINS0_14default_configENS1_22reduce_config_selectorIbEEZNS1_11reduce_implILb1ES3_N6hipcub16HIPCUB_304000_NS22TransformInputIteratorIbN2at6native12_GLOBAL__N_19NonZeroOpIfEEPKflEEPiiNS8_6detail34convert_binary_result_type_wrapperINS8_3SumESH_iEEEE10hipError_tPvRmT1_T2_T3_mT4_P12ihipStream_tbEUlT_E0_NS1_11comp_targetILNS1_3genE8ELNS1_11target_archE1030ELNS1_3gpuE2ELNS1_3repE0EEENS1_30default_config_static_selectorELNS0_4arch9wavefront6targetE0EEEvSQ_: ; @_ZN7rocprim17ROCPRIM_400000_NS6detail17trampoline_kernelINS0_14default_configENS1_22reduce_config_selectorIbEEZNS1_11reduce_implILb1ES3_N6hipcub16HIPCUB_304000_NS22TransformInputIteratorIbN2at6native12_GLOBAL__N_19NonZeroOpIfEEPKflEEPiiNS8_6detail34convert_binary_result_type_wrapperINS8_3SumESH_iEEEE10hipError_tPvRmT1_T2_T3_mT4_P12ihipStream_tbEUlT_E0_NS1_11comp_targetILNS1_3genE8ELNS1_11target_archE1030ELNS1_3gpuE2ELNS1_3repE0EEENS1_30default_config_static_selectorELNS0_4arch9wavefront6targetE0EEEvSQ_
; %bb.0:
	.section	.rodata,"a",@progbits
	.p2align	6, 0x0
	.amdhsa_kernel _ZN7rocprim17ROCPRIM_400000_NS6detail17trampoline_kernelINS0_14default_configENS1_22reduce_config_selectorIbEEZNS1_11reduce_implILb1ES3_N6hipcub16HIPCUB_304000_NS22TransformInputIteratorIbN2at6native12_GLOBAL__N_19NonZeroOpIfEEPKflEEPiiNS8_6detail34convert_binary_result_type_wrapperINS8_3SumESH_iEEEE10hipError_tPvRmT1_T2_T3_mT4_P12ihipStream_tbEUlT_E0_NS1_11comp_targetILNS1_3genE8ELNS1_11target_archE1030ELNS1_3gpuE2ELNS1_3repE0EEENS1_30default_config_static_selectorELNS0_4arch9wavefront6targetE0EEEvSQ_
		.amdhsa_group_segment_fixed_size 0
		.amdhsa_private_segment_fixed_size 0
		.amdhsa_kernarg_size 64
		.amdhsa_user_sgpr_count 15
		.amdhsa_user_sgpr_dispatch_ptr 0
		.amdhsa_user_sgpr_queue_ptr 0
		.amdhsa_user_sgpr_kernarg_segment_ptr 1
		.amdhsa_user_sgpr_dispatch_id 0
		.amdhsa_user_sgpr_private_segment_size 0
		.amdhsa_wavefront_size32 1
		.amdhsa_uses_dynamic_stack 0
		.amdhsa_enable_private_segment 0
		.amdhsa_system_sgpr_workgroup_id_x 1
		.amdhsa_system_sgpr_workgroup_id_y 0
		.amdhsa_system_sgpr_workgroup_id_z 0
		.amdhsa_system_sgpr_workgroup_info 0
		.amdhsa_system_vgpr_workitem_id 0
		.amdhsa_next_free_vgpr 1
		.amdhsa_next_free_sgpr 1
		.amdhsa_reserve_vcc 0
		.amdhsa_float_round_mode_32 0
		.amdhsa_float_round_mode_16_64 0
		.amdhsa_float_denorm_mode_32 3
		.amdhsa_float_denorm_mode_16_64 3
		.amdhsa_dx10_clamp 1
		.amdhsa_ieee_mode 1
		.amdhsa_fp16_overflow 0
		.amdhsa_workgroup_processor_mode 1
		.amdhsa_memory_ordered 1
		.amdhsa_forward_progress 0
		.amdhsa_shared_vgpr_count 0
		.amdhsa_exception_fp_ieee_invalid_op 0
		.amdhsa_exception_fp_denorm_src 0
		.amdhsa_exception_fp_ieee_div_zero 0
		.amdhsa_exception_fp_ieee_overflow 0
		.amdhsa_exception_fp_ieee_underflow 0
		.amdhsa_exception_fp_ieee_inexact 0
		.amdhsa_exception_int_div_zero 0
	.end_amdhsa_kernel
	.section	.text._ZN7rocprim17ROCPRIM_400000_NS6detail17trampoline_kernelINS0_14default_configENS1_22reduce_config_selectorIbEEZNS1_11reduce_implILb1ES3_N6hipcub16HIPCUB_304000_NS22TransformInputIteratorIbN2at6native12_GLOBAL__N_19NonZeroOpIfEEPKflEEPiiNS8_6detail34convert_binary_result_type_wrapperINS8_3SumESH_iEEEE10hipError_tPvRmT1_T2_T3_mT4_P12ihipStream_tbEUlT_E0_NS1_11comp_targetILNS1_3genE8ELNS1_11target_archE1030ELNS1_3gpuE2ELNS1_3repE0EEENS1_30default_config_static_selectorELNS0_4arch9wavefront6targetE0EEEvSQ_,"axG",@progbits,_ZN7rocprim17ROCPRIM_400000_NS6detail17trampoline_kernelINS0_14default_configENS1_22reduce_config_selectorIbEEZNS1_11reduce_implILb1ES3_N6hipcub16HIPCUB_304000_NS22TransformInputIteratorIbN2at6native12_GLOBAL__N_19NonZeroOpIfEEPKflEEPiiNS8_6detail34convert_binary_result_type_wrapperINS8_3SumESH_iEEEE10hipError_tPvRmT1_T2_T3_mT4_P12ihipStream_tbEUlT_E0_NS1_11comp_targetILNS1_3genE8ELNS1_11target_archE1030ELNS1_3gpuE2ELNS1_3repE0EEENS1_30default_config_static_selectorELNS0_4arch9wavefront6targetE0EEEvSQ_,comdat
.Lfunc_end448:
	.size	_ZN7rocprim17ROCPRIM_400000_NS6detail17trampoline_kernelINS0_14default_configENS1_22reduce_config_selectorIbEEZNS1_11reduce_implILb1ES3_N6hipcub16HIPCUB_304000_NS22TransformInputIteratorIbN2at6native12_GLOBAL__N_19NonZeroOpIfEEPKflEEPiiNS8_6detail34convert_binary_result_type_wrapperINS8_3SumESH_iEEEE10hipError_tPvRmT1_T2_T3_mT4_P12ihipStream_tbEUlT_E0_NS1_11comp_targetILNS1_3genE8ELNS1_11target_archE1030ELNS1_3gpuE2ELNS1_3repE0EEENS1_30default_config_static_selectorELNS0_4arch9wavefront6targetE0EEEvSQ_, .Lfunc_end448-_ZN7rocprim17ROCPRIM_400000_NS6detail17trampoline_kernelINS0_14default_configENS1_22reduce_config_selectorIbEEZNS1_11reduce_implILb1ES3_N6hipcub16HIPCUB_304000_NS22TransformInputIteratorIbN2at6native12_GLOBAL__N_19NonZeroOpIfEEPKflEEPiiNS8_6detail34convert_binary_result_type_wrapperINS8_3SumESH_iEEEE10hipError_tPvRmT1_T2_T3_mT4_P12ihipStream_tbEUlT_E0_NS1_11comp_targetILNS1_3genE8ELNS1_11target_archE1030ELNS1_3gpuE2ELNS1_3repE0EEENS1_30default_config_static_selectorELNS0_4arch9wavefront6targetE0EEEvSQ_
                                        ; -- End function
	.section	.AMDGPU.csdata,"",@progbits
; Kernel info:
; codeLenInByte = 0
; NumSgprs: 0
; NumVgprs: 0
; ScratchSize: 0
; MemoryBound: 0
; FloatMode: 240
; IeeeMode: 1
; LDSByteSize: 0 bytes/workgroup (compile time only)
; SGPRBlocks: 0
; VGPRBlocks: 0
; NumSGPRsForWavesPerEU: 1
; NumVGPRsForWavesPerEU: 1
; Occupancy: 16
; WaveLimiterHint : 0
; COMPUTE_PGM_RSRC2:SCRATCH_EN: 0
; COMPUTE_PGM_RSRC2:USER_SGPR: 15
; COMPUTE_PGM_RSRC2:TRAP_HANDLER: 0
; COMPUTE_PGM_RSRC2:TGID_X_EN: 1
; COMPUTE_PGM_RSRC2:TGID_Y_EN: 0
; COMPUTE_PGM_RSRC2:TGID_Z_EN: 0
; COMPUTE_PGM_RSRC2:TIDIG_COMP_CNT: 0
	.section	.text._ZN7rocprim17ROCPRIM_400000_NS6detail17trampoline_kernelINS0_14default_configENS1_22reduce_config_selectorIbEEZNS1_11reduce_implILb1ES3_N6hipcub16HIPCUB_304000_NS22TransformInputIteratorIbN2at6native12_GLOBAL__N_19NonZeroOpIfEEPKflEEPiiNS8_6detail34convert_binary_result_type_wrapperINS8_3SumESH_iEEEE10hipError_tPvRmT1_T2_T3_mT4_P12ihipStream_tbEUlT_E1_NS1_11comp_targetILNS1_3genE0ELNS1_11target_archE4294967295ELNS1_3gpuE0ELNS1_3repE0EEENS1_30default_config_static_selectorELNS0_4arch9wavefront6targetE0EEEvSQ_,"axG",@progbits,_ZN7rocprim17ROCPRIM_400000_NS6detail17trampoline_kernelINS0_14default_configENS1_22reduce_config_selectorIbEEZNS1_11reduce_implILb1ES3_N6hipcub16HIPCUB_304000_NS22TransformInputIteratorIbN2at6native12_GLOBAL__N_19NonZeroOpIfEEPKflEEPiiNS8_6detail34convert_binary_result_type_wrapperINS8_3SumESH_iEEEE10hipError_tPvRmT1_T2_T3_mT4_P12ihipStream_tbEUlT_E1_NS1_11comp_targetILNS1_3genE0ELNS1_11target_archE4294967295ELNS1_3gpuE0ELNS1_3repE0EEENS1_30default_config_static_selectorELNS0_4arch9wavefront6targetE0EEEvSQ_,comdat
	.globl	_ZN7rocprim17ROCPRIM_400000_NS6detail17trampoline_kernelINS0_14default_configENS1_22reduce_config_selectorIbEEZNS1_11reduce_implILb1ES3_N6hipcub16HIPCUB_304000_NS22TransformInputIteratorIbN2at6native12_GLOBAL__N_19NonZeroOpIfEEPKflEEPiiNS8_6detail34convert_binary_result_type_wrapperINS8_3SumESH_iEEEE10hipError_tPvRmT1_T2_T3_mT4_P12ihipStream_tbEUlT_E1_NS1_11comp_targetILNS1_3genE0ELNS1_11target_archE4294967295ELNS1_3gpuE0ELNS1_3repE0EEENS1_30default_config_static_selectorELNS0_4arch9wavefront6targetE0EEEvSQ_ ; -- Begin function _ZN7rocprim17ROCPRIM_400000_NS6detail17trampoline_kernelINS0_14default_configENS1_22reduce_config_selectorIbEEZNS1_11reduce_implILb1ES3_N6hipcub16HIPCUB_304000_NS22TransformInputIteratorIbN2at6native12_GLOBAL__N_19NonZeroOpIfEEPKflEEPiiNS8_6detail34convert_binary_result_type_wrapperINS8_3SumESH_iEEEE10hipError_tPvRmT1_T2_T3_mT4_P12ihipStream_tbEUlT_E1_NS1_11comp_targetILNS1_3genE0ELNS1_11target_archE4294967295ELNS1_3gpuE0ELNS1_3repE0EEENS1_30default_config_static_selectorELNS0_4arch9wavefront6targetE0EEEvSQ_
	.p2align	8
	.type	_ZN7rocprim17ROCPRIM_400000_NS6detail17trampoline_kernelINS0_14default_configENS1_22reduce_config_selectorIbEEZNS1_11reduce_implILb1ES3_N6hipcub16HIPCUB_304000_NS22TransformInputIteratorIbN2at6native12_GLOBAL__N_19NonZeroOpIfEEPKflEEPiiNS8_6detail34convert_binary_result_type_wrapperINS8_3SumESH_iEEEE10hipError_tPvRmT1_T2_T3_mT4_P12ihipStream_tbEUlT_E1_NS1_11comp_targetILNS1_3genE0ELNS1_11target_archE4294967295ELNS1_3gpuE0ELNS1_3repE0EEENS1_30default_config_static_selectorELNS0_4arch9wavefront6targetE0EEEvSQ_,@function
_ZN7rocprim17ROCPRIM_400000_NS6detail17trampoline_kernelINS0_14default_configENS1_22reduce_config_selectorIbEEZNS1_11reduce_implILb1ES3_N6hipcub16HIPCUB_304000_NS22TransformInputIteratorIbN2at6native12_GLOBAL__N_19NonZeroOpIfEEPKflEEPiiNS8_6detail34convert_binary_result_type_wrapperINS8_3SumESH_iEEEE10hipError_tPvRmT1_T2_T3_mT4_P12ihipStream_tbEUlT_E1_NS1_11comp_targetILNS1_3genE0ELNS1_11target_archE4294967295ELNS1_3gpuE0ELNS1_3repE0EEENS1_30default_config_static_selectorELNS0_4arch9wavefront6targetE0EEEvSQ_: ; @_ZN7rocprim17ROCPRIM_400000_NS6detail17trampoline_kernelINS0_14default_configENS1_22reduce_config_selectorIbEEZNS1_11reduce_implILb1ES3_N6hipcub16HIPCUB_304000_NS22TransformInputIteratorIbN2at6native12_GLOBAL__N_19NonZeroOpIfEEPKflEEPiiNS8_6detail34convert_binary_result_type_wrapperINS8_3SumESH_iEEEE10hipError_tPvRmT1_T2_T3_mT4_P12ihipStream_tbEUlT_E1_NS1_11comp_targetILNS1_3genE0ELNS1_11target_archE4294967295ELNS1_3gpuE0ELNS1_3repE0EEENS1_30default_config_static_selectorELNS0_4arch9wavefront6targetE0EEEvSQ_
; %bb.0:
	.section	.rodata,"a",@progbits
	.p2align	6, 0x0
	.amdhsa_kernel _ZN7rocprim17ROCPRIM_400000_NS6detail17trampoline_kernelINS0_14default_configENS1_22reduce_config_selectorIbEEZNS1_11reduce_implILb1ES3_N6hipcub16HIPCUB_304000_NS22TransformInputIteratorIbN2at6native12_GLOBAL__N_19NonZeroOpIfEEPKflEEPiiNS8_6detail34convert_binary_result_type_wrapperINS8_3SumESH_iEEEE10hipError_tPvRmT1_T2_T3_mT4_P12ihipStream_tbEUlT_E1_NS1_11comp_targetILNS1_3genE0ELNS1_11target_archE4294967295ELNS1_3gpuE0ELNS1_3repE0EEENS1_30default_config_static_selectorELNS0_4arch9wavefront6targetE0EEEvSQ_
		.amdhsa_group_segment_fixed_size 0
		.amdhsa_private_segment_fixed_size 0
		.amdhsa_kernarg_size 48
		.amdhsa_user_sgpr_count 15
		.amdhsa_user_sgpr_dispatch_ptr 0
		.amdhsa_user_sgpr_queue_ptr 0
		.amdhsa_user_sgpr_kernarg_segment_ptr 1
		.amdhsa_user_sgpr_dispatch_id 0
		.amdhsa_user_sgpr_private_segment_size 0
		.amdhsa_wavefront_size32 1
		.amdhsa_uses_dynamic_stack 0
		.amdhsa_enable_private_segment 0
		.amdhsa_system_sgpr_workgroup_id_x 1
		.amdhsa_system_sgpr_workgroup_id_y 0
		.amdhsa_system_sgpr_workgroup_id_z 0
		.amdhsa_system_sgpr_workgroup_info 0
		.amdhsa_system_vgpr_workitem_id 0
		.amdhsa_next_free_vgpr 1
		.amdhsa_next_free_sgpr 1
		.amdhsa_reserve_vcc 0
		.amdhsa_float_round_mode_32 0
		.amdhsa_float_round_mode_16_64 0
		.amdhsa_float_denorm_mode_32 3
		.amdhsa_float_denorm_mode_16_64 3
		.amdhsa_dx10_clamp 1
		.amdhsa_ieee_mode 1
		.amdhsa_fp16_overflow 0
		.amdhsa_workgroup_processor_mode 1
		.amdhsa_memory_ordered 1
		.amdhsa_forward_progress 0
		.amdhsa_shared_vgpr_count 0
		.amdhsa_exception_fp_ieee_invalid_op 0
		.amdhsa_exception_fp_denorm_src 0
		.amdhsa_exception_fp_ieee_div_zero 0
		.amdhsa_exception_fp_ieee_overflow 0
		.amdhsa_exception_fp_ieee_underflow 0
		.amdhsa_exception_fp_ieee_inexact 0
		.amdhsa_exception_int_div_zero 0
	.end_amdhsa_kernel
	.section	.text._ZN7rocprim17ROCPRIM_400000_NS6detail17trampoline_kernelINS0_14default_configENS1_22reduce_config_selectorIbEEZNS1_11reduce_implILb1ES3_N6hipcub16HIPCUB_304000_NS22TransformInputIteratorIbN2at6native12_GLOBAL__N_19NonZeroOpIfEEPKflEEPiiNS8_6detail34convert_binary_result_type_wrapperINS8_3SumESH_iEEEE10hipError_tPvRmT1_T2_T3_mT4_P12ihipStream_tbEUlT_E1_NS1_11comp_targetILNS1_3genE0ELNS1_11target_archE4294967295ELNS1_3gpuE0ELNS1_3repE0EEENS1_30default_config_static_selectorELNS0_4arch9wavefront6targetE0EEEvSQ_,"axG",@progbits,_ZN7rocprim17ROCPRIM_400000_NS6detail17trampoline_kernelINS0_14default_configENS1_22reduce_config_selectorIbEEZNS1_11reduce_implILb1ES3_N6hipcub16HIPCUB_304000_NS22TransformInputIteratorIbN2at6native12_GLOBAL__N_19NonZeroOpIfEEPKflEEPiiNS8_6detail34convert_binary_result_type_wrapperINS8_3SumESH_iEEEE10hipError_tPvRmT1_T2_T3_mT4_P12ihipStream_tbEUlT_E1_NS1_11comp_targetILNS1_3genE0ELNS1_11target_archE4294967295ELNS1_3gpuE0ELNS1_3repE0EEENS1_30default_config_static_selectorELNS0_4arch9wavefront6targetE0EEEvSQ_,comdat
.Lfunc_end449:
	.size	_ZN7rocprim17ROCPRIM_400000_NS6detail17trampoline_kernelINS0_14default_configENS1_22reduce_config_selectorIbEEZNS1_11reduce_implILb1ES3_N6hipcub16HIPCUB_304000_NS22TransformInputIteratorIbN2at6native12_GLOBAL__N_19NonZeroOpIfEEPKflEEPiiNS8_6detail34convert_binary_result_type_wrapperINS8_3SumESH_iEEEE10hipError_tPvRmT1_T2_T3_mT4_P12ihipStream_tbEUlT_E1_NS1_11comp_targetILNS1_3genE0ELNS1_11target_archE4294967295ELNS1_3gpuE0ELNS1_3repE0EEENS1_30default_config_static_selectorELNS0_4arch9wavefront6targetE0EEEvSQ_, .Lfunc_end449-_ZN7rocprim17ROCPRIM_400000_NS6detail17trampoline_kernelINS0_14default_configENS1_22reduce_config_selectorIbEEZNS1_11reduce_implILb1ES3_N6hipcub16HIPCUB_304000_NS22TransformInputIteratorIbN2at6native12_GLOBAL__N_19NonZeroOpIfEEPKflEEPiiNS8_6detail34convert_binary_result_type_wrapperINS8_3SumESH_iEEEE10hipError_tPvRmT1_T2_T3_mT4_P12ihipStream_tbEUlT_E1_NS1_11comp_targetILNS1_3genE0ELNS1_11target_archE4294967295ELNS1_3gpuE0ELNS1_3repE0EEENS1_30default_config_static_selectorELNS0_4arch9wavefront6targetE0EEEvSQ_
                                        ; -- End function
	.section	.AMDGPU.csdata,"",@progbits
; Kernel info:
; codeLenInByte = 0
; NumSgprs: 0
; NumVgprs: 0
; ScratchSize: 0
; MemoryBound: 0
; FloatMode: 240
; IeeeMode: 1
; LDSByteSize: 0 bytes/workgroup (compile time only)
; SGPRBlocks: 0
; VGPRBlocks: 0
; NumSGPRsForWavesPerEU: 1
; NumVGPRsForWavesPerEU: 1
; Occupancy: 16
; WaveLimiterHint : 0
; COMPUTE_PGM_RSRC2:SCRATCH_EN: 0
; COMPUTE_PGM_RSRC2:USER_SGPR: 15
; COMPUTE_PGM_RSRC2:TRAP_HANDLER: 0
; COMPUTE_PGM_RSRC2:TGID_X_EN: 1
; COMPUTE_PGM_RSRC2:TGID_Y_EN: 0
; COMPUTE_PGM_RSRC2:TGID_Z_EN: 0
; COMPUTE_PGM_RSRC2:TIDIG_COMP_CNT: 0
	.section	.text._ZN7rocprim17ROCPRIM_400000_NS6detail17trampoline_kernelINS0_14default_configENS1_22reduce_config_selectorIbEEZNS1_11reduce_implILb1ES3_N6hipcub16HIPCUB_304000_NS22TransformInputIteratorIbN2at6native12_GLOBAL__N_19NonZeroOpIfEEPKflEEPiiNS8_6detail34convert_binary_result_type_wrapperINS8_3SumESH_iEEEE10hipError_tPvRmT1_T2_T3_mT4_P12ihipStream_tbEUlT_E1_NS1_11comp_targetILNS1_3genE5ELNS1_11target_archE942ELNS1_3gpuE9ELNS1_3repE0EEENS1_30default_config_static_selectorELNS0_4arch9wavefront6targetE0EEEvSQ_,"axG",@progbits,_ZN7rocprim17ROCPRIM_400000_NS6detail17trampoline_kernelINS0_14default_configENS1_22reduce_config_selectorIbEEZNS1_11reduce_implILb1ES3_N6hipcub16HIPCUB_304000_NS22TransformInputIteratorIbN2at6native12_GLOBAL__N_19NonZeroOpIfEEPKflEEPiiNS8_6detail34convert_binary_result_type_wrapperINS8_3SumESH_iEEEE10hipError_tPvRmT1_T2_T3_mT4_P12ihipStream_tbEUlT_E1_NS1_11comp_targetILNS1_3genE5ELNS1_11target_archE942ELNS1_3gpuE9ELNS1_3repE0EEENS1_30default_config_static_selectorELNS0_4arch9wavefront6targetE0EEEvSQ_,comdat
	.globl	_ZN7rocprim17ROCPRIM_400000_NS6detail17trampoline_kernelINS0_14default_configENS1_22reduce_config_selectorIbEEZNS1_11reduce_implILb1ES3_N6hipcub16HIPCUB_304000_NS22TransformInputIteratorIbN2at6native12_GLOBAL__N_19NonZeroOpIfEEPKflEEPiiNS8_6detail34convert_binary_result_type_wrapperINS8_3SumESH_iEEEE10hipError_tPvRmT1_T2_T3_mT4_P12ihipStream_tbEUlT_E1_NS1_11comp_targetILNS1_3genE5ELNS1_11target_archE942ELNS1_3gpuE9ELNS1_3repE0EEENS1_30default_config_static_selectorELNS0_4arch9wavefront6targetE0EEEvSQ_ ; -- Begin function _ZN7rocprim17ROCPRIM_400000_NS6detail17trampoline_kernelINS0_14default_configENS1_22reduce_config_selectorIbEEZNS1_11reduce_implILb1ES3_N6hipcub16HIPCUB_304000_NS22TransformInputIteratorIbN2at6native12_GLOBAL__N_19NonZeroOpIfEEPKflEEPiiNS8_6detail34convert_binary_result_type_wrapperINS8_3SumESH_iEEEE10hipError_tPvRmT1_T2_T3_mT4_P12ihipStream_tbEUlT_E1_NS1_11comp_targetILNS1_3genE5ELNS1_11target_archE942ELNS1_3gpuE9ELNS1_3repE0EEENS1_30default_config_static_selectorELNS0_4arch9wavefront6targetE0EEEvSQ_
	.p2align	8
	.type	_ZN7rocprim17ROCPRIM_400000_NS6detail17trampoline_kernelINS0_14default_configENS1_22reduce_config_selectorIbEEZNS1_11reduce_implILb1ES3_N6hipcub16HIPCUB_304000_NS22TransformInputIteratorIbN2at6native12_GLOBAL__N_19NonZeroOpIfEEPKflEEPiiNS8_6detail34convert_binary_result_type_wrapperINS8_3SumESH_iEEEE10hipError_tPvRmT1_T2_T3_mT4_P12ihipStream_tbEUlT_E1_NS1_11comp_targetILNS1_3genE5ELNS1_11target_archE942ELNS1_3gpuE9ELNS1_3repE0EEENS1_30default_config_static_selectorELNS0_4arch9wavefront6targetE0EEEvSQ_,@function
_ZN7rocprim17ROCPRIM_400000_NS6detail17trampoline_kernelINS0_14default_configENS1_22reduce_config_selectorIbEEZNS1_11reduce_implILb1ES3_N6hipcub16HIPCUB_304000_NS22TransformInputIteratorIbN2at6native12_GLOBAL__N_19NonZeroOpIfEEPKflEEPiiNS8_6detail34convert_binary_result_type_wrapperINS8_3SumESH_iEEEE10hipError_tPvRmT1_T2_T3_mT4_P12ihipStream_tbEUlT_E1_NS1_11comp_targetILNS1_3genE5ELNS1_11target_archE942ELNS1_3gpuE9ELNS1_3repE0EEENS1_30default_config_static_selectorELNS0_4arch9wavefront6targetE0EEEvSQ_: ; @_ZN7rocprim17ROCPRIM_400000_NS6detail17trampoline_kernelINS0_14default_configENS1_22reduce_config_selectorIbEEZNS1_11reduce_implILb1ES3_N6hipcub16HIPCUB_304000_NS22TransformInputIteratorIbN2at6native12_GLOBAL__N_19NonZeroOpIfEEPKflEEPiiNS8_6detail34convert_binary_result_type_wrapperINS8_3SumESH_iEEEE10hipError_tPvRmT1_T2_T3_mT4_P12ihipStream_tbEUlT_E1_NS1_11comp_targetILNS1_3genE5ELNS1_11target_archE942ELNS1_3gpuE9ELNS1_3repE0EEENS1_30default_config_static_selectorELNS0_4arch9wavefront6targetE0EEEvSQ_
; %bb.0:
	.section	.rodata,"a",@progbits
	.p2align	6, 0x0
	.amdhsa_kernel _ZN7rocprim17ROCPRIM_400000_NS6detail17trampoline_kernelINS0_14default_configENS1_22reduce_config_selectorIbEEZNS1_11reduce_implILb1ES3_N6hipcub16HIPCUB_304000_NS22TransformInputIteratorIbN2at6native12_GLOBAL__N_19NonZeroOpIfEEPKflEEPiiNS8_6detail34convert_binary_result_type_wrapperINS8_3SumESH_iEEEE10hipError_tPvRmT1_T2_T3_mT4_P12ihipStream_tbEUlT_E1_NS1_11comp_targetILNS1_3genE5ELNS1_11target_archE942ELNS1_3gpuE9ELNS1_3repE0EEENS1_30default_config_static_selectorELNS0_4arch9wavefront6targetE0EEEvSQ_
		.amdhsa_group_segment_fixed_size 0
		.amdhsa_private_segment_fixed_size 0
		.amdhsa_kernarg_size 48
		.amdhsa_user_sgpr_count 15
		.amdhsa_user_sgpr_dispatch_ptr 0
		.amdhsa_user_sgpr_queue_ptr 0
		.amdhsa_user_sgpr_kernarg_segment_ptr 1
		.amdhsa_user_sgpr_dispatch_id 0
		.amdhsa_user_sgpr_private_segment_size 0
		.amdhsa_wavefront_size32 1
		.amdhsa_uses_dynamic_stack 0
		.amdhsa_enable_private_segment 0
		.amdhsa_system_sgpr_workgroup_id_x 1
		.amdhsa_system_sgpr_workgroup_id_y 0
		.amdhsa_system_sgpr_workgroup_id_z 0
		.amdhsa_system_sgpr_workgroup_info 0
		.amdhsa_system_vgpr_workitem_id 0
		.amdhsa_next_free_vgpr 1
		.amdhsa_next_free_sgpr 1
		.amdhsa_reserve_vcc 0
		.amdhsa_float_round_mode_32 0
		.amdhsa_float_round_mode_16_64 0
		.amdhsa_float_denorm_mode_32 3
		.amdhsa_float_denorm_mode_16_64 3
		.amdhsa_dx10_clamp 1
		.amdhsa_ieee_mode 1
		.amdhsa_fp16_overflow 0
		.amdhsa_workgroup_processor_mode 1
		.amdhsa_memory_ordered 1
		.amdhsa_forward_progress 0
		.amdhsa_shared_vgpr_count 0
		.amdhsa_exception_fp_ieee_invalid_op 0
		.amdhsa_exception_fp_denorm_src 0
		.amdhsa_exception_fp_ieee_div_zero 0
		.amdhsa_exception_fp_ieee_overflow 0
		.amdhsa_exception_fp_ieee_underflow 0
		.amdhsa_exception_fp_ieee_inexact 0
		.amdhsa_exception_int_div_zero 0
	.end_amdhsa_kernel
	.section	.text._ZN7rocprim17ROCPRIM_400000_NS6detail17trampoline_kernelINS0_14default_configENS1_22reduce_config_selectorIbEEZNS1_11reduce_implILb1ES3_N6hipcub16HIPCUB_304000_NS22TransformInputIteratorIbN2at6native12_GLOBAL__N_19NonZeroOpIfEEPKflEEPiiNS8_6detail34convert_binary_result_type_wrapperINS8_3SumESH_iEEEE10hipError_tPvRmT1_T2_T3_mT4_P12ihipStream_tbEUlT_E1_NS1_11comp_targetILNS1_3genE5ELNS1_11target_archE942ELNS1_3gpuE9ELNS1_3repE0EEENS1_30default_config_static_selectorELNS0_4arch9wavefront6targetE0EEEvSQ_,"axG",@progbits,_ZN7rocprim17ROCPRIM_400000_NS6detail17trampoline_kernelINS0_14default_configENS1_22reduce_config_selectorIbEEZNS1_11reduce_implILb1ES3_N6hipcub16HIPCUB_304000_NS22TransformInputIteratorIbN2at6native12_GLOBAL__N_19NonZeroOpIfEEPKflEEPiiNS8_6detail34convert_binary_result_type_wrapperINS8_3SumESH_iEEEE10hipError_tPvRmT1_T2_T3_mT4_P12ihipStream_tbEUlT_E1_NS1_11comp_targetILNS1_3genE5ELNS1_11target_archE942ELNS1_3gpuE9ELNS1_3repE0EEENS1_30default_config_static_selectorELNS0_4arch9wavefront6targetE0EEEvSQ_,comdat
.Lfunc_end450:
	.size	_ZN7rocprim17ROCPRIM_400000_NS6detail17trampoline_kernelINS0_14default_configENS1_22reduce_config_selectorIbEEZNS1_11reduce_implILb1ES3_N6hipcub16HIPCUB_304000_NS22TransformInputIteratorIbN2at6native12_GLOBAL__N_19NonZeroOpIfEEPKflEEPiiNS8_6detail34convert_binary_result_type_wrapperINS8_3SumESH_iEEEE10hipError_tPvRmT1_T2_T3_mT4_P12ihipStream_tbEUlT_E1_NS1_11comp_targetILNS1_3genE5ELNS1_11target_archE942ELNS1_3gpuE9ELNS1_3repE0EEENS1_30default_config_static_selectorELNS0_4arch9wavefront6targetE0EEEvSQ_, .Lfunc_end450-_ZN7rocprim17ROCPRIM_400000_NS6detail17trampoline_kernelINS0_14default_configENS1_22reduce_config_selectorIbEEZNS1_11reduce_implILb1ES3_N6hipcub16HIPCUB_304000_NS22TransformInputIteratorIbN2at6native12_GLOBAL__N_19NonZeroOpIfEEPKflEEPiiNS8_6detail34convert_binary_result_type_wrapperINS8_3SumESH_iEEEE10hipError_tPvRmT1_T2_T3_mT4_P12ihipStream_tbEUlT_E1_NS1_11comp_targetILNS1_3genE5ELNS1_11target_archE942ELNS1_3gpuE9ELNS1_3repE0EEENS1_30default_config_static_selectorELNS0_4arch9wavefront6targetE0EEEvSQ_
                                        ; -- End function
	.section	.AMDGPU.csdata,"",@progbits
; Kernel info:
; codeLenInByte = 0
; NumSgprs: 0
; NumVgprs: 0
; ScratchSize: 0
; MemoryBound: 0
; FloatMode: 240
; IeeeMode: 1
; LDSByteSize: 0 bytes/workgroup (compile time only)
; SGPRBlocks: 0
; VGPRBlocks: 0
; NumSGPRsForWavesPerEU: 1
; NumVGPRsForWavesPerEU: 1
; Occupancy: 16
; WaveLimiterHint : 0
; COMPUTE_PGM_RSRC2:SCRATCH_EN: 0
; COMPUTE_PGM_RSRC2:USER_SGPR: 15
; COMPUTE_PGM_RSRC2:TRAP_HANDLER: 0
; COMPUTE_PGM_RSRC2:TGID_X_EN: 1
; COMPUTE_PGM_RSRC2:TGID_Y_EN: 0
; COMPUTE_PGM_RSRC2:TGID_Z_EN: 0
; COMPUTE_PGM_RSRC2:TIDIG_COMP_CNT: 0
	.section	.text._ZN7rocprim17ROCPRIM_400000_NS6detail17trampoline_kernelINS0_14default_configENS1_22reduce_config_selectorIbEEZNS1_11reduce_implILb1ES3_N6hipcub16HIPCUB_304000_NS22TransformInputIteratorIbN2at6native12_GLOBAL__N_19NonZeroOpIfEEPKflEEPiiNS8_6detail34convert_binary_result_type_wrapperINS8_3SumESH_iEEEE10hipError_tPvRmT1_T2_T3_mT4_P12ihipStream_tbEUlT_E1_NS1_11comp_targetILNS1_3genE4ELNS1_11target_archE910ELNS1_3gpuE8ELNS1_3repE0EEENS1_30default_config_static_selectorELNS0_4arch9wavefront6targetE0EEEvSQ_,"axG",@progbits,_ZN7rocprim17ROCPRIM_400000_NS6detail17trampoline_kernelINS0_14default_configENS1_22reduce_config_selectorIbEEZNS1_11reduce_implILb1ES3_N6hipcub16HIPCUB_304000_NS22TransformInputIteratorIbN2at6native12_GLOBAL__N_19NonZeroOpIfEEPKflEEPiiNS8_6detail34convert_binary_result_type_wrapperINS8_3SumESH_iEEEE10hipError_tPvRmT1_T2_T3_mT4_P12ihipStream_tbEUlT_E1_NS1_11comp_targetILNS1_3genE4ELNS1_11target_archE910ELNS1_3gpuE8ELNS1_3repE0EEENS1_30default_config_static_selectorELNS0_4arch9wavefront6targetE0EEEvSQ_,comdat
	.globl	_ZN7rocprim17ROCPRIM_400000_NS6detail17trampoline_kernelINS0_14default_configENS1_22reduce_config_selectorIbEEZNS1_11reduce_implILb1ES3_N6hipcub16HIPCUB_304000_NS22TransformInputIteratorIbN2at6native12_GLOBAL__N_19NonZeroOpIfEEPKflEEPiiNS8_6detail34convert_binary_result_type_wrapperINS8_3SumESH_iEEEE10hipError_tPvRmT1_T2_T3_mT4_P12ihipStream_tbEUlT_E1_NS1_11comp_targetILNS1_3genE4ELNS1_11target_archE910ELNS1_3gpuE8ELNS1_3repE0EEENS1_30default_config_static_selectorELNS0_4arch9wavefront6targetE0EEEvSQ_ ; -- Begin function _ZN7rocprim17ROCPRIM_400000_NS6detail17trampoline_kernelINS0_14default_configENS1_22reduce_config_selectorIbEEZNS1_11reduce_implILb1ES3_N6hipcub16HIPCUB_304000_NS22TransformInputIteratorIbN2at6native12_GLOBAL__N_19NonZeroOpIfEEPKflEEPiiNS8_6detail34convert_binary_result_type_wrapperINS8_3SumESH_iEEEE10hipError_tPvRmT1_T2_T3_mT4_P12ihipStream_tbEUlT_E1_NS1_11comp_targetILNS1_3genE4ELNS1_11target_archE910ELNS1_3gpuE8ELNS1_3repE0EEENS1_30default_config_static_selectorELNS0_4arch9wavefront6targetE0EEEvSQ_
	.p2align	8
	.type	_ZN7rocprim17ROCPRIM_400000_NS6detail17trampoline_kernelINS0_14default_configENS1_22reduce_config_selectorIbEEZNS1_11reduce_implILb1ES3_N6hipcub16HIPCUB_304000_NS22TransformInputIteratorIbN2at6native12_GLOBAL__N_19NonZeroOpIfEEPKflEEPiiNS8_6detail34convert_binary_result_type_wrapperINS8_3SumESH_iEEEE10hipError_tPvRmT1_T2_T3_mT4_P12ihipStream_tbEUlT_E1_NS1_11comp_targetILNS1_3genE4ELNS1_11target_archE910ELNS1_3gpuE8ELNS1_3repE0EEENS1_30default_config_static_selectorELNS0_4arch9wavefront6targetE0EEEvSQ_,@function
_ZN7rocprim17ROCPRIM_400000_NS6detail17trampoline_kernelINS0_14default_configENS1_22reduce_config_selectorIbEEZNS1_11reduce_implILb1ES3_N6hipcub16HIPCUB_304000_NS22TransformInputIteratorIbN2at6native12_GLOBAL__N_19NonZeroOpIfEEPKflEEPiiNS8_6detail34convert_binary_result_type_wrapperINS8_3SumESH_iEEEE10hipError_tPvRmT1_T2_T3_mT4_P12ihipStream_tbEUlT_E1_NS1_11comp_targetILNS1_3genE4ELNS1_11target_archE910ELNS1_3gpuE8ELNS1_3repE0EEENS1_30default_config_static_selectorELNS0_4arch9wavefront6targetE0EEEvSQ_: ; @_ZN7rocprim17ROCPRIM_400000_NS6detail17trampoline_kernelINS0_14default_configENS1_22reduce_config_selectorIbEEZNS1_11reduce_implILb1ES3_N6hipcub16HIPCUB_304000_NS22TransformInputIteratorIbN2at6native12_GLOBAL__N_19NonZeroOpIfEEPKflEEPiiNS8_6detail34convert_binary_result_type_wrapperINS8_3SumESH_iEEEE10hipError_tPvRmT1_T2_T3_mT4_P12ihipStream_tbEUlT_E1_NS1_11comp_targetILNS1_3genE4ELNS1_11target_archE910ELNS1_3gpuE8ELNS1_3repE0EEENS1_30default_config_static_selectorELNS0_4arch9wavefront6targetE0EEEvSQ_
; %bb.0:
	.section	.rodata,"a",@progbits
	.p2align	6, 0x0
	.amdhsa_kernel _ZN7rocprim17ROCPRIM_400000_NS6detail17trampoline_kernelINS0_14default_configENS1_22reduce_config_selectorIbEEZNS1_11reduce_implILb1ES3_N6hipcub16HIPCUB_304000_NS22TransformInputIteratorIbN2at6native12_GLOBAL__N_19NonZeroOpIfEEPKflEEPiiNS8_6detail34convert_binary_result_type_wrapperINS8_3SumESH_iEEEE10hipError_tPvRmT1_T2_T3_mT4_P12ihipStream_tbEUlT_E1_NS1_11comp_targetILNS1_3genE4ELNS1_11target_archE910ELNS1_3gpuE8ELNS1_3repE0EEENS1_30default_config_static_selectorELNS0_4arch9wavefront6targetE0EEEvSQ_
		.amdhsa_group_segment_fixed_size 0
		.amdhsa_private_segment_fixed_size 0
		.amdhsa_kernarg_size 48
		.amdhsa_user_sgpr_count 15
		.amdhsa_user_sgpr_dispatch_ptr 0
		.amdhsa_user_sgpr_queue_ptr 0
		.amdhsa_user_sgpr_kernarg_segment_ptr 1
		.amdhsa_user_sgpr_dispatch_id 0
		.amdhsa_user_sgpr_private_segment_size 0
		.amdhsa_wavefront_size32 1
		.amdhsa_uses_dynamic_stack 0
		.amdhsa_enable_private_segment 0
		.amdhsa_system_sgpr_workgroup_id_x 1
		.amdhsa_system_sgpr_workgroup_id_y 0
		.amdhsa_system_sgpr_workgroup_id_z 0
		.amdhsa_system_sgpr_workgroup_info 0
		.amdhsa_system_vgpr_workitem_id 0
		.amdhsa_next_free_vgpr 1
		.amdhsa_next_free_sgpr 1
		.amdhsa_reserve_vcc 0
		.amdhsa_float_round_mode_32 0
		.amdhsa_float_round_mode_16_64 0
		.amdhsa_float_denorm_mode_32 3
		.amdhsa_float_denorm_mode_16_64 3
		.amdhsa_dx10_clamp 1
		.amdhsa_ieee_mode 1
		.amdhsa_fp16_overflow 0
		.amdhsa_workgroup_processor_mode 1
		.amdhsa_memory_ordered 1
		.amdhsa_forward_progress 0
		.amdhsa_shared_vgpr_count 0
		.amdhsa_exception_fp_ieee_invalid_op 0
		.amdhsa_exception_fp_denorm_src 0
		.amdhsa_exception_fp_ieee_div_zero 0
		.amdhsa_exception_fp_ieee_overflow 0
		.amdhsa_exception_fp_ieee_underflow 0
		.amdhsa_exception_fp_ieee_inexact 0
		.amdhsa_exception_int_div_zero 0
	.end_amdhsa_kernel
	.section	.text._ZN7rocprim17ROCPRIM_400000_NS6detail17trampoline_kernelINS0_14default_configENS1_22reduce_config_selectorIbEEZNS1_11reduce_implILb1ES3_N6hipcub16HIPCUB_304000_NS22TransformInputIteratorIbN2at6native12_GLOBAL__N_19NonZeroOpIfEEPKflEEPiiNS8_6detail34convert_binary_result_type_wrapperINS8_3SumESH_iEEEE10hipError_tPvRmT1_T2_T3_mT4_P12ihipStream_tbEUlT_E1_NS1_11comp_targetILNS1_3genE4ELNS1_11target_archE910ELNS1_3gpuE8ELNS1_3repE0EEENS1_30default_config_static_selectorELNS0_4arch9wavefront6targetE0EEEvSQ_,"axG",@progbits,_ZN7rocprim17ROCPRIM_400000_NS6detail17trampoline_kernelINS0_14default_configENS1_22reduce_config_selectorIbEEZNS1_11reduce_implILb1ES3_N6hipcub16HIPCUB_304000_NS22TransformInputIteratorIbN2at6native12_GLOBAL__N_19NonZeroOpIfEEPKflEEPiiNS8_6detail34convert_binary_result_type_wrapperINS8_3SumESH_iEEEE10hipError_tPvRmT1_T2_T3_mT4_P12ihipStream_tbEUlT_E1_NS1_11comp_targetILNS1_3genE4ELNS1_11target_archE910ELNS1_3gpuE8ELNS1_3repE0EEENS1_30default_config_static_selectorELNS0_4arch9wavefront6targetE0EEEvSQ_,comdat
.Lfunc_end451:
	.size	_ZN7rocprim17ROCPRIM_400000_NS6detail17trampoline_kernelINS0_14default_configENS1_22reduce_config_selectorIbEEZNS1_11reduce_implILb1ES3_N6hipcub16HIPCUB_304000_NS22TransformInputIteratorIbN2at6native12_GLOBAL__N_19NonZeroOpIfEEPKflEEPiiNS8_6detail34convert_binary_result_type_wrapperINS8_3SumESH_iEEEE10hipError_tPvRmT1_T2_T3_mT4_P12ihipStream_tbEUlT_E1_NS1_11comp_targetILNS1_3genE4ELNS1_11target_archE910ELNS1_3gpuE8ELNS1_3repE0EEENS1_30default_config_static_selectorELNS0_4arch9wavefront6targetE0EEEvSQ_, .Lfunc_end451-_ZN7rocprim17ROCPRIM_400000_NS6detail17trampoline_kernelINS0_14default_configENS1_22reduce_config_selectorIbEEZNS1_11reduce_implILb1ES3_N6hipcub16HIPCUB_304000_NS22TransformInputIteratorIbN2at6native12_GLOBAL__N_19NonZeroOpIfEEPKflEEPiiNS8_6detail34convert_binary_result_type_wrapperINS8_3SumESH_iEEEE10hipError_tPvRmT1_T2_T3_mT4_P12ihipStream_tbEUlT_E1_NS1_11comp_targetILNS1_3genE4ELNS1_11target_archE910ELNS1_3gpuE8ELNS1_3repE0EEENS1_30default_config_static_selectorELNS0_4arch9wavefront6targetE0EEEvSQ_
                                        ; -- End function
	.section	.AMDGPU.csdata,"",@progbits
; Kernel info:
; codeLenInByte = 0
; NumSgprs: 0
; NumVgprs: 0
; ScratchSize: 0
; MemoryBound: 0
; FloatMode: 240
; IeeeMode: 1
; LDSByteSize: 0 bytes/workgroup (compile time only)
; SGPRBlocks: 0
; VGPRBlocks: 0
; NumSGPRsForWavesPerEU: 1
; NumVGPRsForWavesPerEU: 1
; Occupancy: 16
; WaveLimiterHint : 0
; COMPUTE_PGM_RSRC2:SCRATCH_EN: 0
; COMPUTE_PGM_RSRC2:USER_SGPR: 15
; COMPUTE_PGM_RSRC2:TRAP_HANDLER: 0
; COMPUTE_PGM_RSRC2:TGID_X_EN: 1
; COMPUTE_PGM_RSRC2:TGID_Y_EN: 0
; COMPUTE_PGM_RSRC2:TGID_Z_EN: 0
; COMPUTE_PGM_RSRC2:TIDIG_COMP_CNT: 0
	.section	.text._ZN7rocprim17ROCPRIM_400000_NS6detail17trampoline_kernelINS0_14default_configENS1_22reduce_config_selectorIbEEZNS1_11reduce_implILb1ES3_N6hipcub16HIPCUB_304000_NS22TransformInputIteratorIbN2at6native12_GLOBAL__N_19NonZeroOpIfEEPKflEEPiiNS8_6detail34convert_binary_result_type_wrapperINS8_3SumESH_iEEEE10hipError_tPvRmT1_T2_T3_mT4_P12ihipStream_tbEUlT_E1_NS1_11comp_targetILNS1_3genE3ELNS1_11target_archE908ELNS1_3gpuE7ELNS1_3repE0EEENS1_30default_config_static_selectorELNS0_4arch9wavefront6targetE0EEEvSQ_,"axG",@progbits,_ZN7rocprim17ROCPRIM_400000_NS6detail17trampoline_kernelINS0_14default_configENS1_22reduce_config_selectorIbEEZNS1_11reduce_implILb1ES3_N6hipcub16HIPCUB_304000_NS22TransformInputIteratorIbN2at6native12_GLOBAL__N_19NonZeroOpIfEEPKflEEPiiNS8_6detail34convert_binary_result_type_wrapperINS8_3SumESH_iEEEE10hipError_tPvRmT1_T2_T3_mT4_P12ihipStream_tbEUlT_E1_NS1_11comp_targetILNS1_3genE3ELNS1_11target_archE908ELNS1_3gpuE7ELNS1_3repE0EEENS1_30default_config_static_selectorELNS0_4arch9wavefront6targetE0EEEvSQ_,comdat
	.globl	_ZN7rocprim17ROCPRIM_400000_NS6detail17trampoline_kernelINS0_14default_configENS1_22reduce_config_selectorIbEEZNS1_11reduce_implILb1ES3_N6hipcub16HIPCUB_304000_NS22TransformInputIteratorIbN2at6native12_GLOBAL__N_19NonZeroOpIfEEPKflEEPiiNS8_6detail34convert_binary_result_type_wrapperINS8_3SumESH_iEEEE10hipError_tPvRmT1_T2_T3_mT4_P12ihipStream_tbEUlT_E1_NS1_11comp_targetILNS1_3genE3ELNS1_11target_archE908ELNS1_3gpuE7ELNS1_3repE0EEENS1_30default_config_static_selectorELNS0_4arch9wavefront6targetE0EEEvSQ_ ; -- Begin function _ZN7rocprim17ROCPRIM_400000_NS6detail17trampoline_kernelINS0_14default_configENS1_22reduce_config_selectorIbEEZNS1_11reduce_implILb1ES3_N6hipcub16HIPCUB_304000_NS22TransformInputIteratorIbN2at6native12_GLOBAL__N_19NonZeroOpIfEEPKflEEPiiNS8_6detail34convert_binary_result_type_wrapperINS8_3SumESH_iEEEE10hipError_tPvRmT1_T2_T3_mT4_P12ihipStream_tbEUlT_E1_NS1_11comp_targetILNS1_3genE3ELNS1_11target_archE908ELNS1_3gpuE7ELNS1_3repE0EEENS1_30default_config_static_selectorELNS0_4arch9wavefront6targetE0EEEvSQ_
	.p2align	8
	.type	_ZN7rocprim17ROCPRIM_400000_NS6detail17trampoline_kernelINS0_14default_configENS1_22reduce_config_selectorIbEEZNS1_11reduce_implILb1ES3_N6hipcub16HIPCUB_304000_NS22TransformInputIteratorIbN2at6native12_GLOBAL__N_19NonZeroOpIfEEPKflEEPiiNS8_6detail34convert_binary_result_type_wrapperINS8_3SumESH_iEEEE10hipError_tPvRmT1_T2_T3_mT4_P12ihipStream_tbEUlT_E1_NS1_11comp_targetILNS1_3genE3ELNS1_11target_archE908ELNS1_3gpuE7ELNS1_3repE0EEENS1_30default_config_static_selectorELNS0_4arch9wavefront6targetE0EEEvSQ_,@function
_ZN7rocprim17ROCPRIM_400000_NS6detail17trampoline_kernelINS0_14default_configENS1_22reduce_config_selectorIbEEZNS1_11reduce_implILb1ES3_N6hipcub16HIPCUB_304000_NS22TransformInputIteratorIbN2at6native12_GLOBAL__N_19NonZeroOpIfEEPKflEEPiiNS8_6detail34convert_binary_result_type_wrapperINS8_3SumESH_iEEEE10hipError_tPvRmT1_T2_T3_mT4_P12ihipStream_tbEUlT_E1_NS1_11comp_targetILNS1_3genE3ELNS1_11target_archE908ELNS1_3gpuE7ELNS1_3repE0EEENS1_30default_config_static_selectorELNS0_4arch9wavefront6targetE0EEEvSQ_: ; @_ZN7rocprim17ROCPRIM_400000_NS6detail17trampoline_kernelINS0_14default_configENS1_22reduce_config_selectorIbEEZNS1_11reduce_implILb1ES3_N6hipcub16HIPCUB_304000_NS22TransformInputIteratorIbN2at6native12_GLOBAL__N_19NonZeroOpIfEEPKflEEPiiNS8_6detail34convert_binary_result_type_wrapperINS8_3SumESH_iEEEE10hipError_tPvRmT1_T2_T3_mT4_P12ihipStream_tbEUlT_E1_NS1_11comp_targetILNS1_3genE3ELNS1_11target_archE908ELNS1_3gpuE7ELNS1_3repE0EEENS1_30default_config_static_selectorELNS0_4arch9wavefront6targetE0EEEvSQ_
; %bb.0:
	.section	.rodata,"a",@progbits
	.p2align	6, 0x0
	.amdhsa_kernel _ZN7rocprim17ROCPRIM_400000_NS6detail17trampoline_kernelINS0_14default_configENS1_22reduce_config_selectorIbEEZNS1_11reduce_implILb1ES3_N6hipcub16HIPCUB_304000_NS22TransformInputIteratorIbN2at6native12_GLOBAL__N_19NonZeroOpIfEEPKflEEPiiNS8_6detail34convert_binary_result_type_wrapperINS8_3SumESH_iEEEE10hipError_tPvRmT1_T2_T3_mT4_P12ihipStream_tbEUlT_E1_NS1_11comp_targetILNS1_3genE3ELNS1_11target_archE908ELNS1_3gpuE7ELNS1_3repE0EEENS1_30default_config_static_selectorELNS0_4arch9wavefront6targetE0EEEvSQ_
		.amdhsa_group_segment_fixed_size 0
		.amdhsa_private_segment_fixed_size 0
		.amdhsa_kernarg_size 48
		.amdhsa_user_sgpr_count 15
		.amdhsa_user_sgpr_dispatch_ptr 0
		.amdhsa_user_sgpr_queue_ptr 0
		.amdhsa_user_sgpr_kernarg_segment_ptr 1
		.amdhsa_user_sgpr_dispatch_id 0
		.amdhsa_user_sgpr_private_segment_size 0
		.amdhsa_wavefront_size32 1
		.amdhsa_uses_dynamic_stack 0
		.amdhsa_enable_private_segment 0
		.amdhsa_system_sgpr_workgroup_id_x 1
		.amdhsa_system_sgpr_workgroup_id_y 0
		.amdhsa_system_sgpr_workgroup_id_z 0
		.amdhsa_system_sgpr_workgroup_info 0
		.amdhsa_system_vgpr_workitem_id 0
		.amdhsa_next_free_vgpr 1
		.amdhsa_next_free_sgpr 1
		.amdhsa_reserve_vcc 0
		.amdhsa_float_round_mode_32 0
		.amdhsa_float_round_mode_16_64 0
		.amdhsa_float_denorm_mode_32 3
		.amdhsa_float_denorm_mode_16_64 3
		.amdhsa_dx10_clamp 1
		.amdhsa_ieee_mode 1
		.amdhsa_fp16_overflow 0
		.amdhsa_workgroup_processor_mode 1
		.amdhsa_memory_ordered 1
		.amdhsa_forward_progress 0
		.amdhsa_shared_vgpr_count 0
		.amdhsa_exception_fp_ieee_invalid_op 0
		.amdhsa_exception_fp_denorm_src 0
		.amdhsa_exception_fp_ieee_div_zero 0
		.amdhsa_exception_fp_ieee_overflow 0
		.amdhsa_exception_fp_ieee_underflow 0
		.amdhsa_exception_fp_ieee_inexact 0
		.amdhsa_exception_int_div_zero 0
	.end_amdhsa_kernel
	.section	.text._ZN7rocprim17ROCPRIM_400000_NS6detail17trampoline_kernelINS0_14default_configENS1_22reduce_config_selectorIbEEZNS1_11reduce_implILb1ES3_N6hipcub16HIPCUB_304000_NS22TransformInputIteratorIbN2at6native12_GLOBAL__N_19NonZeroOpIfEEPKflEEPiiNS8_6detail34convert_binary_result_type_wrapperINS8_3SumESH_iEEEE10hipError_tPvRmT1_T2_T3_mT4_P12ihipStream_tbEUlT_E1_NS1_11comp_targetILNS1_3genE3ELNS1_11target_archE908ELNS1_3gpuE7ELNS1_3repE0EEENS1_30default_config_static_selectorELNS0_4arch9wavefront6targetE0EEEvSQ_,"axG",@progbits,_ZN7rocprim17ROCPRIM_400000_NS6detail17trampoline_kernelINS0_14default_configENS1_22reduce_config_selectorIbEEZNS1_11reduce_implILb1ES3_N6hipcub16HIPCUB_304000_NS22TransformInputIteratorIbN2at6native12_GLOBAL__N_19NonZeroOpIfEEPKflEEPiiNS8_6detail34convert_binary_result_type_wrapperINS8_3SumESH_iEEEE10hipError_tPvRmT1_T2_T3_mT4_P12ihipStream_tbEUlT_E1_NS1_11comp_targetILNS1_3genE3ELNS1_11target_archE908ELNS1_3gpuE7ELNS1_3repE0EEENS1_30default_config_static_selectorELNS0_4arch9wavefront6targetE0EEEvSQ_,comdat
.Lfunc_end452:
	.size	_ZN7rocprim17ROCPRIM_400000_NS6detail17trampoline_kernelINS0_14default_configENS1_22reduce_config_selectorIbEEZNS1_11reduce_implILb1ES3_N6hipcub16HIPCUB_304000_NS22TransformInputIteratorIbN2at6native12_GLOBAL__N_19NonZeroOpIfEEPKflEEPiiNS8_6detail34convert_binary_result_type_wrapperINS8_3SumESH_iEEEE10hipError_tPvRmT1_T2_T3_mT4_P12ihipStream_tbEUlT_E1_NS1_11comp_targetILNS1_3genE3ELNS1_11target_archE908ELNS1_3gpuE7ELNS1_3repE0EEENS1_30default_config_static_selectorELNS0_4arch9wavefront6targetE0EEEvSQ_, .Lfunc_end452-_ZN7rocprim17ROCPRIM_400000_NS6detail17trampoline_kernelINS0_14default_configENS1_22reduce_config_selectorIbEEZNS1_11reduce_implILb1ES3_N6hipcub16HIPCUB_304000_NS22TransformInputIteratorIbN2at6native12_GLOBAL__N_19NonZeroOpIfEEPKflEEPiiNS8_6detail34convert_binary_result_type_wrapperINS8_3SumESH_iEEEE10hipError_tPvRmT1_T2_T3_mT4_P12ihipStream_tbEUlT_E1_NS1_11comp_targetILNS1_3genE3ELNS1_11target_archE908ELNS1_3gpuE7ELNS1_3repE0EEENS1_30default_config_static_selectorELNS0_4arch9wavefront6targetE0EEEvSQ_
                                        ; -- End function
	.section	.AMDGPU.csdata,"",@progbits
; Kernel info:
; codeLenInByte = 0
; NumSgprs: 0
; NumVgprs: 0
; ScratchSize: 0
; MemoryBound: 0
; FloatMode: 240
; IeeeMode: 1
; LDSByteSize: 0 bytes/workgroup (compile time only)
; SGPRBlocks: 0
; VGPRBlocks: 0
; NumSGPRsForWavesPerEU: 1
; NumVGPRsForWavesPerEU: 1
; Occupancy: 16
; WaveLimiterHint : 0
; COMPUTE_PGM_RSRC2:SCRATCH_EN: 0
; COMPUTE_PGM_RSRC2:USER_SGPR: 15
; COMPUTE_PGM_RSRC2:TRAP_HANDLER: 0
; COMPUTE_PGM_RSRC2:TGID_X_EN: 1
; COMPUTE_PGM_RSRC2:TGID_Y_EN: 0
; COMPUTE_PGM_RSRC2:TGID_Z_EN: 0
; COMPUTE_PGM_RSRC2:TIDIG_COMP_CNT: 0
	.section	.text._ZN7rocprim17ROCPRIM_400000_NS6detail17trampoline_kernelINS0_14default_configENS1_22reduce_config_selectorIbEEZNS1_11reduce_implILb1ES3_N6hipcub16HIPCUB_304000_NS22TransformInputIteratorIbN2at6native12_GLOBAL__N_19NonZeroOpIfEEPKflEEPiiNS8_6detail34convert_binary_result_type_wrapperINS8_3SumESH_iEEEE10hipError_tPvRmT1_T2_T3_mT4_P12ihipStream_tbEUlT_E1_NS1_11comp_targetILNS1_3genE2ELNS1_11target_archE906ELNS1_3gpuE6ELNS1_3repE0EEENS1_30default_config_static_selectorELNS0_4arch9wavefront6targetE0EEEvSQ_,"axG",@progbits,_ZN7rocprim17ROCPRIM_400000_NS6detail17trampoline_kernelINS0_14default_configENS1_22reduce_config_selectorIbEEZNS1_11reduce_implILb1ES3_N6hipcub16HIPCUB_304000_NS22TransformInputIteratorIbN2at6native12_GLOBAL__N_19NonZeroOpIfEEPKflEEPiiNS8_6detail34convert_binary_result_type_wrapperINS8_3SumESH_iEEEE10hipError_tPvRmT1_T2_T3_mT4_P12ihipStream_tbEUlT_E1_NS1_11comp_targetILNS1_3genE2ELNS1_11target_archE906ELNS1_3gpuE6ELNS1_3repE0EEENS1_30default_config_static_selectorELNS0_4arch9wavefront6targetE0EEEvSQ_,comdat
	.globl	_ZN7rocprim17ROCPRIM_400000_NS6detail17trampoline_kernelINS0_14default_configENS1_22reduce_config_selectorIbEEZNS1_11reduce_implILb1ES3_N6hipcub16HIPCUB_304000_NS22TransformInputIteratorIbN2at6native12_GLOBAL__N_19NonZeroOpIfEEPKflEEPiiNS8_6detail34convert_binary_result_type_wrapperINS8_3SumESH_iEEEE10hipError_tPvRmT1_T2_T3_mT4_P12ihipStream_tbEUlT_E1_NS1_11comp_targetILNS1_3genE2ELNS1_11target_archE906ELNS1_3gpuE6ELNS1_3repE0EEENS1_30default_config_static_selectorELNS0_4arch9wavefront6targetE0EEEvSQ_ ; -- Begin function _ZN7rocprim17ROCPRIM_400000_NS6detail17trampoline_kernelINS0_14default_configENS1_22reduce_config_selectorIbEEZNS1_11reduce_implILb1ES3_N6hipcub16HIPCUB_304000_NS22TransformInputIteratorIbN2at6native12_GLOBAL__N_19NonZeroOpIfEEPKflEEPiiNS8_6detail34convert_binary_result_type_wrapperINS8_3SumESH_iEEEE10hipError_tPvRmT1_T2_T3_mT4_P12ihipStream_tbEUlT_E1_NS1_11comp_targetILNS1_3genE2ELNS1_11target_archE906ELNS1_3gpuE6ELNS1_3repE0EEENS1_30default_config_static_selectorELNS0_4arch9wavefront6targetE0EEEvSQ_
	.p2align	8
	.type	_ZN7rocprim17ROCPRIM_400000_NS6detail17trampoline_kernelINS0_14default_configENS1_22reduce_config_selectorIbEEZNS1_11reduce_implILb1ES3_N6hipcub16HIPCUB_304000_NS22TransformInputIteratorIbN2at6native12_GLOBAL__N_19NonZeroOpIfEEPKflEEPiiNS8_6detail34convert_binary_result_type_wrapperINS8_3SumESH_iEEEE10hipError_tPvRmT1_T2_T3_mT4_P12ihipStream_tbEUlT_E1_NS1_11comp_targetILNS1_3genE2ELNS1_11target_archE906ELNS1_3gpuE6ELNS1_3repE0EEENS1_30default_config_static_selectorELNS0_4arch9wavefront6targetE0EEEvSQ_,@function
_ZN7rocprim17ROCPRIM_400000_NS6detail17trampoline_kernelINS0_14default_configENS1_22reduce_config_selectorIbEEZNS1_11reduce_implILb1ES3_N6hipcub16HIPCUB_304000_NS22TransformInputIteratorIbN2at6native12_GLOBAL__N_19NonZeroOpIfEEPKflEEPiiNS8_6detail34convert_binary_result_type_wrapperINS8_3SumESH_iEEEE10hipError_tPvRmT1_T2_T3_mT4_P12ihipStream_tbEUlT_E1_NS1_11comp_targetILNS1_3genE2ELNS1_11target_archE906ELNS1_3gpuE6ELNS1_3repE0EEENS1_30default_config_static_selectorELNS0_4arch9wavefront6targetE0EEEvSQ_: ; @_ZN7rocprim17ROCPRIM_400000_NS6detail17trampoline_kernelINS0_14default_configENS1_22reduce_config_selectorIbEEZNS1_11reduce_implILb1ES3_N6hipcub16HIPCUB_304000_NS22TransformInputIteratorIbN2at6native12_GLOBAL__N_19NonZeroOpIfEEPKflEEPiiNS8_6detail34convert_binary_result_type_wrapperINS8_3SumESH_iEEEE10hipError_tPvRmT1_T2_T3_mT4_P12ihipStream_tbEUlT_E1_NS1_11comp_targetILNS1_3genE2ELNS1_11target_archE906ELNS1_3gpuE6ELNS1_3repE0EEENS1_30default_config_static_selectorELNS0_4arch9wavefront6targetE0EEEvSQ_
; %bb.0:
	.section	.rodata,"a",@progbits
	.p2align	6, 0x0
	.amdhsa_kernel _ZN7rocprim17ROCPRIM_400000_NS6detail17trampoline_kernelINS0_14default_configENS1_22reduce_config_selectorIbEEZNS1_11reduce_implILb1ES3_N6hipcub16HIPCUB_304000_NS22TransformInputIteratorIbN2at6native12_GLOBAL__N_19NonZeroOpIfEEPKflEEPiiNS8_6detail34convert_binary_result_type_wrapperINS8_3SumESH_iEEEE10hipError_tPvRmT1_T2_T3_mT4_P12ihipStream_tbEUlT_E1_NS1_11comp_targetILNS1_3genE2ELNS1_11target_archE906ELNS1_3gpuE6ELNS1_3repE0EEENS1_30default_config_static_selectorELNS0_4arch9wavefront6targetE0EEEvSQ_
		.amdhsa_group_segment_fixed_size 0
		.amdhsa_private_segment_fixed_size 0
		.amdhsa_kernarg_size 48
		.amdhsa_user_sgpr_count 15
		.amdhsa_user_sgpr_dispatch_ptr 0
		.amdhsa_user_sgpr_queue_ptr 0
		.amdhsa_user_sgpr_kernarg_segment_ptr 1
		.amdhsa_user_sgpr_dispatch_id 0
		.amdhsa_user_sgpr_private_segment_size 0
		.amdhsa_wavefront_size32 1
		.amdhsa_uses_dynamic_stack 0
		.amdhsa_enable_private_segment 0
		.amdhsa_system_sgpr_workgroup_id_x 1
		.amdhsa_system_sgpr_workgroup_id_y 0
		.amdhsa_system_sgpr_workgroup_id_z 0
		.amdhsa_system_sgpr_workgroup_info 0
		.amdhsa_system_vgpr_workitem_id 0
		.amdhsa_next_free_vgpr 1
		.amdhsa_next_free_sgpr 1
		.amdhsa_reserve_vcc 0
		.amdhsa_float_round_mode_32 0
		.amdhsa_float_round_mode_16_64 0
		.amdhsa_float_denorm_mode_32 3
		.amdhsa_float_denorm_mode_16_64 3
		.amdhsa_dx10_clamp 1
		.amdhsa_ieee_mode 1
		.amdhsa_fp16_overflow 0
		.amdhsa_workgroup_processor_mode 1
		.amdhsa_memory_ordered 1
		.amdhsa_forward_progress 0
		.amdhsa_shared_vgpr_count 0
		.amdhsa_exception_fp_ieee_invalid_op 0
		.amdhsa_exception_fp_denorm_src 0
		.amdhsa_exception_fp_ieee_div_zero 0
		.amdhsa_exception_fp_ieee_overflow 0
		.amdhsa_exception_fp_ieee_underflow 0
		.amdhsa_exception_fp_ieee_inexact 0
		.amdhsa_exception_int_div_zero 0
	.end_amdhsa_kernel
	.section	.text._ZN7rocprim17ROCPRIM_400000_NS6detail17trampoline_kernelINS0_14default_configENS1_22reduce_config_selectorIbEEZNS1_11reduce_implILb1ES3_N6hipcub16HIPCUB_304000_NS22TransformInputIteratorIbN2at6native12_GLOBAL__N_19NonZeroOpIfEEPKflEEPiiNS8_6detail34convert_binary_result_type_wrapperINS8_3SumESH_iEEEE10hipError_tPvRmT1_T2_T3_mT4_P12ihipStream_tbEUlT_E1_NS1_11comp_targetILNS1_3genE2ELNS1_11target_archE906ELNS1_3gpuE6ELNS1_3repE0EEENS1_30default_config_static_selectorELNS0_4arch9wavefront6targetE0EEEvSQ_,"axG",@progbits,_ZN7rocprim17ROCPRIM_400000_NS6detail17trampoline_kernelINS0_14default_configENS1_22reduce_config_selectorIbEEZNS1_11reduce_implILb1ES3_N6hipcub16HIPCUB_304000_NS22TransformInputIteratorIbN2at6native12_GLOBAL__N_19NonZeroOpIfEEPKflEEPiiNS8_6detail34convert_binary_result_type_wrapperINS8_3SumESH_iEEEE10hipError_tPvRmT1_T2_T3_mT4_P12ihipStream_tbEUlT_E1_NS1_11comp_targetILNS1_3genE2ELNS1_11target_archE906ELNS1_3gpuE6ELNS1_3repE0EEENS1_30default_config_static_selectorELNS0_4arch9wavefront6targetE0EEEvSQ_,comdat
.Lfunc_end453:
	.size	_ZN7rocprim17ROCPRIM_400000_NS6detail17trampoline_kernelINS0_14default_configENS1_22reduce_config_selectorIbEEZNS1_11reduce_implILb1ES3_N6hipcub16HIPCUB_304000_NS22TransformInputIteratorIbN2at6native12_GLOBAL__N_19NonZeroOpIfEEPKflEEPiiNS8_6detail34convert_binary_result_type_wrapperINS8_3SumESH_iEEEE10hipError_tPvRmT1_T2_T3_mT4_P12ihipStream_tbEUlT_E1_NS1_11comp_targetILNS1_3genE2ELNS1_11target_archE906ELNS1_3gpuE6ELNS1_3repE0EEENS1_30default_config_static_selectorELNS0_4arch9wavefront6targetE0EEEvSQ_, .Lfunc_end453-_ZN7rocprim17ROCPRIM_400000_NS6detail17trampoline_kernelINS0_14default_configENS1_22reduce_config_selectorIbEEZNS1_11reduce_implILb1ES3_N6hipcub16HIPCUB_304000_NS22TransformInputIteratorIbN2at6native12_GLOBAL__N_19NonZeroOpIfEEPKflEEPiiNS8_6detail34convert_binary_result_type_wrapperINS8_3SumESH_iEEEE10hipError_tPvRmT1_T2_T3_mT4_P12ihipStream_tbEUlT_E1_NS1_11comp_targetILNS1_3genE2ELNS1_11target_archE906ELNS1_3gpuE6ELNS1_3repE0EEENS1_30default_config_static_selectorELNS0_4arch9wavefront6targetE0EEEvSQ_
                                        ; -- End function
	.section	.AMDGPU.csdata,"",@progbits
; Kernel info:
; codeLenInByte = 0
; NumSgprs: 0
; NumVgprs: 0
; ScratchSize: 0
; MemoryBound: 0
; FloatMode: 240
; IeeeMode: 1
; LDSByteSize: 0 bytes/workgroup (compile time only)
; SGPRBlocks: 0
; VGPRBlocks: 0
; NumSGPRsForWavesPerEU: 1
; NumVGPRsForWavesPerEU: 1
; Occupancy: 16
; WaveLimiterHint : 0
; COMPUTE_PGM_RSRC2:SCRATCH_EN: 0
; COMPUTE_PGM_RSRC2:USER_SGPR: 15
; COMPUTE_PGM_RSRC2:TRAP_HANDLER: 0
; COMPUTE_PGM_RSRC2:TGID_X_EN: 1
; COMPUTE_PGM_RSRC2:TGID_Y_EN: 0
; COMPUTE_PGM_RSRC2:TGID_Z_EN: 0
; COMPUTE_PGM_RSRC2:TIDIG_COMP_CNT: 0
	.section	.text._ZN7rocprim17ROCPRIM_400000_NS6detail17trampoline_kernelINS0_14default_configENS1_22reduce_config_selectorIbEEZNS1_11reduce_implILb1ES3_N6hipcub16HIPCUB_304000_NS22TransformInputIteratorIbN2at6native12_GLOBAL__N_19NonZeroOpIfEEPKflEEPiiNS8_6detail34convert_binary_result_type_wrapperINS8_3SumESH_iEEEE10hipError_tPvRmT1_T2_T3_mT4_P12ihipStream_tbEUlT_E1_NS1_11comp_targetILNS1_3genE10ELNS1_11target_archE1201ELNS1_3gpuE5ELNS1_3repE0EEENS1_30default_config_static_selectorELNS0_4arch9wavefront6targetE0EEEvSQ_,"axG",@progbits,_ZN7rocprim17ROCPRIM_400000_NS6detail17trampoline_kernelINS0_14default_configENS1_22reduce_config_selectorIbEEZNS1_11reduce_implILb1ES3_N6hipcub16HIPCUB_304000_NS22TransformInputIteratorIbN2at6native12_GLOBAL__N_19NonZeroOpIfEEPKflEEPiiNS8_6detail34convert_binary_result_type_wrapperINS8_3SumESH_iEEEE10hipError_tPvRmT1_T2_T3_mT4_P12ihipStream_tbEUlT_E1_NS1_11comp_targetILNS1_3genE10ELNS1_11target_archE1201ELNS1_3gpuE5ELNS1_3repE0EEENS1_30default_config_static_selectorELNS0_4arch9wavefront6targetE0EEEvSQ_,comdat
	.globl	_ZN7rocprim17ROCPRIM_400000_NS6detail17trampoline_kernelINS0_14default_configENS1_22reduce_config_selectorIbEEZNS1_11reduce_implILb1ES3_N6hipcub16HIPCUB_304000_NS22TransformInputIteratorIbN2at6native12_GLOBAL__N_19NonZeroOpIfEEPKflEEPiiNS8_6detail34convert_binary_result_type_wrapperINS8_3SumESH_iEEEE10hipError_tPvRmT1_T2_T3_mT4_P12ihipStream_tbEUlT_E1_NS1_11comp_targetILNS1_3genE10ELNS1_11target_archE1201ELNS1_3gpuE5ELNS1_3repE0EEENS1_30default_config_static_selectorELNS0_4arch9wavefront6targetE0EEEvSQ_ ; -- Begin function _ZN7rocprim17ROCPRIM_400000_NS6detail17trampoline_kernelINS0_14default_configENS1_22reduce_config_selectorIbEEZNS1_11reduce_implILb1ES3_N6hipcub16HIPCUB_304000_NS22TransformInputIteratorIbN2at6native12_GLOBAL__N_19NonZeroOpIfEEPKflEEPiiNS8_6detail34convert_binary_result_type_wrapperINS8_3SumESH_iEEEE10hipError_tPvRmT1_T2_T3_mT4_P12ihipStream_tbEUlT_E1_NS1_11comp_targetILNS1_3genE10ELNS1_11target_archE1201ELNS1_3gpuE5ELNS1_3repE0EEENS1_30default_config_static_selectorELNS0_4arch9wavefront6targetE0EEEvSQ_
	.p2align	8
	.type	_ZN7rocprim17ROCPRIM_400000_NS6detail17trampoline_kernelINS0_14default_configENS1_22reduce_config_selectorIbEEZNS1_11reduce_implILb1ES3_N6hipcub16HIPCUB_304000_NS22TransformInputIteratorIbN2at6native12_GLOBAL__N_19NonZeroOpIfEEPKflEEPiiNS8_6detail34convert_binary_result_type_wrapperINS8_3SumESH_iEEEE10hipError_tPvRmT1_T2_T3_mT4_P12ihipStream_tbEUlT_E1_NS1_11comp_targetILNS1_3genE10ELNS1_11target_archE1201ELNS1_3gpuE5ELNS1_3repE0EEENS1_30default_config_static_selectorELNS0_4arch9wavefront6targetE0EEEvSQ_,@function
_ZN7rocprim17ROCPRIM_400000_NS6detail17trampoline_kernelINS0_14default_configENS1_22reduce_config_selectorIbEEZNS1_11reduce_implILb1ES3_N6hipcub16HIPCUB_304000_NS22TransformInputIteratorIbN2at6native12_GLOBAL__N_19NonZeroOpIfEEPKflEEPiiNS8_6detail34convert_binary_result_type_wrapperINS8_3SumESH_iEEEE10hipError_tPvRmT1_T2_T3_mT4_P12ihipStream_tbEUlT_E1_NS1_11comp_targetILNS1_3genE10ELNS1_11target_archE1201ELNS1_3gpuE5ELNS1_3repE0EEENS1_30default_config_static_selectorELNS0_4arch9wavefront6targetE0EEEvSQ_: ; @_ZN7rocprim17ROCPRIM_400000_NS6detail17trampoline_kernelINS0_14default_configENS1_22reduce_config_selectorIbEEZNS1_11reduce_implILb1ES3_N6hipcub16HIPCUB_304000_NS22TransformInputIteratorIbN2at6native12_GLOBAL__N_19NonZeroOpIfEEPKflEEPiiNS8_6detail34convert_binary_result_type_wrapperINS8_3SumESH_iEEEE10hipError_tPvRmT1_T2_T3_mT4_P12ihipStream_tbEUlT_E1_NS1_11comp_targetILNS1_3genE10ELNS1_11target_archE1201ELNS1_3gpuE5ELNS1_3repE0EEENS1_30default_config_static_selectorELNS0_4arch9wavefront6targetE0EEEvSQ_
; %bb.0:
	.section	.rodata,"a",@progbits
	.p2align	6, 0x0
	.amdhsa_kernel _ZN7rocprim17ROCPRIM_400000_NS6detail17trampoline_kernelINS0_14default_configENS1_22reduce_config_selectorIbEEZNS1_11reduce_implILb1ES3_N6hipcub16HIPCUB_304000_NS22TransformInputIteratorIbN2at6native12_GLOBAL__N_19NonZeroOpIfEEPKflEEPiiNS8_6detail34convert_binary_result_type_wrapperINS8_3SumESH_iEEEE10hipError_tPvRmT1_T2_T3_mT4_P12ihipStream_tbEUlT_E1_NS1_11comp_targetILNS1_3genE10ELNS1_11target_archE1201ELNS1_3gpuE5ELNS1_3repE0EEENS1_30default_config_static_selectorELNS0_4arch9wavefront6targetE0EEEvSQ_
		.amdhsa_group_segment_fixed_size 0
		.amdhsa_private_segment_fixed_size 0
		.amdhsa_kernarg_size 48
		.amdhsa_user_sgpr_count 15
		.amdhsa_user_sgpr_dispatch_ptr 0
		.amdhsa_user_sgpr_queue_ptr 0
		.amdhsa_user_sgpr_kernarg_segment_ptr 1
		.amdhsa_user_sgpr_dispatch_id 0
		.amdhsa_user_sgpr_private_segment_size 0
		.amdhsa_wavefront_size32 1
		.amdhsa_uses_dynamic_stack 0
		.amdhsa_enable_private_segment 0
		.amdhsa_system_sgpr_workgroup_id_x 1
		.amdhsa_system_sgpr_workgroup_id_y 0
		.amdhsa_system_sgpr_workgroup_id_z 0
		.amdhsa_system_sgpr_workgroup_info 0
		.amdhsa_system_vgpr_workitem_id 0
		.amdhsa_next_free_vgpr 1
		.amdhsa_next_free_sgpr 1
		.amdhsa_reserve_vcc 0
		.amdhsa_float_round_mode_32 0
		.amdhsa_float_round_mode_16_64 0
		.amdhsa_float_denorm_mode_32 3
		.amdhsa_float_denorm_mode_16_64 3
		.amdhsa_dx10_clamp 1
		.amdhsa_ieee_mode 1
		.amdhsa_fp16_overflow 0
		.amdhsa_workgroup_processor_mode 1
		.amdhsa_memory_ordered 1
		.amdhsa_forward_progress 0
		.amdhsa_shared_vgpr_count 0
		.amdhsa_exception_fp_ieee_invalid_op 0
		.amdhsa_exception_fp_denorm_src 0
		.amdhsa_exception_fp_ieee_div_zero 0
		.amdhsa_exception_fp_ieee_overflow 0
		.amdhsa_exception_fp_ieee_underflow 0
		.amdhsa_exception_fp_ieee_inexact 0
		.amdhsa_exception_int_div_zero 0
	.end_amdhsa_kernel
	.section	.text._ZN7rocprim17ROCPRIM_400000_NS6detail17trampoline_kernelINS0_14default_configENS1_22reduce_config_selectorIbEEZNS1_11reduce_implILb1ES3_N6hipcub16HIPCUB_304000_NS22TransformInputIteratorIbN2at6native12_GLOBAL__N_19NonZeroOpIfEEPKflEEPiiNS8_6detail34convert_binary_result_type_wrapperINS8_3SumESH_iEEEE10hipError_tPvRmT1_T2_T3_mT4_P12ihipStream_tbEUlT_E1_NS1_11comp_targetILNS1_3genE10ELNS1_11target_archE1201ELNS1_3gpuE5ELNS1_3repE0EEENS1_30default_config_static_selectorELNS0_4arch9wavefront6targetE0EEEvSQ_,"axG",@progbits,_ZN7rocprim17ROCPRIM_400000_NS6detail17trampoline_kernelINS0_14default_configENS1_22reduce_config_selectorIbEEZNS1_11reduce_implILb1ES3_N6hipcub16HIPCUB_304000_NS22TransformInputIteratorIbN2at6native12_GLOBAL__N_19NonZeroOpIfEEPKflEEPiiNS8_6detail34convert_binary_result_type_wrapperINS8_3SumESH_iEEEE10hipError_tPvRmT1_T2_T3_mT4_P12ihipStream_tbEUlT_E1_NS1_11comp_targetILNS1_3genE10ELNS1_11target_archE1201ELNS1_3gpuE5ELNS1_3repE0EEENS1_30default_config_static_selectorELNS0_4arch9wavefront6targetE0EEEvSQ_,comdat
.Lfunc_end454:
	.size	_ZN7rocprim17ROCPRIM_400000_NS6detail17trampoline_kernelINS0_14default_configENS1_22reduce_config_selectorIbEEZNS1_11reduce_implILb1ES3_N6hipcub16HIPCUB_304000_NS22TransformInputIteratorIbN2at6native12_GLOBAL__N_19NonZeroOpIfEEPKflEEPiiNS8_6detail34convert_binary_result_type_wrapperINS8_3SumESH_iEEEE10hipError_tPvRmT1_T2_T3_mT4_P12ihipStream_tbEUlT_E1_NS1_11comp_targetILNS1_3genE10ELNS1_11target_archE1201ELNS1_3gpuE5ELNS1_3repE0EEENS1_30default_config_static_selectorELNS0_4arch9wavefront6targetE0EEEvSQ_, .Lfunc_end454-_ZN7rocprim17ROCPRIM_400000_NS6detail17trampoline_kernelINS0_14default_configENS1_22reduce_config_selectorIbEEZNS1_11reduce_implILb1ES3_N6hipcub16HIPCUB_304000_NS22TransformInputIteratorIbN2at6native12_GLOBAL__N_19NonZeroOpIfEEPKflEEPiiNS8_6detail34convert_binary_result_type_wrapperINS8_3SumESH_iEEEE10hipError_tPvRmT1_T2_T3_mT4_P12ihipStream_tbEUlT_E1_NS1_11comp_targetILNS1_3genE10ELNS1_11target_archE1201ELNS1_3gpuE5ELNS1_3repE0EEENS1_30default_config_static_selectorELNS0_4arch9wavefront6targetE0EEEvSQ_
                                        ; -- End function
	.section	.AMDGPU.csdata,"",@progbits
; Kernel info:
; codeLenInByte = 0
; NumSgprs: 0
; NumVgprs: 0
; ScratchSize: 0
; MemoryBound: 0
; FloatMode: 240
; IeeeMode: 1
; LDSByteSize: 0 bytes/workgroup (compile time only)
; SGPRBlocks: 0
; VGPRBlocks: 0
; NumSGPRsForWavesPerEU: 1
; NumVGPRsForWavesPerEU: 1
; Occupancy: 16
; WaveLimiterHint : 0
; COMPUTE_PGM_RSRC2:SCRATCH_EN: 0
; COMPUTE_PGM_RSRC2:USER_SGPR: 15
; COMPUTE_PGM_RSRC2:TRAP_HANDLER: 0
; COMPUTE_PGM_RSRC2:TGID_X_EN: 1
; COMPUTE_PGM_RSRC2:TGID_Y_EN: 0
; COMPUTE_PGM_RSRC2:TGID_Z_EN: 0
; COMPUTE_PGM_RSRC2:TIDIG_COMP_CNT: 0
	.section	.text._ZN7rocprim17ROCPRIM_400000_NS6detail17trampoline_kernelINS0_14default_configENS1_22reduce_config_selectorIbEEZNS1_11reduce_implILb1ES3_N6hipcub16HIPCUB_304000_NS22TransformInputIteratorIbN2at6native12_GLOBAL__N_19NonZeroOpIfEEPKflEEPiiNS8_6detail34convert_binary_result_type_wrapperINS8_3SumESH_iEEEE10hipError_tPvRmT1_T2_T3_mT4_P12ihipStream_tbEUlT_E1_NS1_11comp_targetILNS1_3genE10ELNS1_11target_archE1200ELNS1_3gpuE4ELNS1_3repE0EEENS1_30default_config_static_selectorELNS0_4arch9wavefront6targetE0EEEvSQ_,"axG",@progbits,_ZN7rocprim17ROCPRIM_400000_NS6detail17trampoline_kernelINS0_14default_configENS1_22reduce_config_selectorIbEEZNS1_11reduce_implILb1ES3_N6hipcub16HIPCUB_304000_NS22TransformInputIteratorIbN2at6native12_GLOBAL__N_19NonZeroOpIfEEPKflEEPiiNS8_6detail34convert_binary_result_type_wrapperINS8_3SumESH_iEEEE10hipError_tPvRmT1_T2_T3_mT4_P12ihipStream_tbEUlT_E1_NS1_11comp_targetILNS1_3genE10ELNS1_11target_archE1200ELNS1_3gpuE4ELNS1_3repE0EEENS1_30default_config_static_selectorELNS0_4arch9wavefront6targetE0EEEvSQ_,comdat
	.globl	_ZN7rocprim17ROCPRIM_400000_NS6detail17trampoline_kernelINS0_14default_configENS1_22reduce_config_selectorIbEEZNS1_11reduce_implILb1ES3_N6hipcub16HIPCUB_304000_NS22TransformInputIteratorIbN2at6native12_GLOBAL__N_19NonZeroOpIfEEPKflEEPiiNS8_6detail34convert_binary_result_type_wrapperINS8_3SumESH_iEEEE10hipError_tPvRmT1_T2_T3_mT4_P12ihipStream_tbEUlT_E1_NS1_11comp_targetILNS1_3genE10ELNS1_11target_archE1200ELNS1_3gpuE4ELNS1_3repE0EEENS1_30default_config_static_selectorELNS0_4arch9wavefront6targetE0EEEvSQ_ ; -- Begin function _ZN7rocprim17ROCPRIM_400000_NS6detail17trampoline_kernelINS0_14default_configENS1_22reduce_config_selectorIbEEZNS1_11reduce_implILb1ES3_N6hipcub16HIPCUB_304000_NS22TransformInputIteratorIbN2at6native12_GLOBAL__N_19NonZeroOpIfEEPKflEEPiiNS8_6detail34convert_binary_result_type_wrapperINS8_3SumESH_iEEEE10hipError_tPvRmT1_T2_T3_mT4_P12ihipStream_tbEUlT_E1_NS1_11comp_targetILNS1_3genE10ELNS1_11target_archE1200ELNS1_3gpuE4ELNS1_3repE0EEENS1_30default_config_static_selectorELNS0_4arch9wavefront6targetE0EEEvSQ_
	.p2align	8
	.type	_ZN7rocprim17ROCPRIM_400000_NS6detail17trampoline_kernelINS0_14default_configENS1_22reduce_config_selectorIbEEZNS1_11reduce_implILb1ES3_N6hipcub16HIPCUB_304000_NS22TransformInputIteratorIbN2at6native12_GLOBAL__N_19NonZeroOpIfEEPKflEEPiiNS8_6detail34convert_binary_result_type_wrapperINS8_3SumESH_iEEEE10hipError_tPvRmT1_T2_T3_mT4_P12ihipStream_tbEUlT_E1_NS1_11comp_targetILNS1_3genE10ELNS1_11target_archE1200ELNS1_3gpuE4ELNS1_3repE0EEENS1_30default_config_static_selectorELNS0_4arch9wavefront6targetE0EEEvSQ_,@function
_ZN7rocprim17ROCPRIM_400000_NS6detail17trampoline_kernelINS0_14default_configENS1_22reduce_config_selectorIbEEZNS1_11reduce_implILb1ES3_N6hipcub16HIPCUB_304000_NS22TransformInputIteratorIbN2at6native12_GLOBAL__N_19NonZeroOpIfEEPKflEEPiiNS8_6detail34convert_binary_result_type_wrapperINS8_3SumESH_iEEEE10hipError_tPvRmT1_T2_T3_mT4_P12ihipStream_tbEUlT_E1_NS1_11comp_targetILNS1_3genE10ELNS1_11target_archE1200ELNS1_3gpuE4ELNS1_3repE0EEENS1_30default_config_static_selectorELNS0_4arch9wavefront6targetE0EEEvSQ_: ; @_ZN7rocprim17ROCPRIM_400000_NS6detail17trampoline_kernelINS0_14default_configENS1_22reduce_config_selectorIbEEZNS1_11reduce_implILb1ES3_N6hipcub16HIPCUB_304000_NS22TransformInputIteratorIbN2at6native12_GLOBAL__N_19NonZeroOpIfEEPKflEEPiiNS8_6detail34convert_binary_result_type_wrapperINS8_3SumESH_iEEEE10hipError_tPvRmT1_T2_T3_mT4_P12ihipStream_tbEUlT_E1_NS1_11comp_targetILNS1_3genE10ELNS1_11target_archE1200ELNS1_3gpuE4ELNS1_3repE0EEENS1_30default_config_static_selectorELNS0_4arch9wavefront6targetE0EEEvSQ_
; %bb.0:
	.section	.rodata,"a",@progbits
	.p2align	6, 0x0
	.amdhsa_kernel _ZN7rocprim17ROCPRIM_400000_NS6detail17trampoline_kernelINS0_14default_configENS1_22reduce_config_selectorIbEEZNS1_11reduce_implILb1ES3_N6hipcub16HIPCUB_304000_NS22TransformInputIteratorIbN2at6native12_GLOBAL__N_19NonZeroOpIfEEPKflEEPiiNS8_6detail34convert_binary_result_type_wrapperINS8_3SumESH_iEEEE10hipError_tPvRmT1_T2_T3_mT4_P12ihipStream_tbEUlT_E1_NS1_11comp_targetILNS1_3genE10ELNS1_11target_archE1200ELNS1_3gpuE4ELNS1_3repE0EEENS1_30default_config_static_selectorELNS0_4arch9wavefront6targetE0EEEvSQ_
		.amdhsa_group_segment_fixed_size 0
		.amdhsa_private_segment_fixed_size 0
		.amdhsa_kernarg_size 48
		.amdhsa_user_sgpr_count 15
		.amdhsa_user_sgpr_dispatch_ptr 0
		.amdhsa_user_sgpr_queue_ptr 0
		.amdhsa_user_sgpr_kernarg_segment_ptr 1
		.amdhsa_user_sgpr_dispatch_id 0
		.amdhsa_user_sgpr_private_segment_size 0
		.amdhsa_wavefront_size32 1
		.amdhsa_uses_dynamic_stack 0
		.amdhsa_enable_private_segment 0
		.amdhsa_system_sgpr_workgroup_id_x 1
		.amdhsa_system_sgpr_workgroup_id_y 0
		.amdhsa_system_sgpr_workgroup_id_z 0
		.amdhsa_system_sgpr_workgroup_info 0
		.amdhsa_system_vgpr_workitem_id 0
		.amdhsa_next_free_vgpr 1
		.amdhsa_next_free_sgpr 1
		.amdhsa_reserve_vcc 0
		.amdhsa_float_round_mode_32 0
		.amdhsa_float_round_mode_16_64 0
		.amdhsa_float_denorm_mode_32 3
		.amdhsa_float_denorm_mode_16_64 3
		.amdhsa_dx10_clamp 1
		.amdhsa_ieee_mode 1
		.amdhsa_fp16_overflow 0
		.amdhsa_workgroup_processor_mode 1
		.amdhsa_memory_ordered 1
		.amdhsa_forward_progress 0
		.amdhsa_shared_vgpr_count 0
		.amdhsa_exception_fp_ieee_invalid_op 0
		.amdhsa_exception_fp_denorm_src 0
		.amdhsa_exception_fp_ieee_div_zero 0
		.amdhsa_exception_fp_ieee_overflow 0
		.amdhsa_exception_fp_ieee_underflow 0
		.amdhsa_exception_fp_ieee_inexact 0
		.amdhsa_exception_int_div_zero 0
	.end_amdhsa_kernel
	.section	.text._ZN7rocprim17ROCPRIM_400000_NS6detail17trampoline_kernelINS0_14default_configENS1_22reduce_config_selectorIbEEZNS1_11reduce_implILb1ES3_N6hipcub16HIPCUB_304000_NS22TransformInputIteratorIbN2at6native12_GLOBAL__N_19NonZeroOpIfEEPKflEEPiiNS8_6detail34convert_binary_result_type_wrapperINS8_3SumESH_iEEEE10hipError_tPvRmT1_T2_T3_mT4_P12ihipStream_tbEUlT_E1_NS1_11comp_targetILNS1_3genE10ELNS1_11target_archE1200ELNS1_3gpuE4ELNS1_3repE0EEENS1_30default_config_static_selectorELNS0_4arch9wavefront6targetE0EEEvSQ_,"axG",@progbits,_ZN7rocprim17ROCPRIM_400000_NS6detail17trampoline_kernelINS0_14default_configENS1_22reduce_config_selectorIbEEZNS1_11reduce_implILb1ES3_N6hipcub16HIPCUB_304000_NS22TransformInputIteratorIbN2at6native12_GLOBAL__N_19NonZeroOpIfEEPKflEEPiiNS8_6detail34convert_binary_result_type_wrapperINS8_3SumESH_iEEEE10hipError_tPvRmT1_T2_T3_mT4_P12ihipStream_tbEUlT_E1_NS1_11comp_targetILNS1_3genE10ELNS1_11target_archE1200ELNS1_3gpuE4ELNS1_3repE0EEENS1_30default_config_static_selectorELNS0_4arch9wavefront6targetE0EEEvSQ_,comdat
.Lfunc_end455:
	.size	_ZN7rocprim17ROCPRIM_400000_NS6detail17trampoline_kernelINS0_14default_configENS1_22reduce_config_selectorIbEEZNS1_11reduce_implILb1ES3_N6hipcub16HIPCUB_304000_NS22TransformInputIteratorIbN2at6native12_GLOBAL__N_19NonZeroOpIfEEPKflEEPiiNS8_6detail34convert_binary_result_type_wrapperINS8_3SumESH_iEEEE10hipError_tPvRmT1_T2_T3_mT4_P12ihipStream_tbEUlT_E1_NS1_11comp_targetILNS1_3genE10ELNS1_11target_archE1200ELNS1_3gpuE4ELNS1_3repE0EEENS1_30default_config_static_selectorELNS0_4arch9wavefront6targetE0EEEvSQ_, .Lfunc_end455-_ZN7rocprim17ROCPRIM_400000_NS6detail17trampoline_kernelINS0_14default_configENS1_22reduce_config_selectorIbEEZNS1_11reduce_implILb1ES3_N6hipcub16HIPCUB_304000_NS22TransformInputIteratorIbN2at6native12_GLOBAL__N_19NonZeroOpIfEEPKflEEPiiNS8_6detail34convert_binary_result_type_wrapperINS8_3SumESH_iEEEE10hipError_tPvRmT1_T2_T3_mT4_P12ihipStream_tbEUlT_E1_NS1_11comp_targetILNS1_3genE10ELNS1_11target_archE1200ELNS1_3gpuE4ELNS1_3repE0EEENS1_30default_config_static_selectorELNS0_4arch9wavefront6targetE0EEEvSQ_
                                        ; -- End function
	.section	.AMDGPU.csdata,"",@progbits
; Kernel info:
; codeLenInByte = 0
; NumSgprs: 0
; NumVgprs: 0
; ScratchSize: 0
; MemoryBound: 0
; FloatMode: 240
; IeeeMode: 1
; LDSByteSize: 0 bytes/workgroup (compile time only)
; SGPRBlocks: 0
; VGPRBlocks: 0
; NumSGPRsForWavesPerEU: 1
; NumVGPRsForWavesPerEU: 1
; Occupancy: 16
; WaveLimiterHint : 0
; COMPUTE_PGM_RSRC2:SCRATCH_EN: 0
; COMPUTE_PGM_RSRC2:USER_SGPR: 15
; COMPUTE_PGM_RSRC2:TRAP_HANDLER: 0
; COMPUTE_PGM_RSRC2:TGID_X_EN: 1
; COMPUTE_PGM_RSRC2:TGID_Y_EN: 0
; COMPUTE_PGM_RSRC2:TGID_Z_EN: 0
; COMPUTE_PGM_RSRC2:TIDIG_COMP_CNT: 0
	.section	.text._ZN7rocprim17ROCPRIM_400000_NS6detail17trampoline_kernelINS0_14default_configENS1_22reduce_config_selectorIbEEZNS1_11reduce_implILb1ES3_N6hipcub16HIPCUB_304000_NS22TransformInputIteratorIbN2at6native12_GLOBAL__N_19NonZeroOpIfEEPKflEEPiiNS8_6detail34convert_binary_result_type_wrapperINS8_3SumESH_iEEEE10hipError_tPvRmT1_T2_T3_mT4_P12ihipStream_tbEUlT_E1_NS1_11comp_targetILNS1_3genE9ELNS1_11target_archE1100ELNS1_3gpuE3ELNS1_3repE0EEENS1_30default_config_static_selectorELNS0_4arch9wavefront6targetE0EEEvSQ_,"axG",@progbits,_ZN7rocprim17ROCPRIM_400000_NS6detail17trampoline_kernelINS0_14default_configENS1_22reduce_config_selectorIbEEZNS1_11reduce_implILb1ES3_N6hipcub16HIPCUB_304000_NS22TransformInputIteratorIbN2at6native12_GLOBAL__N_19NonZeroOpIfEEPKflEEPiiNS8_6detail34convert_binary_result_type_wrapperINS8_3SumESH_iEEEE10hipError_tPvRmT1_T2_T3_mT4_P12ihipStream_tbEUlT_E1_NS1_11comp_targetILNS1_3genE9ELNS1_11target_archE1100ELNS1_3gpuE3ELNS1_3repE0EEENS1_30default_config_static_selectorELNS0_4arch9wavefront6targetE0EEEvSQ_,comdat
	.globl	_ZN7rocprim17ROCPRIM_400000_NS6detail17trampoline_kernelINS0_14default_configENS1_22reduce_config_selectorIbEEZNS1_11reduce_implILb1ES3_N6hipcub16HIPCUB_304000_NS22TransformInputIteratorIbN2at6native12_GLOBAL__N_19NonZeroOpIfEEPKflEEPiiNS8_6detail34convert_binary_result_type_wrapperINS8_3SumESH_iEEEE10hipError_tPvRmT1_T2_T3_mT4_P12ihipStream_tbEUlT_E1_NS1_11comp_targetILNS1_3genE9ELNS1_11target_archE1100ELNS1_3gpuE3ELNS1_3repE0EEENS1_30default_config_static_selectorELNS0_4arch9wavefront6targetE0EEEvSQ_ ; -- Begin function _ZN7rocprim17ROCPRIM_400000_NS6detail17trampoline_kernelINS0_14default_configENS1_22reduce_config_selectorIbEEZNS1_11reduce_implILb1ES3_N6hipcub16HIPCUB_304000_NS22TransformInputIteratorIbN2at6native12_GLOBAL__N_19NonZeroOpIfEEPKflEEPiiNS8_6detail34convert_binary_result_type_wrapperINS8_3SumESH_iEEEE10hipError_tPvRmT1_T2_T3_mT4_P12ihipStream_tbEUlT_E1_NS1_11comp_targetILNS1_3genE9ELNS1_11target_archE1100ELNS1_3gpuE3ELNS1_3repE0EEENS1_30default_config_static_selectorELNS0_4arch9wavefront6targetE0EEEvSQ_
	.p2align	8
	.type	_ZN7rocprim17ROCPRIM_400000_NS6detail17trampoline_kernelINS0_14default_configENS1_22reduce_config_selectorIbEEZNS1_11reduce_implILb1ES3_N6hipcub16HIPCUB_304000_NS22TransformInputIteratorIbN2at6native12_GLOBAL__N_19NonZeroOpIfEEPKflEEPiiNS8_6detail34convert_binary_result_type_wrapperINS8_3SumESH_iEEEE10hipError_tPvRmT1_T2_T3_mT4_P12ihipStream_tbEUlT_E1_NS1_11comp_targetILNS1_3genE9ELNS1_11target_archE1100ELNS1_3gpuE3ELNS1_3repE0EEENS1_30default_config_static_selectorELNS0_4arch9wavefront6targetE0EEEvSQ_,@function
_ZN7rocprim17ROCPRIM_400000_NS6detail17trampoline_kernelINS0_14default_configENS1_22reduce_config_selectorIbEEZNS1_11reduce_implILb1ES3_N6hipcub16HIPCUB_304000_NS22TransformInputIteratorIbN2at6native12_GLOBAL__N_19NonZeroOpIfEEPKflEEPiiNS8_6detail34convert_binary_result_type_wrapperINS8_3SumESH_iEEEE10hipError_tPvRmT1_T2_T3_mT4_P12ihipStream_tbEUlT_E1_NS1_11comp_targetILNS1_3genE9ELNS1_11target_archE1100ELNS1_3gpuE3ELNS1_3repE0EEENS1_30default_config_static_selectorELNS0_4arch9wavefront6targetE0EEEvSQ_: ; @_ZN7rocprim17ROCPRIM_400000_NS6detail17trampoline_kernelINS0_14default_configENS1_22reduce_config_selectorIbEEZNS1_11reduce_implILb1ES3_N6hipcub16HIPCUB_304000_NS22TransformInputIteratorIbN2at6native12_GLOBAL__N_19NonZeroOpIfEEPKflEEPiiNS8_6detail34convert_binary_result_type_wrapperINS8_3SumESH_iEEEE10hipError_tPvRmT1_T2_T3_mT4_P12ihipStream_tbEUlT_E1_NS1_11comp_targetILNS1_3genE9ELNS1_11target_archE1100ELNS1_3gpuE3ELNS1_3repE0EEENS1_30default_config_static_selectorELNS0_4arch9wavefront6targetE0EEEvSQ_
; %bb.0:
	s_clause 0x2
	s_load_b32 s26, s[0:1], 0x4
	s_load_b64 s[24:25], s[0:1], 0x8
	s_load_b128 s[20:23], s[0:1], 0x18
	s_mov_b32 s18, s15
	s_waitcnt lgkmcnt(0)
	s_cmp_lt_i32 s26, 16
	s_cbranch_scc1 .LBB456_12
; %bb.1:
	s_cmp_gt_i32 s26, 63
	s_cbranch_scc0 .LBB456_13
; %bb.2:
	s_cmpk_gt_i32 s26, 0x7f
	s_cbranch_scc0 .LBB456_22
; %bb.3:
	s_cmpk_eq_i32 s26, 0x80
	s_mov_b32 s6, 0
	s_cbranch_scc0 .LBB456_23
; %bb.4:
	s_mov_b32 s19, 0
	s_lshl_b32 s4, s18, 14
	s_mov_b32 s5, s19
	s_lshr_b64 s[8:9], s[20:21], 14
	s_lshl_b64 s[2:3], s[4:5], 2
	s_delay_alu instid0(SALU_CYCLE_1)
	s_add_u32 s2, s24, s2
	s_addc_u32 s3, s25, s3
	s_cmp_lg_u64 s[8:9], s[18:19]
	s_cbranch_scc0 .LBB456_34
; %bb.5:
	v_lshlrev_b32_e32 v5, 2, v0
	s_clause 0x6
	global_load_b32 v7, v5, s[2:3]
	global_load_b32 v8, v5, s[2:3] offset:512
	global_load_b32 v9, v5, s[2:3] offset:1024
	;; [unrolled: 1-line block ×6, first 2 shown]
	v_add_co_u32 v10, s5, s2, v5
	s_delay_alu instid0(VALU_DEP_1) | instskip(SKIP_1) | instid1(VALU_DEP_2)
	v_add_co_ci_u32_e64 v11, null, s3, 0, s5
	s_mov_b32 s5, exec_lo
	v_add_co_u32 v1, vcc_lo, v10, 0x2000
	s_delay_alu instid0(VALU_DEP_2)
	v_add_co_ci_u32_e32 v2, vcc_lo, 0, v11, vcc_lo
	v_add_co_u32 v3, vcc_lo, 0x1000, v10
	v_add_co_ci_u32_e32 v4, vcc_lo, 0, v11, vcc_lo
	s_clause 0x7
	global_load_b32 v16, v[1:2], off offset:-4096
	global_load_b32 v17, v5, s[2:3] offset:3584
	global_load_b32 v18, v[3:4], off offset:1024
	global_load_b32 v19, v[3:4], off offset:512
	;; [unrolled: 1-line block ×6, first 2 shown]
	v_add_co_u32 v5, vcc_lo, 0x2000, v10
	v_add_co_ci_u32_e32 v6, vcc_lo, 0, v11, vcc_lo
	s_clause 0x7
	global_load_b32 v24, v[1:2], off
	global_load_b32 v25, v[3:4], off offset:3584
	global_load_b32 v26, v[5:6], off offset:1024
	;; [unrolled: 1-line block ×7, first 2 shown]
	v_add_co_u32 v1, vcc_lo, v10, 0x4000
	v_add_co_ci_u32_e32 v2, vcc_lo, 0, v11, vcc_lo
	v_add_co_u32 v3, vcc_lo, 0x3000, v10
	v_add_co_ci_u32_e32 v4, vcc_lo, 0, v11, vcc_lo
	s_clause 0x7
	global_load_b32 v32, v[1:2], off offset:-4096
	global_load_b32 v33, v[5:6], off offset:3584
	global_load_b32 v34, v[3:4], off offset:1024
	;; [unrolled: 1-line block ×7, first 2 shown]
	v_add_co_u32 v5, vcc_lo, 0x4000, v10
	v_add_co_ci_u32_e32 v6, vcc_lo, 0, v11, vcc_lo
	s_clause 0x7
	global_load_b32 v40, v[1:2], off
	global_load_b32 v41, v[3:4], off offset:3584
	global_load_b32 v42, v[5:6], off offset:1024
	;; [unrolled: 1-line block ×7, first 2 shown]
	v_add_co_u32 v1, vcc_lo, v10, 0x6000
	v_add_co_ci_u32_e32 v2, vcc_lo, 0, v11, vcc_lo
	v_add_co_u32 v3, vcc_lo, 0x5000, v10
	v_add_co_ci_u32_e32 v4, vcc_lo, 0, v11, vcc_lo
	s_clause 0x7
	global_load_b32 v48, v[1:2], off offset:-4096
	global_load_b32 v49, v[5:6], off offset:3584
	global_load_b32 v50, v[3:4], off offset:1024
	global_load_b32 v51, v[3:4], off offset:512
	global_load_b32 v52, v[3:4], off offset:2048
	global_load_b32 v53, v[3:4], off offset:1536
	global_load_b32 v54, v[3:4], off offset:2560
	global_load_b32 v55, v[3:4], off offset:3072
	v_add_co_u32 v5, vcc_lo, 0x6000, v10
	v_add_co_ci_u32_e32 v6, vcc_lo, 0, v11, vcc_lo
	s_clause 0x5
	global_load_b32 v56, v[1:2], off
	global_load_b32 v57, v[3:4], off offset:3584
	global_load_b32 v58, v[5:6], off offset:1024
	global_load_b32 v59, v[5:6], off offset:512
	global_load_b32 v60, v[5:6], off offset:1536
	global_load_b32 v61, v[5:6], off offset:2048
	v_add_co_u32 v1, vcc_lo, v10, 0x8000
	v_add_co_ci_u32_e32 v2, vcc_lo, 0, v11, vcc_lo
	v_add_co_u32 v3, vcc_lo, 0x7000, v10
	v_add_co_ci_u32_e32 v4, vcc_lo, 0, v11, vcc_lo
	s_clause 0x9
	global_load_b32 v62, v[5:6], off offset:2560
	global_load_b32 v63, v[5:6], off offset:3072
	global_load_b32 v64, v[1:2], off offset:-4096
	global_load_b32 v65, v[5:6], off offset:3584
	global_load_b32 v66, v[3:4], off offset:1024
	global_load_b32 v67, v[3:4], off offset:512
	global_load_b32 v68, v[3:4], off offset:2048
	global_load_b32 v69, v[3:4], off offset:1536
	global_load_b32 v70, v[3:4], off offset:2560
	global_load_b32 v71, v[3:4], off offset:3072
	v_add_co_u32 v5, vcc_lo, 0x8000, v10
	v_add_co_ci_u32_e32 v6, vcc_lo, 0, v11, vcc_lo
	s_clause 0x5
	global_load_b32 v72, v[1:2], off
	global_load_b32 v73, v[3:4], off offset:3584
	global_load_b32 v74, v[5:6], off offset:1024
	global_load_b32 v75, v[5:6], off offset:512
	global_load_b32 v76, v[5:6], off offset:1536
	global_load_b32 v77, v[5:6], off offset:2048
	v_add_co_u32 v1, vcc_lo, v10, 0xa000
	v_add_co_ci_u32_e32 v2, vcc_lo, 0, v11, vcc_lo
	v_add_co_u32 v3, vcc_lo, 0x9000, v10
	v_add_co_ci_u32_e32 v4, vcc_lo, 0, v11, vcc_lo
	s_clause 0x9
	global_load_b32 v78, v[5:6], off offset:2560
	global_load_b32 v79, v[5:6], off offset:3072
	;; [unrolled: 24-line block ×4, first 2 shown]
	global_load_b32 v112, v[1:2], off offset:-4096
	global_load_b32 v113, v[5:6], off offset:3584
	global_load_b32 v114, v[3:4], off offset:1024
	;; [unrolled: 1-line block ×7, first 2 shown]
	v_add_co_u32 v5, vcc_lo, 0xe000, v10
	v_add_co_ci_u32_e32 v6, vcc_lo, 0, v11, vcc_lo
	s_clause 0x5
	global_load_b32 v120, v[1:2], off
	global_load_b32 v3, v[3:4], off offset:3584
	global_load_b32 v4, v[5:6], off offset:1024
	;; [unrolled: 1-line block ×5, first 2 shown]
	v_add_co_u32 v1, vcc_lo, 0xf000, v10
	v_add_co_ci_u32_e32 v2, vcc_lo, 0, v11, vcc_lo
	s_clause 0xa
	global_load_b32 v10, v[5:6], off offset:3072
	global_load_b32 v11, v[5:6], off offset:2560
	global_load_b32 v124, v[1:2], off
	global_load_b32 v5, v[5:6], off offset:3584
	global_load_b32 v6, v[1:2], off offset:1024
	;; [unrolled: 1-line block ×8, first 2 shown]
	s_waitcnt vmcnt(62)
	v_cmp_neq_f32_e32 vcc_lo, 0, v7
	v_cndmask_b32_e64 v2, 0, 1, vcc_lo
	v_cmp_neq_f32_e32 vcc_lo, 0, v9
	v_cndmask_b32_e64 v7, 0, 1, vcc_lo
	v_cmp_neq_f32_e32 vcc_lo, 0, v8
	s_delay_alu instid0(VALU_DEP_4) | instskip(SKIP_3) | instid1(VALU_DEP_4)
	v_add_co_ci_u32_e32 v2, vcc_lo, 0, v2, vcc_lo
	v_cmp_neq_f32_e32 vcc_lo, 0, v13
	v_cndmask_b32_e64 v8, 0, 1, vcc_lo
	v_cmp_neq_f32_e32 vcc_lo, 0, v12
	v_add_co_ci_u32_e32 v2, vcc_lo, v2, v7, vcc_lo
	v_cmp_neq_f32_e32 vcc_lo, 0, v15
	v_cndmask_b32_e64 v7, 0, 1, vcc_lo
	v_cmp_neq_f32_e32 vcc_lo, 0, v14
	s_delay_alu instid0(VALU_DEP_4) | instskip(SKIP_3) | instid1(VALU_DEP_4)
	v_add_co_ci_u32_e32 v2, vcc_lo, v2, v8, vcc_lo
	v_cmp_neq_f32_e32 vcc_lo, 0, v16
	v_cndmask_b32_e64 v8, 0, 1, vcc_lo
	v_cmp_neq_f32_e32 vcc_lo, 0, v17
	v_add_co_ci_u32_e32 v2, vcc_lo, v2, v7, vcc_lo
	;; [unrolled: 9-line block ×16, first 2 shown]
	v_cmp_neq_f32_e32 vcc_lo, 0, v74
	v_cndmask_b32_e64 v7, 0, 1, vcc_lo
	s_waitcnt vmcnt(61)
	v_cmp_neq_f32_e32 vcc_lo, 0, v75
	v_add_co_ci_u32_e32 v2, vcc_lo, v2, v8, vcc_lo
	s_waitcnt vmcnt(59)
	v_cmp_neq_f32_e32 vcc_lo, 0, v77
	v_cndmask_b32_e64 v8, 0, 1, vcc_lo
	v_cmp_neq_f32_e32 vcc_lo, 0, v76
	v_add_co_ci_u32_e32 v2, vcc_lo, v2, v7, vcc_lo
	s_waitcnt vmcnt(57)
	v_cmp_neq_f32_e32 vcc_lo, 0, v79
	v_cndmask_b32_e64 v7, 0, 1, vcc_lo
	v_cmp_neq_f32_e32 vcc_lo, 0, v78
	v_add_co_ci_u32_e32 v2, vcc_lo, v2, v8, vcc_lo
	s_waitcnt vmcnt(56)
	v_cmp_neq_f32_e32 vcc_lo, 0, v80
	v_cndmask_b32_e64 v8, 0, 1, vcc_lo
	s_waitcnt vmcnt(55)
	v_cmp_neq_f32_e32 vcc_lo, 0, v81
	v_add_co_ci_u32_e32 v2, vcc_lo, v2, v7, vcc_lo
	s_waitcnt vmcnt(54)
	v_cmp_neq_f32_e32 vcc_lo, 0, v82
	v_cndmask_b32_e64 v7, 0, 1, vcc_lo
	s_waitcnt vmcnt(53)
	v_cmp_neq_f32_e32 vcc_lo, 0, v83
	v_add_co_ci_u32_e32 v2, vcc_lo, v2, v8, vcc_lo
	s_waitcnt vmcnt(52)
	v_cmp_neq_f32_e32 vcc_lo, 0, v84
	v_cndmask_b32_e64 v8, 0, 1, vcc_lo
	s_waitcnt vmcnt(51)
	v_cmp_neq_f32_e32 vcc_lo, 0, v85
	v_add_co_ci_u32_e32 v2, vcc_lo, v2, v7, vcc_lo
	s_waitcnt vmcnt(49)
	v_cmp_neq_f32_e32 vcc_lo, 0, v87
	v_cndmask_b32_e64 v7, 0, 1, vcc_lo
	v_cmp_neq_f32_e32 vcc_lo, 0, v86
	v_add_co_ci_u32_e32 v2, vcc_lo, v2, v8, vcc_lo
	s_waitcnt vmcnt(48)
	v_cmp_neq_f32_e32 vcc_lo, 0, v88
	v_cndmask_b32_e64 v8, 0, 1, vcc_lo
	s_waitcnt vmcnt(47)
	v_cmp_neq_f32_e32 vcc_lo, 0, v89
	v_add_co_ci_u32_e32 v2, vcc_lo, v2, v7, vcc_lo
	s_waitcnt vmcnt(46)
	v_cmp_neq_f32_e32 vcc_lo, 0, v90
	v_cndmask_b32_e64 v7, 0, 1, vcc_lo
	s_waitcnt vmcnt(45)
	v_cmp_neq_f32_e32 vcc_lo, 0, v91
	v_add_co_ci_u32_e32 v2, vcc_lo, v2, v8, vcc_lo
	s_waitcnt vmcnt(43)
	v_cmp_neq_f32_e32 vcc_lo, 0, v93
	v_cndmask_b32_e64 v8, 0, 1, vcc_lo
	v_cmp_neq_f32_e32 vcc_lo, 0, v92
	v_add_co_ci_u32_e32 v2, vcc_lo, v2, v7, vcc_lo
	s_waitcnt vmcnt(41)
	v_cmp_neq_f32_e32 vcc_lo, 0, v95
	v_cndmask_b32_e64 v7, 0, 1, vcc_lo
	v_cmp_neq_f32_e32 vcc_lo, 0, v94
	v_add_co_ci_u32_e32 v2, vcc_lo, v2, v8, vcc_lo
	s_waitcnt vmcnt(40)
	v_cmp_neq_f32_e32 vcc_lo, 0, v96
	v_cndmask_b32_e64 v8, 0, 1, vcc_lo
	s_waitcnt vmcnt(39)
	v_cmp_neq_f32_e32 vcc_lo, 0, v97
	v_add_co_ci_u32_e32 v2, vcc_lo, v2, v7, vcc_lo
	s_waitcnt vmcnt(38)
	v_cmp_neq_f32_e32 vcc_lo, 0, v98
	v_cndmask_b32_e64 v7, 0, 1, vcc_lo
	s_waitcnt vmcnt(37)
	v_cmp_neq_f32_e32 vcc_lo, 0, v99
	v_add_co_ci_u32_e32 v2, vcc_lo, v2, v8, vcc_lo
	s_waitcnt vmcnt(36)
	v_cmp_neq_f32_e32 vcc_lo, 0, v100
	v_cndmask_b32_e64 v8, 0, 1, vcc_lo
	s_waitcnt vmcnt(35)
	v_cmp_neq_f32_e32 vcc_lo, 0, v101
	v_add_co_ci_u32_e32 v2, vcc_lo, v2, v7, vcc_lo
	s_waitcnt vmcnt(33)
	v_cmp_neq_f32_e32 vcc_lo, 0, v103
	v_cndmask_b32_e64 v7, 0, 1, vcc_lo
	v_cmp_neq_f32_e32 vcc_lo, 0, v102
	v_add_co_ci_u32_e32 v2, vcc_lo, v2, v8, vcc_lo
	s_waitcnt vmcnt(32)
	v_cmp_neq_f32_e32 vcc_lo, 0, v104
	v_cndmask_b32_e64 v8, 0, 1, vcc_lo
	s_waitcnt vmcnt(31)
	v_cmp_neq_f32_e32 vcc_lo, 0, v105
	v_add_co_ci_u32_e32 v2, vcc_lo, v2, v7, vcc_lo
	s_waitcnt vmcnt(30)
	;; [unrolled: 45-line block ×3, first 2 shown]
	v_cmp_neq_f32_e32 vcc_lo, 0, v4
	v_cndmask_b32_e64 v3, 0, 1, vcc_lo
	s_waitcnt vmcnt(13)
	v_cmp_neq_f32_e32 vcc_lo, 0, v121
	v_add_co_ci_u32_e32 v2, vcc_lo, v2, v8, vcc_lo
	s_waitcnt vmcnt(11)
	v_cmp_neq_f32_e32 vcc_lo, 0, v123
	v_cndmask_b32_e64 v4, 0, 1, vcc_lo
	v_cmp_neq_f32_e32 vcc_lo, 0, v122
	v_add_co_ci_u32_e32 v2, vcc_lo, v2, v3, vcc_lo
	s_waitcnt vmcnt(10)
	v_cmp_neq_f32_e32 vcc_lo, 0, v10
	v_cndmask_b32_e64 v3, 0, 1, vcc_lo
	s_waitcnt vmcnt(9)
	v_cmp_neq_f32_e32 vcc_lo, 0, v11
	v_add_co_ci_u32_e32 v2, vcc_lo, v2, v4, vcc_lo
	s_waitcnt vmcnt(8)
	v_cmp_neq_f32_e32 vcc_lo, 0, v124
	v_cndmask_b32_e64 v4, 0, 1, vcc_lo
	s_waitcnt vmcnt(7)
	;; [unrolled: 6-line block ×5, first 2 shown]
	v_cmp_neq_f32_e32 vcc_lo, 0, v129
	v_add_co_ci_u32_e32 v2, vcc_lo, v2, v4, vcc_lo
	s_waitcnt vmcnt(0)
	v_cmp_neq_f32_e32 vcc_lo, 0, v1
	s_delay_alu instid0(VALU_DEP_2) | instskip(SKIP_1) | instid1(VALU_DEP_2)
	v_add_co_ci_u32_e32 v1, vcc_lo, v2, v3, vcc_lo
	v_mov_b32_e32 v3, 0
	v_mov_b32_dpp v2, v1 quad_perm:[1,0,3,2] row_mask:0xf bank_mask:0xf
	s_delay_alu instid0(VALU_DEP_1) | instskip(NEXT) | instid1(VALU_DEP_1)
	v_add_nc_u32_e32 v1, v1, v2
	v_mov_b32_dpp v2, v1 quad_perm:[2,3,0,1] row_mask:0xf bank_mask:0xf
	s_delay_alu instid0(VALU_DEP_1) | instskip(NEXT) | instid1(VALU_DEP_1)
	v_add_nc_u32_e32 v1, v1, v2
	v_mov_b32_dpp v2, v1 row_ror:4 row_mask:0xf bank_mask:0xf
	s_delay_alu instid0(VALU_DEP_1) | instskip(NEXT) | instid1(VALU_DEP_1)
	v_add_nc_u32_e32 v1, v1, v2
	v_mov_b32_dpp v2, v1 row_ror:8 row_mask:0xf bank_mask:0xf
	s_delay_alu instid0(VALU_DEP_1)
	v_add_nc_u32_e32 v1, v1, v2
	ds_swizzle_b32 v2, v1 offset:swizzle(BROADCAST,32,15)
	s_waitcnt lgkmcnt(0)
	v_add_nc_u32_e32 v1, v1, v2
	v_mbcnt_lo_u32_b32 v2, -1, 0
	ds_bpermute_b32 v1, v3, v1 offset:124
	v_cmpx_eq_u32_e32 0, v2
	s_cbranch_execz .LBB456_7
; %bb.6:
	v_lshrrev_b32_e32 v3, 3, v0
	s_delay_alu instid0(VALU_DEP_1)
	v_and_b32_e32 v3, 12, v3
	s_waitcnt lgkmcnt(0)
	ds_store_b32 v3, v1
.LBB456_7:
	s_or_b32 exec_lo, exec_lo, s5
	s_delay_alu instid0(SALU_CYCLE_1)
	s_mov_b32 s5, exec_lo
	s_waitcnt lgkmcnt(0)
	s_barrier
	buffer_gl0_inv
	v_cmpx_gt_u32_e32 32, v0
	s_cbranch_execz .LBB456_9
; %bb.8:
	v_and_b32_e32 v1, 3, v2
	s_delay_alu instid0(VALU_DEP_1) | instskip(SKIP_4) | instid1(VALU_DEP_2)
	v_lshlrev_b32_e32 v3, 2, v1
	v_cmp_ne_u32_e32 vcc_lo, 3, v1
	ds_load_b32 v3, v3
	v_add_co_ci_u32_e32 v4, vcc_lo, 0, v2, vcc_lo
	v_cmp_gt_u32_e32 vcc_lo, 2, v1
	v_lshlrev_b32_e32 v4, 2, v4
	v_cndmask_b32_e64 v1, 0, 1, vcc_lo
	s_delay_alu instid0(VALU_DEP_1) | instskip(NEXT) | instid1(VALU_DEP_1)
	v_lshlrev_b32_e32 v1, 1, v1
	v_add_lshl_u32 v1, v1, v2, 2
	s_waitcnt lgkmcnt(0)
	ds_bpermute_b32 v4, v4, v3
	s_waitcnt lgkmcnt(0)
	v_add_nc_u32_e32 v3, v4, v3
	ds_bpermute_b32 v1, v1, v3
	s_waitcnt lgkmcnt(0)
	v_add_nc_u32_e32 v1, v1, v3
.LBB456_9:
	s_or_b32 exec_lo, exec_lo, s5
.LBB456_10:
	v_cmp_eq_u32_e64 s2, 0, v0
	s_and_b32 vcc_lo, exec_lo, s6
	s_cbranch_vccnz .LBB456_24
.LBB456_11:
	s_branch .LBB456_512
.LBB456_12:
	s_mov_b32 s2, 0
                                        ; implicit-def: $vgpr1
	s_cbranch_execz .LBB456_623
	s_branch .LBB456_513
.LBB456_13:
	s_mov_b32 s2, 0
                                        ; implicit-def: $vgpr1
	s_cbranch_execz .LBB456_512
; %bb.14:
	s_cmp_gt_i32 s26, 31
	s_cbranch_scc0 .LBB456_31
; %bb.15:
	s_cmp_eq_u32 s26, 32
	s_cbranch_scc0 .LBB456_32
; %bb.16:
	s_mov_b32 s19, 0
	s_lshl_b32 s4, s18, 12
	s_mov_b32 s5, s19
	s_lshr_b64 s[6:7], s[20:21], 12
	s_lshl_b64 s[2:3], s[4:5], 2
	s_delay_alu instid0(SALU_CYCLE_1)
	s_add_u32 s2, s24, s2
	s_addc_u32 s3, s25, s3
	s_cmp_lg_u64 s[6:7], s[18:19]
	s_cbranch_scc0 .LBB456_296
; %bb.17:
	v_lshlrev_b32_e32 v5, 2, v0
	s_clause 0x6
	global_load_b32 v7, v5, s[2:3]
	global_load_b32 v8, v5, s[2:3] offset:512
	global_load_b32 v9, v5, s[2:3] offset:1024
	;; [unrolled: 1-line block ×6, first 2 shown]
	v_add_co_u32 v10, s5, s2, v5
	s_delay_alu instid0(VALU_DEP_1) | instskip(SKIP_1) | instid1(VALU_DEP_2)
	v_add_co_ci_u32_e64 v11, null, s3, 0, s5
	s_mov_b32 s5, exec_lo
	v_add_co_u32 v1, vcc_lo, v10, 0x2000
	s_delay_alu instid0(VALU_DEP_2)
	v_add_co_ci_u32_e32 v2, vcc_lo, 0, v11, vcc_lo
	v_add_co_u32 v3, vcc_lo, 0x1000, v10
	v_add_co_ci_u32_e32 v4, vcc_lo, 0, v11, vcc_lo
	s_clause 0x7
	global_load_b32 v16, v[1:2], off offset:-4096
	global_load_b32 v17, v5, s[2:3] offset:3584
	global_load_b32 v18, v[3:4], off offset:1024
	global_load_b32 v19, v[3:4], off offset:512
	global_load_b32 v20, v[3:4], off offset:2048
	global_load_b32 v21, v[3:4], off offset:1536
	global_load_b32 v22, v[3:4], off offset:2560
	global_load_b32 v23, v[3:4], off offset:3072
	v_add_co_u32 v5, vcc_lo, 0x2000, v10
	v_add_co_ci_u32_e32 v6, vcc_lo, 0, v11, vcc_lo
	s_clause 0x5
	global_load_b32 v24, v[1:2], off
	global_load_b32 v3, v[3:4], off offset:3584
	global_load_b32 v4, v[5:6], off offset:1024
	;; [unrolled: 1-line block ×5, first 2 shown]
	v_add_co_u32 v1, vcc_lo, 0x3000, v10
	v_add_co_ci_u32_e32 v2, vcc_lo, 0, v11, vcc_lo
	s_clause 0xa
	global_load_b32 v10, v[5:6], off offset:3072
	global_load_b32 v11, v[5:6], off offset:2560
	global_load_b32 v28, v[1:2], off
	global_load_b32 v5, v[5:6], off offset:3584
	global_load_b32 v6, v[1:2], off offset:1024
	;; [unrolled: 1-line block ×8, first 2 shown]
	s_waitcnt vmcnt(31)
	v_cmp_neq_f32_e32 vcc_lo, 0, v7
	v_cndmask_b32_e64 v2, 0, 1, vcc_lo
	s_waitcnt vmcnt(29)
	v_cmp_neq_f32_e32 vcc_lo, 0, v9
	v_cndmask_b32_e64 v7, 0, 1, vcc_lo
	v_cmp_neq_f32_e32 vcc_lo, 0, v8
	v_add_co_ci_u32_e32 v2, vcc_lo, 0, v2, vcc_lo
	s_waitcnt vmcnt(27)
	v_cmp_neq_f32_e32 vcc_lo, 0, v13
	v_cndmask_b32_e64 v8, 0, 1, vcc_lo
	v_cmp_neq_f32_e32 vcc_lo, 0, v12
	v_add_co_ci_u32_e32 v2, vcc_lo, v2, v7, vcc_lo
	;; [unrolled: 5-line block ×3, first 2 shown]
	s_waitcnt vmcnt(24)
	v_cmp_neq_f32_e32 vcc_lo, 0, v16
	v_cndmask_b32_e64 v8, 0, 1, vcc_lo
	s_waitcnt vmcnt(23)
	v_cmp_neq_f32_e32 vcc_lo, 0, v17
	v_add_co_ci_u32_e32 v2, vcc_lo, v2, v7, vcc_lo
	s_waitcnt vmcnt(22)
	v_cmp_neq_f32_e32 vcc_lo, 0, v18
	v_cndmask_b32_e64 v7, 0, 1, vcc_lo
	s_waitcnt vmcnt(21)
	v_cmp_neq_f32_e32 vcc_lo, 0, v19
	v_add_co_ci_u32_e32 v2, vcc_lo, v2, v8, vcc_lo
	;; [unrolled: 6-line block ×3, first 2 shown]
	s_waitcnt vmcnt(17)
	v_cmp_neq_f32_e32 vcc_lo, 0, v23
	v_cndmask_b32_e64 v7, 0, 1, vcc_lo
	v_cmp_neq_f32_e32 vcc_lo, 0, v22
	v_add_co_ci_u32_e32 v2, vcc_lo, v2, v8, vcc_lo
	s_waitcnt vmcnt(16)
	v_cmp_neq_f32_e32 vcc_lo, 0, v24
	v_cndmask_b32_e64 v8, 0, 1, vcc_lo
	s_waitcnt vmcnt(15)
	v_cmp_neq_f32_e32 vcc_lo, 0, v3
	v_add_co_ci_u32_e32 v2, vcc_lo, v2, v7, vcc_lo
	s_waitcnt vmcnt(14)
	v_cmp_neq_f32_e32 vcc_lo, 0, v4
	v_cndmask_b32_e64 v3, 0, 1, vcc_lo
	s_waitcnt vmcnt(13)
	v_cmp_neq_f32_e32 vcc_lo, 0, v25
	v_add_co_ci_u32_e32 v2, vcc_lo, v2, v8, vcc_lo
	s_waitcnt vmcnt(11)
	v_cmp_neq_f32_e32 vcc_lo, 0, v27
	v_cndmask_b32_e64 v4, 0, 1, vcc_lo
	v_cmp_neq_f32_e32 vcc_lo, 0, v26
	v_add_co_ci_u32_e32 v2, vcc_lo, v2, v3, vcc_lo
	s_waitcnt vmcnt(10)
	v_cmp_neq_f32_e32 vcc_lo, 0, v10
	v_cndmask_b32_e64 v3, 0, 1, vcc_lo
	s_waitcnt vmcnt(9)
	v_cmp_neq_f32_e32 vcc_lo, 0, v11
	v_add_co_ci_u32_e32 v2, vcc_lo, v2, v4, vcc_lo
	s_waitcnt vmcnt(8)
	v_cmp_neq_f32_e32 vcc_lo, 0, v28
	v_cndmask_b32_e64 v4, 0, 1, vcc_lo
	s_waitcnt vmcnt(7)
	;; [unrolled: 6-line block ×5, first 2 shown]
	v_cmp_neq_f32_e32 vcc_lo, 0, v33
	v_add_co_ci_u32_e32 v2, vcc_lo, v2, v4, vcc_lo
	s_waitcnt vmcnt(0)
	v_cmp_neq_f32_e32 vcc_lo, 0, v1
	s_delay_alu instid0(VALU_DEP_2) | instskip(SKIP_1) | instid1(VALU_DEP_2)
	v_add_co_ci_u32_e32 v1, vcc_lo, v2, v3, vcc_lo
	v_mov_b32_e32 v3, 0
	v_mov_b32_dpp v2, v1 quad_perm:[1,0,3,2] row_mask:0xf bank_mask:0xf
	s_delay_alu instid0(VALU_DEP_1) | instskip(NEXT) | instid1(VALU_DEP_1)
	v_add_nc_u32_e32 v1, v1, v2
	v_mov_b32_dpp v2, v1 quad_perm:[2,3,0,1] row_mask:0xf bank_mask:0xf
	s_delay_alu instid0(VALU_DEP_1) | instskip(NEXT) | instid1(VALU_DEP_1)
	v_add_nc_u32_e32 v1, v1, v2
	v_mov_b32_dpp v2, v1 row_ror:4 row_mask:0xf bank_mask:0xf
	s_delay_alu instid0(VALU_DEP_1) | instskip(NEXT) | instid1(VALU_DEP_1)
	v_add_nc_u32_e32 v1, v1, v2
	v_mov_b32_dpp v2, v1 row_ror:8 row_mask:0xf bank_mask:0xf
	s_delay_alu instid0(VALU_DEP_1)
	v_add_nc_u32_e32 v1, v1, v2
	ds_swizzle_b32 v2, v1 offset:swizzle(BROADCAST,32,15)
	s_waitcnt lgkmcnt(0)
	v_add_nc_u32_e32 v1, v1, v2
	v_mbcnt_lo_u32_b32 v2, -1, 0
	ds_bpermute_b32 v1, v3, v1 offset:124
	v_cmpx_eq_u32_e32 0, v2
	s_cbranch_execz .LBB456_19
; %bb.18:
	v_lshrrev_b32_e32 v3, 3, v0
	s_delay_alu instid0(VALU_DEP_1)
	v_and_b32_e32 v3, 12, v3
	s_waitcnt lgkmcnt(0)
	ds_store_b32 v3, v1 offset:64
.LBB456_19:
	s_or_b32 exec_lo, exec_lo, s5
	s_delay_alu instid0(SALU_CYCLE_1)
	s_mov_b32 s5, exec_lo
	s_waitcnt lgkmcnt(0)
	s_barrier
	buffer_gl0_inv
	v_cmpx_gt_u32_e32 32, v0
	s_cbranch_execz .LBB456_21
; %bb.20:
	v_and_b32_e32 v1, 3, v2
	s_delay_alu instid0(VALU_DEP_1) | instskip(SKIP_4) | instid1(VALU_DEP_2)
	v_lshlrev_b32_e32 v3, 2, v1
	v_cmp_ne_u32_e32 vcc_lo, 3, v1
	ds_load_b32 v3, v3 offset:64
	v_add_co_ci_u32_e32 v4, vcc_lo, 0, v2, vcc_lo
	v_cmp_gt_u32_e32 vcc_lo, 2, v1
	v_lshlrev_b32_e32 v4, 2, v4
	v_cndmask_b32_e64 v1, 0, 1, vcc_lo
	s_delay_alu instid0(VALU_DEP_1) | instskip(NEXT) | instid1(VALU_DEP_1)
	v_lshlrev_b32_e32 v1, 1, v1
	v_add_lshl_u32 v1, v1, v2, 2
	s_waitcnt lgkmcnt(0)
	ds_bpermute_b32 v4, v4, v3
	s_waitcnt lgkmcnt(0)
	v_add_nc_u32_e32 v3, v4, v3
	ds_bpermute_b32 v1, v1, v3
	s_waitcnt lgkmcnt(0)
	v_add_nc_u32_e32 v1, v1, v3
.LBB456_21:
	s_or_b32 exec_lo, exec_lo, s5
	s_mov_b32 s5, 0
	s_branch .LBB456_297
.LBB456_22:
	s_mov_b32 s6, -1
.LBB456_23:
	s_mov_b32 s2, 0
                                        ; implicit-def: $vgpr1
	s_and_b32 vcc_lo, exec_lo, s6
	s_cbranch_vccz .LBB456_11
.LBB456_24:
	s_cmp_eq_u32 s26, 64
	s_cbranch_scc0 .LBB456_33
; %bb.25:
	s_mov_b32 s19, 0
	s_lshl_b32 s4, s18, 13
	s_mov_b32 s5, s19
	s_lshr_b64 s[6:7], s[20:21], 13
	s_lshl_b64 s[2:3], s[4:5], 2
	s_delay_alu instid0(SALU_CYCLE_1)
	s_add_u32 s2, s24, s2
	s_addc_u32 s3, s25, s3
	s_cmp_lg_u64 s[6:7], s[18:19]
	s_cbranch_scc0 .LBB456_376
; %bb.26:
	v_lshlrev_b32_e32 v5, 2, v0
	s_clause 0x6
	global_load_b32 v7, v5, s[2:3]
	global_load_b32 v8, v5, s[2:3] offset:512
	global_load_b32 v9, v5, s[2:3] offset:1024
	;; [unrolled: 1-line block ×6, first 2 shown]
	v_add_co_u32 v10, s5, s2, v5
	s_delay_alu instid0(VALU_DEP_1) | instskip(SKIP_1) | instid1(VALU_DEP_2)
	v_add_co_ci_u32_e64 v11, null, s3, 0, s5
	s_mov_b32 s5, exec_lo
	v_add_co_u32 v1, vcc_lo, v10, 0x2000
	s_delay_alu instid0(VALU_DEP_2)
	v_add_co_ci_u32_e32 v2, vcc_lo, 0, v11, vcc_lo
	v_add_co_u32 v3, vcc_lo, 0x1000, v10
	v_add_co_ci_u32_e32 v4, vcc_lo, 0, v11, vcc_lo
	s_clause 0x7
	global_load_b32 v16, v[1:2], off offset:-4096
	global_load_b32 v17, v5, s[2:3] offset:3584
	global_load_b32 v18, v[3:4], off offset:1024
	global_load_b32 v19, v[3:4], off offset:512
	;; [unrolled: 1-line block ×6, first 2 shown]
	v_add_co_u32 v5, vcc_lo, 0x2000, v10
	v_add_co_ci_u32_e32 v6, vcc_lo, 0, v11, vcc_lo
	s_clause 0x7
	global_load_b32 v24, v[1:2], off
	global_load_b32 v25, v[3:4], off offset:3584
	global_load_b32 v26, v[5:6], off offset:1024
	;; [unrolled: 1-line block ×7, first 2 shown]
	v_add_co_u32 v1, vcc_lo, v10, 0x4000
	v_add_co_ci_u32_e32 v2, vcc_lo, 0, v11, vcc_lo
	v_add_co_u32 v3, vcc_lo, 0x3000, v10
	v_add_co_ci_u32_e32 v4, vcc_lo, 0, v11, vcc_lo
	s_clause 0x7
	global_load_b32 v32, v[1:2], off offset:-4096
	global_load_b32 v33, v[5:6], off offset:3584
	global_load_b32 v34, v[3:4], off offset:1024
	;; [unrolled: 1-line block ×7, first 2 shown]
	v_add_co_u32 v5, vcc_lo, 0x4000, v10
	v_add_co_ci_u32_e32 v6, vcc_lo, 0, v11, vcc_lo
	s_clause 0x7
	global_load_b32 v40, v[1:2], off
	global_load_b32 v41, v[3:4], off offset:3584
	global_load_b32 v42, v[5:6], off offset:1024
	;; [unrolled: 1-line block ×7, first 2 shown]
	v_add_co_u32 v1, vcc_lo, v10, 0x6000
	v_add_co_ci_u32_e32 v2, vcc_lo, 0, v11, vcc_lo
	v_add_co_u32 v3, vcc_lo, 0x5000, v10
	v_add_co_ci_u32_e32 v4, vcc_lo, 0, v11, vcc_lo
	s_clause 0x7
	global_load_b32 v48, v[1:2], off offset:-4096
	global_load_b32 v49, v[5:6], off offset:3584
	global_load_b32 v50, v[3:4], off offset:1024
	;; [unrolled: 1-line block ×7, first 2 shown]
	v_add_co_u32 v5, vcc_lo, 0x6000, v10
	v_add_co_ci_u32_e32 v6, vcc_lo, 0, v11, vcc_lo
	s_clause 0x5
	global_load_b32 v56, v[1:2], off
	global_load_b32 v3, v[3:4], off offset:3584
	global_load_b32 v4, v[5:6], off offset:1024
	;; [unrolled: 1-line block ×5, first 2 shown]
	v_add_co_u32 v1, vcc_lo, 0x7000, v10
	v_add_co_ci_u32_e32 v2, vcc_lo, 0, v11, vcc_lo
	s_clause 0xa
	global_load_b32 v10, v[5:6], off offset:3072
	global_load_b32 v11, v[5:6], off offset:2560
	global_load_b32 v60, v[1:2], off
	global_load_b32 v5, v[5:6], off offset:3584
	global_load_b32 v6, v[1:2], off offset:1024
	;; [unrolled: 1-line block ×8, first 2 shown]
	s_waitcnt vmcnt(62)
	v_cmp_neq_f32_e32 vcc_lo, 0, v7
	v_cndmask_b32_e64 v2, 0, 1, vcc_lo
	s_waitcnt vmcnt(61)
	v_cmp_neq_f32_e32 vcc_lo, 0, v9
	v_cndmask_b32_e64 v7, 0, 1, vcc_lo
	v_cmp_neq_f32_e32 vcc_lo, 0, v8
	v_add_co_ci_u32_e32 v2, vcc_lo, 0, v2, vcc_lo
	s_waitcnt vmcnt(59)
	v_cmp_neq_f32_e32 vcc_lo, 0, v13
	v_cndmask_b32_e64 v8, 0, 1, vcc_lo
	v_cmp_neq_f32_e32 vcc_lo, 0, v12
	v_add_co_ci_u32_e32 v2, vcc_lo, v2, v7, vcc_lo
	;; [unrolled: 5-line block ×3, first 2 shown]
	s_waitcnt vmcnt(56)
	v_cmp_neq_f32_e32 vcc_lo, 0, v16
	v_cndmask_b32_e64 v8, 0, 1, vcc_lo
	s_waitcnt vmcnt(55)
	v_cmp_neq_f32_e32 vcc_lo, 0, v17
	v_add_co_ci_u32_e32 v2, vcc_lo, v2, v7, vcc_lo
	s_waitcnt vmcnt(54)
	v_cmp_neq_f32_e32 vcc_lo, 0, v18
	v_cndmask_b32_e64 v7, 0, 1, vcc_lo
	s_waitcnt vmcnt(53)
	v_cmp_neq_f32_e32 vcc_lo, 0, v19
	v_add_co_ci_u32_e32 v2, vcc_lo, v2, v8, vcc_lo
	;; [unrolled: 6-line block ×3, first 2 shown]
	s_waitcnt vmcnt(49)
	v_cmp_neq_f32_e32 vcc_lo, 0, v23
	v_cndmask_b32_e64 v7, 0, 1, vcc_lo
	v_cmp_neq_f32_e32 vcc_lo, 0, v22
	v_add_co_ci_u32_e32 v2, vcc_lo, v2, v8, vcc_lo
	s_waitcnt vmcnt(48)
	v_cmp_neq_f32_e32 vcc_lo, 0, v24
	v_cndmask_b32_e64 v8, 0, 1, vcc_lo
	s_waitcnt vmcnt(47)
	v_cmp_neq_f32_e32 vcc_lo, 0, v25
	v_add_co_ci_u32_e32 v2, vcc_lo, v2, v7, vcc_lo
	s_waitcnt vmcnt(46)
	v_cmp_neq_f32_e32 vcc_lo, 0, v26
	v_cndmask_b32_e64 v7, 0, 1, vcc_lo
	s_waitcnt vmcnt(45)
	v_cmp_neq_f32_e32 vcc_lo, 0, v27
	v_add_co_ci_u32_e32 v2, vcc_lo, v2, v8, vcc_lo
	s_waitcnt vmcnt(43)
	v_cmp_neq_f32_e32 vcc_lo, 0, v29
	v_cndmask_b32_e64 v8, 0, 1, vcc_lo
	v_cmp_neq_f32_e32 vcc_lo, 0, v28
	v_add_co_ci_u32_e32 v2, vcc_lo, v2, v7, vcc_lo
	s_waitcnt vmcnt(41)
	v_cmp_neq_f32_e32 vcc_lo, 0, v31
	v_cndmask_b32_e64 v7, 0, 1, vcc_lo
	;; [unrolled: 5-line block ×3, first 2 shown]
	s_waitcnt vmcnt(39)
	v_cmp_neq_f32_e32 vcc_lo, 0, v33
	v_add_co_ci_u32_e32 v2, vcc_lo, v2, v7, vcc_lo
	s_waitcnt vmcnt(38)
	v_cmp_neq_f32_e32 vcc_lo, 0, v34
	v_cndmask_b32_e64 v7, 0, 1, vcc_lo
	s_waitcnt vmcnt(37)
	v_cmp_neq_f32_e32 vcc_lo, 0, v35
	v_add_co_ci_u32_e32 v2, vcc_lo, v2, v8, vcc_lo
	s_waitcnt vmcnt(36)
	v_cmp_neq_f32_e32 vcc_lo, 0, v36
	v_cndmask_b32_e64 v8, 0, 1, vcc_lo
	;; [unrolled: 6-line block ×3, first 2 shown]
	v_cmp_neq_f32_e32 vcc_lo, 0, v38
	v_add_co_ci_u32_e32 v2, vcc_lo, v2, v8, vcc_lo
	s_waitcnt vmcnt(32)
	v_cmp_neq_f32_e32 vcc_lo, 0, v40
	v_cndmask_b32_e64 v8, 0, 1, vcc_lo
	s_waitcnt vmcnt(31)
	v_cmp_neq_f32_e32 vcc_lo, 0, v41
	v_add_co_ci_u32_e32 v2, vcc_lo, v2, v7, vcc_lo
	s_waitcnt vmcnt(30)
	v_cmp_neq_f32_e32 vcc_lo, 0, v42
	v_cndmask_b32_e64 v7, 0, 1, vcc_lo
	s_waitcnt vmcnt(29)
	v_cmp_neq_f32_e32 vcc_lo, 0, v43
	v_add_co_ci_u32_e32 v2, vcc_lo, v2, v8, vcc_lo
	s_waitcnt vmcnt(27)
	v_cmp_neq_f32_e32 vcc_lo, 0, v45
	v_cndmask_b32_e64 v8, 0, 1, vcc_lo
	v_cmp_neq_f32_e32 vcc_lo, 0, v44
	v_add_co_ci_u32_e32 v2, vcc_lo, v2, v7, vcc_lo
	s_waitcnt vmcnt(25)
	v_cmp_neq_f32_e32 vcc_lo, 0, v47
	v_cndmask_b32_e64 v7, 0, 1, vcc_lo
	;; [unrolled: 5-line block ×3, first 2 shown]
	s_waitcnt vmcnt(23)
	v_cmp_neq_f32_e32 vcc_lo, 0, v49
	v_add_co_ci_u32_e32 v2, vcc_lo, v2, v7, vcc_lo
	s_waitcnt vmcnt(22)
	v_cmp_neq_f32_e32 vcc_lo, 0, v50
	v_cndmask_b32_e64 v7, 0, 1, vcc_lo
	s_waitcnt vmcnt(21)
	v_cmp_neq_f32_e32 vcc_lo, 0, v51
	v_add_co_ci_u32_e32 v2, vcc_lo, v2, v8, vcc_lo
	s_waitcnt vmcnt(20)
	v_cmp_neq_f32_e32 vcc_lo, 0, v52
	v_cndmask_b32_e64 v8, 0, 1, vcc_lo
	;; [unrolled: 6-line block ×3, first 2 shown]
	v_cmp_neq_f32_e32 vcc_lo, 0, v54
	v_add_co_ci_u32_e32 v2, vcc_lo, v2, v8, vcc_lo
	s_waitcnt vmcnt(16)
	v_cmp_neq_f32_e32 vcc_lo, 0, v56
	v_cndmask_b32_e64 v8, 0, 1, vcc_lo
	s_waitcnt vmcnt(15)
	v_cmp_neq_f32_e32 vcc_lo, 0, v3
	v_add_co_ci_u32_e32 v2, vcc_lo, v2, v7, vcc_lo
	s_waitcnt vmcnt(14)
	v_cmp_neq_f32_e32 vcc_lo, 0, v4
	v_cndmask_b32_e64 v3, 0, 1, vcc_lo
	s_waitcnt vmcnt(13)
	v_cmp_neq_f32_e32 vcc_lo, 0, v57
	v_add_co_ci_u32_e32 v2, vcc_lo, v2, v8, vcc_lo
	s_waitcnt vmcnt(11)
	v_cmp_neq_f32_e32 vcc_lo, 0, v59
	v_cndmask_b32_e64 v4, 0, 1, vcc_lo
	v_cmp_neq_f32_e32 vcc_lo, 0, v58
	v_add_co_ci_u32_e32 v2, vcc_lo, v2, v3, vcc_lo
	s_waitcnt vmcnt(10)
	v_cmp_neq_f32_e32 vcc_lo, 0, v10
	v_cndmask_b32_e64 v3, 0, 1, vcc_lo
	s_waitcnt vmcnt(9)
	v_cmp_neq_f32_e32 vcc_lo, 0, v11
	v_add_co_ci_u32_e32 v2, vcc_lo, v2, v4, vcc_lo
	s_waitcnt vmcnt(8)
	v_cmp_neq_f32_e32 vcc_lo, 0, v60
	v_cndmask_b32_e64 v4, 0, 1, vcc_lo
	s_waitcnt vmcnt(7)
	;; [unrolled: 6-line block ×5, first 2 shown]
	v_cmp_neq_f32_e32 vcc_lo, 0, v65
	v_add_co_ci_u32_e32 v2, vcc_lo, v2, v4, vcc_lo
	s_waitcnt vmcnt(0)
	v_cmp_neq_f32_e32 vcc_lo, 0, v1
	s_delay_alu instid0(VALU_DEP_2) | instskip(SKIP_1) | instid1(VALU_DEP_2)
	v_add_co_ci_u32_e32 v1, vcc_lo, v2, v3, vcc_lo
	v_mov_b32_e32 v3, 0
	v_mov_b32_dpp v2, v1 quad_perm:[1,0,3,2] row_mask:0xf bank_mask:0xf
	s_delay_alu instid0(VALU_DEP_1) | instskip(NEXT) | instid1(VALU_DEP_1)
	v_add_nc_u32_e32 v1, v1, v2
	v_mov_b32_dpp v2, v1 quad_perm:[2,3,0,1] row_mask:0xf bank_mask:0xf
	s_delay_alu instid0(VALU_DEP_1) | instskip(NEXT) | instid1(VALU_DEP_1)
	v_add_nc_u32_e32 v1, v1, v2
	v_mov_b32_dpp v2, v1 row_ror:4 row_mask:0xf bank_mask:0xf
	s_delay_alu instid0(VALU_DEP_1) | instskip(NEXT) | instid1(VALU_DEP_1)
	v_add_nc_u32_e32 v1, v1, v2
	v_mov_b32_dpp v2, v1 row_ror:8 row_mask:0xf bank_mask:0xf
	s_delay_alu instid0(VALU_DEP_1)
	v_add_nc_u32_e32 v1, v1, v2
	ds_swizzle_b32 v2, v1 offset:swizzle(BROADCAST,32,15)
	s_waitcnt lgkmcnt(0)
	v_add_nc_u32_e32 v1, v1, v2
	v_mbcnt_lo_u32_b32 v2, -1, 0
	ds_bpermute_b32 v1, v3, v1 offset:124
	v_cmpx_eq_u32_e32 0, v2
	s_cbranch_execz .LBB456_28
; %bb.27:
	v_lshrrev_b32_e32 v3, 3, v0
	s_delay_alu instid0(VALU_DEP_1)
	v_and_b32_e32 v3, 12, v3
	s_waitcnt lgkmcnt(0)
	ds_store_b32 v3, v1 offset:96
.LBB456_28:
	s_or_b32 exec_lo, exec_lo, s5
	s_delay_alu instid0(SALU_CYCLE_1)
	s_mov_b32 s5, exec_lo
	s_waitcnt lgkmcnt(0)
	s_barrier
	buffer_gl0_inv
	v_cmpx_gt_u32_e32 32, v0
	s_cbranch_execz .LBB456_30
; %bb.29:
	v_and_b32_e32 v1, 3, v2
	s_delay_alu instid0(VALU_DEP_1) | instskip(SKIP_4) | instid1(VALU_DEP_2)
	v_lshlrev_b32_e32 v3, 2, v1
	v_cmp_ne_u32_e32 vcc_lo, 3, v1
	ds_load_b32 v3, v3 offset:96
	v_add_co_ci_u32_e32 v4, vcc_lo, 0, v2, vcc_lo
	v_cmp_gt_u32_e32 vcc_lo, 2, v1
	v_lshlrev_b32_e32 v4, 2, v4
	v_cndmask_b32_e64 v1, 0, 1, vcc_lo
	s_delay_alu instid0(VALU_DEP_1) | instskip(NEXT) | instid1(VALU_DEP_1)
	v_lshlrev_b32_e32 v1, 1, v1
	v_add_lshl_u32 v1, v1, v2, 2
	s_waitcnt lgkmcnt(0)
	ds_bpermute_b32 v4, v4, v3
	s_waitcnt lgkmcnt(0)
	v_add_nc_u32_e32 v3, v4, v3
	ds_bpermute_b32 v1, v1, v3
	s_waitcnt lgkmcnt(0)
	v_add_nc_u32_e32 v1, v1, v3
.LBB456_30:
	s_or_b32 exec_lo, exec_lo, s5
	s_mov_b32 s5, 0
	s_branch .LBB456_377
.LBB456_31:
                                        ; implicit-def: $vgpr1
	s_cbranch_execz .LBB456_512
	s_branch .LBB456_368
.LBB456_32:
                                        ; implicit-def: $vgpr1
	s_branch .LBB456_512
.LBB456_33:
                                        ; implicit-def: $vgpr1
	s_branch .LBB456_512
.LBB456_34:
                                        ; implicit-def: $vgpr1
	s_cbranch_execz .LBB456_10
; %bb.35:
	s_sub_i32 s4, s20, s4
	s_mov_b32 s5, exec_lo
                                        ; implicit-def: $vgpr1
	v_cmpx_gt_u32_e64 s4, v0
	s_cbranch_execz .LBB456_37
; %bb.36:
	v_lshlrev_b32_e32 v1, 2, v0
	global_load_b32 v1, v1, s[2:3]
	s_waitcnt vmcnt(0)
	v_cmp_neq_f32_e32 vcc_lo, 0, v1
	v_cndmask_b32_e64 v1, 0, 1, vcc_lo
.LBB456_37:
	s_or_b32 exec_lo, exec_lo, s5
	v_or_b32_e32 v3, 0x80, v0
	v_mov_b32_e32 v2, 0
	s_delay_alu instid0(VALU_DEP_2)
	v_cmp_gt_u32_e32 vcc_lo, s4, v3
	v_mov_b32_e32 v3, 0
	s_and_saveexec_b32 s5, vcc_lo
	s_cbranch_execz .LBB456_39
; %bb.38:
	v_lshlrev_b32_e32 v3, 2, v0
	global_load_b32 v3, v3, s[2:3] offset:512
	s_waitcnt vmcnt(0)
	v_cmp_neq_f32_e32 vcc_lo, 0, v3
	v_cndmask_b32_e64 v3, 0, 1, vcc_lo
.LBB456_39:
	s_or_b32 exec_lo, exec_lo, s5
	v_or_b32_e32 v4, 0x100, v0
	s_mov_b32 s5, exec_lo
	s_delay_alu instid0(VALU_DEP_1)
	v_cmpx_gt_u32_e64 s4, v4
	s_cbranch_execz .LBB456_41
; %bb.40:
	v_lshlrev_b32_e32 v2, 2, v0
	global_load_b32 v2, v2, s[2:3] offset:1024
	s_waitcnt vmcnt(0)
	v_cmp_neq_f32_e32 vcc_lo, 0, v2
	v_cndmask_b32_e64 v2, 0, 1, vcc_lo
.LBB456_41:
	s_or_b32 exec_lo, exec_lo, s5
	v_or_b32_e32 v5, 0x180, v0
	v_mov_b32_e32 v4, 0
	s_delay_alu instid0(VALU_DEP_2)
	v_cmp_gt_u32_e32 vcc_lo, s4, v5
	v_mov_b32_e32 v5, 0
	s_and_saveexec_b32 s5, vcc_lo
	s_cbranch_execz .LBB456_43
; %bb.42:
	v_lshlrev_b32_e32 v5, 2, v0
	global_load_b32 v5, v5, s[2:3] offset:1536
	s_waitcnt vmcnt(0)
	v_cmp_neq_f32_e32 vcc_lo, 0, v5
	v_cndmask_b32_e64 v5, 0, 1, vcc_lo
.LBB456_43:
	s_or_b32 exec_lo, exec_lo, s5
	v_or_b32_e32 v6, 0x200, v0
	s_mov_b32 s5, exec_lo
	s_delay_alu instid0(VALU_DEP_1)
	v_cmpx_gt_u32_e64 s4, v6
	s_cbranch_execz .LBB456_45
; %bb.44:
	v_lshlrev_b32_e32 v4, 2, v0
	global_load_b32 v4, v4, s[2:3] offset:2048
	s_waitcnt vmcnt(0)
	v_cmp_neq_f32_e32 vcc_lo, 0, v4
	v_cndmask_b32_e64 v4, 0, 1, vcc_lo
.LBB456_45:
	;; [unrolled: 28-line block ×3, first 2 shown]
	s_or_b32 exec_lo, exec_lo, s5
	v_or_b32_e32 v9, 0x380, v0
	v_mov_b32_e32 v8, 0
	s_delay_alu instid0(VALU_DEP_2)
	v_cmp_gt_u32_e32 vcc_lo, s4, v9
	v_mov_b32_e32 v9, 0
	s_and_saveexec_b32 s5, vcc_lo
	s_cbranch_execz .LBB456_51
; %bb.50:
	v_lshlrev_b32_e32 v9, 2, v0
	global_load_b32 v9, v9, s[2:3] offset:3584
	s_waitcnt vmcnt(0)
	v_cmp_neq_f32_e32 vcc_lo, 0, v9
	v_cndmask_b32_e64 v9, 0, 1, vcc_lo
.LBB456_51:
	s_or_b32 exec_lo, exec_lo, s5
	v_or_b32_e32 v10, 0x400, v0
	s_mov_b32 s5, exec_lo
	s_delay_alu instid0(VALU_DEP_1)
	v_cmpx_gt_u32_e64 s4, v10
	s_cbranch_execz .LBB456_53
; %bb.52:
	v_lshlrev_b32_e32 v8, 2, v10
	global_load_b32 v8, v8, s[2:3]
	s_waitcnt vmcnt(0)
	v_cmp_neq_f32_e32 vcc_lo, 0, v8
	v_cndmask_b32_e64 v8, 0, 1, vcc_lo
.LBB456_53:
	s_or_b32 exec_lo, exec_lo, s5
	v_or_b32_e32 v12, 0x480, v0
	v_dual_mov_b32 v10, 0 :: v_dual_mov_b32 v11, 0
	s_mov_b32 s5, exec_lo
	s_delay_alu instid0(VALU_DEP_2)
	v_cmpx_gt_u32_e64 s4, v12
	s_cbranch_execz .LBB456_55
; %bb.54:
	v_lshlrev_b32_e32 v11, 2, v12
	global_load_b32 v11, v11, s[2:3]
	s_waitcnt vmcnt(0)
	v_cmp_neq_f32_e32 vcc_lo, 0, v11
	v_cndmask_b32_e64 v11, 0, 1, vcc_lo
.LBB456_55:
	s_or_b32 exec_lo, exec_lo, s5
	v_or_b32_e32 v12, 0x500, v0
	s_mov_b32 s5, exec_lo
	s_delay_alu instid0(VALU_DEP_1)
	v_cmpx_gt_u32_e64 s4, v12
	s_cbranch_execz .LBB456_57
; %bb.56:
	v_lshlrev_b32_e32 v10, 2, v12
	global_load_b32 v10, v10, s[2:3]
	s_waitcnt vmcnt(0)
	v_cmp_neq_f32_e32 vcc_lo, 0, v10
	v_cndmask_b32_e64 v10, 0, 1, vcc_lo
.LBB456_57:
	s_or_b32 exec_lo, exec_lo, s5
	v_or_b32_e32 v14, 0x580, v0
	v_dual_mov_b32 v12, 0 :: v_dual_mov_b32 v13, 0
	s_mov_b32 s5, exec_lo
	s_delay_alu instid0(VALU_DEP_2)
	v_cmpx_gt_u32_e64 s4, v14
	s_cbranch_execz .LBB456_59
; %bb.58:
	v_lshlrev_b32_e32 v13, 2, v14
	global_load_b32 v13, v13, s[2:3]
	s_waitcnt vmcnt(0)
	v_cmp_neq_f32_e32 vcc_lo, 0, v13
	v_cndmask_b32_e64 v13, 0, 1, vcc_lo
.LBB456_59:
	;; [unrolled: 27-line block ×59, first 2 shown]
	s_or_b32 exec_lo, exec_lo, s5
	v_or_b32_e32 v128, 0x3f00, v0
	s_mov_b32 s5, exec_lo
	s_delay_alu instid0(VALU_DEP_1)
	v_cmpx_gt_u32_e64 s4, v128
	s_cbranch_execz .LBB456_289
; %bb.288:
	v_lshlrev_b32_e32 v126, 2, v128
	global_load_b32 v126, v126, s[2:3]
	s_waitcnt vmcnt(0)
	v_cmp_neq_f32_e32 vcc_lo, 0, v126
	v_cndmask_b32_e64 v126, 0, 1, vcc_lo
.LBB456_289:
	s_or_b32 exec_lo, exec_lo, s5
	v_or_b32_e32 v129, 0x3f80, v0
	v_mov_b32_e32 v128, 0
	s_mov_b32 s5, exec_lo
	s_delay_alu instid0(VALU_DEP_2)
	v_cmpx_gt_u32_e64 s4, v129
	s_cbranch_execz .LBB456_291
; %bb.290:
	v_lshlrev_b32_e32 v128, 2, v129
	global_load_b32 v128, v128, s[2:3]
	s_waitcnt vmcnt(0)
	v_cmp_neq_f32_e32 vcc_lo, 0, v128
	v_cndmask_b32_e64 v128, 0, 1, vcc_lo
.LBB456_291:
	s_or_b32 exec_lo, exec_lo, s5
	v_add_nc_u32_e32 v1, v3, v1
	s_min_u32 s2, s4, 0x80
	s_mov_b32 s3, exec_lo
	s_delay_alu instid0(VALU_DEP_1) | instskip(SKIP_1) | instid1(VALU_DEP_2)
	v_add3_u32 v1, v1, v2, v5
	v_mbcnt_lo_u32_b32 v2, -1, 0
	v_add3_u32 v1, v1, v4, v7
	s_delay_alu instid0(VALU_DEP_2) | instskip(NEXT) | instid1(VALU_DEP_2)
	v_cmp_ne_u32_e32 vcc_lo, 31, v2
	v_add3_u32 v1, v1, v6, v9
	v_add_co_ci_u32_e32 v3, vcc_lo, 0, v2, vcc_lo
	v_cmp_gt_u32_e32 vcc_lo, 30, v2
	v_add_nc_u32_e32 v6, 1, v2
	s_delay_alu instid0(VALU_DEP_4) | instskip(NEXT) | instid1(VALU_DEP_4)
	v_add3_u32 v1, v1, v8, v11
	v_lshlrev_b32_e32 v3, 2, v3
	v_cndmask_b32_e64 v5, 0, 1, vcc_lo
	s_delay_alu instid0(VALU_DEP_3) | instskip(NEXT) | instid1(VALU_DEP_2)
	v_add3_u32 v1, v1, v10, v13
	v_lshlrev_b32_e32 v5, 1, v5
	s_delay_alu instid0(VALU_DEP_2) | instskip(NEXT) | instid1(VALU_DEP_2)
	v_add3_u32 v1, v1, v12, v15
	v_add_lshl_u32 v5, v5, v2, 2
	s_delay_alu instid0(VALU_DEP_2) | instskip(NEXT) | instid1(VALU_DEP_1)
	v_add3_u32 v1, v1, v14, v17
	v_add3_u32 v1, v1, v16, v19
	s_delay_alu instid0(VALU_DEP_1) | instskip(NEXT) | instid1(VALU_DEP_1)
	v_add3_u32 v1, v1, v18, v21
	v_add3_u32 v1, v1, v20, v23
	s_delay_alu instid0(VALU_DEP_1) | instskip(NEXT) | instid1(VALU_DEP_1)
	;; [unrolled: 3-line block ×27, first 2 shown]
	v_add3_u32 v1, v1, v122, v125
	v_add3_u32 v1, v1, v124, v127
	s_delay_alu instid0(VALU_DEP_1) | instskip(SKIP_2) | instid1(VALU_DEP_1)
	v_add3_u32 v1, v1, v126, v128
	ds_bpermute_b32 v3, v3, v1
	v_and_b32_e32 v4, 0x60, v0
	v_sub_nc_u32_e64 v4, s2, v4 clamp
	s_delay_alu instid0(VALU_DEP_1) | instskip(SKIP_3) | instid1(VALU_DEP_2)
	v_cmp_lt_u32_e32 vcc_lo, v6, v4
	s_waitcnt lgkmcnt(0)
	v_dual_cndmask_b32 v3, 0, v3 :: v_dual_add_nc_u32 v6, 2, v2
	v_cmp_gt_u32_e32 vcc_lo, 28, v2
	v_add_nc_u32_e32 v1, v3, v1
	ds_bpermute_b32 v3, v5, v1
	v_cndmask_b32_e64 v5, 0, 1, vcc_lo
	v_cmp_lt_u32_e32 vcc_lo, v6, v4
	v_add_nc_u32_e32 v6, 4, v2
	s_delay_alu instid0(VALU_DEP_3) | instskip(NEXT) | instid1(VALU_DEP_1)
	v_lshlrev_b32_e32 v5, 2, v5
	v_add_lshl_u32 v5, v5, v2, 2
	s_waitcnt lgkmcnt(0)
	v_cndmask_b32_e32 v3, 0, v3, vcc_lo
	v_cmp_gt_u32_e32 vcc_lo, 24, v2
	s_delay_alu instid0(VALU_DEP_2) | instskip(SKIP_4) | instid1(VALU_DEP_3)
	v_add_nc_u32_e32 v1, v1, v3
	ds_bpermute_b32 v3, v5, v1
	v_cndmask_b32_e64 v5, 0, 1, vcc_lo
	v_cmp_lt_u32_e32 vcc_lo, v6, v4
	v_add_nc_u32_e32 v6, 8, v2
	v_lshlrev_b32_e32 v5, 3, v5
	s_delay_alu instid0(VALU_DEP_1) | instskip(SKIP_3) | instid1(VALU_DEP_2)
	v_add_lshl_u32 v5, v5, v2, 2
	s_waitcnt lgkmcnt(0)
	v_cndmask_b32_e32 v3, 0, v3, vcc_lo
	v_cmp_gt_u32_e32 vcc_lo, 16, v2
	v_add_nc_u32_e32 v1, v1, v3
	ds_bpermute_b32 v3, v5, v1
	v_cndmask_b32_e64 v5, 0, 1, vcc_lo
	v_cmp_lt_u32_e32 vcc_lo, v6, v4
	s_delay_alu instid0(VALU_DEP_2) | instskip(NEXT) | instid1(VALU_DEP_1)
	v_lshlrev_b32_e32 v5, 4, v5
	v_add_lshl_u32 v5, v5, v2, 2
	s_waitcnt lgkmcnt(0)
	v_cndmask_b32_e32 v3, 0, v3, vcc_lo
	s_delay_alu instid0(VALU_DEP_1) | instskip(SKIP_2) | instid1(VALU_DEP_1)
	v_add_nc_u32_e32 v1, v1, v3
	ds_bpermute_b32 v3, v5, v1
	v_add_nc_u32_e32 v5, 16, v2
	v_cmp_lt_u32_e32 vcc_lo, v5, v4
	s_waitcnt lgkmcnt(0)
	v_cndmask_b32_e32 v3, 0, v3, vcc_lo
	s_delay_alu instid0(VALU_DEP_1)
	v_add_nc_u32_e32 v1, v1, v3
	v_cmpx_eq_u32_e32 0, v2
	s_cbranch_execz .LBB456_293
; %bb.292:
	v_lshrrev_b32_e32 v3, 3, v0
	s_delay_alu instid0(VALU_DEP_1)
	v_and_b32_e32 v3, 12, v3
	ds_store_b32 v3, v1 offset:128
.LBB456_293:
	s_or_b32 exec_lo, exec_lo, s3
	s_delay_alu instid0(SALU_CYCLE_1)
	s_mov_b32 s3, exec_lo
	s_waitcnt lgkmcnt(0)
	s_barrier
	buffer_gl0_inv
	v_cmpx_gt_u32_e32 4, v0
	s_cbranch_execz .LBB456_295
; %bb.294:
	v_and_b32_e32 v3, 3, v2
	s_add_i32 s2, s2, 31
	s_delay_alu instid0(SALU_CYCLE_1) | instskip(NEXT) | instid1(VALU_DEP_1)
	s_lshr_b32 s2, s2, 5
	v_cmp_ne_u32_e32 vcc_lo, 3, v3
	v_add_nc_u32_e32 v5, 1, v3
	v_add_co_ci_u32_e32 v4, vcc_lo, 0, v2, vcc_lo
	v_cmp_gt_u32_e32 vcc_lo, 2, v3
	v_add_nc_u32_e32 v3, 2, v3
	s_delay_alu instid0(VALU_DEP_3) | instskip(SKIP_3) | instid1(VALU_DEP_3)
	v_lshlrev_b32_e32 v4, 2, v4
	v_cndmask_b32_e64 v6, 0, 1, vcc_lo
	v_cmp_gt_u32_e32 vcc_lo, s2, v5
	v_lshlrev_b32_e32 v1, 2, v2
	v_lshlrev_b32_e32 v5, 1, v6
	ds_load_b32 v1, v1 offset:128
	v_add_lshl_u32 v2, v5, v2, 2
	s_waitcnt lgkmcnt(0)
	ds_bpermute_b32 v4, v4, v1
	s_waitcnt lgkmcnt(0)
	v_cndmask_b32_e32 v4, 0, v4, vcc_lo
	v_cmp_gt_u32_e32 vcc_lo, s2, v3
	s_delay_alu instid0(VALU_DEP_2) | instskip(SKIP_3) | instid1(VALU_DEP_1)
	v_add_nc_u32_e32 v1, v4, v1
	ds_bpermute_b32 v2, v2, v1
	s_waitcnt lgkmcnt(0)
	v_cndmask_b32_e32 v2, 0, v2, vcc_lo
	v_add_nc_u32_e32 v1, v1, v2
.LBB456_295:
	s_or_b32 exec_lo, exec_lo, s3
	v_cmp_eq_u32_e64 s2, 0, v0
	s_and_b32 vcc_lo, exec_lo, s6
	s_cbranch_vccnz .LBB456_24
	s_branch .LBB456_11
.LBB456_296:
	s_mov_b32 s5, -1
                                        ; implicit-def: $vgpr1
.LBB456_297:
	s_delay_alu instid0(SALU_CYCLE_1)
	s_and_b32 vcc_lo, exec_lo, s5
	s_cbranch_vccz .LBB456_367
; %bb.298:
	s_sub_i32 s4, s20, s4
	s_mov_b32 s5, exec_lo
                                        ; implicit-def: $vgpr1
	v_cmpx_gt_u32_e64 s4, v0
	s_cbranch_execz .LBB456_300
; %bb.299:
	v_lshlrev_b32_e32 v1, 2, v0
	global_load_b32 v1, v1, s[2:3]
	s_waitcnt vmcnt(0)
	v_cmp_neq_f32_e32 vcc_lo, 0, v1
	v_cndmask_b32_e64 v1, 0, 1, vcc_lo
.LBB456_300:
	s_or_b32 exec_lo, exec_lo, s5
	v_or_b32_e32 v3, 0x80, v0
	v_mov_b32_e32 v2, 0
	s_delay_alu instid0(VALU_DEP_2)
	v_cmp_gt_u32_e32 vcc_lo, s4, v3
	v_mov_b32_e32 v3, 0
	s_and_saveexec_b32 s5, vcc_lo
	s_cbranch_execz .LBB456_302
; %bb.301:
	v_lshlrev_b32_e32 v3, 2, v0
	global_load_b32 v3, v3, s[2:3] offset:512
	s_waitcnt vmcnt(0)
	v_cmp_neq_f32_e32 vcc_lo, 0, v3
	v_cndmask_b32_e64 v3, 0, 1, vcc_lo
.LBB456_302:
	s_or_b32 exec_lo, exec_lo, s5
	v_or_b32_e32 v4, 0x100, v0
	s_mov_b32 s5, exec_lo
	s_delay_alu instid0(VALU_DEP_1)
	v_cmpx_gt_u32_e64 s4, v4
	s_cbranch_execz .LBB456_304
; %bb.303:
	v_lshlrev_b32_e32 v2, 2, v0
	global_load_b32 v2, v2, s[2:3] offset:1024
	s_waitcnt vmcnt(0)
	v_cmp_neq_f32_e32 vcc_lo, 0, v2
	v_cndmask_b32_e64 v2, 0, 1, vcc_lo
.LBB456_304:
	s_or_b32 exec_lo, exec_lo, s5
	v_or_b32_e32 v5, 0x180, v0
	v_mov_b32_e32 v4, 0
	s_delay_alu instid0(VALU_DEP_2)
	v_cmp_gt_u32_e32 vcc_lo, s4, v5
	v_mov_b32_e32 v5, 0
	s_and_saveexec_b32 s5, vcc_lo
	s_cbranch_execz .LBB456_306
; %bb.305:
	v_lshlrev_b32_e32 v5, 2, v0
	global_load_b32 v5, v5, s[2:3] offset:1536
	s_waitcnt vmcnt(0)
	v_cmp_neq_f32_e32 vcc_lo, 0, v5
	v_cndmask_b32_e64 v5, 0, 1, vcc_lo
.LBB456_306:
	s_or_b32 exec_lo, exec_lo, s5
	v_or_b32_e32 v6, 0x200, v0
	s_mov_b32 s5, exec_lo
	s_delay_alu instid0(VALU_DEP_1)
	v_cmpx_gt_u32_e64 s4, v6
	s_cbranch_execz .LBB456_308
; %bb.307:
	v_lshlrev_b32_e32 v4, 2, v0
	global_load_b32 v4, v4, s[2:3] offset:2048
	s_waitcnt vmcnt(0)
	v_cmp_neq_f32_e32 vcc_lo, 0, v4
	v_cndmask_b32_e64 v4, 0, 1, vcc_lo
.LBB456_308:
	s_or_b32 exec_lo, exec_lo, s5
	v_or_b32_e32 v7, 0x280, v0
	v_mov_b32_e32 v6, 0
	s_delay_alu instid0(VALU_DEP_2)
	v_cmp_gt_u32_e32 vcc_lo, s4, v7
	v_mov_b32_e32 v7, 0
	s_and_saveexec_b32 s5, vcc_lo
	s_cbranch_execz .LBB456_310
; %bb.309:
	v_lshlrev_b32_e32 v7, 2, v0
	global_load_b32 v7, v7, s[2:3] offset:2560
	s_waitcnt vmcnt(0)
	v_cmp_neq_f32_e32 vcc_lo, 0, v7
	v_cndmask_b32_e64 v7, 0, 1, vcc_lo
.LBB456_310:
	s_or_b32 exec_lo, exec_lo, s5
	v_or_b32_e32 v8, 0x300, v0
	s_mov_b32 s5, exec_lo
	s_delay_alu instid0(VALU_DEP_1)
	v_cmpx_gt_u32_e64 s4, v8
	s_cbranch_execz .LBB456_312
; %bb.311:
	v_lshlrev_b32_e32 v6, 2, v0
	global_load_b32 v6, v6, s[2:3] offset:3072
	s_waitcnt vmcnt(0)
	v_cmp_neq_f32_e32 vcc_lo, 0, v6
	v_cndmask_b32_e64 v6, 0, 1, vcc_lo
.LBB456_312:
	s_or_b32 exec_lo, exec_lo, s5
	v_or_b32_e32 v9, 0x380, v0
	v_mov_b32_e32 v8, 0
	s_delay_alu instid0(VALU_DEP_2)
	v_cmp_gt_u32_e32 vcc_lo, s4, v9
	v_mov_b32_e32 v9, 0
	s_and_saveexec_b32 s5, vcc_lo
	s_cbranch_execz .LBB456_314
; %bb.313:
	v_lshlrev_b32_e32 v9, 2, v0
	global_load_b32 v9, v9, s[2:3] offset:3584
	s_waitcnt vmcnt(0)
	v_cmp_neq_f32_e32 vcc_lo, 0, v9
	v_cndmask_b32_e64 v9, 0, 1, vcc_lo
.LBB456_314:
	s_or_b32 exec_lo, exec_lo, s5
	v_or_b32_e32 v10, 0x400, v0
	s_mov_b32 s5, exec_lo
	s_delay_alu instid0(VALU_DEP_1)
	v_cmpx_gt_u32_e64 s4, v10
	s_cbranch_execz .LBB456_316
; %bb.315:
	v_lshlrev_b32_e32 v8, 2, v10
	global_load_b32 v8, v8, s[2:3]
	s_waitcnt vmcnt(0)
	v_cmp_neq_f32_e32 vcc_lo, 0, v8
	v_cndmask_b32_e64 v8, 0, 1, vcc_lo
.LBB456_316:
	s_or_b32 exec_lo, exec_lo, s5
	v_or_b32_e32 v12, 0x480, v0
	v_dual_mov_b32 v10, 0 :: v_dual_mov_b32 v11, 0
	s_mov_b32 s5, exec_lo
	s_delay_alu instid0(VALU_DEP_2)
	v_cmpx_gt_u32_e64 s4, v12
	s_cbranch_execz .LBB456_318
; %bb.317:
	v_lshlrev_b32_e32 v11, 2, v12
	global_load_b32 v11, v11, s[2:3]
	s_waitcnt vmcnt(0)
	v_cmp_neq_f32_e32 vcc_lo, 0, v11
	v_cndmask_b32_e64 v11, 0, 1, vcc_lo
.LBB456_318:
	s_or_b32 exec_lo, exec_lo, s5
	v_or_b32_e32 v12, 0x500, v0
	s_mov_b32 s5, exec_lo
	s_delay_alu instid0(VALU_DEP_1)
	v_cmpx_gt_u32_e64 s4, v12
	s_cbranch_execz .LBB456_320
; %bb.319:
	v_lshlrev_b32_e32 v10, 2, v12
	global_load_b32 v10, v10, s[2:3]
	s_waitcnt vmcnt(0)
	v_cmp_neq_f32_e32 vcc_lo, 0, v10
	v_cndmask_b32_e64 v10, 0, 1, vcc_lo
.LBB456_320:
	s_or_b32 exec_lo, exec_lo, s5
	v_or_b32_e32 v14, 0x580, v0
	v_dual_mov_b32 v12, 0 :: v_dual_mov_b32 v13, 0
	s_mov_b32 s5, exec_lo
	s_delay_alu instid0(VALU_DEP_2)
	v_cmpx_gt_u32_e64 s4, v14
	s_cbranch_execz .LBB456_322
; %bb.321:
	v_lshlrev_b32_e32 v13, 2, v14
	global_load_b32 v13, v13, s[2:3]
	s_waitcnt vmcnt(0)
	v_cmp_neq_f32_e32 vcc_lo, 0, v13
	v_cndmask_b32_e64 v13, 0, 1, vcc_lo
.LBB456_322:
	;; [unrolled: 27-line block ×11, first 2 shown]
	s_or_b32 exec_lo, exec_lo, s5
	v_or_b32_e32 v32, 0xf00, v0
	s_mov_b32 s5, exec_lo
	s_delay_alu instid0(VALU_DEP_1)
	v_cmpx_gt_u32_e64 s4, v32
	s_cbranch_execz .LBB456_360
; %bb.359:
	v_lshlrev_b32_e32 v30, 2, v32
	global_load_b32 v30, v30, s[2:3]
	s_waitcnt vmcnt(0)
	v_cmp_neq_f32_e32 vcc_lo, 0, v30
	v_cndmask_b32_e64 v30, 0, 1, vcc_lo
.LBB456_360:
	s_or_b32 exec_lo, exec_lo, s5
	v_or_b32_e32 v33, 0xf80, v0
	v_mov_b32_e32 v32, 0
	s_mov_b32 s5, exec_lo
	s_delay_alu instid0(VALU_DEP_2)
	v_cmpx_gt_u32_e64 s4, v33
	s_cbranch_execz .LBB456_362
; %bb.361:
	v_lshlrev_b32_e32 v32, 2, v33
	global_load_b32 v32, v32, s[2:3]
	s_waitcnt vmcnt(0)
	v_cmp_neq_f32_e32 vcc_lo, 0, v32
	v_cndmask_b32_e64 v32, 0, 1, vcc_lo
.LBB456_362:
	s_or_b32 exec_lo, exec_lo, s5
	v_add_nc_u32_e32 v1, v3, v1
	s_min_u32 s2, s4, 0x80
	s_mov_b32 s3, exec_lo
	s_delay_alu instid0(VALU_DEP_1) | instskip(SKIP_1) | instid1(VALU_DEP_2)
	v_add3_u32 v1, v1, v2, v5
	v_mbcnt_lo_u32_b32 v2, -1, 0
	v_add3_u32 v1, v1, v4, v7
	s_delay_alu instid0(VALU_DEP_2) | instskip(NEXT) | instid1(VALU_DEP_2)
	v_cmp_ne_u32_e32 vcc_lo, 31, v2
	v_add3_u32 v1, v1, v6, v9
	v_add_co_ci_u32_e32 v3, vcc_lo, 0, v2, vcc_lo
	v_cmp_gt_u32_e32 vcc_lo, 30, v2
	v_add_nc_u32_e32 v6, 1, v2
	s_delay_alu instid0(VALU_DEP_4) | instskip(NEXT) | instid1(VALU_DEP_4)
	v_add3_u32 v1, v1, v8, v11
	v_lshlrev_b32_e32 v3, 2, v3
	v_cndmask_b32_e64 v5, 0, 1, vcc_lo
	s_delay_alu instid0(VALU_DEP_3) | instskip(NEXT) | instid1(VALU_DEP_2)
	v_add3_u32 v1, v1, v10, v13
	v_lshlrev_b32_e32 v5, 1, v5
	s_delay_alu instid0(VALU_DEP_2) | instskip(NEXT) | instid1(VALU_DEP_2)
	v_add3_u32 v1, v1, v12, v15
	v_add_lshl_u32 v5, v5, v2, 2
	s_delay_alu instid0(VALU_DEP_2) | instskip(NEXT) | instid1(VALU_DEP_1)
	v_add3_u32 v1, v1, v14, v17
	v_add3_u32 v1, v1, v16, v19
	s_delay_alu instid0(VALU_DEP_1) | instskip(NEXT) | instid1(VALU_DEP_1)
	v_add3_u32 v1, v1, v18, v21
	v_add3_u32 v1, v1, v20, v23
	s_delay_alu instid0(VALU_DEP_1) | instskip(NEXT) | instid1(VALU_DEP_1)
	;; [unrolled: 3-line block ×3, first 2 shown]
	v_add3_u32 v1, v1, v26, v29
	v_add3_u32 v1, v1, v28, v31
	s_delay_alu instid0(VALU_DEP_1) | instskip(SKIP_2) | instid1(VALU_DEP_1)
	v_add3_u32 v1, v1, v30, v32
	ds_bpermute_b32 v3, v3, v1
	v_and_b32_e32 v4, 0x60, v0
	v_sub_nc_u32_e64 v4, s2, v4 clamp
	s_delay_alu instid0(VALU_DEP_1) | instskip(SKIP_3) | instid1(VALU_DEP_2)
	v_cmp_lt_u32_e32 vcc_lo, v6, v4
	s_waitcnt lgkmcnt(0)
	v_dual_cndmask_b32 v3, 0, v3 :: v_dual_add_nc_u32 v6, 2, v2
	v_cmp_gt_u32_e32 vcc_lo, 28, v2
	v_add_nc_u32_e32 v1, v3, v1
	ds_bpermute_b32 v3, v5, v1
	v_cndmask_b32_e64 v5, 0, 1, vcc_lo
	v_cmp_lt_u32_e32 vcc_lo, v6, v4
	v_add_nc_u32_e32 v6, 4, v2
	s_delay_alu instid0(VALU_DEP_3) | instskip(NEXT) | instid1(VALU_DEP_1)
	v_lshlrev_b32_e32 v5, 2, v5
	v_add_lshl_u32 v5, v5, v2, 2
	s_waitcnt lgkmcnt(0)
	v_cndmask_b32_e32 v3, 0, v3, vcc_lo
	v_cmp_gt_u32_e32 vcc_lo, 24, v2
	s_delay_alu instid0(VALU_DEP_2) | instskip(SKIP_4) | instid1(VALU_DEP_3)
	v_add_nc_u32_e32 v1, v1, v3
	ds_bpermute_b32 v3, v5, v1
	v_cndmask_b32_e64 v5, 0, 1, vcc_lo
	v_cmp_lt_u32_e32 vcc_lo, v6, v4
	v_add_nc_u32_e32 v6, 8, v2
	v_lshlrev_b32_e32 v5, 3, v5
	s_delay_alu instid0(VALU_DEP_1) | instskip(SKIP_3) | instid1(VALU_DEP_2)
	v_add_lshl_u32 v5, v5, v2, 2
	s_waitcnt lgkmcnt(0)
	v_cndmask_b32_e32 v3, 0, v3, vcc_lo
	v_cmp_gt_u32_e32 vcc_lo, 16, v2
	v_add_nc_u32_e32 v1, v1, v3
	ds_bpermute_b32 v3, v5, v1
	v_cndmask_b32_e64 v5, 0, 1, vcc_lo
	v_cmp_lt_u32_e32 vcc_lo, v6, v4
	s_delay_alu instid0(VALU_DEP_2) | instskip(NEXT) | instid1(VALU_DEP_1)
	v_lshlrev_b32_e32 v5, 4, v5
	v_add_lshl_u32 v5, v5, v2, 2
	s_waitcnt lgkmcnt(0)
	v_cndmask_b32_e32 v3, 0, v3, vcc_lo
	s_delay_alu instid0(VALU_DEP_1) | instskip(SKIP_2) | instid1(VALU_DEP_1)
	v_add_nc_u32_e32 v1, v1, v3
	ds_bpermute_b32 v3, v5, v1
	v_add_nc_u32_e32 v5, 16, v2
	v_cmp_lt_u32_e32 vcc_lo, v5, v4
	s_waitcnt lgkmcnt(0)
	v_cndmask_b32_e32 v3, 0, v3, vcc_lo
	s_delay_alu instid0(VALU_DEP_1)
	v_add_nc_u32_e32 v1, v1, v3
	v_cmpx_eq_u32_e32 0, v2
	s_cbranch_execz .LBB456_364
; %bb.363:
	v_lshrrev_b32_e32 v3, 3, v0
	s_delay_alu instid0(VALU_DEP_1)
	v_and_b32_e32 v3, 12, v3
	ds_store_b32 v3, v1 offset:128
.LBB456_364:
	s_or_b32 exec_lo, exec_lo, s3
	s_delay_alu instid0(SALU_CYCLE_1)
	s_mov_b32 s3, exec_lo
	s_waitcnt lgkmcnt(0)
	s_barrier
	buffer_gl0_inv
	v_cmpx_gt_u32_e32 4, v0
	s_cbranch_execz .LBB456_366
; %bb.365:
	v_and_b32_e32 v3, 3, v2
	s_add_i32 s2, s2, 31
	s_delay_alu instid0(SALU_CYCLE_1) | instskip(NEXT) | instid1(VALU_DEP_1)
	s_lshr_b32 s2, s2, 5
	v_cmp_ne_u32_e32 vcc_lo, 3, v3
	v_add_nc_u32_e32 v5, 1, v3
	v_add_co_ci_u32_e32 v4, vcc_lo, 0, v2, vcc_lo
	v_cmp_gt_u32_e32 vcc_lo, 2, v3
	v_add_nc_u32_e32 v3, 2, v3
	s_delay_alu instid0(VALU_DEP_3) | instskip(SKIP_3) | instid1(VALU_DEP_3)
	v_lshlrev_b32_e32 v4, 2, v4
	v_cndmask_b32_e64 v6, 0, 1, vcc_lo
	v_cmp_gt_u32_e32 vcc_lo, s2, v5
	v_lshlrev_b32_e32 v1, 2, v2
	v_lshlrev_b32_e32 v5, 1, v6
	ds_load_b32 v1, v1 offset:128
	v_add_lshl_u32 v2, v5, v2, 2
	s_waitcnt lgkmcnt(0)
	ds_bpermute_b32 v4, v4, v1
	s_waitcnt lgkmcnt(0)
	v_cndmask_b32_e32 v4, 0, v4, vcc_lo
	v_cmp_gt_u32_e32 vcc_lo, s2, v3
	s_delay_alu instid0(VALU_DEP_2) | instskip(SKIP_3) | instid1(VALU_DEP_1)
	v_add_nc_u32_e32 v1, v4, v1
	ds_bpermute_b32 v2, v2, v1
	s_waitcnt lgkmcnt(0)
	v_cndmask_b32_e32 v2, 0, v2, vcc_lo
	v_add_nc_u32_e32 v1, v1, v2
.LBB456_366:
	s_or_b32 exec_lo, exec_lo, s3
.LBB456_367:
	v_cmp_eq_u32_e64 s2, 0, v0
	s_branch .LBB456_512
.LBB456_368:
	s_cmp_eq_u32 s26, 16
	s_cbranch_scc0 .LBB456_375
; %bb.369:
	s_mov_b32 s19, 0
	s_lshl_b32 s2, s18, 11
	s_mov_b32 s3, s19
	s_lshr_b64 s[6:7], s[20:21], 11
	s_lshl_b64 s[4:5], s[2:3], 2
	s_delay_alu instid0(SALU_CYCLE_1)
	s_add_u32 s16, s24, s4
	s_addc_u32 s17, s25, s5
	s_cmp_lg_u64 s[6:7], s[18:19]
	s_cbranch_scc0 .LBB456_533
; %bb.370:
	v_lshlrev_b32_e32 v3, 2, v0
	s_clause 0x5
	global_load_b32 v4, v3, s[16:17]
	global_load_b32 v5, v3, s[16:17] offset:512
	global_load_b32 v6, v3, s[16:17] offset:1024
	;; [unrolled: 1-line block ×5, first 2 shown]
	v_add_co_u32 v1, s3, s16, v3
	s_delay_alu instid0(VALU_DEP_1) | instskip(SKIP_1) | instid1(VALU_DEP_2)
	v_add_co_ci_u32_e64 v2, null, s17, 0, s3
	s_mov_b32 s3, exec_lo
	v_add_co_u32 v1, vcc_lo, 0x1000, v1
	s_delay_alu instid0(VALU_DEP_2)
	v_add_co_ci_u32_e32 v2, vcc_lo, 0, v2, vcc_lo
	s_clause 0x9
	global_load_b32 v10, v3, s[16:17] offset:2560
	global_load_b32 v11, v[1:2], off
	global_load_b32 v3, v3, s[16:17] offset:3584
	global_load_b32 v12, v[1:2], off offset:1024
	global_load_b32 v13, v[1:2], off offset:512
	;; [unrolled: 1-line block ×7, first 2 shown]
	s_waitcnt vmcnt(15)
	v_cmp_neq_f32_e32 vcc_lo, 0, v4
	v_cndmask_b32_e64 v2, 0, 1, vcc_lo
	s_waitcnt vmcnt(13)
	v_cmp_neq_f32_e32 vcc_lo, 0, v6
	v_cndmask_b32_e64 v4, 0, 1, vcc_lo
	v_cmp_neq_f32_e32 vcc_lo, 0, v5
	v_add_co_ci_u32_e32 v2, vcc_lo, 0, v2, vcc_lo
	s_waitcnt vmcnt(11)
	v_cmp_neq_f32_e32 vcc_lo, 0, v8
	v_cndmask_b32_e64 v5, 0, 1, vcc_lo
	v_cmp_neq_f32_e32 vcc_lo, 0, v7
	v_add_co_ci_u32_e32 v2, vcc_lo, v2, v4, vcc_lo
	s_waitcnt vmcnt(10)
	v_cmp_neq_f32_e32 vcc_lo, 0, v9
	v_cndmask_b32_e64 v4, 0, 1, vcc_lo
	s_waitcnt vmcnt(9)
	v_cmp_neq_f32_e32 vcc_lo, 0, v10
	v_add_co_ci_u32_e32 v2, vcc_lo, v2, v5, vcc_lo
	s_waitcnt vmcnt(8)
	v_cmp_neq_f32_e32 vcc_lo, 0, v11
	v_cndmask_b32_e64 v5, 0, 1, vcc_lo
	s_waitcnt vmcnt(7)
	;; [unrolled: 6-line block ×5, first 2 shown]
	v_cmp_neq_f32_e32 vcc_lo, 0, v17
	v_add_co_ci_u32_e32 v2, vcc_lo, v2, v4, vcc_lo
	s_waitcnt vmcnt(0)
	v_cmp_neq_f32_e32 vcc_lo, 0, v1
	s_delay_alu instid0(VALU_DEP_2) | instskip(SKIP_1) | instid1(VALU_DEP_2)
	v_add_co_ci_u32_e32 v1, vcc_lo, v2, v3, vcc_lo
	v_mov_b32_e32 v3, 0
	v_mov_b32_dpp v2, v1 quad_perm:[1,0,3,2] row_mask:0xf bank_mask:0xf
	s_delay_alu instid0(VALU_DEP_1) | instskip(NEXT) | instid1(VALU_DEP_1)
	v_add_nc_u32_e32 v1, v1, v2
	v_mov_b32_dpp v2, v1 quad_perm:[2,3,0,1] row_mask:0xf bank_mask:0xf
	s_delay_alu instid0(VALU_DEP_1) | instskip(NEXT) | instid1(VALU_DEP_1)
	v_add_nc_u32_e32 v1, v1, v2
	v_mov_b32_dpp v2, v1 row_ror:4 row_mask:0xf bank_mask:0xf
	s_delay_alu instid0(VALU_DEP_1) | instskip(NEXT) | instid1(VALU_DEP_1)
	v_add_nc_u32_e32 v1, v1, v2
	v_mov_b32_dpp v2, v1 row_ror:8 row_mask:0xf bank_mask:0xf
	s_delay_alu instid0(VALU_DEP_1)
	v_add_nc_u32_e32 v1, v1, v2
	ds_swizzle_b32 v2, v1 offset:swizzle(BROADCAST,32,15)
	s_waitcnt lgkmcnt(0)
	v_add_nc_u32_e32 v1, v1, v2
	v_mbcnt_lo_u32_b32 v2, -1, 0
	ds_bpermute_b32 v1, v3, v1 offset:124
	v_cmpx_eq_u32_e32 0, v2
	s_cbranch_execz .LBB456_372
; %bb.371:
	v_lshrrev_b32_e32 v3, 3, v0
	s_delay_alu instid0(VALU_DEP_1)
	v_and_b32_e32 v3, 12, v3
	s_waitcnt lgkmcnt(0)
	ds_store_b32 v3, v1 offset:16
.LBB456_372:
	s_or_b32 exec_lo, exec_lo, s3
	s_delay_alu instid0(SALU_CYCLE_1)
	s_mov_b32 s3, exec_lo
	s_waitcnt lgkmcnt(0)
	s_barrier
	buffer_gl0_inv
	v_cmpx_gt_u32_e32 32, v0
	s_cbranch_execz .LBB456_374
; %bb.373:
	v_and_b32_e32 v1, 3, v2
	s_delay_alu instid0(VALU_DEP_1) | instskip(SKIP_4) | instid1(VALU_DEP_2)
	v_lshlrev_b32_e32 v3, 2, v1
	v_cmp_ne_u32_e32 vcc_lo, 3, v1
	ds_load_b32 v3, v3 offset:16
	v_add_co_ci_u32_e32 v4, vcc_lo, 0, v2, vcc_lo
	v_cmp_gt_u32_e32 vcc_lo, 2, v1
	v_lshlrev_b32_e32 v4, 2, v4
	v_cndmask_b32_e64 v1, 0, 1, vcc_lo
	s_delay_alu instid0(VALU_DEP_1) | instskip(NEXT) | instid1(VALU_DEP_1)
	v_lshlrev_b32_e32 v1, 1, v1
	v_add_lshl_u32 v1, v1, v2, 2
	s_waitcnt lgkmcnt(0)
	ds_bpermute_b32 v4, v4, v3
	s_waitcnt lgkmcnt(0)
	v_add_nc_u32_e32 v3, v4, v3
	ds_bpermute_b32 v1, v1, v3
	s_waitcnt lgkmcnt(0)
	v_add_nc_u32_e32 v1, v1, v3
.LBB456_374:
	s_or_b32 exec_lo, exec_lo, s3
	s_mov_b32 s3, 0
	s_branch .LBB456_534
.LBB456_375:
                                        ; implicit-def: $vgpr1
	s_branch .LBB456_623
.LBB456_376:
	s_mov_b32 s5, -1
                                        ; implicit-def: $vgpr1
.LBB456_377:
	s_delay_alu instid0(SALU_CYCLE_1)
	s_and_b32 vcc_lo, exec_lo, s5
	s_cbranch_vccz .LBB456_511
; %bb.378:
	s_sub_i32 s4, s20, s4
	s_mov_b32 s5, exec_lo
                                        ; implicit-def: $vgpr1
	v_cmpx_gt_u32_e64 s4, v0
	s_cbranch_execz .LBB456_380
; %bb.379:
	v_lshlrev_b32_e32 v1, 2, v0
	global_load_b32 v1, v1, s[2:3]
	s_waitcnt vmcnt(0)
	v_cmp_neq_f32_e32 vcc_lo, 0, v1
	v_cndmask_b32_e64 v1, 0, 1, vcc_lo
.LBB456_380:
	s_or_b32 exec_lo, exec_lo, s5
	v_or_b32_e32 v3, 0x80, v0
	v_mov_b32_e32 v2, 0
	s_delay_alu instid0(VALU_DEP_2)
	v_cmp_gt_u32_e32 vcc_lo, s4, v3
	v_mov_b32_e32 v3, 0
	s_and_saveexec_b32 s5, vcc_lo
	s_cbranch_execz .LBB456_382
; %bb.381:
	v_lshlrev_b32_e32 v3, 2, v0
	global_load_b32 v3, v3, s[2:3] offset:512
	s_waitcnt vmcnt(0)
	v_cmp_neq_f32_e32 vcc_lo, 0, v3
	v_cndmask_b32_e64 v3, 0, 1, vcc_lo
.LBB456_382:
	s_or_b32 exec_lo, exec_lo, s5
	v_or_b32_e32 v4, 0x100, v0
	s_mov_b32 s5, exec_lo
	s_delay_alu instid0(VALU_DEP_1)
	v_cmpx_gt_u32_e64 s4, v4
	s_cbranch_execz .LBB456_384
; %bb.383:
	v_lshlrev_b32_e32 v2, 2, v0
	global_load_b32 v2, v2, s[2:3] offset:1024
	s_waitcnt vmcnt(0)
	v_cmp_neq_f32_e32 vcc_lo, 0, v2
	v_cndmask_b32_e64 v2, 0, 1, vcc_lo
.LBB456_384:
	s_or_b32 exec_lo, exec_lo, s5
	v_or_b32_e32 v5, 0x180, v0
	v_mov_b32_e32 v4, 0
	s_delay_alu instid0(VALU_DEP_2)
	v_cmp_gt_u32_e32 vcc_lo, s4, v5
	v_mov_b32_e32 v5, 0
	s_and_saveexec_b32 s5, vcc_lo
	s_cbranch_execz .LBB456_386
; %bb.385:
	v_lshlrev_b32_e32 v5, 2, v0
	global_load_b32 v5, v5, s[2:3] offset:1536
	s_waitcnt vmcnt(0)
	v_cmp_neq_f32_e32 vcc_lo, 0, v5
	v_cndmask_b32_e64 v5, 0, 1, vcc_lo
.LBB456_386:
	s_or_b32 exec_lo, exec_lo, s5
	v_or_b32_e32 v6, 0x200, v0
	s_mov_b32 s5, exec_lo
	s_delay_alu instid0(VALU_DEP_1)
	v_cmpx_gt_u32_e64 s4, v6
	s_cbranch_execz .LBB456_388
; %bb.387:
	v_lshlrev_b32_e32 v4, 2, v0
	global_load_b32 v4, v4, s[2:3] offset:2048
	s_waitcnt vmcnt(0)
	v_cmp_neq_f32_e32 vcc_lo, 0, v4
	v_cndmask_b32_e64 v4, 0, 1, vcc_lo
.LBB456_388:
	;; [unrolled: 28-line block ×3, first 2 shown]
	s_or_b32 exec_lo, exec_lo, s5
	v_or_b32_e32 v9, 0x380, v0
	v_mov_b32_e32 v8, 0
	s_delay_alu instid0(VALU_DEP_2)
	v_cmp_gt_u32_e32 vcc_lo, s4, v9
	v_mov_b32_e32 v9, 0
	s_and_saveexec_b32 s5, vcc_lo
	s_cbranch_execz .LBB456_394
; %bb.393:
	v_lshlrev_b32_e32 v9, 2, v0
	global_load_b32 v9, v9, s[2:3] offset:3584
	s_waitcnt vmcnt(0)
	v_cmp_neq_f32_e32 vcc_lo, 0, v9
	v_cndmask_b32_e64 v9, 0, 1, vcc_lo
.LBB456_394:
	s_or_b32 exec_lo, exec_lo, s5
	v_or_b32_e32 v10, 0x400, v0
	s_mov_b32 s5, exec_lo
	s_delay_alu instid0(VALU_DEP_1)
	v_cmpx_gt_u32_e64 s4, v10
	s_cbranch_execz .LBB456_396
; %bb.395:
	v_lshlrev_b32_e32 v8, 2, v10
	global_load_b32 v8, v8, s[2:3]
	s_waitcnt vmcnt(0)
	v_cmp_neq_f32_e32 vcc_lo, 0, v8
	v_cndmask_b32_e64 v8, 0, 1, vcc_lo
.LBB456_396:
	s_or_b32 exec_lo, exec_lo, s5
	v_or_b32_e32 v12, 0x480, v0
	v_dual_mov_b32 v10, 0 :: v_dual_mov_b32 v11, 0
	s_mov_b32 s5, exec_lo
	s_delay_alu instid0(VALU_DEP_2)
	v_cmpx_gt_u32_e64 s4, v12
	s_cbranch_execz .LBB456_398
; %bb.397:
	v_lshlrev_b32_e32 v11, 2, v12
	global_load_b32 v11, v11, s[2:3]
	s_waitcnt vmcnt(0)
	v_cmp_neq_f32_e32 vcc_lo, 0, v11
	v_cndmask_b32_e64 v11, 0, 1, vcc_lo
.LBB456_398:
	s_or_b32 exec_lo, exec_lo, s5
	v_or_b32_e32 v12, 0x500, v0
	s_mov_b32 s5, exec_lo
	s_delay_alu instid0(VALU_DEP_1)
	v_cmpx_gt_u32_e64 s4, v12
	s_cbranch_execz .LBB456_400
; %bb.399:
	v_lshlrev_b32_e32 v10, 2, v12
	global_load_b32 v10, v10, s[2:3]
	s_waitcnt vmcnt(0)
	v_cmp_neq_f32_e32 vcc_lo, 0, v10
	v_cndmask_b32_e64 v10, 0, 1, vcc_lo
.LBB456_400:
	s_or_b32 exec_lo, exec_lo, s5
	v_or_b32_e32 v14, 0x580, v0
	v_dual_mov_b32 v12, 0 :: v_dual_mov_b32 v13, 0
	s_mov_b32 s5, exec_lo
	s_delay_alu instid0(VALU_DEP_2)
	v_cmpx_gt_u32_e64 s4, v14
	s_cbranch_execz .LBB456_402
; %bb.401:
	v_lshlrev_b32_e32 v13, 2, v14
	global_load_b32 v13, v13, s[2:3]
	s_waitcnt vmcnt(0)
	v_cmp_neq_f32_e32 vcc_lo, 0, v13
	v_cndmask_b32_e64 v13, 0, 1, vcc_lo
.LBB456_402:
	s_or_b32 exec_lo, exec_lo, s5
	v_or_b32_e32 v14, 0x600, v0
	s_mov_b32 s5, exec_lo
	s_delay_alu instid0(VALU_DEP_1)
	v_cmpx_gt_u32_e64 s4, v14
	s_cbranch_execz .LBB456_404
; %bb.403:
	v_lshlrev_b32_e32 v12, 2, v14
	global_load_b32 v12, v12, s[2:3]
	s_waitcnt vmcnt(0)
	v_cmp_neq_f32_e32 vcc_lo, 0, v12
	v_cndmask_b32_e64 v12, 0, 1, vcc_lo
.LBB456_404:
	s_or_b32 exec_lo, exec_lo, s5
	v_or_b32_e32 v16, 0x680, v0
	v_dual_mov_b32 v14, 0 :: v_dual_mov_b32 v15, 0
	s_mov_b32 s5, exec_lo
	s_delay_alu instid0(VALU_DEP_2)
	v_cmpx_gt_u32_e64 s4, v16
	s_cbranch_execz .LBB456_406
; %bb.405:
	v_lshlrev_b32_e32 v15, 2, v16
	global_load_b32 v15, v15, s[2:3]
	s_waitcnt vmcnt(0)
	v_cmp_neq_f32_e32 vcc_lo, 0, v15
	v_cndmask_b32_e64 v15, 0, 1, vcc_lo
.LBB456_406:
	s_or_b32 exec_lo, exec_lo, s5
	v_or_b32_e32 v16, 0x700, v0
	s_mov_b32 s5, exec_lo
	s_delay_alu instid0(VALU_DEP_1)
	v_cmpx_gt_u32_e64 s4, v16
	s_cbranch_execz .LBB456_408
; %bb.407:
	v_lshlrev_b32_e32 v14, 2, v16
	global_load_b32 v14, v14, s[2:3]
	s_waitcnt vmcnt(0)
	v_cmp_neq_f32_e32 vcc_lo, 0, v14
	v_cndmask_b32_e64 v14, 0, 1, vcc_lo
.LBB456_408:
	s_or_b32 exec_lo, exec_lo, s5
	v_or_b32_e32 v18, 0x780, v0
	v_dual_mov_b32 v16, 0 :: v_dual_mov_b32 v17, 0
	s_mov_b32 s5, exec_lo
	s_delay_alu instid0(VALU_DEP_2)
	v_cmpx_gt_u32_e64 s4, v18
	s_cbranch_execz .LBB456_410
; %bb.409:
	v_lshlrev_b32_e32 v17, 2, v18
	global_load_b32 v17, v17, s[2:3]
	s_waitcnt vmcnt(0)
	v_cmp_neq_f32_e32 vcc_lo, 0, v17
	v_cndmask_b32_e64 v17, 0, 1, vcc_lo
.LBB456_410:
	s_or_b32 exec_lo, exec_lo, s5
	v_or_b32_e32 v18, 0x800, v0
	s_mov_b32 s5, exec_lo
	s_delay_alu instid0(VALU_DEP_1)
	v_cmpx_gt_u32_e64 s4, v18
	s_cbranch_execz .LBB456_412
; %bb.411:
	v_lshlrev_b32_e32 v16, 2, v18
	global_load_b32 v16, v16, s[2:3]
	s_waitcnt vmcnt(0)
	v_cmp_neq_f32_e32 vcc_lo, 0, v16
	v_cndmask_b32_e64 v16, 0, 1, vcc_lo
.LBB456_412:
	s_or_b32 exec_lo, exec_lo, s5
	v_or_b32_e32 v20, 0x880, v0
	v_dual_mov_b32 v18, 0 :: v_dual_mov_b32 v19, 0
	s_mov_b32 s5, exec_lo
	s_delay_alu instid0(VALU_DEP_2)
	v_cmpx_gt_u32_e64 s4, v20
	s_cbranch_execz .LBB456_414
; %bb.413:
	v_lshlrev_b32_e32 v19, 2, v20
	global_load_b32 v19, v19, s[2:3]
	s_waitcnt vmcnt(0)
	v_cmp_neq_f32_e32 vcc_lo, 0, v19
	v_cndmask_b32_e64 v19, 0, 1, vcc_lo
.LBB456_414:
	s_or_b32 exec_lo, exec_lo, s5
	v_or_b32_e32 v20, 0x900, v0
	s_mov_b32 s5, exec_lo
	s_delay_alu instid0(VALU_DEP_1)
	v_cmpx_gt_u32_e64 s4, v20
	s_cbranch_execz .LBB456_416
; %bb.415:
	v_lshlrev_b32_e32 v18, 2, v20
	global_load_b32 v18, v18, s[2:3]
	s_waitcnt vmcnt(0)
	v_cmp_neq_f32_e32 vcc_lo, 0, v18
	v_cndmask_b32_e64 v18, 0, 1, vcc_lo
.LBB456_416:
	s_or_b32 exec_lo, exec_lo, s5
	v_or_b32_e32 v22, 0x980, v0
	v_dual_mov_b32 v20, 0 :: v_dual_mov_b32 v21, 0
	s_mov_b32 s5, exec_lo
	s_delay_alu instid0(VALU_DEP_2)
	v_cmpx_gt_u32_e64 s4, v22
	s_cbranch_execz .LBB456_418
; %bb.417:
	v_lshlrev_b32_e32 v21, 2, v22
	global_load_b32 v21, v21, s[2:3]
	s_waitcnt vmcnt(0)
	v_cmp_neq_f32_e32 vcc_lo, 0, v21
	v_cndmask_b32_e64 v21, 0, 1, vcc_lo
.LBB456_418:
	s_or_b32 exec_lo, exec_lo, s5
	v_or_b32_e32 v22, 0xa00, v0
	s_mov_b32 s5, exec_lo
	s_delay_alu instid0(VALU_DEP_1)
	v_cmpx_gt_u32_e64 s4, v22
	s_cbranch_execz .LBB456_420
; %bb.419:
	v_lshlrev_b32_e32 v20, 2, v22
	global_load_b32 v20, v20, s[2:3]
	s_waitcnt vmcnt(0)
	v_cmp_neq_f32_e32 vcc_lo, 0, v20
	v_cndmask_b32_e64 v20, 0, 1, vcc_lo
.LBB456_420:
	s_or_b32 exec_lo, exec_lo, s5
	v_or_b32_e32 v24, 0xa80, v0
	v_dual_mov_b32 v22, 0 :: v_dual_mov_b32 v23, 0
	s_mov_b32 s5, exec_lo
	s_delay_alu instid0(VALU_DEP_2)
	v_cmpx_gt_u32_e64 s4, v24
	s_cbranch_execz .LBB456_422
; %bb.421:
	v_lshlrev_b32_e32 v23, 2, v24
	global_load_b32 v23, v23, s[2:3]
	s_waitcnt vmcnt(0)
	v_cmp_neq_f32_e32 vcc_lo, 0, v23
	v_cndmask_b32_e64 v23, 0, 1, vcc_lo
.LBB456_422:
	s_or_b32 exec_lo, exec_lo, s5
	v_or_b32_e32 v24, 0xb00, v0
	s_mov_b32 s5, exec_lo
	s_delay_alu instid0(VALU_DEP_1)
	v_cmpx_gt_u32_e64 s4, v24
	s_cbranch_execz .LBB456_424
; %bb.423:
	v_lshlrev_b32_e32 v22, 2, v24
	global_load_b32 v22, v22, s[2:3]
	s_waitcnt vmcnt(0)
	v_cmp_neq_f32_e32 vcc_lo, 0, v22
	v_cndmask_b32_e64 v22, 0, 1, vcc_lo
.LBB456_424:
	s_or_b32 exec_lo, exec_lo, s5
	v_or_b32_e32 v26, 0xb80, v0
	v_dual_mov_b32 v24, 0 :: v_dual_mov_b32 v25, 0
	s_mov_b32 s5, exec_lo
	s_delay_alu instid0(VALU_DEP_2)
	v_cmpx_gt_u32_e64 s4, v26
	s_cbranch_execz .LBB456_426
; %bb.425:
	v_lshlrev_b32_e32 v25, 2, v26
	global_load_b32 v25, v25, s[2:3]
	s_waitcnt vmcnt(0)
	v_cmp_neq_f32_e32 vcc_lo, 0, v25
	v_cndmask_b32_e64 v25, 0, 1, vcc_lo
.LBB456_426:
	s_or_b32 exec_lo, exec_lo, s5
	v_or_b32_e32 v26, 0xc00, v0
	s_mov_b32 s5, exec_lo
	s_delay_alu instid0(VALU_DEP_1)
	v_cmpx_gt_u32_e64 s4, v26
	s_cbranch_execz .LBB456_428
; %bb.427:
	v_lshlrev_b32_e32 v24, 2, v26
	global_load_b32 v24, v24, s[2:3]
	s_waitcnt vmcnt(0)
	v_cmp_neq_f32_e32 vcc_lo, 0, v24
	v_cndmask_b32_e64 v24, 0, 1, vcc_lo
.LBB456_428:
	s_or_b32 exec_lo, exec_lo, s5
	v_or_b32_e32 v28, 0xc80, v0
	v_dual_mov_b32 v26, 0 :: v_dual_mov_b32 v27, 0
	s_mov_b32 s5, exec_lo
	s_delay_alu instid0(VALU_DEP_2)
	v_cmpx_gt_u32_e64 s4, v28
	s_cbranch_execz .LBB456_430
; %bb.429:
	v_lshlrev_b32_e32 v27, 2, v28
	global_load_b32 v27, v27, s[2:3]
	s_waitcnt vmcnt(0)
	v_cmp_neq_f32_e32 vcc_lo, 0, v27
	v_cndmask_b32_e64 v27, 0, 1, vcc_lo
.LBB456_430:
	s_or_b32 exec_lo, exec_lo, s5
	v_or_b32_e32 v28, 0xd00, v0
	s_mov_b32 s5, exec_lo
	s_delay_alu instid0(VALU_DEP_1)
	v_cmpx_gt_u32_e64 s4, v28
	s_cbranch_execz .LBB456_432
; %bb.431:
	v_lshlrev_b32_e32 v26, 2, v28
	global_load_b32 v26, v26, s[2:3]
	s_waitcnt vmcnt(0)
	v_cmp_neq_f32_e32 vcc_lo, 0, v26
	v_cndmask_b32_e64 v26, 0, 1, vcc_lo
.LBB456_432:
	s_or_b32 exec_lo, exec_lo, s5
	v_or_b32_e32 v30, 0xd80, v0
	v_dual_mov_b32 v28, 0 :: v_dual_mov_b32 v29, 0
	s_mov_b32 s5, exec_lo
	s_delay_alu instid0(VALU_DEP_2)
	v_cmpx_gt_u32_e64 s4, v30
	s_cbranch_execz .LBB456_434
; %bb.433:
	v_lshlrev_b32_e32 v29, 2, v30
	global_load_b32 v29, v29, s[2:3]
	s_waitcnt vmcnt(0)
	v_cmp_neq_f32_e32 vcc_lo, 0, v29
	v_cndmask_b32_e64 v29, 0, 1, vcc_lo
.LBB456_434:
	s_or_b32 exec_lo, exec_lo, s5
	v_or_b32_e32 v30, 0xe00, v0
	s_mov_b32 s5, exec_lo
	s_delay_alu instid0(VALU_DEP_1)
	v_cmpx_gt_u32_e64 s4, v30
	s_cbranch_execz .LBB456_436
; %bb.435:
	v_lshlrev_b32_e32 v28, 2, v30
	global_load_b32 v28, v28, s[2:3]
	s_waitcnt vmcnt(0)
	v_cmp_neq_f32_e32 vcc_lo, 0, v28
	v_cndmask_b32_e64 v28, 0, 1, vcc_lo
.LBB456_436:
	s_or_b32 exec_lo, exec_lo, s5
	v_or_b32_e32 v32, 0xe80, v0
	v_dual_mov_b32 v30, 0 :: v_dual_mov_b32 v31, 0
	s_mov_b32 s5, exec_lo
	s_delay_alu instid0(VALU_DEP_2)
	v_cmpx_gt_u32_e64 s4, v32
	s_cbranch_execz .LBB456_438
; %bb.437:
	v_lshlrev_b32_e32 v31, 2, v32
	global_load_b32 v31, v31, s[2:3]
	s_waitcnt vmcnt(0)
	v_cmp_neq_f32_e32 vcc_lo, 0, v31
	v_cndmask_b32_e64 v31, 0, 1, vcc_lo
.LBB456_438:
	s_or_b32 exec_lo, exec_lo, s5
	v_or_b32_e32 v32, 0xf00, v0
	s_mov_b32 s5, exec_lo
	s_delay_alu instid0(VALU_DEP_1)
	v_cmpx_gt_u32_e64 s4, v32
	s_cbranch_execz .LBB456_440
; %bb.439:
	v_lshlrev_b32_e32 v30, 2, v32
	global_load_b32 v30, v30, s[2:3]
	s_waitcnt vmcnt(0)
	v_cmp_neq_f32_e32 vcc_lo, 0, v30
	v_cndmask_b32_e64 v30, 0, 1, vcc_lo
.LBB456_440:
	s_or_b32 exec_lo, exec_lo, s5
	v_or_b32_e32 v34, 0xf80, v0
	v_dual_mov_b32 v32, 0 :: v_dual_mov_b32 v33, 0
	s_mov_b32 s5, exec_lo
	s_delay_alu instid0(VALU_DEP_2)
	v_cmpx_gt_u32_e64 s4, v34
	s_cbranch_execz .LBB456_442
; %bb.441:
	v_lshlrev_b32_e32 v33, 2, v34
	global_load_b32 v33, v33, s[2:3]
	s_waitcnt vmcnt(0)
	v_cmp_neq_f32_e32 vcc_lo, 0, v33
	v_cndmask_b32_e64 v33, 0, 1, vcc_lo
.LBB456_442:
	s_or_b32 exec_lo, exec_lo, s5
	v_or_b32_e32 v34, 0x1000, v0
	s_mov_b32 s5, exec_lo
	s_delay_alu instid0(VALU_DEP_1)
	v_cmpx_gt_u32_e64 s4, v34
	s_cbranch_execz .LBB456_444
; %bb.443:
	v_lshlrev_b32_e32 v32, 2, v34
	global_load_b32 v32, v32, s[2:3]
	s_waitcnt vmcnt(0)
	v_cmp_neq_f32_e32 vcc_lo, 0, v32
	v_cndmask_b32_e64 v32, 0, 1, vcc_lo
.LBB456_444:
	s_or_b32 exec_lo, exec_lo, s5
	v_or_b32_e32 v36, 0x1080, v0
	v_dual_mov_b32 v34, 0 :: v_dual_mov_b32 v35, 0
	s_mov_b32 s5, exec_lo
	s_delay_alu instid0(VALU_DEP_2)
	v_cmpx_gt_u32_e64 s4, v36
	s_cbranch_execz .LBB456_446
; %bb.445:
	v_lshlrev_b32_e32 v35, 2, v36
	global_load_b32 v35, v35, s[2:3]
	s_waitcnt vmcnt(0)
	v_cmp_neq_f32_e32 vcc_lo, 0, v35
	v_cndmask_b32_e64 v35, 0, 1, vcc_lo
.LBB456_446:
	s_or_b32 exec_lo, exec_lo, s5
	v_or_b32_e32 v36, 0x1100, v0
	s_mov_b32 s5, exec_lo
	s_delay_alu instid0(VALU_DEP_1)
	v_cmpx_gt_u32_e64 s4, v36
	s_cbranch_execz .LBB456_448
; %bb.447:
	v_lshlrev_b32_e32 v34, 2, v36
	global_load_b32 v34, v34, s[2:3]
	s_waitcnt vmcnt(0)
	v_cmp_neq_f32_e32 vcc_lo, 0, v34
	v_cndmask_b32_e64 v34, 0, 1, vcc_lo
.LBB456_448:
	s_or_b32 exec_lo, exec_lo, s5
	v_or_b32_e32 v38, 0x1180, v0
	v_dual_mov_b32 v36, 0 :: v_dual_mov_b32 v37, 0
	s_mov_b32 s5, exec_lo
	s_delay_alu instid0(VALU_DEP_2)
	v_cmpx_gt_u32_e64 s4, v38
	s_cbranch_execz .LBB456_450
; %bb.449:
	v_lshlrev_b32_e32 v37, 2, v38
	global_load_b32 v37, v37, s[2:3]
	s_waitcnt vmcnt(0)
	v_cmp_neq_f32_e32 vcc_lo, 0, v37
	v_cndmask_b32_e64 v37, 0, 1, vcc_lo
.LBB456_450:
	s_or_b32 exec_lo, exec_lo, s5
	v_or_b32_e32 v38, 0x1200, v0
	s_mov_b32 s5, exec_lo
	s_delay_alu instid0(VALU_DEP_1)
	v_cmpx_gt_u32_e64 s4, v38
	s_cbranch_execz .LBB456_452
; %bb.451:
	v_lshlrev_b32_e32 v36, 2, v38
	global_load_b32 v36, v36, s[2:3]
	s_waitcnt vmcnt(0)
	v_cmp_neq_f32_e32 vcc_lo, 0, v36
	v_cndmask_b32_e64 v36, 0, 1, vcc_lo
.LBB456_452:
	s_or_b32 exec_lo, exec_lo, s5
	v_or_b32_e32 v40, 0x1280, v0
	v_dual_mov_b32 v38, 0 :: v_dual_mov_b32 v39, 0
	s_mov_b32 s5, exec_lo
	s_delay_alu instid0(VALU_DEP_2)
	v_cmpx_gt_u32_e64 s4, v40
	s_cbranch_execz .LBB456_454
; %bb.453:
	v_lshlrev_b32_e32 v39, 2, v40
	global_load_b32 v39, v39, s[2:3]
	s_waitcnt vmcnt(0)
	v_cmp_neq_f32_e32 vcc_lo, 0, v39
	v_cndmask_b32_e64 v39, 0, 1, vcc_lo
.LBB456_454:
	s_or_b32 exec_lo, exec_lo, s5
	v_or_b32_e32 v40, 0x1300, v0
	s_mov_b32 s5, exec_lo
	s_delay_alu instid0(VALU_DEP_1)
	v_cmpx_gt_u32_e64 s4, v40
	s_cbranch_execz .LBB456_456
; %bb.455:
	v_lshlrev_b32_e32 v38, 2, v40
	global_load_b32 v38, v38, s[2:3]
	s_waitcnt vmcnt(0)
	v_cmp_neq_f32_e32 vcc_lo, 0, v38
	v_cndmask_b32_e64 v38, 0, 1, vcc_lo
.LBB456_456:
	s_or_b32 exec_lo, exec_lo, s5
	v_or_b32_e32 v42, 0x1380, v0
	v_dual_mov_b32 v40, 0 :: v_dual_mov_b32 v41, 0
	s_mov_b32 s5, exec_lo
	s_delay_alu instid0(VALU_DEP_2)
	v_cmpx_gt_u32_e64 s4, v42
	s_cbranch_execz .LBB456_458
; %bb.457:
	v_lshlrev_b32_e32 v41, 2, v42
	global_load_b32 v41, v41, s[2:3]
	s_waitcnt vmcnt(0)
	v_cmp_neq_f32_e32 vcc_lo, 0, v41
	v_cndmask_b32_e64 v41, 0, 1, vcc_lo
.LBB456_458:
	s_or_b32 exec_lo, exec_lo, s5
	v_or_b32_e32 v42, 0x1400, v0
	s_mov_b32 s5, exec_lo
	s_delay_alu instid0(VALU_DEP_1)
	v_cmpx_gt_u32_e64 s4, v42
	s_cbranch_execz .LBB456_460
; %bb.459:
	v_lshlrev_b32_e32 v40, 2, v42
	global_load_b32 v40, v40, s[2:3]
	s_waitcnt vmcnt(0)
	v_cmp_neq_f32_e32 vcc_lo, 0, v40
	v_cndmask_b32_e64 v40, 0, 1, vcc_lo
.LBB456_460:
	s_or_b32 exec_lo, exec_lo, s5
	v_or_b32_e32 v44, 0x1480, v0
	v_dual_mov_b32 v42, 0 :: v_dual_mov_b32 v43, 0
	s_mov_b32 s5, exec_lo
	s_delay_alu instid0(VALU_DEP_2)
	v_cmpx_gt_u32_e64 s4, v44
	s_cbranch_execz .LBB456_462
; %bb.461:
	v_lshlrev_b32_e32 v43, 2, v44
	global_load_b32 v43, v43, s[2:3]
	s_waitcnt vmcnt(0)
	v_cmp_neq_f32_e32 vcc_lo, 0, v43
	v_cndmask_b32_e64 v43, 0, 1, vcc_lo
.LBB456_462:
	s_or_b32 exec_lo, exec_lo, s5
	v_or_b32_e32 v44, 0x1500, v0
	s_mov_b32 s5, exec_lo
	s_delay_alu instid0(VALU_DEP_1)
	v_cmpx_gt_u32_e64 s4, v44
	s_cbranch_execz .LBB456_464
; %bb.463:
	v_lshlrev_b32_e32 v42, 2, v44
	global_load_b32 v42, v42, s[2:3]
	s_waitcnt vmcnt(0)
	v_cmp_neq_f32_e32 vcc_lo, 0, v42
	v_cndmask_b32_e64 v42, 0, 1, vcc_lo
.LBB456_464:
	s_or_b32 exec_lo, exec_lo, s5
	v_or_b32_e32 v46, 0x1580, v0
	v_dual_mov_b32 v44, 0 :: v_dual_mov_b32 v45, 0
	s_mov_b32 s5, exec_lo
	s_delay_alu instid0(VALU_DEP_2)
	v_cmpx_gt_u32_e64 s4, v46
	s_cbranch_execz .LBB456_466
; %bb.465:
	v_lshlrev_b32_e32 v45, 2, v46
	global_load_b32 v45, v45, s[2:3]
	s_waitcnt vmcnt(0)
	v_cmp_neq_f32_e32 vcc_lo, 0, v45
	v_cndmask_b32_e64 v45, 0, 1, vcc_lo
.LBB456_466:
	s_or_b32 exec_lo, exec_lo, s5
	v_or_b32_e32 v46, 0x1600, v0
	s_mov_b32 s5, exec_lo
	s_delay_alu instid0(VALU_DEP_1)
	v_cmpx_gt_u32_e64 s4, v46
	s_cbranch_execz .LBB456_468
; %bb.467:
	v_lshlrev_b32_e32 v44, 2, v46
	global_load_b32 v44, v44, s[2:3]
	s_waitcnt vmcnt(0)
	v_cmp_neq_f32_e32 vcc_lo, 0, v44
	v_cndmask_b32_e64 v44, 0, 1, vcc_lo
.LBB456_468:
	s_or_b32 exec_lo, exec_lo, s5
	v_or_b32_e32 v48, 0x1680, v0
	v_dual_mov_b32 v46, 0 :: v_dual_mov_b32 v47, 0
	s_mov_b32 s5, exec_lo
	s_delay_alu instid0(VALU_DEP_2)
	v_cmpx_gt_u32_e64 s4, v48
	s_cbranch_execz .LBB456_470
; %bb.469:
	v_lshlrev_b32_e32 v47, 2, v48
	global_load_b32 v47, v47, s[2:3]
	s_waitcnt vmcnt(0)
	v_cmp_neq_f32_e32 vcc_lo, 0, v47
	v_cndmask_b32_e64 v47, 0, 1, vcc_lo
.LBB456_470:
	s_or_b32 exec_lo, exec_lo, s5
	v_or_b32_e32 v48, 0x1700, v0
	s_mov_b32 s5, exec_lo
	s_delay_alu instid0(VALU_DEP_1)
	v_cmpx_gt_u32_e64 s4, v48
	s_cbranch_execz .LBB456_472
; %bb.471:
	v_lshlrev_b32_e32 v46, 2, v48
	global_load_b32 v46, v46, s[2:3]
	s_waitcnt vmcnt(0)
	v_cmp_neq_f32_e32 vcc_lo, 0, v46
	v_cndmask_b32_e64 v46, 0, 1, vcc_lo
.LBB456_472:
	s_or_b32 exec_lo, exec_lo, s5
	v_or_b32_e32 v50, 0x1780, v0
	v_dual_mov_b32 v48, 0 :: v_dual_mov_b32 v49, 0
	s_mov_b32 s5, exec_lo
	s_delay_alu instid0(VALU_DEP_2)
	v_cmpx_gt_u32_e64 s4, v50
	s_cbranch_execz .LBB456_474
; %bb.473:
	v_lshlrev_b32_e32 v49, 2, v50
	global_load_b32 v49, v49, s[2:3]
	s_waitcnt vmcnt(0)
	v_cmp_neq_f32_e32 vcc_lo, 0, v49
	v_cndmask_b32_e64 v49, 0, 1, vcc_lo
.LBB456_474:
	s_or_b32 exec_lo, exec_lo, s5
	v_or_b32_e32 v50, 0x1800, v0
	s_mov_b32 s5, exec_lo
	s_delay_alu instid0(VALU_DEP_1)
	v_cmpx_gt_u32_e64 s4, v50
	s_cbranch_execz .LBB456_476
; %bb.475:
	v_lshlrev_b32_e32 v48, 2, v50
	global_load_b32 v48, v48, s[2:3]
	s_waitcnt vmcnt(0)
	v_cmp_neq_f32_e32 vcc_lo, 0, v48
	v_cndmask_b32_e64 v48, 0, 1, vcc_lo
.LBB456_476:
	s_or_b32 exec_lo, exec_lo, s5
	v_or_b32_e32 v52, 0x1880, v0
	v_dual_mov_b32 v50, 0 :: v_dual_mov_b32 v51, 0
	s_mov_b32 s5, exec_lo
	s_delay_alu instid0(VALU_DEP_2)
	v_cmpx_gt_u32_e64 s4, v52
	s_cbranch_execz .LBB456_478
; %bb.477:
	v_lshlrev_b32_e32 v51, 2, v52
	global_load_b32 v51, v51, s[2:3]
	s_waitcnt vmcnt(0)
	v_cmp_neq_f32_e32 vcc_lo, 0, v51
	v_cndmask_b32_e64 v51, 0, 1, vcc_lo
.LBB456_478:
	s_or_b32 exec_lo, exec_lo, s5
	v_or_b32_e32 v52, 0x1900, v0
	s_mov_b32 s5, exec_lo
	s_delay_alu instid0(VALU_DEP_1)
	v_cmpx_gt_u32_e64 s4, v52
	s_cbranch_execz .LBB456_480
; %bb.479:
	v_lshlrev_b32_e32 v50, 2, v52
	global_load_b32 v50, v50, s[2:3]
	s_waitcnt vmcnt(0)
	v_cmp_neq_f32_e32 vcc_lo, 0, v50
	v_cndmask_b32_e64 v50, 0, 1, vcc_lo
.LBB456_480:
	s_or_b32 exec_lo, exec_lo, s5
	v_or_b32_e32 v54, 0x1980, v0
	v_dual_mov_b32 v52, 0 :: v_dual_mov_b32 v53, 0
	s_mov_b32 s5, exec_lo
	s_delay_alu instid0(VALU_DEP_2)
	v_cmpx_gt_u32_e64 s4, v54
	s_cbranch_execz .LBB456_482
; %bb.481:
	v_lshlrev_b32_e32 v53, 2, v54
	global_load_b32 v53, v53, s[2:3]
	s_waitcnt vmcnt(0)
	v_cmp_neq_f32_e32 vcc_lo, 0, v53
	v_cndmask_b32_e64 v53, 0, 1, vcc_lo
.LBB456_482:
	s_or_b32 exec_lo, exec_lo, s5
	v_or_b32_e32 v54, 0x1a00, v0
	s_mov_b32 s5, exec_lo
	s_delay_alu instid0(VALU_DEP_1)
	v_cmpx_gt_u32_e64 s4, v54
	s_cbranch_execz .LBB456_484
; %bb.483:
	v_lshlrev_b32_e32 v52, 2, v54
	global_load_b32 v52, v52, s[2:3]
	s_waitcnt vmcnt(0)
	v_cmp_neq_f32_e32 vcc_lo, 0, v52
	v_cndmask_b32_e64 v52, 0, 1, vcc_lo
.LBB456_484:
	s_or_b32 exec_lo, exec_lo, s5
	v_or_b32_e32 v56, 0x1a80, v0
	v_dual_mov_b32 v54, 0 :: v_dual_mov_b32 v55, 0
	s_mov_b32 s5, exec_lo
	s_delay_alu instid0(VALU_DEP_2)
	v_cmpx_gt_u32_e64 s4, v56
	s_cbranch_execz .LBB456_486
; %bb.485:
	v_lshlrev_b32_e32 v55, 2, v56
	global_load_b32 v55, v55, s[2:3]
	s_waitcnt vmcnt(0)
	v_cmp_neq_f32_e32 vcc_lo, 0, v55
	v_cndmask_b32_e64 v55, 0, 1, vcc_lo
.LBB456_486:
	s_or_b32 exec_lo, exec_lo, s5
	v_or_b32_e32 v56, 0x1b00, v0
	s_mov_b32 s5, exec_lo
	s_delay_alu instid0(VALU_DEP_1)
	v_cmpx_gt_u32_e64 s4, v56
	s_cbranch_execz .LBB456_488
; %bb.487:
	v_lshlrev_b32_e32 v54, 2, v56
	global_load_b32 v54, v54, s[2:3]
	s_waitcnt vmcnt(0)
	v_cmp_neq_f32_e32 vcc_lo, 0, v54
	v_cndmask_b32_e64 v54, 0, 1, vcc_lo
.LBB456_488:
	s_or_b32 exec_lo, exec_lo, s5
	v_or_b32_e32 v58, 0x1b80, v0
	v_dual_mov_b32 v56, 0 :: v_dual_mov_b32 v57, 0
	s_mov_b32 s5, exec_lo
	s_delay_alu instid0(VALU_DEP_2)
	v_cmpx_gt_u32_e64 s4, v58
	s_cbranch_execz .LBB456_490
; %bb.489:
	v_lshlrev_b32_e32 v57, 2, v58
	global_load_b32 v57, v57, s[2:3]
	s_waitcnt vmcnt(0)
	v_cmp_neq_f32_e32 vcc_lo, 0, v57
	v_cndmask_b32_e64 v57, 0, 1, vcc_lo
.LBB456_490:
	s_or_b32 exec_lo, exec_lo, s5
	v_or_b32_e32 v58, 0x1c00, v0
	s_mov_b32 s5, exec_lo
	s_delay_alu instid0(VALU_DEP_1)
	v_cmpx_gt_u32_e64 s4, v58
	s_cbranch_execz .LBB456_492
; %bb.491:
	v_lshlrev_b32_e32 v56, 2, v58
	global_load_b32 v56, v56, s[2:3]
	s_waitcnt vmcnt(0)
	v_cmp_neq_f32_e32 vcc_lo, 0, v56
	v_cndmask_b32_e64 v56, 0, 1, vcc_lo
.LBB456_492:
	s_or_b32 exec_lo, exec_lo, s5
	v_or_b32_e32 v60, 0x1c80, v0
	v_dual_mov_b32 v58, 0 :: v_dual_mov_b32 v59, 0
	s_mov_b32 s5, exec_lo
	s_delay_alu instid0(VALU_DEP_2)
	v_cmpx_gt_u32_e64 s4, v60
	s_cbranch_execz .LBB456_494
; %bb.493:
	v_lshlrev_b32_e32 v59, 2, v60
	global_load_b32 v59, v59, s[2:3]
	s_waitcnt vmcnt(0)
	v_cmp_neq_f32_e32 vcc_lo, 0, v59
	v_cndmask_b32_e64 v59, 0, 1, vcc_lo
.LBB456_494:
	s_or_b32 exec_lo, exec_lo, s5
	v_or_b32_e32 v60, 0x1d00, v0
	s_mov_b32 s5, exec_lo
	s_delay_alu instid0(VALU_DEP_1)
	v_cmpx_gt_u32_e64 s4, v60
	s_cbranch_execz .LBB456_496
; %bb.495:
	v_lshlrev_b32_e32 v58, 2, v60
	global_load_b32 v58, v58, s[2:3]
	s_waitcnt vmcnt(0)
	v_cmp_neq_f32_e32 vcc_lo, 0, v58
	v_cndmask_b32_e64 v58, 0, 1, vcc_lo
.LBB456_496:
	s_or_b32 exec_lo, exec_lo, s5
	v_or_b32_e32 v62, 0x1d80, v0
	v_dual_mov_b32 v60, 0 :: v_dual_mov_b32 v61, 0
	s_mov_b32 s5, exec_lo
	s_delay_alu instid0(VALU_DEP_2)
	v_cmpx_gt_u32_e64 s4, v62
	s_cbranch_execz .LBB456_498
; %bb.497:
	v_lshlrev_b32_e32 v61, 2, v62
	global_load_b32 v61, v61, s[2:3]
	s_waitcnt vmcnt(0)
	v_cmp_neq_f32_e32 vcc_lo, 0, v61
	v_cndmask_b32_e64 v61, 0, 1, vcc_lo
.LBB456_498:
	s_or_b32 exec_lo, exec_lo, s5
	v_or_b32_e32 v62, 0x1e00, v0
	s_mov_b32 s5, exec_lo
	s_delay_alu instid0(VALU_DEP_1)
	v_cmpx_gt_u32_e64 s4, v62
	s_cbranch_execz .LBB456_500
; %bb.499:
	v_lshlrev_b32_e32 v60, 2, v62
	global_load_b32 v60, v60, s[2:3]
	s_waitcnt vmcnt(0)
	v_cmp_neq_f32_e32 vcc_lo, 0, v60
	v_cndmask_b32_e64 v60, 0, 1, vcc_lo
.LBB456_500:
	s_or_b32 exec_lo, exec_lo, s5
	v_or_b32_e32 v64, 0x1e80, v0
	v_dual_mov_b32 v62, 0 :: v_dual_mov_b32 v63, 0
	s_mov_b32 s5, exec_lo
	s_delay_alu instid0(VALU_DEP_2)
	v_cmpx_gt_u32_e64 s4, v64
	s_cbranch_execz .LBB456_502
; %bb.501:
	v_lshlrev_b32_e32 v63, 2, v64
	global_load_b32 v63, v63, s[2:3]
	s_waitcnt vmcnt(0)
	v_cmp_neq_f32_e32 vcc_lo, 0, v63
	v_cndmask_b32_e64 v63, 0, 1, vcc_lo
.LBB456_502:
	s_or_b32 exec_lo, exec_lo, s5
	v_or_b32_e32 v64, 0x1f00, v0
	s_mov_b32 s5, exec_lo
	s_delay_alu instid0(VALU_DEP_1)
	v_cmpx_gt_u32_e64 s4, v64
	s_cbranch_execz .LBB456_504
; %bb.503:
	v_lshlrev_b32_e32 v62, 2, v64
	global_load_b32 v62, v62, s[2:3]
	s_waitcnt vmcnt(0)
	v_cmp_neq_f32_e32 vcc_lo, 0, v62
	v_cndmask_b32_e64 v62, 0, 1, vcc_lo
.LBB456_504:
	s_or_b32 exec_lo, exec_lo, s5
	v_or_b32_e32 v65, 0x1f80, v0
	v_mov_b32_e32 v64, 0
	s_mov_b32 s5, exec_lo
	s_delay_alu instid0(VALU_DEP_2)
	v_cmpx_gt_u32_e64 s4, v65
	s_cbranch_execz .LBB456_506
; %bb.505:
	v_lshlrev_b32_e32 v64, 2, v65
	global_load_b32 v64, v64, s[2:3]
	s_waitcnt vmcnt(0)
	v_cmp_neq_f32_e32 vcc_lo, 0, v64
	v_cndmask_b32_e64 v64, 0, 1, vcc_lo
.LBB456_506:
	s_or_b32 exec_lo, exec_lo, s5
	v_add_nc_u32_e32 v1, v3, v1
	s_min_u32 s2, s4, 0x80
	s_mov_b32 s3, exec_lo
	s_delay_alu instid0(VALU_DEP_1) | instskip(SKIP_1) | instid1(VALU_DEP_2)
	v_add3_u32 v1, v1, v2, v5
	v_mbcnt_lo_u32_b32 v2, -1, 0
	v_add3_u32 v1, v1, v4, v7
	s_delay_alu instid0(VALU_DEP_2) | instskip(NEXT) | instid1(VALU_DEP_2)
	v_cmp_ne_u32_e32 vcc_lo, 31, v2
	v_add3_u32 v1, v1, v6, v9
	v_add_co_ci_u32_e32 v3, vcc_lo, 0, v2, vcc_lo
	v_cmp_gt_u32_e32 vcc_lo, 30, v2
	v_add_nc_u32_e32 v6, 1, v2
	s_delay_alu instid0(VALU_DEP_4) | instskip(NEXT) | instid1(VALU_DEP_4)
	v_add3_u32 v1, v1, v8, v11
	v_lshlrev_b32_e32 v3, 2, v3
	v_cndmask_b32_e64 v5, 0, 1, vcc_lo
	s_delay_alu instid0(VALU_DEP_3) | instskip(NEXT) | instid1(VALU_DEP_2)
	v_add3_u32 v1, v1, v10, v13
	v_lshlrev_b32_e32 v5, 1, v5
	s_delay_alu instid0(VALU_DEP_2) | instskip(NEXT) | instid1(VALU_DEP_2)
	v_add3_u32 v1, v1, v12, v15
	v_add_lshl_u32 v5, v5, v2, 2
	s_delay_alu instid0(VALU_DEP_2) | instskip(NEXT) | instid1(VALU_DEP_1)
	v_add3_u32 v1, v1, v14, v17
	v_add3_u32 v1, v1, v16, v19
	s_delay_alu instid0(VALU_DEP_1) | instskip(NEXT) | instid1(VALU_DEP_1)
	v_add3_u32 v1, v1, v18, v21
	v_add3_u32 v1, v1, v20, v23
	s_delay_alu instid0(VALU_DEP_1) | instskip(NEXT) | instid1(VALU_DEP_1)
	;; [unrolled: 3-line block ×11, first 2 shown]
	v_add3_u32 v1, v1, v58, v61
	v_add3_u32 v1, v1, v60, v63
	s_delay_alu instid0(VALU_DEP_1) | instskip(SKIP_2) | instid1(VALU_DEP_1)
	v_add3_u32 v1, v1, v62, v64
	ds_bpermute_b32 v3, v3, v1
	v_and_b32_e32 v4, 0x60, v0
	v_sub_nc_u32_e64 v4, s2, v4 clamp
	s_delay_alu instid0(VALU_DEP_1) | instskip(SKIP_3) | instid1(VALU_DEP_2)
	v_cmp_lt_u32_e32 vcc_lo, v6, v4
	s_waitcnt lgkmcnt(0)
	v_dual_cndmask_b32 v3, 0, v3 :: v_dual_add_nc_u32 v6, 2, v2
	v_cmp_gt_u32_e32 vcc_lo, 28, v2
	v_add_nc_u32_e32 v1, v3, v1
	ds_bpermute_b32 v3, v5, v1
	v_cndmask_b32_e64 v5, 0, 1, vcc_lo
	v_cmp_lt_u32_e32 vcc_lo, v6, v4
	v_add_nc_u32_e32 v6, 4, v2
	s_delay_alu instid0(VALU_DEP_3) | instskip(NEXT) | instid1(VALU_DEP_1)
	v_lshlrev_b32_e32 v5, 2, v5
	v_add_lshl_u32 v5, v5, v2, 2
	s_waitcnt lgkmcnt(0)
	v_cndmask_b32_e32 v3, 0, v3, vcc_lo
	v_cmp_gt_u32_e32 vcc_lo, 24, v2
	s_delay_alu instid0(VALU_DEP_2) | instskip(SKIP_4) | instid1(VALU_DEP_3)
	v_add_nc_u32_e32 v1, v1, v3
	ds_bpermute_b32 v3, v5, v1
	v_cndmask_b32_e64 v5, 0, 1, vcc_lo
	v_cmp_lt_u32_e32 vcc_lo, v6, v4
	v_add_nc_u32_e32 v6, 8, v2
	v_lshlrev_b32_e32 v5, 3, v5
	s_delay_alu instid0(VALU_DEP_1) | instskip(SKIP_3) | instid1(VALU_DEP_2)
	v_add_lshl_u32 v5, v5, v2, 2
	s_waitcnt lgkmcnt(0)
	v_cndmask_b32_e32 v3, 0, v3, vcc_lo
	v_cmp_gt_u32_e32 vcc_lo, 16, v2
	v_add_nc_u32_e32 v1, v1, v3
	ds_bpermute_b32 v3, v5, v1
	v_cndmask_b32_e64 v5, 0, 1, vcc_lo
	v_cmp_lt_u32_e32 vcc_lo, v6, v4
	s_delay_alu instid0(VALU_DEP_2) | instskip(NEXT) | instid1(VALU_DEP_1)
	v_lshlrev_b32_e32 v5, 4, v5
	v_add_lshl_u32 v5, v5, v2, 2
	s_waitcnt lgkmcnt(0)
	v_cndmask_b32_e32 v3, 0, v3, vcc_lo
	s_delay_alu instid0(VALU_DEP_1) | instskip(SKIP_2) | instid1(VALU_DEP_1)
	v_add_nc_u32_e32 v1, v1, v3
	ds_bpermute_b32 v3, v5, v1
	v_add_nc_u32_e32 v5, 16, v2
	v_cmp_lt_u32_e32 vcc_lo, v5, v4
	s_waitcnt lgkmcnt(0)
	v_cndmask_b32_e32 v3, 0, v3, vcc_lo
	s_delay_alu instid0(VALU_DEP_1)
	v_add_nc_u32_e32 v1, v1, v3
	v_cmpx_eq_u32_e32 0, v2
	s_cbranch_execz .LBB456_508
; %bb.507:
	v_lshrrev_b32_e32 v3, 3, v0
	s_delay_alu instid0(VALU_DEP_1)
	v_and_b32_e32 v3, 12, v3
	ds_store_b32 v3, v1 offset:128
.LBB456_508:
	s_or_b32 exec_lo, exec_lo, s3
	s_delay_alu instid0(SALU_CYCLE_1)
	s_mov_b32 s3, exec_lo
	s_waitcnt lgkmcnt(0)
	s_barrier
	buffer_gl0_inv
	v_cmpx_gt_u32_e32 4, v0
	s_cbranch_execz .LBB456_510
; %bb.509:
	v_and_b32_e32 v3, 3, v2
	s_add_i32 s2, s2, 31
	s_delay_alu instid0(SALU_CYCLE_1) | instskip(NEXT) | instid1(VALU_DEP_1)
	s_lshr_b32 s2, s2, 5
	v_cmp_ne_u32_e32 vcc_lo, 3, v3
	v_add_nc_u32_e32 v5, 1, v3
	v_add_co_ci_u32_e32 v4, vcc_lo, 0, v2, vcc_lo
	v_cmp_gt_u32_e32 vcc_lo, 2, v3
	v_add_nc_u32_e32 v3, 2, v3
	s_delay_alu instid0(VALU_DEP_3) | instskip(SKIP_3) | instid1(VALU_DEP_3)
	v_lshlrev_b32_e32 v4, 2, v4
	v_cndmask_b32_e64 v6, 0, 1, vcc_lo
	v_cmp_gt_u32_e32 vcc_lo, s2, v5
	v_lshlrev_b32_e32 v1, 2, v2
	v_lshlrev_b32_e32 v5, 1, v6
	ds_load_b32 v1, v1 offset:128
	v_add_lshl_u32 v2, v5, v2, 2
	s_waitcnt lgkmcnt(0)
	ds_bpermute_b32 v4, v4, v1
	s_waitcnt lgkmcnt(0)
	v_cndmask_b32_e32 v4, 0, v4, vcc_lo
	v_cmp_gt_u32_e32 vcc_lo, s2, v3
	s_delay_alu instid0(VALU_DEP_2) | instskip(SKIP_3) | instid1(VALU_DEP_1)
	v_add_nc_u32_e32 v1, v4, v1
	ds_bpermute_b32 v2, v2, v1
	s_waitcnt lgkmcnt(0)
	v_cndmask_b32_e32 v2, 0, v2, vcc_lo
	v_add_nc_u32_e32 v1, v1, v2
.LBB456_510:
	s_or_b32 exec_lo, exec_lo, s3
.LBB456_511:
	v_cmp_eq_u32_e64 s2, 0, v0
.LBB456_512:
	s_branch .LBB456_623
.LBB456_513:
	s_cmp_gt_i32 s26, 3
	s_cbranch_scc0 .LBB456_522
; %bb.514:
	s_cmp_gt_i32 s26, 7
	s_cbranch_scc0 .LBB456_523
; %bb.515:
	s_cmp_eq_u32 s26, 8
	s_cbranch_scc0 .LBB456_531
; %bb.516:
	s_mov_b32 s19, 0
	s_lshl_b32 s2, s18, 10
	s_mov_b32 s3, s19
	s_lshr_b64 s[6:7], s[20:21], 10
	s_lshl_b64 s[4:5], s[2:3], 2
	s_delay_alu instid0(SALU_CYCLE_1)
	s_add_u32 s8, s24, s4
	s_addc_u32 s9, s25, s5
	s_cmp_lg_u64 s[6:7], s[18:19]
	s_cbranch_scc0 .LBB456_573
; %bb.517:
	v_lshlrev_b32_e32 v1, 2, v0
	s_mov_b32 s3, exec_lo
	s_clause 0x7
	global_load_b32 v2, v1, s[8:9]
	global_load_b32 v3, v1, s[8:9] offset:1024
	global_load_b32 v4, v1, s[8:9] offset:512
	;; [unrolled: 1-line block ×7, first 2 shown]
	s_waitcnt vmcnt(7)
	v_cmp_neq_f32_e32 vcc_lo, 0, v2
	v_cndmask_b32_e64 v2, 0, 1, vcc_lo
	s_waitcnt vmcnt(6)
	v_cmp_neq_f32_e32 vcc_lo, 0, v3
	v_cndmask_b32_e64 v3, 0, 1, vcc_lo
	s_waitcnt vmcnt(5)
	v_cmp_neq_f32_e32 vcc_lo, 0, v4
	v_add_co_ci_u32_e32 v2, vcc_lo, 0, v2, vcc_lo
	s_waitcnt vmcnt(4)
	v_cmp_neq_f32_e32 vcc_lo, 0, v5
	v_cndmask_b32_e64 v4, 0, 1, vcc_lo
	s_waitcnt vmcnt(3)
	v_cmp_neq_f32_e32 vcc_lo, 0, v6
	v_add_co_ci_u32_e32 v2, vcc_lo, v2, v3, vcc_lo
	;; [unrolled: 6-line block ×3, first 2 shown]
	s_waitcnt vmcnt(0)
	v_cmp_neq_f32_e32 vcc_lo, 0, v1
	s_delay_alu instid0(VALU_DEP_2) | instskip(NEXT) | instid1(VALU_DEP_1)
	v_add_co_ci_u32_e32 v1, vcc_lo, v2, v3, vcc_lo
	v_mov_b32_dpp v2, v1 quad_perm:[1,0,3,2] row_mask:0xf bank_mask:0xf
	s_delay_alu instid0(VALU_DEP_1) | instskip(NEXT) | instid1(VALU_DEP_1)
	v_add_nc_u32_e32 v1, v1, v2
	v_mov_b32_dpp v2, v1 quad_perm:[2,3,0,1] row_mask:0xf bank_mask:0xf
	s_delay_alu instid0(VALU_DEP_1) | instskip(NEXT) | instid1(VALU_DEP_1)
	v_add_nc_u32_e32 v1, v1, v2
	v_mov_b32_dpp v2, v1 row_ror:4 row_mask:0xf bank_mask:0xf
	s_delay_alu instid0(VALU_DEP_1) | instskip(NEXT) | instid1(VALU_DEP_1)
	v_add_nc_u32_e32 v1, v1, v2
	v_mov_b32_dpp v2, v1 row_ror:8 row_mask:0xf bank_mask:0xf
	s_delay_alu instid0(VALU_DEP_1)
	v_add_nc_u32_e32 v1, v1, v2
	ds_swizzle_b32 v2, v1 offset:swizzle(BROADCAST,32,15)
	s_waitcnt lgkmcnt(0)
	v_dual_mov_b32 v2, 0 :: v_dual_add_nc_u32 v1, v1, v2
	ds_bpermute_b32 v1, v2, v1 offset:124
	v_mbcnt_lo_u32_b32 v2, -1, 0
	s_delay_alu instid0(VALU_DEP_1)
	v_cmpx_eq_u32_e32 0, v2
	s_cbranch_execz .LBB456_519
; %bb.518:
	v_lshrrev_b32_e32 v3, 3, v0
	s_delay_alu instid0(VALU_DEP_1)
	v_and_b32_e32 v3, 12, v3
	s_waitcnt lgkmcnt(0)
	ds_store_b32 v3, v1 offset:112
.LBB456_519:
	s_or_b32 exec_lo, exec_lo, s3
	s_delay_alu instid0(SALU_CYCLE_1)
	s_mov_b32 s3, exec_lo
	s_waitcnt lgkmcnt(0)
	s_barrier
	buffer_gl0_inv
	v_cmpx_gt_u32_e32 32, v0
	s_cbranch_execz .LBB456_521
; %bb.520:
	v_lshl_or_b32 v1, v2, 2, 0x70
	v_and_b32_e32 v3, 3, v2
	ds_load_b32 v1, v1
	v_cmp_ne_u32_e32 vcc_lo, 3, v3
	v_add_co_ci_u32_e32 v4, vcc_lo, 0, v2, vcc_lo
	v_cmp_gt_u32_e32 vcc_lo, 2, v3
	s_delay_alu instid0(VALU_DEP_2) | instskip(SKIP_1) | instid1(VALU_DEP_1)
	v_lshlrev_b32_e32 v4, 2, v4
	v_cndmask_b32_e64 v3, 0, 1, vcc_lo
	v_lshlrev_b32_e32 v3, 1, v3
	s_waitcnt lgkmcnt(0)
	ds_bpermute_b32 v4, v4, v1
	v_add_lshl_u32 v2, v3, v2, 2
	s_waitcnt lgkmcnt(0)
	v_add_nc_u32_e32 v1, v4, v1
	ds_bpermute_b32 v2, v2, v1
	s_waitcnt lgkmcnt(0)
	v_add_nc_u32_e32 v1, v2, v1
.LBB456_521:
	s_or_b32 exec_lo, exec_lo, s3
	s_mov_b32 s3, 0
	s_branch .LBB456_574
.LBB456_522:
                                        ; implicit-def: $vgpr1
	s_cbranch_execnz .LBB456_614
	s_branch .LBB456_623
.LBB456_523:
                                        ; implicit-def: $vgpr1
	s_cbranch_execz .LBB456_597
; %bb.524:
	s_cmp_eq_u32 s26, 4
	s_cbranch_scc0 .LBB456_532
; %bb.525:
	s_mov_b32 s19, 0
	s_lshl_b32 s2, s18, 9
	s_mov_b32 s3, s19
	s_lshr_b64 s[6:7], s[20:21], 9
	s_lshl_b64 s[4:5], s[2:3], 2
	s_delay_alu instid0(SALU_CYCLE_1)
	s_add_u32 s4, s24, s4
	s_addc_u32 s5, s25, s5
	s_cmp_lg_u64 s[6:7], s[18:19]
	s_cbranch_scc0 .LBB456_598
; %bb.526:
	v_lshlrev_b32_e32 v1, 2, v0
	s_mov_b32 s3, exec_lo
	s_clause 0x3
	global_load_b32 v2, v1, s[4:5]
	global_load_b32 v3, v1, s[4:5] offset:1024
	global_load_b32 v4, v1, s[4:5] offset:512
	;; [unrolled: 1-line block ×3, first 2 shown]
	s_waitcnt vmcnt(3)
	v_cmp_neq_f32_e32 vcc_lo, 0, v2
	v_cndmask_b32_e64 v2, 0, 1, vcc_lo
	s_waitcnt vmcnt(2)
	v_cmp_neq_f32_e32 vcc_lo, 0, v3
	v_cndmask_b32_e64 v3, 0, 1, vcc_lo
	s_waitcnt vmcnt(1)
	v_cmp_neq_f32_e32 vcc_lo, 0, v4
	v_add_co_ci_u32_e32 v2, vcc_lo, 0, v2, vcc_lo
	s_waitcnt vmcnt(0)
	v_cmp_neq_f32_e32 vcc_lo, 0, v1
	s_delay_alu instid0(VALU_DEP_2) | instskip(NEXT) | instid1(VALU_DEP_1)
	v_add_co_ci_u32_e32 v1, vcc_lo, v2, v3, vcc_lo
	v_mov_b32_dpp v2, v1 quad_perm:[1,0,3,2] row_mask:0xf bank_mask:0xf
	s_delay_alu instid0(VALU_DEP_1) | instskip(NEXT) | instid1(VALU_DEP_1)
	v_add_nc_u32_e32 v1, v1, v2
	v_mov_b32_dpp v2, v1 quad_perm:[2,3,0,1] row_mask:0xf bank_mask:0xf
	s_delay_alu instid0(VALU_DEP_1) | instskip(NEXT) | instid1(VALU_DEP_1)
	v_add_nc_u32_e32 v1, v1, v2
	v_mov_b32_dpp v2, v1 row_ror:4 row_mask:0xf bank_mask:0xf
	s_delay_alu instid0(VALU_DEP_1) | instskip(NEXT) | instid1(VALU_DEP_1)
	v_add_nc_u32_e32 v1, v1, v2
	v_mov_b32_dpp v2, v1 row_ror:8 row_mask:0xf bank_mask:0xf
	s_delay_alu instid0(VALU_DEP_1)
	v_add_nc_u32_e32 v1, v1, v2
	ds_swizzle_b32 v2, v1 offset:swizzle(BROADCAST,32,15)
	s_waitcnt lgkmcnt(0)
	v_dual_mov_b32 v2, 0 :: v_dual_add_nc_u32 v1, v1, v2
	ds_bpermute_b32 v1, v2, v1 offset:124
	v_mbcnt_lo_u32_b32 v2, -1, 0
	s_delay_alu instid0(VALU_DEP_1)
	v_cmpx_eq_u32_e32 0, v2
	s_cbranch_execz .LBB456_528
; %bb.527:
	v_lshrrev_b32_e32 v3, 3, v0
	s_delay_alu instid0(VALU_DEP_1)
	v_and_b32_e32 v3, 12, v3
	s_waitcnt lgkmcnt(0)
	ds_store_b32 v3, v1 offset:80
.LBB456_528:
	s_or_b32 exec_lo, exec_lo, s3
	s_delay_alu instid0(SALU_CYCLE_1)
	s_mov_b32 s3, exec_lo
	s_waitcnt lgkmcnt(0)
	s_barrier
	buffer_gl0_inv
	v_cmpx_gt_u32_e32 32, v0
	s_cbranch_execz .LBB456_530
; %bb.529:
	v_and_b32_e32 v1, 3, v2
	s_delay_alu instid0(VALU_DEP_1) | instskip(SKIP_4) | instid1(VALU_DEP_2)
	v_lshlrev_b32_e32 v3, 2, v1
	v_cmp_ne_u32_e32 vcc_lo, 3, v1
	ds_load_b32 v3, v3 offset:80
	v_add_co_ci_u32_e32 v4, vcc_lo, 0, v2, vcc_lo
	v_cmp_gt_u32_e32 vcc_lo, 2, v1
	v_lshlrev_b32_e32 v4, 2, v4
	v_cndmask_b32_e64 v1, 0, 1, vcc_lo
	s_delay_alu instid0(VALU_DEP_1) | instskip(NEXT) | instid1(VALU_DEP_1)
	v_lshlrev_b32_e32 v1, 1, v1
	v_add_lshl_u32 v1, v1, v2, 2
	s_waitcnt lgkmcnt(0)
	ds_bpermute_b32 v4, v4, v3
	s_waitcnt lgkmcnt(0)
	v_add_nc_u32_e32 v3, v4, v3
	ds_bpermute_b32 v1, v1, v3
	s_waitcnt lgkmcnt(0)
	v_add_nc_u32_e32 v1, v1, v3
.LBB456_530:
	s_or_b32 exec_lo, exec_lo, s3
	s_mov_b32 s3, 0
	s_branch .LBB456_599
.LBB456_531:
                                        ; implicit-def: $vgpr1
	s_branch .LBB456_597
.LBB456_532:
                                        ; implicit-def: $vgpr1
	s_branch .LBB456_623
.LBB456_533:
	s_mov_b32 s3, -1
                                        ; implicit-def: $vgpr1
.LBB456_534:
	s_delay_alu instid0(SALU_CYCLE_1)
	s_and_b32 vcc_lo, exec_lo, s3
	s_cbranch_vccz .LBB456_572
; %bb.535:
	s_sub_i32 s27, s20, s2
	s_mov_b32 s2, exec_lo
                                        ; implicit-def: $vgpr1_vgpr2_vgpr3_vgpr4_vgpr5_vgpr6_vgpr7_vgpr8_vgpr9_vgpr10_vgpr11_vgpr12_vgpr13_vgpr14_vgpr15_vgpr16
	v_cmpx_gt_u32_e64 s27, v0
	s_cbranch_execz .LBB456_537
; %bb.536:
	v_lshlrev_b32_e32 v1, 2, v0
	global_load_b32 v1, v1, s[16:17]
	s_waitcnt vmcnt(0)
	v_cmp_neq_f32_e32 vcc_lo, 0, v1
	v_cndmask_b32_e64 v1, 0, 1, vcc_lo
.LBB456_537:
	s_or_b32 exec_lo, exec_lo, s2
	v_or_b32_e32 v17, 0x80, v0
	s_delay_alu instid0(VALU_DEP_1)
	v_cmp_gt_u32_e32 vcc_lo, s27, v17
	s_and_saveexec_b32 s3, vcc_lo
	s_cbranch_execz .LBB456_539
; %bb.538:
	v_lshlrev_b32_e32 v2, 2, v0
	global_load_b32 v2, v2, s[16:17] offset:512
	s_waitcnt vmcnt(0)
	v_cmp_neq_f32_e64 s2, 0, v2
	s_delay_alu instid0(VALU_DEP_1)
	v_cndmask_b32_e64 v2, 0, 1, s2
.LBB456_539:
	s_or_b32 exec_lo, exec_lo, s3
	v_or_b32_e32 v17, 0x100, v0
	s_delay_alu instid0(VALU_DEP_1) | instskip(NEXT) | instid1(VALU_DEP_1)
	v_cmp_gt_u32_e64 s2, s27, v17
	s_and_saveexec_b32 s4, s2
	s_cbranch_execz .LBB456_541
; %bb.540:
	v_lshlrev_b32_e32 v3, 2, v0
	global_load_b32 v3, v3, s[16:17] offset:1024
	s_waitcnt vmcnt(0)
	v_cmp_neq_f32_e64 s3, 0, v3
	s_delay_alu instid0(VALU_DEP_1)
	v_cndmask_b32_e64 v3, 0, 1, s3
.LBB456_541:
	s_or_b32 exec_lo, exec_lo, s4
	v_or_b32_e32 v17, 0x180, v0
	s_delay_alu instid0(VALU_DEP_1) | instskip(NEXT) | instid1(VALU_DEP_1)
	v_cmp_gt_u32_e64 s3, s27, v17
	s_and_saveexec_b32 s5, s3
	;; [unrolled: 14-line block ×7, first 2 shown]
	s_cbranch_execz .LBB456_553
; %bb.552:
	v_lshlrev_b32_e32 v9, 2, v17
	global_load_b32 v9, v9, s[16:17]
	s_waitcnt vmcnt(0)
	v_cmp_neq_f32_e64 s9, 0, v9
	s_delay_alu instid0(VALU_DEP_1)
	v_cndmask_b32_e64 v9, 0, 1, s9
.LBB456_553:
	s_or_b32 exec_lo, exec_lo, s10
	v_or_b32_e32 v17, 0x480, v0
	s_delay_alu instid0(VALU_DEP_1) | instskip(NEXT) | instid1(VALU_DEP_1)
	v_cmp_gt_u32_e64 s9, s27, v17
	s_and_saveexec_b32 s11, s9
	s_cbranch_execz .LBB456_555
; %bb.554:
	v_lshlrev_b32_e32 v10, 2, v17
	global_load_b32 v10, v10, s[16:17]
	s_waitcnt vmcnt(0)
	v_cmp_neq_f32_e64 s10, 0, v10
	s_delay_alu instid0(VALU_DEP_1)
	v_cndmask_b32_e64 v10, 0, 1, s10
.LBB456_555:
	s_or_b32 exec_lo, exec_lo, s11
	v_or_b32_e32 v17, 0x500, v0
	s_delay_alu instid0(VALU_DEP_1) | instskip(NEXT) | instid1(VALU_DEP_1)
	v_cmp_gt_u32_e64 s10, s27, v17
	s_and_saveexec_b32 s12, s10
	;; [unrolled: 14-line block ×7, first 2 shown]
	s_cbranch_execz .LBB456_567
; %bb.566:
	v_lshlrev_b32_e32 v16, 2, v17
	global_load_b32 v16, v16, s[16:17]
	s_waitcnt vmcnt(0)
	v_cmp_neq_f32_e64 s16, 0, v16
	s_delay_alu instid0(VALU_DEP_1)
	v_cndmask_b32_e64 v16, 0, 1, s16
.LBB456_567:
	s_or_b32 exec_lo, exec_lo, s28
	v_cndmask_b32_e32 v2, 0, v2, vcc_lo
	v_cndmask_b32_e64 v3, 0, v3, s2
	v_cndmask_b32_e64 v4, 0, v4, s3
	s_min_u32 s2, s27, 0x80
	s_mov_b32 s3, exec_lo
	v_add_nc_u32_e32 v1, v2, v1
	v_cndmask_b32_e64 v2, 0, v5, s4
	v_cndmask_b32_e64 v5, 0, v6, s5
	;; [unrolled: 1-line block ×3, first 2 shown]
	s_delay_alu instid0(VALU_DEP_4) | instskip(SKIP_3) | instid1(VALU_DEP_4)
	v_add3_u32 v1, v1, v3, v4
	v_cndmask_b32_e64 v3, 0, v7, s6
	v_cndmask_b32_e64 v4, 0, v8, s7
	v_cndmask_b32_e64 v7, 0, v15, s14
	v_add3_u32 v1, v1, v2, v5
	v_cndmask_b32_e64 v2, 0, v9, s8
	v_cndmask_b32_e64 v5, 0, v10, s9
	s_delay_alu instid0(VALU_DEP_3) | instskip(SKIP_2) | instid1(VALU_DEP_3)
	v_add3_u32 v1, v1, v3, v4
	v_cndmask_b32_e64 v3, 0, v11, s10
	v_cndmask_b32_e64 v4, 0, v12, s11
	v_add3_u32 v1, v1, v2, v5
	v_mbcnt_lo_u32_b32 v2, -1, 0
	v_cndmask_b32_e64 v5, 0, v13, s12
	s_delay_alu instid0(VALU_DEP_3) | instskip(NEXT) | instid1(VALU_DEP_3)
	v_add3_u32 v1, v1, v3, v4
	v_cmp_ne_u32_e32 vcc_lo, 31, v2
	v_cndmask_b32_e64 v3, 0, v16, s15
	s_delay_alu instid0(VALU_DEP_3) | instskip(SKIP_3) | instid1(VALU_DEP_4)
	v_add3_u32 v1, v1, v5, v6
	v_add_co_ci_u32_e32 v4, vcc_lo, 0, v2, vcc_lo
	v_cmp_gt_u32_e32 vcc_lo, 30, v2
	v_add_nc_u32_e32 v6, 1, v2
	v_add3_u32 v1, v1, v7, v3
	s_delay_alu instid0(VALU_DEP_4) | instskip(SKIP_4) | instid1(VALU_DEP_2)
	v_lshlrev_b32_e32 v4, 2, v4
	v_cndmask_b32_e64 v5, 0, 1, vcc_lo
	ds_bpermute_b32 v3, v4, v1
	v_and_b32_e32 v4, 0x60, v0
	v_lshlrev_b32_e32 v5, 1, v5
	v_sub_nc_u32_e64 v4, s2, v4 clamp
	s_delay_alu instid0(VALU_DEP_2) | instskip(NEXT) | instid1(VALU_DEP_2)
	v_add_lshl_u32 v5, v5, v2, 2
	v_cmp_lt_u32_e32 vcc_lo, v6, v4
	s_waitcnt lgkmcnt(0)
	v_dual_cndmask_b32 v3, 0, v3 :: v_dual_add_nc_u32 v6, 2, v2
	v_cmp_gt_u32_e32 vcc_lo, 28, v2
	s_delay_alu instid0(VALU_DEP_2) | instskip(SKIP_4) | instid1(VALU_DEP_3)
	v_add_nc_u32_e32 v1, v1, v3
	ds_bpermute_b32 v3, v5, v1
	v_cndmask_b32_e64 v5, 0, 1, vcc_lo
	v_cmp_lt_u32_e32 vcc_lo, v6, v4
	v_add_nc_u32_e32 v6, 4, v2
	v_lshlrev_b32_e32 v5, 2, v5
	s_delay_alu instid0(VALU_DEP_1) | instskip(SKIP_3) | instid1(VALU_DEP_2)
	v_add_lshl_u32 v5, v5, v2, 2
	s_waitcnt lgkmcnt(0)
	v_cndmask_b32_e32 v3, 0, v3, vcc_lo
	v_cmp_gt_u32_e32 vcc_lo, 24, v2
	v_add_nc_u32_e32 v1, v1, v3
	ds_bpermute_b32 v3, v5, v1
	v_cndmask_b32_e64 v5, 0, 1, vcc_lo
	v_cmp_lt_u32_e32 vcc_lo, v6, v4
	v_add_nc_u32_e32 v6, 8, v2
	s_delay_alu instid0(VALU_DEP_3) | instskip(NEXT) | instid1(VALU_DEP_1)
	v_lshlrev_b32_e32 v5, 3, v5
	v_add_lshl_u32 v5, v5, v2, 2
	s_waitcnt lgkmcnt(0)
	v_cndmask_b32_e32 v3, 0, v3, vcc_lo
	v_cmp_gt_u32_e32 vcc_lo, 16, v2
	s_delay_alu instid0(VALU_DEP_2) | instskip(SKIP_3) | instid1(VALU_DEP_2)
	v_add_nc_u32_e32 v1, v1, v3
	ds_bpermute_b32 v3, v5, v1
	v_cndmask_b32_e64 v5, 0, 1, vcc_lo
	v_cmp_lt_u32_e32 vcc_lo, v6, v4
	v_lshlrev_b32_e32 v5, 4, v5
	s_delay_alu instid0(VALU_DEP_1) | instskip(SKIP_2) | instid1(VALU_DEP_1)
	v_add_lshl_u32 v5, v5, v2, 2
	s_waitcnt lgkmcnt(0)
	v_cndmask_b32_e32 v3, 0, v3, vcc_lo
	v_add_nc_u32_e32 v1, v1, v3
	ds_bpermute_b32 v3, v5, v1
	v_add_nc_u32_e32 v5, 16, v2
	s_delay_alu instid0(VALU_DEP_1) | instskip(SKIP_2) | instid1(VALU_DEP_1)
	v_cmp_lt_u32_e32 vcc_lo, v5, v4
	s_waitcnt lgkmcnt(0)
	v_cndmask_b32_e32 v3, 0, v3, vcc_lo
	v_add_nc_u32_e32 v1, v1, v3
	v_cmpx_eq_u32_e32 0, v2
	s_cbranch_execz .LBB456_569
; %bb.568:
	v_lshrrev_b32_e32 v3, 3, v0
	s_delay_alu instid0(VALU_DEP_1)
	v_and_b32_e32 v3, 12, v3
	ds_store_b32 v3, v1 offset:128
.LBB456_569:
	s_or_b32 exec_lo, exec_lo, s3
	s_delay_alu instid0(SALU_CYCLE_1)
	s_mov_b32 s3, exec_lo
	s_waitcnt lgkmcnt(0)
	s_barrier
	buffer_gl0_inv
	v_cmpx_gt_u32_e32 4, v0
	s_cbranch_execz .LBB456_571
; %bb.570:
	v_and_b32_e32 v3, 3, v2
	s_add_i32 s2, s2, 31
	s_delay_alu instid0(SALU_CYCLE_1) | instskip(NEXT) | instid1(VALU_DEP_1)
	s_lshr_b32 s2, s2, 5
	v_cmp_ne_u32_e32 vcc_lo, 3, v3
	v_add_nc_u32_e32 v5, 1, v3
	v_add_co_ci_u32_e32 v4, vcc_lo, 0, v2, vcc_lo
	v_cmp_gt_u32_e32 vcc_lo, 2, v3
	v_add_nc_u32_e32 v3, 2, v3
	s_delay_alu instid0(VALU_DEP_3) | instskip(SKIP_3) | instid1(VALU_DEP_3)
	v_lshlrev_b32_e32 v4, 2, v4
	v_cndmask_b32_e64 v6, 0, 1, vcc_lo
	v_cmp_gt_u32_e32 vcc_lo, s2, v5
	v_lshlrev_b32_e32 v1, 2, v2
	v_lshlrev_b32_e32 v5, 1, v6
	ds_load_b32 v1, v1 offset:128
	v_add_lshl_u32 v2, v5, v2, 2
	s_waitcnt lgkmcnt(0)
	ds_bpermute_b32 v4, v4, v1
	s_waitcnt lgkmcnt(0)
	v_cndmask_b32_e32 v4, 0, v4, vcc_lo
	v_cmp_gt_u32_e32 vcc_lo, s2, v3
	s_delay_alu instid0(VALU_DEP_2) | instskip(SKIP_3) | instid1(VALU_DEP_1)
	v_add_nc_u32_e32 v1, v4, v1
	ds_bpermute_b32 v2, v2, v1
	s_waitcnt lgkmcnt(0)
	v_cndmask_b32_e32 v2, 0, v2, vcc_lo
	v_add_nc_u32_e32 v1, v1, v2
.LBB456_571:
	s_or_b32 exec_lo, exec_lo, s3
.LBB456_572:
	v_cmp_eq_u32_e64 s2, 0, v0
	s_branch .LBB456_623
.LBB456_573:
	s_mov_b32 s3, -1
                                        ; implicit-def: $vgpr1
.LBB456_574:
	s_delay_alu instid0(SALU_CYCLE_1)
	s_and_b32 vcc_lo, exec_lo, s3
	s_cbranch_vccz .LBB456_596
; %bb.575:
	s_sub_i32 s10, s20, s2
	s_mov_b32 s2, exec_lo
                                        ; implicit-def: $vgpr1_vgpr2_vgpr3_vgpr4_vgpr5_vgpr6_vgpr7_vgpr8
	v_cmpx_gt_u32_e64 s10, v0
	s_cbranch_execz .LBB456_577
; %bb.576:
	v_lshlrev_b32_e32 v1, 2, v0
	global_load_b32 v1, v1, s[8:9]
	s_waitcnt vmcnt(0)
	v_cmp_neq_f32_e32 vcc_lo, 0, v1
	v_cndmask_b32_e64 v1, 0, 1, vcc_lo
.LBB456_577:
	s_or_b32 exec_lo, exec_lo, s2
	v_or_b32_e32 v9, 0x80, v0
	s_delay_alu instid0(VALU_DEP_1)
	v_cmp_gt_u32_e32 vcc_lo, s10, v9
	s_and_saveexec_b32 s3, vcc_lo
	s_cbranch_execz .LBB456_579
; %bb.578:
	v_lshlrev_b32_e32 v2, 2, v0
	global_load_b32 v2, v2, s[8:9] offset:512
	s_waitcnt vmcnt(0)
	v_cmp_neq_f32_e64 s2, 0, v2
	s_delay_alu instid0(VALU_DEP_1)
	v_cndmask_b32_e64 v2, 0, 1, s2
.LBB456_579:
	s_or_b32 exec_lo, exec_lo, s3
	v_or_b32_e32 v9, 0x100, v0
	s_delay_alu instid0(VALU_DEP_1) | instskip(NEXT) | instid1(VALU_DEP_1)
	v_cmp_gt_u32_e64 s2, s10, v9
	s_and_saveexec_b32 s4, s2
	s_cbranch_execz .LBB456_581
; %bb.580:
	v_lshlrev_b32_e32 v3, 2, v0
	global_load_b32 v3, v3, s[8:9] offset:1024
	s_waitcnt vmcnt(0)
	v_cmp_neq_f32_e64 s3, 0, v3
	s_delay_alu instid0(VALU_DEP_1)
	v_cndmask_b32_e64 v3, 0, 1, s3
.LBB456_581:
	s_or_b32 exec_lo, exec_lo, s4
	v_or_b32_e32 v9, 0x180, v0
	s_delay_alu instid0(VALU_DEP_1) | instskip(NEXT) | instid1(VALU_DEP_1)
	v_cmp_gt_u32_e64 s3, s10, v9
	s_and_saveexec_b32 s5, s3
	s_cbranch_execz .LBB456_583
; %bb.582:
	v_lshlrev_b32_e32 v4, 2, v0
	global_load_b32 v4, v4, s[8:9] offset:1536
	s_waitcnt vmcnt(0)
	v_cmp_neq_f32_e64 s4, 0, v4
	s_delay_alu instid0(VALU_DEP_1)
	v_cndmask_b32_e64 v4, 0, 1, s4
.LBB456_583:
	s_or_b32 exec_lo, exec_lo, s5
	v_or_b32_e32 v9, 0x200, v0
	s_delay_alu instid0(VALU_DEP_1) | instskip(NEXT) | instid1(VALU_DEP_1)
	v_cmp_gt_u32_e64 s4, s10, v9
	s_and_saveexec_b32 s6, s4
	s_cbranch_execz .LBB456_585
; %bb.584:
	v_lshlrev_b32_e32 v5, 2, v0
	global_load_b32 v5, v5, s[8:9] offset:2048
	s_waitcnt vmcnt(0)
	v_cmp_neq_f32_e64 s5, 0, v5
	s_delay_alu instid0(VALU_DEP_1)
	v_cndmask_b32_e64 v5, 0, 1, s5
.LBB456_585:
	s_or_b32 exec_lo, exec_lo, s6
	v_or_b32_e32 v9, 0x280, v0
	s_delay_alu instid0(VALU_DEP_1) | instskip(NEXT) | instid1(VALU_DEP_1)
	v_cmp_gt_u32_e64 s5, s10, v9
	s_and_saveexec_b32 s7, s5
	s_cbranch_execz .LBB456_587
; %bb.586:
	v_lshlrev_b32_e32 v6, 2, v0
	global_load_b32 v6, v6, s[8:9] offset:2560
	s_waitcnt vmcnt(0)
	v_cmp_neq_f32_e64 s6, 0, v6
	s_delay_alu instid0(VALU_DEP_1)
	v_cndmask_b32_e64 v6, 0, 1, s6
.LBB456_587:
	s_or_b32 exec_lo, exec_lo, s7
	v_or_b32_e32 v9, 0x300, v0
	s_delay_alu instid0(VALU_DEP_1) | instskip(NEXT) | instid1(VALU_DEP_1)
	v_cmp_gt_u32_e64 s6, s10, v9
	s_and_saveexec_b32 s11, s6
	s_cbranch_execz .LBB456_589
; %bb.588:
	v_lshlrev_b32_e32 v7, 2, v0
	global_load_b32 v7, v7, s[8:9] offset:3072
	s_waitcnt vmcnt(0)
	v_cmp_neq_f32_e64 s7, 0, v7
	s_delay_alu instid0(VALU_DEP_1)
	v_cndmask_b32_e64 v7, 0, 1, s7
.LBB456_589:
	s_or_b32 exec_lo, exec_lo, s11
	v_or_b32_e32 v9, 0x380, v0
	s_delay_alu instid0(VALU_DEP_1) | instskip(NEXT) | instid1(VALU_DEP_1)
	v_cmp_gt_u32_e64 s7, s10, v9
	s_and_saveexec_b32 s11, s7
	s_cbranch_execz .LBB456_591
; %bb.590:
	v_lshlrev_b32_e32 v8, 2, v0
	global_load_b32 v8, v8, s[8:9] offset:3584
	s_waitcnt vmcnt(0)
	v_cmp_neq_f32_e64 s8, 0, v8
	s_delay_alu instid0(VALU_DEP_1)
	v_cndmask_b32_e64 v8, 0, 1, s8
.LBB456_591:
	s_or_b32 exec_lo, exec_lo, s11
	v_cndmask_b32_e32 v2, 0, v2, vcc_lo
	v_cndmask_b32_e64 v3, 0, v3, s2
	v_cndmask_b32_e64 v4, 0, v4, s3
	;; [unrolled: 1-line block ×4, first 2 shown]
	v_add_nc_u32_e32 v1, v2, v1
	v_mbcnt_lo_u32_b32 v2, -1, 0
	v_cndmask_b32_e64 v7, 0, v7, s6
	s_min_u32 s2, s10, 0x80
	s_mov_b32 s3, exec_lo
	v_add3_u32 v1, v1, v3, v4
	v_cmp_ne_u32_e32 vcc_lo, 31, v2
	v_cndmask_b32_e64 v3, 0, v8, s7
	s_delay_alu instid0(VALU_DEP_3) | instskip(SKIP_3) | instid1(VALU_DEP_4)
	v_add3_u32 v1, v1, v5, v6
	v_add_co_ci_u32_e32 v4, vcc_lo, 0, v2, vcc_lo
	v_cmp_gt_u32_e32 vcc_lo, 30, v2
	v_add_nc_u32_e32 v6, 1, v2
	v_add3_u32 v1, v1, v7, v3
	s_delay_alu instid0(VALU_DEP_4) | instskip(SKIP_4) | instid1(VALU_DEP_2)
	v_lshlrev_b32_e32 v4, 2, v4
	v_cndmask_b32_e64 v5, 0, 1, vcc_lo
	ds_bpermute_b32 v3, v4, v1
	v_and_b32_e32 v4, 0x60, v0
	v_lshlrev_b32_e32 v5, 1, v5
	v_sub_nc_u32_e64 v4, s2, v4 clamp
	s_delay_alu instid0(VALU_DEP_2) | instskip(NEXT) | instid1(VALU_DEP_2)
	v_add_lshl_u32 v5, v5, v2, 2
	v_cmp_lt_u32_e32 vcc_lo, v6, v4
	s_waitcnt lgkmcnt(0)
	v_dual_cndmask_b32 v3, 0, v3 :: v_dual_add_nc_u32 v6, 2, v2
	v_cmp_gt_u32_e32 vcc_lo, 28, v2
	s_delay_alu instid0(VALU_DEP_2) | instskip(SKIP_4) | instid1(VALU_DEP_3)
	v_add_nc_u32_e32 v1, v1, v3
	ds_bpermute_b32 v3, v5, v1
	v_cndmask_b32_e64 v5, 0, 1, vcc_lo
	v_cmp_lt_u32_e32 vcc_lo, v6, v4
	v_add_nc_u32_e32 v6, 4, v2
	v_lshlrev_b32_e32 v5, 2, v5
	s_delay_alu instid0(VALU_DEP_1) | instskip(SKIP_3) | instid1(VALU_DEP_2)
	v_add_lshl_u32 v5, v5, v2, 2
	s_waitcnt lgkmcnt(0)
	v_cndmask_b32_e32 v3, 0, v3, vcc_lo
	v_cmp_gt_u32_e32 vcc_lo, 24, v2
	v_add_nc_u32_e32 v1, v1, v3
	ds_bpermute_b32 v3, v5, v1
	v_cndmask_b32_e64 v5, 0, 1, vcc_lo
	v_cmp_lt_u32_e32 vcc_lo, v6, v4
	v_add_nc_u32_e32 v6, 8, v2
	s_delay_alu instid0(VALU_DEP_3) | instskip(NEXT) | instid1(VALU_DEP_1)
	v_lshlrev_b32_e32 v5, 3, v5
	v_add_lshl_u32 v5, v5, v2, 2
	s_waitcnt lgkmcnt(0)
	v_cndmask_b32_e32 v3, 0, v3, vcc_lo
	v_cmp_gt_u32_e32 vcc_lo, 16, v2
	s_delay_alu instid0(VALU_DEP_2) | instskip(SKIP_3) | instid1(VALU_DEP_2)
	v_add_nc_u32_e32 v1, v1, v3
	ds_bpermute_b32 v3, v5, v1
	v_cndmask_b32_e64 v5, 0, 1, vcc_lo
	v_cmp_lt_u32_e32 vcc_lo, v6, v4
	v_lshlrev_b32_e32 v5, 4, v5
	s_delay_alu instid0(VALU_DEP_1) | instskip(SKIP_2) | instid1(VALU_DEP_1)
	v_add_lshl_u32 v5, v5, v2, 2
	s_waitcnt lgkmcnt(0)
	v_cndmask_b32_e32 v3, 0, v3, vcc_lo
	v_add_nc_u32_e32 v1, v1, v3
	ds_bpermute_b32 v3, v5, v1
	v_add_nc_u32_e32 v5, 16, v2
	s_delay_alu instid0(VALU_DEP_1) | instskip(SKIP_2) | instid1(VALU_DEP_1)
	v_cmp_lt_u32_e32 vcc_lo, v5, v4
	s_waitcnt lgkmcnt(0)
	v_cndmask_b32_e32 v3, 0, v3, vcc_lo
	v_add_nc_u32_e32 v1, v1, v3
	v_cmpx_eq_u32_e32 0, v2
	s_cbranch_execz .LBB456_593
; %bb.592:
	v_lshrrev_b32_e32 v3, 3, v0
	s_delay_alu instid0(VALU_DEP_1)
	v_and_b32_e32 v3, 12, v3
	ds_store_b32 v3, v1 offset:128
.LBB456_593:
	s_or_b32 exec_lo, exec_lo, s3
	s_delay_alu instid0(SALU_CYCLE_1)
	s_mov_b32 s3, exec_lo
	s_waitcnt lgkmcnt(0)
	s_barrier
	buffer_gl0_inv
	v_cmpx_gt_u32_e32 4, v0
	s_cbranch_execz .LBB456_595
; %bb.594:
	v_and_b32_e32 v3, 3, v2
	s_add_i32 s2, s2, 31
	s_delay_alu instid0(SALU_CYCLE_1) | instskip(NEXT) | instid1(VALU_DEP_1)
	s_lshr_b32 s2, s2, 5
	v_cmp_ne_u32_e32 vcc_lo, 3, v3
	v_add_nc_u32_e32 v5, 1, v3
	v_add_co_ci_u32_e32 v4, vcc_lo, 0, v2, vcc_lo
	v_cmp_gt_u32_e32 vcc_lo, 2, v3
	v_add_nc_u32_e32 v3, 2, v3
	s_delay_alu instid0(VALU_DEP_3) | instskip(SKIP_3) | instid1(VALU_DEP_3)
	v_lshlrev_b32_e32 v4, 2, v4
	v_cndmask_b32_e64 v6, 0, 1, vcc_lo
	v_cmp_gt_u32_e32 vcc_lo, s2, v5
	v_lshlrev_b32_e32 v1, 2, v2
	v_lshlrev_b32_e32 v5, 1, v6
	ds_load_b32 v1, v1 offset:128
	v_add_lshl_u32 v2, v5, v2, 2
	s_waitcnt lgkmcnt(0)
	ds_bpermute_b32 v4, v4, v1
	s_waitcnt lgkmcnt(0)
	v_cndmask_b32_e32 v4, 0, v4, vcc_lo
	v_cmp_gt_u32_e32 vcc_lo, s2, v3
	s_delay_alu instid0(VALU_DEP_2) | instskip(SKIP_3) | instid1(VALU_DEP_1)
	v_add_nc_u32_e32 v1, v4, v1
	ds_bpermute_b32 v2, v2, v1
	s_waitcnt lgkmcnt(0)
	v_cndmask_b32_e32 v2, 0, v2, vcc_lo
	v_add_nc_u32_e32 v1, v1, v2
.LBB456_595:
	s_or_b32 exec_lo, exec_lo, s3
.LBB456_596:
	v_cmp_eq_u32_e64 s2, 0, v0
.LBB456_597:
	s_branch .LBB456_623
.LBB456_598:
	s_mov_b32 s3, -1
                                        ; implicit-def: $vgpr1
.LBB456_599:
	s_delay_alu instid0(SALU_CYCLE_1)
	s_and_b32 vcc_lo, exec_lo, s3
	s_cbranch_vccz .LBB456_613
; %bb.600:
	s_sub_i32 s6, s20, s2
	s_mov_b32 s2, exec_lo
                                        ; implicit-def: $vgpr1_vgpr2_vgpr3_vgpr4
	v_cmpx_gt_u32_e64 s6, v0
	s_cbranch_execz .LBB456_602
; %bb.601:
	v_lshlrev_b32_e32 v1, 2, v0
	global_load_b32 v1, v1, s[4:5]
	s_waitcnt vmcnt(0)
	v_cmp_neq_f32_e32 vcc_lo, 0, v1
	v_cndmask_b32_e64 v1, 0, 1, vcc_lo
.LBB456_602:
	s_or_b32 exec_lo, exec_lo, s2
	v_or_b32_e32 v5, 0x80, v0
	s_delay_alu instid0(VALU_DEP_1)
	v_cmp_gt_u32_e32 vcc_lo, s6, v5
	s_and_saveexec_b32 s3, vcc_lo
	s_cbranch_execz .LBB456_604
; %bb.603:
	v_lshlrev_b32_e32 v2, 2, v0
	global_load_b32 v2, v2, s[4:5] offset:512
	s_waitcnt vmcnt(0)
	v_cmp_neq_f32_e64 s2, 0, v2
	s_delay_alu instid0(VALU_DEP_1)
	v_cndmask_b32_e64 v2, 0, 1, s2
.LBB456_604:
	s_or_b32 exec_lo, exec_lo, s3
	v_or_b32_e32 v5, 0x100, v0
	s_delay_alu instid0(VALU_DEP_1) | instskip(NEXT) | instid1(VALU_DEP_1)
	v_cmp_gt_u32_e64 s2, s6, v5
	s_and_saveexec_b32 s7, s2
	s_cbranch_execz .LBB456_606
; %bb.605:
	v_lshlrev_b32_e32 v3, 2, v0
	global_load_b32 v3, v3, s[4:5] offset:1024
	s_waitcnt vmcnt(0)
	v_cmp_neq_f32_e64 s3, 0, v3
	s_delay_alu instid0(VALU_DEP_1)
	v_cndmask_b32_e64 v3, 0, 1, s3
.LBB456_606:
	s_or_b32 exec_lo, exec_lo, s7
	v_or_b32_e32 v5, 0x180, v0
	s_delay_alu instid0(VALU_DEP_1) | instskip(NEXT) | instid1(VALU_DEP_1)
	v_cmp_gt_u32_e64 s3, s6, v5
	s_and_saveexec_b32 s7, s3
	s_cbranch_execz .LBB456_608
; %bb.607:
	v_lshlrev_b32_e32 v4, 2, v0
	global_load_b32 v4, v4, s[4:5] offset:1536
	s_waitcnt vmcnt(0)
	v_cmp_neq_f32_e64 s4, 0, v4
	s_delay_alu instid0(VALU_DEP_1)
	v_cndmask_b32_e64 v4, 0, 1, s4
.LBB456_608:
	s_or_b32 exec_lo, exec_lo, s7
	v_cndmask_b32_e32 v5, 0, v2, vcc_lo
	v_mbcnt_lo_u32_b32 v2, -1, 0
	v_cndmask_b32_e64 v3, 0, v3, s2
	v_cndmask_b32_e64 v4, 0, v4, s3
	s_min_u32 s2, s6, 0x80
	v_add_nc_u32_e32 v1, v5, v1
	v_cmp_ne_u32_e32 vcc_lo, 31, v2
	s_mov_b32 s3, exec_lo
	s_delay_alu instid0(VALU_DEP_2) | instskip(SKIP_3) | instid1(VALU_DEP_3)
	v_add3_u32 v1, v1, v3, v4
	v_and_b32_e32 v4, 0x60, v0
	v_add_co_ci_u32_e32 v5, vcc_lo, 0, v2, vcc_lo
	v_cmp_gt_u32_e32 vcc_lo, 30, v2
	v_sub_nc_u32_e64 v4, s2, v4 clamp
	s_delay_alu instid0(VALU_DEP_3) | instskip(SKIP_4) | instid1(VALU_DEP_2)
	v_lshlrev_b32_e32 v3, 2, v5
	v_cndmask_b32_e64 v5, 0, 1, vcc_lo
	ds_bpermute_b32 v3, v3, v1
	v_add_nc_u32_e32 v6, 1, v2
	v_lshlrev_b32_e32 v5, 1, v5
	v_cmp_lt_u32_e32 vcc_lo, v6, v4
	s_delay_alu instid0(VALU_DEP_2) | instskip(SKIP_3) | instid1(VALU_DEP_2)
	v_add_lshl_u32 v5, v5, v2, 2
	s_waitcnt lgkmcnt(0)
	v_cndmask_b32_e32 v3, 0, v3, vcc_lo
	v_cmp_gt_u32_e32 vcc_lo, 28, v2
	v_add_nc_u32_e32 v1, v3, v1
	ds_bpermute_b32 v3, v5, v1
	v_add_nc_u32_e32 v6, 2, v2
	v_cndmask_b32_e64 v5, 0, 1, vcc_lo
	s_delay_alu instid0(VALU_DEP_2) | instskip(NEXT) | instid1(VALU_DEP_2)
	v_cmp_lt_u32_e32 vcc_lo, v6, v4
	v_lshlrev_b32_e32 v5, 2, v5
	s_delay_alu instid0(VALU_DEP_1) | instskip(SKIP_3) | instid1(VALU_DEP_2)
	v_add_lshl_u32 v5, v5, v2, 2
	s_waitcnt lgkmcnt(0)
	v_cndmask_b32_e32 v3, 0, v3, vcc_lo
	v_cmp_gt_u32_e32 vcc_lo, 24, v2
	v_add_nc_u32_e32 v1, v1, v3
	ds_bpermute_b32 v3, v5, v1
	v_add_nc_u32_e32 v6, 4, v2
	v_cndmask_b32_e64 v5, 0, 1, vcc_lo
	s_delay_alu instid0(VALU_DEP_2) | instskip(NEXT) | instid1(VALU_DEP_2)
	v_cmp_lt_u32_e32 vcc_lo, v6, v4
	v_lshlrev_b32_e32 v5, 3, v5
	s_delay_alu instid0(VALU_DEP_1) | instskip(SKIP_3) | instid1(VALU_DEP_2)
	v_add_lshl_u32 v5, v5, v2, 2
	s_waitcnt lgkmcnt(0)
	v_cndmask_b32_e32 v3, 0, v3, vcc_lo
	v_cmp_gt_u32_e32 vcc_lo, 16, v2
	v_add_nc_u32_e32 v1, v1, v3
	ds_bpermute_b32 v3, v5, v1
	v_add_nc_u32_e32 v6, 8, v2
	v_cndmask_b32_e64 v5, 0, 1, vcc_lo
	s_delay_alu instid0(VALU_DEP_2) | instskip(NEXT) | instid1(VALU_DEP_2)
	v_cmp_lt_u32_e32 vcc_lo, v6, v4
	v_lshlrev_b32_e32 v5, 4, v5
	s_delay_alu instid0(VALU_DEP_1) | instskip(SKIP_2) | instid1(VALU_DEP_1)
	v_add_lshl_u32 v5, v5, v2, 2
	s_waitcnt lgkmcnt(0)
	v_cndmask_b32_e32 v3, 0, v3, vcc_lo
	v_add_nc_u32_e32 v1, v1, v3
	ds_bpermute_b32 v3, v5, v1
	v_add_nc_u32_e32 v5, 16, v2
	s_delay_alu instid0(VALU_DEP_1) | instskip(SKIP_2) | instid1(VALU_DEP_1)
	v_cmp_lt_u32_e32 vcc_lo, v5, v4
	s_waitcnt lgkmcnt(0)
	v_cndmask_b32_e32 v3, 0, v3, vcc_lo
	v_add_nc_u32_e32 v1, v1, v3
	v_cmpx_eq_u32_e32 0, v2
	s_cbranch_execz .LBB456_610
; %bb.609:
	v_lshrrev_b32_e32 v3, 3, v0
	s_delay_alu instid0(VALU_DEP_1)
	v_and_b32_e32 v3, 12, v3
	ds_store_b32 v3, v1 offset:128
.LBB456_610:
	s_or_b32 exec_lo, exec_lo, s3
	s_delay_alu instid0(SALU_CYCLE_1)
	s_mov_b32 s3, exec_lo
	s_waitcnt lgkmcnt(0)
	s_barrier
	buffer_gl0_inv
	v_cmpx_gt_u32_e32 4, v0
	s_cbranch_execz .LBB456_612
; %bb.611:
	v_and_b32_e32 v3, 3, v2
	s_add_i32 s2, s2, 31
	s_delay_alu instid0(SALU_CYCLE_1) | instskip(NEXT) | instid1(VALU_DEP_1)
	s_lshr_b32 s2, s2, 5
	v_cmp_ne_u32_e32 vcc_lo, 3, v3
	v_add_nc_u32_e32 v5, 1, v3
	v_add_co_ci_u32_e32 v4, vcc_lo, 0, v2, vcc_lo
	v_cmp_gt_u32_e32 vcc_lo, 2, v3
	v_add_nc_u32_e32 v3, 2, v3
	s_delay_alu instid0(VALU_DEP_3) | instskip(SKIP_3) | instid1(VALU_DEP_3)
	v_lshlrev_b32_e32 v4, 2, v4
	v_cndmask_b32_e64 v6, 0, 1, vcc_lo
	v_cmp_gt_u32_e32 vcc_lo, s2, v5
	v_lshlrev_b32_e32 v1, 2, v2
	v_lshlrev_b32_e32 v5, 1, v6
	ds_load_b32 v1, v1 offset:128
	v_add_lshl_u32 v2, v5, v2, 2
	s_waitcnt lgkmcnt(0)
	ds_bpermute_b32 v4, v4, v1
	s_waitcnt lgkmcnt(0)
	v_cndmask_b32_e32 v4, 0, v4, vcc_lo
	v_cmp_gt_u32_e32 vcc_lo, s2, v3
	s_delay_alu instid0(VALU_DEP_2) | instskip(SKIP_3) | instid1(VALU_DEP_1)
	v_add_nc_u32_e32 v1, v4, v1
	ds_bpermute_b32 v2, v2, v1
	s_waitcnt lgkmcnt(0)
	v_cndmask_b32_e32 v2, 0, v2, vcc_lo
	v_add_nc_u32_e32 v1, v1, v2
.LBB456_612:
	s_or_b32 exec_lo, exec_lo, s3
.LBB456_613:
	v_cmp_eq_u32_e64 s2, 0, v0
	s_branch .LBB456_623
.LBB456_614:
	s_cmp_gt_i32 s26, 1
	s_cbranch_scc0 .LBB456_622
; %bb.615:
	s_cmp_eq_u32 s26, 2
	s_cbranch_scc0 .LBB456_626
; %bb.616:
	s_mov_b32 s19, 0
	s_lshl_b32 s6, s18, 8
	s_mov_b32 s7, s19
	s_lshr_b64 s[8:9], s[20:21], 8
	s_lshl_b64 s[2:3], s[6:7], 2
	s_delay_alu instid0(SALU_CYCLE_1)
	s_add_u32 s4, s24, s2
	s_addc_u32 s5, s25, s3
	s_cmp_lg_u64 s[8:9], s[18:19]
	s_cbranch_scc0 .LBB456_627
; %bb.617:
	v_lshlrev_b32_e32 v1, 2, v0
	s_clause 0x1
	global_load_b32 v2, v1, s[4:5]
	global_load_b32 v1, v1, s[4:5] offset:512
	s_waitcnt vmcnt(1)
	v_cmp_neq_f32_e32 vcc_lo, 0, v2
	v_cndmask_b32_e64 v2, 0, 1, vcc_lo
	s_waitcnt vmcnt(0)
	v_cmp_neq_f32_e32 vcc_lo, 0, v1
	s_delay_alu instid0(VALU_DEP_2) | instskip(SKIP_1) | instid1(VALU_DEP_1)
	v_add_co_ci_u32_e64 v1, s2, 0, v2, vcc_lo
	s_mov_b32 s2, exec_lo
	v_mov_b32_dpp v1, v1 quad_perm:[1,0,3,2] row_mask:0xf bank_mask:0xf
	s_delay_alu instid0(VALU_DEP_1) | instskip(NEXT) | instid1(VALU_DEP_1)
	v_add_co_ci_u32_e32 v1, vcc_lo, v1, v2, vcc_lo
	v_mov_b32_dpp v2, v1 quad_perm:[2,3,0,1] row_mask:0xf bank_mask:0xf
	s_delay_alu instid0(VALU_DEP_1) | instskip(NEXT) | instid1(VALU_DEP_1)
	v_add_nc_u32_e32 v1, v1, v2
	v_mov_b32_dpp v2, v1 row_ror:4 row_mask:0xf bank_mask:0xf
	s_delay_alu instid0(VALU_DEP_1) | instskip(NEXT) | instid1(VALU_DEP_1)
	v_add_nc_u32_e32 v1, v1, v2
	v_mov_b32_dpp v2, v1 row_ror:8 row_mask:0xf bank_mask:0xf
	s_delay_alu instid0(VALU_DEP_1)
	v_add_nc_u32_e32 v1, v1, v2
	ds_swizzle_b32 v2, v1 offset:swizzle(BROADCAST,32,15)
	s_waitcnt lgkmcnt(0)
	v_dual_mov_b32 v2, 0 :: v_dual_add_nc_u32 v1, v1, v2
	ds_bpermute_b32 v1, v2, v1 offset:124
	v_mbcnt_lo_u32_b32 v2, -1, 0
	s_delay_alu instid0(VALU_DEP_1)
	v_cmpx_eq_u32_e32 0, v2
	s_cbranch_execz .LBB456_619
; %bb.618:
	v_lshrrev_b32_e32 v3, 3, v0
	s_delay_alu instid0(VALU_DEP_1)
	v_and_b32_e32 v3, 12, v3
	s_waitcnt lgkmcnt(0)
	ds_store_b32 v3, v1 offset:48
.LBB456_619:
	s_or_b32 exec_lo, exec_lo, s2
	s_delay_alu instid0(SALU_CYCLE_1)
	s_mov_b32 s2, exec_lo
	s_waitcnt lgkmcnt(0)
	s_barrier
	buffer_gl0_inv
	v_cmpx_gt_u32_e32 32, v0
	s_cbranch_execz .LBB456_621
; %bb.620:
	v_and_b32_e32 v1, 3, v2
	s_delay_alu instid0(VALU_DEP_1) | instskip(SKIP_4) | instid1(VALU_DEP_2)
	v_lshlrev_b32_e32 v3, 2, v1
	v_cmp_ne_u32_e32 vcc_lo, 3, v1
	ds_load_b32 v3, v3 offset:48
	v_add_co_ci_u32_e32 v4, vcc_lo, 0, v2, vcc_lo
	v_cmp_gt_u32_e32 vcc_lo, 2, v1
	v_lshlrev_b32_e32 v4, 2, v4
	v_cndmask_b32_e64 v1, 0, 1, vcc_lo
	s_delay_alu instid0(VALU_DEP_1) | instskip(NEXT) | instid1(VALU_DEP_1)
	v_lshlrev_b32_e32 v1, 1, v1
	v_add_lshl_u32 v1, v1, v2, 2
	s_waitcnt lgkmcnt(0)
	ds_bpermute_b32 v4, v4, v3
	s_waitcnt lgkmcnt(0)
	v_add_nc_u32_e32 v3, v4, v3
	ds_bpermute_b32 v1, v1, v3
	s_waitcnt lgkmcnt(0)
	v_add_nc_u32_e32 v1, v1, v3
.LBB456_621:
	s_or_b32 exec_lo, exec_lo, s2
	s_mov_b32 s2, 0
	s_branch .LBB456_628
.LBB456_622:
                                        ; implicit-def: $vgpr1
	s_cbranch_execnz .LBB456_639
.LBB456_623:
	s_delay_alu instid0(VALU_DEP_1)
	s_and_saveexec_b32 s3, s2
	s_cbranch_execz .LBB456_625
.LBB456_624:
	s_load_b32 s2, s[0:1], 0x28
	s_cmp_lg_u64 s[20:21], 0
	s_cselect_b32 vcc_lo, -1, 0
	s_lshl_b64 s[0:1], s[18:19], 2
	v_dual_cndmask_b32 v0, 0, v1 :: v_dual_mov_b32 v1, 0
	s_add_u32 s0, s22, s0
	s_addc_u32 s1, s23, s1
	s_waitcnt lgkmcnt(0)
	s_delay_alu instid0(VALU_DEP_1)
	v_add_nc_u32_e32 v0, s2, v0
	global_store_b32 v1, v0, s[0:1]
.LBB456_625:
	s_nop 0
	s_sendmsg sendmsg(MSG_DEALLOC_VGPRS)
	s_endpgm
.LBB456_626:
                                        ; implicit-def: $vgpr1
	s_branch .LBB456_623
.LBB456_627:
	s_mov_b32 s2, -1
                                        ; implicit-def: $vgpr1
.LBB456_628:
	s_delay_alu instid0(SALU_CYCLE_1)
	s_and_b32 vcc_lo, exec_lo, s2
	s_cbranch_vccz .LBB456_638
; %bb.629:
	s_sub_i32 s3, s20, s6
	s_mov_b32 s2, exec_lo
                                        ; implicit-def: $vgpr1_vgpr2
	v_cmpx_gt_u32_e64 s3, v0
	s_cbranch_execz .LBB456_631
; %bb.630:
	v_lshlrev_b32_e32 v1, 2, v0
	global_load_b32 v1, v1, s[4:5]
	s_waitcnt vmcnt(0)
	v_cmp_neq_f32_e32 vcc_lo, 0, v1
	v_cndmask_b32_e64 v1, 0, 1, vcc_lo
.LBB456_631:
	s_or_b32 exec_lo, exec_lo, s2
	v_or_b32_e32 v3, 0x80, v0
	s_delay_alu instid0(VALU_DEP_1)
	v_cmp_gt_u32_e32 vcc_lo, s3, v3
	s_and_saveexec_b32 s6, vcc_lo
	s_cbranch_execz .LBB456_633
; %bb.632:
	v_lshlrev_b32_e32 v2, 2, v0
	global_load_b32 v2, v2, s[4:5] offset:512
	s_waitcnt vmcnt(0)
	v_cmp_neq_f32_e64 s2, 0, v2
	s_delay_alu instid0(VALU_DEP_1)
	v_cndmask_b32_e64 v2, 0, 1, s2
.LBB456_633:
	s_or_b32 exec_lo, exec_lo, s6
	v_mbcnt_lo_u32_b32 v3, -1, 0
	s_delay_alu instid0(VALU_DEP_2) | instskip(SKIP_2) | instid1(VALU_DEP_2)
	v_cndmask_b32_e32 v2, 0, v2, vcc_lo
	s_min_u32 s2, s3, 0x80
	s_mov_b32 s3, exec_lo
	v_cmp_ne_u32_e32 vcc_lo, 31, v3
	v_add_nc_u32_e32 v6, 1, v3
	v_add_co_ci_u32_e32 v4, vcc_lo, 0, v3, vcc_lo
	v_cmp_gt_u32_e32 vcc_lo, 30, v3
	v_cndmask_b32_e64 v5, 0, 1, vcc_lo
	s_delay_alu instid0(VALU_DEP_1) | instskip(SKIP_3) | instid1(VALU_DEP_4)
	v_lshlrev_b32_e32 v5, 1, v5
	v_add_nc_u32_e32 v1, v2, v1
	v_lshlrev_b32_e32 v2, 2, v4
	v_and_b32_e32 v4, 0x60, v0
	v_add_lshl_u32 v5, v5, v3, 2
	ds_bpermute_b32 v2, v2, v1
	v_sub_nc_u32_e64 v4, s2, v4 clamp
	s_delay_alu instid0(VALU_DEP_1) | instskip(SKIP_4) | instid1(VALU_DEP_2)
	v_cmp_lt_u32_e32 vcc_lo, v6, v4
	v_add_nc_u32_e32 v6, 2, v3
	s_waitcnt lgkmcnt(0)
	v_cndmask_b32_e32 v2, 0, v2, vcc_lo
	v_cmp_gt_u32_e32 vcc_lo, 28, v3
	v_add_nc_u32_e32 v1, v2, v1
	ds_bpermute_b32 v2, v5, v1
	v_cndmask_b32_e64 v5, 0, 1, vcc_lo
	v_cmp_lt_u32_e32 vcc_lo, v6, v4
	v_add_nc_u32_e32 v6, 4, v3
	s_delay_alu instid0(VALU_DEP_3) | instskip(NEXT) | instid1(VALU_DEP_1)
	v_lshlrev_b32_e32 v5, 2, v5
	v_add_lshl_u32 v5, v5, v3, 2
	s_waitcnt lgkmcnt(0)
	v_cndmask_b32_e32 v2, 0, v2, vcc_lo
	v_cmp_gt_u32_e32 vcc_lo, 24, v3
	s_delay_alu instid0(VALU_DEP_2) | instskip(SKIP_4) | instid1(VALU_DEP_3)
	v_add_nc_u32_e32 v1, v1, v2
	ds_bpermute_b32 v2, v5, v1
	v_cndmask_b32_e64 v5, 0, 1, vcc_lo
	v_cmp_lt_u32_e32 vcc_lo, v6, v4
	v_add_nc_u32_e32 v6, 8, v3
	v_lshlrev_b32_e32 v5, 3, v5
	s_delay_alu instid0(VALU_DEP_1) | instskip(SKIP_3) | instid1(VALU_DEP_2)
	v_add_lshl_u32 v5, v5, v3, 2
	s_waitcnt lgkmcnt(0)
	v_cndmask_b32_e32 v2, 0, v2, vcc_lo
	v_cmp_gt_u32_e32 vcc_lo, 16, v3
	v_add_nc_u32_e32 v1, v1, v2
	ds_bpermute_b32 v2, v5, v1
	v_cndmask_b32_e64 v5, 0, 1, vcc_lo
	v_cmp_lt_u32_e32 vcc_lo, v6, v4
	s_delay_alu instid0(VALU_DEP_2) | instskip(NEXT) | instid1(VALU_DEP_1)
	v_lshlrev_b32_e32 v5, 4, v5
	v_add_lshl_u32 v5, v5, v3, 2
	s_waitcnt lgkmcnt(0)
	v_cndmask_b32_e32 v2, 0, v2, vcc_lo
	s_delay_alu instid0(VALU_DEP_1) | instskip(SKIP_2) | instid1(VALU_DEP_1)
	v_add_nc_u32_e32 v1, v1, v2
	ds_bpermute_b32 v2, v5, v1
	v_add_nc_u32_e32 v5, 16, v3
	v_cmp_lt_u32_e32 vcc_lo, v5, v4
	s_waitcnt lgkmcnt(0)
	v_cndmask_b32_e32 v2, 0, v2, vcc_lo
	s_delay_alu instid0(VALU_DEP_1)
	v_add_nc_u32_e32 v1, v1, v2
	v_cmpx_eq_u32_e32 0, v3
	s_cbranch_execz .LBB456_635
; %bb.634:
	v_lshrrev_b32_e32 v2, 3, v0
	s_delay_alu instid0(VALU_DEP_1)
	v_and_b32_e32 v2, 12, v2
	ds_store_b32 v2, v1 offset:128
.LBB456_635:
	s_or_b32 exec_lo, exec_lo, s3
	s_delay_alu instid0(SALU_CYCLE_1)
	s_mov_b32 s3, exec_lo
	s_waitcnt lgkmcnt(0)
	s_barrier
	buffer_gl0_inv
	v_cmpx_gt_u32_e32 4, v0
	s_cbranch_execz .LBB456_637
; %bb.636:
	v_and_b32_e32 v2, 3, v3
	s_add_i32 s2, s2, 31
	s_delay_alu instid0(SALU_CYCLE_1) | instskip(NEXT) | instid1(VALU_DEP_1)
	s_lshr_b32 s2, s2, 5
	v_cmp_ne_u32_e32 vcc_lo, 3, v2
	v_add_nc_u32_e32 v5, 1, v2
	v_add_co_ci_u32_e32 v4, vcc_lo, 0, v3, vcc_lo
	v_cmp_gt_u32_e32 vcc_lo, 2, v2
	v_add_nc_u32_e32 v2, 2, v2
	s_delay_alu instid0(VALU_DEP_3) | instskip(SKIP_3) | instid1(VALU_DEP_3)
	v_lshlrev_b32_e32 v4, 2, v4
	v_cndmask_b32_e64 v6, 0, 1, vcc_lo
	v_cmp_gt_u32_e32 vcc_lo, s2, v5
	v_lshlrev_b32_e32 v1, 2, v3
	v_lshlrev_b32_e32 v5, 1, v6
	ds_load_b32 v1, v1 offset:128
	v_add_lshl_u32 v3, v5, v3, 2
	s_waitcnt lgkmcnt(0)
	ds_bpermute_b32 v4, v4, v1
	s_waitcnt lgkmcnt(0)
	v_cndmask_b32_e32 v4, 0, v4, vcc_lo
	v_cmp_gt_u32_e32 vcc_lo, s2, v2
	s_delay_alu instid0(VALU_DEP_2) | instskip(SKIP_3) | instid1(VALU_DEP_1)
	v_add_nc_u32_e32 v1, v4, v1
	ds_bpermute_b32 v3, v3, v1
	s_waitcnt lgkmcnt(0)
	v_cndmask_b32_e32 v2, 0, v3, vcc_lo
	v_add_nc_u32_e32 v1, v1, v2
.LBB456_637:
	s_or_b32 exec_lo, exec_lo, s3
.LBB456_638:
	v_cmp_eq_u32_e64 s2, 0, v0
	s_branch .LBB456_623
.LBB456_639:
	s_cmp_eq_u32 s26, 1
	s_cbranch_scc0 .LBB456_647
; %bb.640:
	s_mov_b32 s5, 0
	v_mbcnt_lo_u32_b32 v2, -1, 0
	s_lshr_b64 s[2:3], s[20:21], 7
	s_mov_b32 s19, s5
	s_lshl_b32 s4, s18, 7
	s_cmp_lg_u64 s[2:3], s[18:19]
	s_cbranch_scc0 .LBB456_648
; %bb.641:
	s_lshl_b64 s[2:3], s[4:5], 2
	v_lshlrev_b32_e32 v1, 2, v0
	s_add_u32 s2, s24, s2
	s_addc_u32 s3, s25, s3
	global_load_b32 v1, v1, s[2:3]
	s_waitcnt vmcnt(0)
	v_cmp_neq_f32_e32 vcc_lo, 0, v1
	v_cndmask_b32_e64 v1, 0, 1, vcc_lo
	s_delay_alu instid0(VALU_DEP_1) | instskip(NEXT) | instid1(VALU_DEP_1)
	v_mov_b32_dpp v1, v1 quad_perm:[1,0,3,2] row_mask:0xf bank_mask:0xf
	v_add_co_ci_u32_e64 v3, s2, 0, v1, vcc_lo
	s_mov_b32 s2, exec_lo
	s_delay_alu instid0(VALU_DEP_1) | instskip(NEXT) | instid1(VALU_DEP_1)
	v_mov_b32_dpp v3, v3 quad_perm:[2,3,0,1] row_mask:0xf bank_mask:0xf
	v_add_co_ci_u32_e32 v1, vcc_lo, v3, v1, vcc_lo
	s_delay_alu instid0(VALU_DEP_1) | instskip(NEXT) | instid1(VALU_DEP_1)
	v_mov_b32_dpp v3, v1 row_ror:4 row_mask:0xf bank_mask:0xf
	v_add_nc_u32_e32 v1, v1, v3
	s_delay_alu instid0(VALU_DEP_1) | instskip(NEXT) | instid1(VALU_DEP_1)
	v_mov_b32_dpp v3, v1 row_ror:8 row_mask:0xf bank_mask:0xf
	v_add_nc_u32_e32 v1, v1, v3
	ds_swizzle_b32 v3, v1 offset:swizzle(BROADCAST,32,15)
	s_waitcnt lgkmcnt(0)
	v_add_nc_u32_e32 v1, v1, v3
	v_mov_b32_e32 v3, 0
	ds_bpermute_b32 v1, v3, v1 offset:124
	v_cmpx_eq_u32_e32 0, v2
	s_cbranch_execz .LBB456_643
; %bb.642:
	v_lshrrev_b32_e32 v3, 3, v0
	s_delay_alu instid0(VALU_DEP_1)
	v_and_b32_e32 v3, 12, v3
	s_waitcnt lgkmcnt(0)
	ds_store_b32 v3, v1 offset:32
.LBB456_643:
	s_or_b32 exec_lo, exec_lo, s2
	s_delay_alu instid0(SALU_CYCLE_1)
	s_mov_b32 s2, exec_lo
	s_waitcnt lgkmcnt(0)
	s_barrier
	buffer_gl0_inv
	v_cmpx_gt_u32_e32 32, v0
	s_cbranch_execz .LBB456_645
; %bb.644:
	v_and_b32_e32 v1, 3, v2
	s_delay_alu instid0(VALU_DEP_1) | instskip(SKIP_4) | instid1(VALU_DEP_2)
	v_lshlrev_b32_e32 v3, 2, v1
	v_cmp_ne_u32_e32 vcc_lo, 3, v1
	ds_load_b32 v3, v3 offset:32
	v_add_co_ci_u32_e32 v4, vcc_lo, 0, v2, vcc_lo
	v_cmp_gt_u32_e32 vcc_lo, 2, v1
	v_lshlrev_b32_e32 v4, 2, v4
	v_cndmask_b32_e64 v1, 0, 1, vcc_lo
	s_delay_alu instid0(VALU_DEP_1) | instskip(NEXT) | instid1(VALU_DEP_1)
	v_lshlrev_b32_e32 v1, 1, v1
	v_add_lshl_u32 v1, v1, v2, 2
	s_waitcnt lgkmcnt(0)
	ds_bpermute_b32 v4, v4, v3
	s_waitcnt lgkmcnt(0)
	v_add_nc_u32_e32 v3, v4, v3
	ds_bpermute_b32 v1, v1, v3
	s_waitcnt lgkmcnt(0)
	v_add_nc_u32_e32 v1, v1, v3
.LBB456_645:
	s_or_b32 exec_lo, exec_lo, s2
.LBB456_646:
	v_cmp_eq_u32_e64 s2, 0, v0
	s_delay_alu instid0(VALU_DEP_1)
	s_and_saveexec_b32 s3, s2
	s_cbranch_execnz .LBB456_624
	s_branch .LBB456_625
.LBB456_647:
                                        ; implicit-def: $sgpr18_sgpr19
                                        ; implicit-def: $vgpr1
	s_and_saveexec_b32 s3, s2
	s_cbranch_execz .LBB456_625
	s_branch .LBB456_624
.LBB456_648:
                                        ; implicit-def: $vgpr1
	s_cbranch_execz .LBB456_646
; %bb.649:
	s_sub_i32 s2, s20, s4
	s_mov_b32 s3, exec_lo
                                        ; implicit-def: $vgpr1
	v_cmpx_gt_u32_e64 s2, v0
	s_cbranch_execz .LBB456_651
; %bb.650:
	s_lshl_b64 s[4:5], s[4:5], 2
	v_lshlrev_b32_e32 v1, 2, v0
	s_add_u32 s4, s24, s4
	s_addc_u32 s5, s25, s5
	global_load_b32 v1, v1, s[4:5]
	s_waitcnt vmcnt(0)
	v_cmp_neq_f32_e32 vcc_lo, 0, v1
	v_cndmask_b32_e64 v1, 0, 1, vcc_lo
.LBB456_651:
	s_or_b32 exec_lo, exec_lo, s3
	v_cmp_ne_u32_e32 vcc_lo, 31, v2
	s_min_u32 s2, s2, 0x80
	v_add_nc_u32_e32 v5, 1, v2
	s_mov_b32 s3, exec_lo
	v_add_co_ci_u32_e32 v3, vcc_lo, 0, v2, vcc_lo
	v_cmp_gt_u32_e32 vcc_lo, 30, v2
	s_delay_alu instid0(VALU_DEP_2) | instskip(SKIP_4) | instid1(VALU_DEP_2)
	v_lshlrev_b32_e32 v3, 2, v3
	v_cndmask_b32_e64 v6, 0, 1, vcc_lo
	ds_bpermute_b32 v3, v3, v1
	v_and_b32_e32 v4, 0x60, v0
	v_lshlrev_b32_e32 v6, 1, v6
	v_sub_nc_u32_e64 v4, s2, v4 clamp
	s_delay_alu instid0(VALU_DEP_1) | instskip(NEXT) | instid1(VALU_DEP_3)
	v_cmp_lt_u32_e32 vcc_lo, v5, v4
	v_add_lshl_u32 v5, v6, v2, 2
	s_waitcnt lgkmcnt(0)
	v_dual_cndmask_b32 v3, 0, v3 :: v_dual_add_nc_u32 v6, 2, v2
	v_cmp_gt_u32_e32 vcc_lo, 28, v2
	s_delay_alu instid0(VALU_DEP_2) | instskip(SKIP_4) | instid1(VALU_DEP_3)
	v_add_nc_u32_e32 v1, v3, v1
	ds_bpermute_b32 v3, v5, v1
	v_cndmask_b32_e64 v5, 0, 1, vcc_lo
	v_cmp_lt_u32_e32 vcc_lo, v6, v4
	v_add_nc_u32_e32 v6, 4, v2
	v_lshlrev_b32_e32 v5, 2, v5
	s_delay_alu instid0(VALU_DEP_1) | instskip(SKIP_3) | instid1(VALU_DEP_2)
	v_add_lshl_u32 v5, v5, v2, 2
	s_waitcnt lgkmcnt(0)
	v_cndmask_b32_e32 v3, 0, v3, vcc_lo
	v_cmp_gt_u32_e32 vcc_lo, 24, v2
	v_add_nc_u32_e32 v1, v1, v3
	ds_bpermute_b32 v3, v5, v1
	v_cndmask_b32_e64 v5, 0, 1, vcc_lo
	v_cmp_lt_u32_e32 vcc_lo, v6, v4
	v_add_nc_u32_e32 v6, 8, v2
	s_delay_alu instid0(VALU_DEP_3) | instskip(NEXT) | instid1(VALU_DEP_1)
	v_lshlrev_b32_e32 v5, 3, v5
	v_add_lshl_u32 v5, v5, v2, 2
	s_waitcnt lgkmcnt(0)
	v_cndmask_b32_e32 v3, 0, v3, vcc_lo
	v_cmp_gt_u32_e32 vcc_lo, 16, v2
	s_delay_alu instid0(VALU_DEP_2) | instskip(SKIP_3) | instid1(VALU_DEP_2)
	v_add_nc_u32_e32 v1, v1, v3
	ds_bpermute_b32 v3, v5, v1
	v_cndmask_b32_e64 v5, 0, 1, vcc_lo
	v_cmp_lt_u32_e32 vcc_lo, v6, v4
	v_lshlrev_b32_e32 v5, 4, v5
	s_delay_alu instid0(VALU_DEP_1) | instskip(SKIP_2) | instid1(VALU_DEP_1)
	v_add_lshl_u32 v5, v5, v2, 2
	s_waitcnt lgkmcnt(0)
	v_cndmask_b32_e32 v3, 0, v3, vcc_lo
	v_add_nc_u32_e32 v1, v1, v3
	ds_bpermute_b32 v3, v5, v1
	v_add_nc_u32_e32 v5, 16, v2
	s_delay_alu instid0(VALU_DEP_1) | instskip(SKIP_2) | instid1(VALU_DEP_1)
	v_cmp_lt_u32_e32 vcc_lo, v5, v4
	s_waitcnt lgkmcnt(0)
	v_cndmask_b32_e32 v3, 0, v3, vcc_lo
	v_add_nc_u32_e32 v1, v1, v3
	v_cmpx_eq_u32_e32 0, v2
	s_cbranch_execz .LBB456_653
; %bb.652:
	v_lshrrev_b32_e32 v3, 3, v0
	s_delay_alu instid0(VALU_DEP_1)
	v_and_b32_e32 v3, 12, v3
	ds_store_b32 v3, v1 offset:128
.LBB456_653:
	s_or_b32 exec_lo, exec_lo, s3
	s_delay_alu instid0(SALU_CYCLE_1)
	s_mov_b32 s3, exec_lo
	s_waitcnt lgkmcnt(0)
	s_barrier
	buffer_gl0_inv
	v_cmpx_gt_u32_e32 4, v0
	s_cbranch_execz .LBB456_655
; %bb.654:
	v_and_b32_e32 v3, 3, v2
	s_add_i32 s2, s2, 31
	s_delay_alu instid0(SALU_CYCLE_1) | instskip(NEXT) | instid1(VALU_DEP_1)
	s_lshr_b32 s2, s2, 5
	v_cmp_ne_u32_e32 vcc_lo, 3, v3
	v_add_nc_u32_e32 v5, 1, v3
	v_add_co_ci_u32_e32 v4, vcc_lo, 0, v2, vcc_lo
	v_cmp_gt_u32_e32 vcc_lo, 2, v3
	v_add_nc_u32_e32 v3, 2, v3
	s_delay_alu instid0(VALU_DEP_3) | instskip(SKIP_3) | instid1(VALU_DEP_3)
	v_lshlrev_b32_e32 v4, 2, v4
	v_cndmask_b32_e64 v6, 0, 1, vcc_lo
	v_cmp_gt_u32_e32 vcc_lo, s2, v5
	v_lshlrev_b32_e32 v1, 2, v2
	v_lshlrev_b32_e32 v5, 1, v6
	ds_load_b32 v1, v1 offset:128
	v_add_lshl_u32 v2, v5, v2, 2
	s_waitcnt lgkmcnt(0)
	ds_bpermute_b32 v4, v4, v1
	s_waitcnt lgkmcnt(0)
	v_cndmask_b32_e32 v4, 0, v4, vcc_lo
	v_cmp_gt_u32_e32 vcc_lo, s2, v3
	s_delay_alu instid0(VALU_DEP_2) | instskip(SKIP_3) | instid1(VALU_DEP_1)
	v_add_nc_u32_e32 v1, v4, v1
	ds_bpermute_b32 v2, v2, v1
	s_waitcnt lgkmcnt(0)
	v_cndmask_b32_e32 v2, 0, v2, vcc_lo
	v_add_nc_u32_e32 v1, v1, v2
.LBB456_655:
	s_or_b32 exec_lo, exec_lo, s3
	v_cmp_eq_u32_e64 s2, 0, v0
	s_delay_alu instid0(VALU_DEP_1)
	s_and_saveexec_b32 s3, s2
	s_cbranch_execnz .LBB456_624
	s_branch .LBB456_625
	.section	.rodata,"a",@progbits
	.p2align	6, 0x0
	.amdhsa_kernel _ZN7rocprim17ROCPRIM_400000_NS6detail17trampoline_kernelINS0_14default_configENS1_22reduce_config_selectorIbEEZNS1_11reduce_implILb1ES3_N6hipcub16HIPCUB_304000_NS22TransformInputIteratorIbN2at6native12_GLOBAL__N_19NonZeroOpIfEEPKflEEPiiNS8_6detail34convert_binary_result_type_wrapperINS8_3SumESH_iEEEE10hipError_tPvRmT1_T2_T3_mT4_P12ihipStream_tbEUlT_E1_NS1_11comp_targetILNS1_3genE9ELNS1_11target_archE1100ELNS1_3gpuE3ELNS1_3repE0EEENS1_30default_config_static_selectorELNS0_4arch9wavefront6targetE0EEEvSQ_
		.amdhsa_group_segment_fixed_size 144
		.amdhsa_private_segment_fixed_size 0
		.amdhsa_kernarg_size 48
		.amdhsa_user_sgpr_count 15
		.amdhsa_user_sgpr_dispatch_ptr 0
		.amdhsa_user_sgpr_queue_ptr 0
		.amdhsa_user_sgpr_kernarg_segment_ptr 1
		.amdhsa_user_sgpr_dispatch_id 0
		.amdhsa_user_sgpr_private_segment_size 0
		.amdhsa_wavefront_size32 1
		.amdhsa_uses_dynamic_stack 0
		.amdhsa_enable_private_segment 0
		.amdhsa_system_sgpr_workgroup_id_x 1
		.amdhsa_system_sgpr_workgroup_id_y 0
		.amdhsa_system_sgpr_workgroup_id_z 0
		.amdhsa_system_sgpr_workgroup_info 0
		.amdhsa_system_vgpr_workitem_id 0
		.amdhsa_next_free_vgpr 130
		.amdhsa_next_free_sgpr 29
		.amdhsa_reserve_vcc 1
		.amdhsa_float_round_mode_32 0
		.amdhsa_float_round_mode_16_64 0
		.amdhsa_float_denorm_mode_32 3
		.amdhsa_float_denorm_mode_16_64 3
		.amdhsa_dx10_clamp 1
		.amdhsa_ieee_mode 1
		.amdhsa_fp16_overflow 0
		.amdhsa_workgroup_processor_mode 1
		.amdhsa_memory_ordered 1
		.amdhsa_forward_progress 0
		.amdhsa_shared_vgpr_count 0
		.amdhsa_exception_fp_ieee_invalid_op 0
		.amdhsa_exception_fp_denorm_src 0
		.amdhsa_exception_fp_ieee_div_zero 0
		.amdhsa_exception_fp_ieee_overflow 0
		.amdhsa_exception_fp_ieee_underflow 0
		.amdhsa_exception_fp_ieee_inexact 0
		.amdhsa_exception_int_div_zero 0
	.end_amdhsa_kernel
	.section	.text._ZN7rocprim17ROCPRIM_400000_NS6detail17trampoline_kernelINS0_14default_configENS1_22reduce_config_selectorIbEEZNS1_11reduce_implILb1ES3_N6hipcub16HIPCUB_304000_NS22TransformInputIteratorIbN2at6native12_GLOBAL__N_19NonZeroOpIfEEPKflEEPiiNS8_6detail34convert_binary_result_type_wrapperINS8_3SumESH_iEEEE10hipError_tPvRmT1_T2_T3_mT4_P12ihipStream_tbEUlT_E1_NS1_11comp_targetILNS1_3genE9ELNS1_11target_archE1100ELNS1_3gpuE3ELNS1_3repE0EEENS1_30default_config_static_selectorELNS0_4arch9wavefront6targetE0EEEvSQ_,"axG",@progbits,_ZN7rocprim17ROCPRIM_400000_NS6detail17trampoline_kernelINS0_14default_configENS1_22reduce_config_selectorIbEEZNS1_11reduce_implILb1ES3_N6hipcub16HIPCUB_304000_NS22TransformInputIteratorIbN2at6native12_GLOBAL__N_19NonZeroOpIfEEPKflEEPiiNS8_6detail34convert_binary_result_type_wrapperINS8_3SumESH_iEEEE10hipError_tPvRmT1_T2_T3_mT4_P12ihipStream_tbEUlT_E1_NS1_11comp_targetILNS1_3genE9ELNS1_11target_archE1100ELNS1_3gpuE3ELNS1_3repE0EEENS1_30default_config_static_selectorELNS0_4arch9wavefront6targetE0EEEvSQ_,comdat
.Lfunc_end456:
	.size	_ZN7rocprim17ROCPRIM_400000_NS6detail17trampoline_kernelINS0_14default_configENS1_22reduce_config_selectorIbEEZNS1_11reduce_implILb1ES3_N6hipcub16HIPCUB_304000_NS22TransformInputIteratorIbN2at6native12_GLOBAL__N_19NonZeroOpIfEEPKflEEPiiNS8_6detail34convert_binary_result_type_wrapperINS8_3SumESH_iEEEE10hipError_tPvRmT1_T2_T3_mT4_P12ihipStream_tbEUlT_E1_NS1_11comp_targetILNS1_3genE9ELNS1_11target_archE1100ELNS1_3gpuE3ELNS1_3repE0EEENS1_30default_config_static_selectorELNS0_4arch9wavefront6targetE0EEEvSQ_, .Lfunc_end456-_ZN7rocprim17ROCPRIM_400000_NS6detail17trampoline_kernelINS0_14default_configENS1_22reduce_config_selectorIbEEZNS1_11reduce_implILb1ES3_N6hipcub16HIPCUB_304000_NS22TransformInputIteratorIbN2at6native12_GLOBAL__N_19NonZeroOpIfEEPKflEEPiiNS8_6detail34convert_binary_result_type_wrapperINS8_3SumESH_iEEEE10hipError_tPvRmT1_T2_T3_mT4_P12ihipStream_tbEUlT_E1_NS1_11comp_targetILNS1_3genE9ELNS1_11target_archE1100ELNS1_3gpuE3ELNS1_3repE0EEENS1_30default_config_static_selectorELNS0_4arch9wavefront6targetE0EEEvSQ_
                                        ; -- End function
	.section	.AMDGPU.csdata,"",@progbits
; Kernel info:
; codeLenInByte = 31192
; NumSgprs: 31
; NumVgprs: 130
; ScratchSize: 0
; MemoryBound: 0
; FloatMode: 240
; IeeeMode: 1
; LDSByteSize: 144 bytes/workgroup (compile time only)
; SGPRBlocks: 3
; VGPRBlocks: 16
; NumSGPRsForWavesPerEU: 31
; NumVGPRsForWavesPerEU: 130
; Occupancy: 10
; WaveLimiterHint : 1
; COMPUTE_PGM_RSRC2:SCRATCH_EN: 0
; COMPUTE_PGM_RSRC2:USER_SGPR: 15
; COMPUTE_PGM_RSRC2:TRAP_HANDLER: 0
; COMPUTE_PGM_RSRC2:TGID_X_EN: 1
; COMPUTE_PGM_RSRC2:TGID_Y_EN: 0
; COMPUTE_PGM_RSRC2:TGID_Z_EN: 0
; COMPUTE_PGM_RSRC2:TIDIG_COMP_CNT: 0
	.section	.text._ZN7rocprim17ROCPRIM_400000_NS6detail17trampoline_kernelINS0_14default_configENS1_22reduce_config_selectorIbEEZNS1_11reduce_implILb1ES3_N6hipcub16HIPCUB_304000_NS22TransformInputIteratorIbN2at6native12_GLOBAL__N_19NonZeroOpIfEEPKflEEPiiNS8_6detail34convert_binary_result_type_wrapperINS8_3SumESH_iEEEE10hipError_tPvRmT1_T2_T3_mT4_P12ihipStream_tbEUlT_E1_NS1_11comp_targetILNS1_3genE8ELNS1_11target_archE1030ELNS1_3gpuE2ELNS1_3repE0EEENS1_30default_config_static_selectorELNS0_4arch9wavefront6targetE0EEEvSQ_,"axG",@progbits,_ZN7rocprim17ROCPRIM_400000_NS6detail17trampoline_kernelINS0_14default_configENS1_22reduce_config_selectorIbEEZNS1_11reduce_implILb1ES3_N6hipcub16HIPCUB_304000_NS22TransformInputIteratorIbN2at6native12_GLOBAL__N_19NonZeroOpIfEEPKflEEPiiNS8_6detail34convert_binary_result_type_wrapperINS8_3SumESH_iEEEE10hipError_tPvRmT1_T2_T3_mT4_P12ihipStream_tbEUlT_E1_NS1_11comp_targetILNS1_3genE8ELNS1_11target_archE1030ELNS1_3gpuE2ELNS1_3repE0EEENS1_30default_config_static_selectorELNS0_4arch9wavefront6targetE0EEEvSQ_,comdat
	.globl	_ZN7rocprim17ROCPRIM_400000_NS6detail17trampoline_kernelINS0_14default_configENS1_22reduce_config_selectorIbEEZNS1_11reduce_implILb1ES3_N6hipcub16HIPCUB_304000_NS22TransformInputIteratorIbN2at6native12_GLOBAL__N_19NonZeroOpIfEEPKflEEPiiNS8_6detail34convert_binary_result_type_wrapperINS8_3SumESH_iEEEE10hipError_tPvRmT1_T2_T3_mT4_P12ihipStream_tbEUlT_E1_NS1_11comp_targetILNS1_3genE8ELNS1_11target_archE1030ELNS1_3gpuE2ELNS1_3repE0EEENS1_30default_config_static_selectorELNS0_4arch9wavefront6targetE0EEEvSQ_ ; -- Begin function _ZN7rocprim17ROCPRIM_400000_NS6detail17trampoline_kernelINS0_14default_configENS1_22reduce_config_selectorIbEEZNS1_11reduce_implILb1ES3_N6hipcub16HIPCUB_304000_NS22TransformInputIteratorIbN2at6native12_GLOBAL__N_19NonZeroOpIfEEPKflEEPiiNS8_6detail34convert_binary_result_type_wrapperINS8_3SumESH_iEEEE10hipError_tPvRmT1_T2_T3_mT4_P12ihipStream_tbEUlT_E1_NS1_11comp_targetILNS1_3genE8ELNS1_11target_archE1030ELNS1_3gpuE2ELNS1_3repE0EEENS1_30default_config_static_selectorELNS0_4arch9wavefront6targetE0EEEvSQ_
	.p2align	8
	.type	_ZN7rocprim17ROCPRIM_400000_NS6detail17trampoline_kernelINS0_14default_configENS1_22reduce_config_selectorIbEEZNS1_11reduce_implILb1ES3_N6hipcub16HIPCUB_304000_NS22TransformInputIteratorIbN2at6native12_GLOBAL__N_19NonZeroOpIfEEPKflEEPiiNS8_6detail34convert_binary_result_type_wrapperINS8_3SumESH_iEEEE10hipError_tPvRmT1_T2_T3_mT4_P12ihipStream_tbEUlT_E1_NS1_11comp_targetILNS1_3genE8ELNS1_11target_archE1030ELNS1_3gpuE2ELNS1_3repE0EEENS1_30default_config_static_selectorELNS0_4arch9wavefront6targetE0EEEvSQ_,@function
_ZN7rocprim17ROCPRIM_400000_NS6detail17trampoline_kernelINS0_14default_configENS1_22reduce_config_selectorIbEEZNS1_11reduce_implILb1ES3_N6hipcub16HIPCUB_304000_NS22TransformInputIteratorIbN2at6native12_GLOBAL__N_19NonZeroOpIfEEPKflEEPiiNS8_6detail34convert_binary_result_type_wrapperINS8_3SumESH_iEEEE10hipError_tPvRmT1_T2_T3_mT4_P12ihipStream_tbEUlT_E1_NS1_11comp_targetILNS1_3genE8ELNS1_11target_archE1030ELNS1_3gpuE2ELNS1_3repE0EEENS1_30default_config_static_selectorELNS0_4arch9wavefront6targetE0EEEvSQ_: ; @_ZN7rocprim17ROCPRIM_400000_NS6detail17trampoline_kernelINS0_14default_configENS1_22reduce_config_selectorIbEEZNS1_11reduce_implILb1ES3_N6hipcub16HIPCUB_304000_NS22TransformInputIteratorIbN2at6native12_GLOBAL__N_19NonZeroOpIfEEPKflEEPiiNS8_6detail34convert_binary_result_type_wrapperINS8_3SumESH_iEEEE10hipError_tPvRmT1_T2_T3_mT4_P12ihipStream_tbEUlT_E1_NS1_11comp_targetILNS1_3genE8ELNS1_11target_archE1030ELNS1_3gpuE2ELNS1_3repE0EEENS1_30default_config_static_selectorELNS0_4arch9wavefront6targetE0EEEvSQ_
; %bb.0:
	.section	.rodata,"a",@progbits
	.p2align	6, 0x0
	.amdhsa_kernel _ZN7rocprim17ROCPRIM_400000_NS6detail17trampoline_kernelINS0_14default_configENS1_22reduce_config_selectorIbEEZNS1_11reduce_implILb1ES3_N6hipcub16HIPCUB_304000_NS22TransformInputIteratorIbN2at6native12_GLOBAL__N_19NonZeroOpIfEEPKflEEPiiNS8_6detail34convert_binary_result_type_wrapperINS8_3SumESH_iEEEE10hipError_tPvRmT1_T2_T3_mT4_P12ihipStream_tbEUlT_E1_NS1_11comp_targetILNS1_3genE8ELNS1_11target_archE1030ELNS1_3gpuE2ELNS1_3repE0EEENS1_30default_config_static_selectorELNS0_4arch9wavefront6targetE0EEEvSQ_
		.amdhsa_group_segment_fixed_size 0
		.amdhsa_private_segment_fixed_size 0
		.amdhsa_kernarg_size 48
		.amdhsa_user_sgpr_count 15
		.amdhsa_user_sgpr_dispatch_ptr 0
		.amdhsa_user_sgpr_queue_ptr 0
		.amdhsa_user_sgpr_kernarg_segment_ptr 1
		.amdhsa_user_sgpr_dispatch_id 0
		.amdhsa_user_sgpr_private_segment_size 0
		.amdhsa_wavefront_size32 1
		.amdhsa_uses_dynamic_stack 0
		.amdhsa_enable_private_segment 0
		.amdhsa_system_sgpr_workgroup_id_x 1
		.amdhsa_system_sgpr_workgroup_id_y 0
		.amdhsa_system_sgpr_workgroup_id_z 0
		.amdhsa_system_sgpr_workgroup_info 0
		.amdhsa_system_vgpr_workitem_id 0
		.amdhsa_next_free_vgpr 1
		.amdhsa_next_free_sgpr 1
		.amdhsa_reserve_vcc 0
		.amdhsa_float_round_mode_32 0
		.amdhsa_float_round_mode_16_64 0
		.amdhsa_float_denorm_mode_32 3
		.amdhsa_float_denorm_mode_16_64 3
		.amdhsa_dx10_clamp 1
		.amdhsa_ieee_mode 1
		.amdhsa_fp16_overflow 0
		.amdhsa_workgroup_processor_mode 1
		.amdhsa_memory_ordered 1
		.amdhsa_forward_progress 0
		.amdhsa_shared_vgpr_count 0
		.amdhsa_exception_fp_ieee_invalid_op 0
		.amdhsa_exception_fp_denorm_src 0
		.amdhsa_exception_fp_ieee_div_zero 0
		.amdhsa_exception_fp_ieee_overflow 0
		.amdhsa_exception_fp_ieee_underflow 0
		.amdhsa_exception_fp_ieee_inexact 0
		.amdhsa_exception_int_div_zero 0
	.end_amdhsa_kernel
	.section	.text._ZN7rocprim17ROCPRIM_400000_NS6detail17trampoline_kernelINS0_14default_configENS1_22reduce_config_selectorIbEEZNS1_11reduce_implILb1ES3_N6hipcub16HIPCUB_304000_NS22TransformInputIteratorIbN2at6native12_GLOBAL__N_19NonZeroOpIfEEPKflEEPiiNS8_6detail34convert_binary_result_type_wrapperINS8_3SumESH_iEEEE10hipError_tPvRmT1_T2_T3_mT4_P12ihipStream_tbEUlT_E1_NS1_11comp_targetILNS1_3genE8ELNS1_11target_archE1030ELNS1_3gpuE2ELNS1_3repE0EEENS1_30default_config_static_selectorELNS0_4arch9wavefront6targetE0EEEvSQ_,"axG",@progbits,_ZN7rocprim17ROCPRIM_400000_NS6detail17trampoline_kernelINS0_14default_configENS1_22reduce_config_selectorIbEEZNS1_11reduce_implILb1ES3_N6hipcub16HIPCUB_304000_NS22TransformInputIteratorIbN2at6native12_GLOBAL__N_19NonZeroOpIfEEPKflEEPiiNS8_6detail34convert_binary_result_type_wrapperINS8_3SumESH_iEEEE10hipError_tPvRmT1_T2_T3_mT4_P12ihipStream_tbEUlT_E1_NS1_11comp_targetILNS1_3genE8ELNS1_11target_archE1030ELNS1_3gpuE2ELNS1_3repE0EEENS1_30default_config_static_selectorELNS0_4arch9wavefront6targetE0EEEvSQ_,comdat
.Lfunc_end457:
	.size	_ZN7rocprim17ROCPRIM_400000_NS6detail17trampoline_kernelINS0_14default_configENS1_22reduce_config_selectorIbEEZNS1_11reduce_implILb1ES3_N6hipcub16HIPCUB_304000_NS22TransformInputIteratorIbN2at6native12_GLOBAL__N_19NonZeroOpIfEEPKflEEPiiNS8_6detail34convert_binary_result_type_wrapperINS8_3SumESH_iEEEE10hipError_tPvRmT1_T2_T3_mT4_P12ihipStream_tbEUlT_E1_NS1_11comp_targetILNS1_3genE8ELNS1_11target_archE1030ELNS1_3gpuE2ELNS1_3repE0EEENS1_30default_config_static_selectorELNS0_4arch9wavefront6targetE0EEEvSQ_, .Lfunc_end457-_ZN7rocprim17ROCPRIM_400000_NS6detail17trampoline_kernelINS0_14default_configENS1_22reduce_config_selectorIbEEZNS1_11reduce_implILb1ES3_N6hipcub16HIPCUB_304000_NS22TransformInputIteratorIbN2at6native12_GLOBAL__N_19NonZeroOpIfEEPKflEEPiiNS8_6detail34convert_binary_result_type_wrapperINS8_3SumESH_iEEEE10hipError_tPvRmT1_T2_T3_mT4_P12ihipStream_tbEUlT_E1_NS1_11comp_targetILNS1_3genE8ELNS1_11target_archE1030ELNS1_3gpuE2ELNS1_3repE0EEENS1_30default_config_static_selectorELNS0_4arch9wavefront6targetE0EEEvSQ_
                                        ; -- End function
	.section	.AMDGPU.csdata,"",@progbits
; Kernel info:
; codeLenInByte = 0
; NumSgprs: 0
; NumVgprs: 0
; ScratchSize: 0
; MemoryBound: 0
; FloatMode: 240
; IeeeMode: 1
; LDSByteSize: 0 bytes/workgroup (compile time only)
; SGPRBlocks: 0
; VGPRBlocks: 0
; NumSGPRsForWavesPerEU: 1
; NumVGPRsForWavesPerEU: 1
; Occupancy: 16
; WaveLimiterHint : 0
; COMPUTE_PGM_RSRC2:SCRATCH_EN: 0
; COMPUTE_PGM_RSRC2:USER_SGPR: 15
; COMPUTE_PGM_RSRC2:TRAP_HANDLER: 0
; COMPUTE_PGM_RSRC2:TGID_X_EN: 1
; COMPUTE_PGM_RSRC2:TGID_Y_EN: 0
; COMPUTE_PGM_RSRC2:TGID_Z_EN: 0
; COMPUTE_PGM_RSRC2:TIDIG_COMP_CNT: 0
	.section	.text._ZN7rocprim17ROCPRIM_400000_NS6detail17trampoline_kernelINS0_14default_configENS1_25partition_config_selectorILNS1_17partition_subalgoE5ElNS0_10empty_typeEbEEZZNS1_14partition_implILS5_5ELb0ES3_mN6hipcub16HIPCUB_304000_NS21CountingInputIteratorIllEEPS6_NSA_22TransformInputIteratorIbN2at6native12_GLOBAL__N_19NonZeroOpIfEEPKflEENS0_5tupleIJPlS6_EEENSN_IJSD_SD_EEES6_PiJS6_EEE10hipError_tPvRmT3_T4_T5_T6_T7_T9_mT8_P12ihipStream_tbDpT10_ENKUlT_T0_E_clISt17integral_constantIbLb0EES1B_EEDaS16_S17_EUlS16_E_NS1_11comp_targetILNS1_3genE0ELNS1_11target_archE4294967295ELNS1_3gpuE0ELNS1_3repE0EEENS1_30default_config_static_selectorELNS0_4arch9wavefront6targetE0EEEvT1_,"axG",@progbits,_ZN7rocprim17ROCPRIM_400000_NS6detail17trampoline_kernelINS0_14default_configENS1_25partition_config_selectorILNS1_17partition_subalgoE5ElNS0_10empty_typeEbEEZZNS1_14partition_implILS5_5ELb0ES3_mN6hipcub16HIPCUB_304000_NS21CountingInputIteratorIllEEPS6_NSA_22TransformInputIteratorIbN2at6native12_GLOBAL__N_19NonZeroOpIfEEPKflEENS0_5tupleIJPlS6_EEENSN_IJSD_SD_EEES6_PiJS6_EEE10hipError_tPvRmT3_T4_T5_T6_T7_T9_mT8_P12ihipStream_tbDpT10_ENKUlT_T0_E_clISt17integral_constantIbLb0EES1B_EEDaS16_S17_EUlS16_E_NS1_11comp_targetILNS1_3genE0ELNS1_11target_archE4294967295ELNS1_3gpuE0ELNS1_3repE0EEENS1_30default_config_static_selectorELNS0_4arch9wavefront6targetE0EEEvT1_,comdat
	.globl	_ZN7rocprim17ROCPRIM_400000_NS6detail17trampoline_kernelINS0_14default_configENS1_25partition_config_selectorILNS1_17partition_subalgoE5ElNS0_10empty_typeEbEEZZNS1_14partition_implILS5_5ELb0ES3_mN6hipcub16HIPCUB_304000_NS21CountingInputIteratorIllEEPS6_NSA_22TransformInputIteratorIbN2at6native12_GLOBAL__N_19NonZeroOpIfEEPKflEENS0_5tupleIJPlS6_EEENSN_IJSD_SD_EEES6_PiJS6_EEE10hipError_tPvRmT3_T4_T5_T6_T7_T9_mT8_P12ihipStream_tbDpT10_ENKUlT_T0_E_clISt17integral_constantIbLb0EES1B_EEDaS16_S17_EUlS16_E_NS1_11comp_targetILNS1_3genE0ELNS1_11target_archE4294967295ELNS1_3gpuE0ELNS1_3repE0EEENS1_30default_config_static_selectorELNS0_4arch9wavefront6targetE0EEEvT1_ ; -- Begin function _ZN7rocprim17ROCPRIM_400000_NS6detail17trampoline_kernelINS0_14default_configENS1_25partition_config_selectorILNS1_17partition_subalgoE5ElNS0_10empty_typeEbEEZZNS1_14partition_implILS5_5ELb0ES3_mN6hipcub16HIPCUB_304000_NS21CountingInputIteratorIllEEPS6_NSA_22TransformInputIteratorIbN2at6native12_GLOBAL__N_19NonZeroOpIfEEPKflEENS0_5tupleIJPlS6_EEENSN_IJSD_SD_EEES6_PiJS6_EEE10hipError_tPvRmT3_T4_T5_T6_T7_T9_mT8_P12ihipStream_tbDpT10_ENKUlT_T0_E_clISt17integral_constantIbLb0EES1B_EEDaS16_S17_EUlS16_E_NS1_11comp_targetILNS1_3genE0ELNS1_11target_archE4294967295ELNS1_3gpuE0ELNS1_3repE0EEENS1_30default_config_static_selectorELNS0_4arch9wavefront6targetE0EEEvT1_
	.p2align	8
	.type	_ZN7rocprim17ROCPRIM_400000_NS6detail17trampoline_kernelINS0_14default_configENS1_25partition_config_selectorILNS1_17partition_subalgoE5ElNS0_10empty_typeEbEEZZNS1_14partition_implILS5_5ELb0ES3_mN6hipcub16HIPCUB_304000_NS21CountingInputIteratorIllEEPS6_NSA_22TransformInputIteratorIbN2at6native12_GLOBAL__N_19NonZeroOpIfEEPKflEENS0_5tupleIJPlS6_EEENSN_IJSD_SD_EEES6_PiJS6_EEE10hipError_tPvRmT3_T4_T5_T6_T7_T9_mT8_P12ihipStream_tbDpT10_ENKUlT_T0_E_clISt17integral_constantIbLb0EES1B_EEDaS16_S17_EUlS16_E_NS1_11comp_targetILNS1_3genE0ELNS1_11target_archE4294967295ELNS1_3gpuE0ELNS1_3repE0EEENS1_30default_config_static_selectorELNS0_4arch9wavefront6targetE0EEEvT1_,@function
_ZN7rocprim17ROCPRIM_400000_NS6detail17trampoline_kernelINS0_14default_configENS1_25partition_config_selectorILNS1_17partition_subalgoE5ElNS0_10empty_typeEbEEZZNS1_14partition_implILS5_5ELb0ES3_mN6hipcub16HIPCUB_304000_NS21CountingInputIteratorIllEEPS6_NSA_22TransformInputIteratorIbN2at6native12_GLOBAL__N_19NonZeroOpIfEEPKflEENS0_5tupleIJPlS6_EEENSN_IJSD_SD_EEES6_PiJS6_EEE10hipError_tPvRmT3_T4_T5_T6_T7_T9_mT8_P12ihipStream_tbDpT10_ENKUlT_T0_E_clISt17integral_constantIbLb0EES1B_EEDaS16_S17_EUlS16_E_NS1_11comp_targetILNS1_3genE0ELNS1_11target_archE4294967295ELNS1_3gpuE0ELNS1_3repE0EEENS1_30default_config_static_selectorELNS0_4arch9wavefront6targetE0EEEvT1_: ; @_ZN7rocprim17ROCPRIM_400000_NS6detail17trampoline_kernelINS0_14default_configENS1_25partition_config_selectorILNS1_17partition_subalgoE5ElNS0_10empty_typeEbEEZZNS1_14partition_implILS5_5ELb0ES3_mN6hipcub16HIPCUB_304000_NS21CountingInputIteratorIllEEPS6_NSA_22TransformInputIteratorIbN2at6native12_GLOBAL__N_19NonZeroOpIfEEPKflEENS0_5tupleIJPlS6_EEENSN_IJSD_SD_EEES6_PiJS6_EEE10hipError_tPvRmT3_T4_T5_T6_T7_T9_mT8_P12ihipStream_tbDpT10_ENKUlT_T0_E_clISt17integral_constantIbLb0EES1B_EEDaS16_S17_EUlS16_E_NS1_11comp_targetILNS1_3genE0ELNS1_11target_archE4294967295ELNS1_3gpuE0ELNS1_3repE0EEENS1_30default_config_static_selectorELNS0_4arch9wavefront6targetE0EEEvT1_
; %bb.0:
	.section	.rodata,"a",@progbits
	.p2align	6, 0x0
	.amdhsa_kernel _ZN7rocprim17ROCPRIM_400000_NS6detail17trampoline_kernelINS0_14default_configENS1_25partition_config_selectorILNS1_17partition_subalgoE5ElNS0_10empty_typeEbEEZZNS1_14partition_implILS5_5ELb0ES3_mN6hipcub16HIPCUB_304000_NS21CountingInputIteratorIllEEPS6_NSA_22TransformInputIteratorIbN2at6native12_GLOBAL__N_19NonZeroOpIfEEPKflEENS0_5tupleIJPlS6_EEENSN_IJSD_SD_EEES6_PiJS6_EEE10hipError_tPvRmT3_T4_T5_T6_T7_T9_mT8_P12ihipStream_tbDpT10_ENKUlT_T0_E_clISt17integral_constantIbLb0EES1B_EEDaS16_S17_EUlS16_E_NS1_11comp_targetILNS1_3genE0ELNS1_11target_archE4294967295ELNS1_3gpuE0ELNS1_3repE0EEENS1_30default_config_static_selectorELNS0_4arch9wavefront6targetE0EEEvT1_
		.amdhsa_group_segment_fixed_size 0
		.amdhsa_private_segment_fixed_size 0
		.amdhsa_kernarg_size 120
		.amdhsa_user_sgpr_count 15
		.amdhsa_user_sgpr_dispatch_ptr 0
		.amdhsa_user_sgpr_queue_ptr 0
		.amdhsa_user_sgpr_kernarg_segment_ptr 1
		.amdhsa_user_sgpr_dispatch_id 0
		.amdhsa_user_sgpr_private_segment_size 0
		.amdhsa_wavefront_size32 1
		.amdhsa_uses_dynamic_stack 0
		.amdhsa_enable_private_segment 0
		.amdhsa_system_sgpr_workgroup_id_x 1
		.amdhsa_system_sgpr_workgroup_id_y 0
		.amdhsa_system_sgpr_workgroup_id_z 0
		.amdhsa_system_sgpr_workgroup_info 0
		.amdhsa_system_vgpr_workitem_id 0
		.amdhsa_next_free_vgpr 1
		.amdhsa_next_free_sgpr 1
		.amdhsa_reserve_vcc 0
		.amdhsa_float_round_mode_32 0
		.amdhsa_float_round_mode_16_64 0
		.amdhsa_float_denorm_mode_32 3
		.amdhsa_float_denorm_mode_16_64 3
		.amdhsa_dx10_clamp 1
		.amdhsa_ieee_mode 1
		.amdhsa_fp16_overflow 0
		.amdhsa_workgroup_processor_mode 1
		.amdhsa_memory_ordered 1
		.amdhsa_forward_progress 0
		.amdhsa_shared_vgpr_count 0
		.amdhsa_exception_fp_ieee_invalid_op 0
		.amdhsa_exception_fp_denorm_src 0
		.amdhsa_exception_fp_ieee_div_zero 0
		.amdhsa_exception_fp_ieee_overflow 0
		.amdhsa_exception_fp_ieee_underflow 0
		.amdhsa_exception_fp_ieee_inexact 0
		.amdhsa_exception_int_div_zero 0
	.end_amdhsa_kernel
	.section	.text._ZN7rocprim17ROCPRIM_400000_NS6detail17trampoline_kernelINS0_14default_configENS1_25partition_config_selectorILNS1_17partition_subalgoE5ElNS0_10empty_typeEbEEZZNS1_14partition_implILS5_5ELb0ES3_mN6hipcub16HIPCUB_304000_NS21CountingInputIteratorIllEEPS6_NSA_22TransformInputIteratorIbN2at6native12_GLOBAL__N_19NonZeroOpIfEEPKflEENS0_5tupleIJPlS6_EEENSN_IJSD_SD_EEES6_PiJS6_EEE10hipError_tPvRmT3_T4_T5_T6_T7_T9_mT8_P12ihipStream_tbDpT10_ENKUlT_T0_E_clISt17integral_constantIbLb0EES1B_EEDaS16_S17_EUlS16_E_NS1_11comp_targetILNS1_3genE0ELNS1_11target_archE4294967295ELNS1_3gpuE0ELNS1_3repE0EEENS1_30default_config_static_selectorELNS0_4arch9wavefront6targetE0EEEvT1_,"axG",@progbits,_ZN7rocprim17ROCPRIM_400000_NS6detail17trampoline_kernelINS0_14default_configENS1_25partition_config_selectorILNS1_17partition_subalgoE5ElNS0_10empty_typeEbEEZZNS1_14partition_implILS5_5ELb0ES3_mN6hipcub16HIPCUB_304000_NS21CountingInputIteratorIllEEPS6_NSA_22TransformInputIteratorIbN2at6native12_GLOBAL__N_19NonZeroOpIfEEPKflEENS0_5tupleIJPlS6_EEENSN_IJSD_SD_EEES6_PiJS6_EEE10hipError_tPvRmT3_T4_T5_T6_T7_T9_mT8_P12ihipStream_tbDpT10_ENKUlT_T0_E_clISt17integral_constantIbLb0EES1B_EEDaS16_S17_EUlS16_E_NS1_11comp_targetILNS1_3genE0ELNS1_11target_archE4294967295ELNS1_3gpuE0ELNS1_3repE0EEENS1_30default_config_static_selectorELNS0_4arch9wavefront6targetE0EEEvT1_,comdat
.Lfunc_end458:
	.size	_ZN7rocprim17ROCPRIM_400000_NS6detail17trampoline_kernelINS0_14default_configENS1_25partition_config_selectorILNS1_17partition_subalgoE5ElNS0_10empty_typeEbEEZZNS1_14partition_implILS5_5ELb0ES3_mN6hipcub16HIPCUB_304000_NS21CountingInputIteratorIllEEPS6_NSA_22TransformInputIteratorIbN2at6native12_GLOBAL__N_19NonZeroOpIfEEPKflEENS0_5tupleIJPlS6_EEENSN_IJSD_SD_EEES6_PiJS6_EEE10hipError_tPvRmT3_T4_T5_T6_T7_T9_mT8_P12ihipStream_tbDpT10_ENKUlT_T0_E_clISt17integral_constantIbLb0EES1B_EEDaS16_S17_EUlS16_E_NS1_11comp_targetILNS1_3genE0ELNS1_11target_archE4294967295ELNS1_3gpuE0ELNS1_3repE0EEENS1_30default_config_static_selectorELNS0_4arch9wavefront6targetE0EEEvT1_, .Lfunc_end458-_ZN7rocprim17ROCPRIM_400000_NS6detail17trampoline_kernelINS0_14default_configENS1_25partition_config_selectorILNS1_17partition_subalgoE5ElNS0_10empty_typeEbEEZZNS1_14partition_implILS5_5ELb0ES3_mN6hipcub16HIPCUB_304000_NS21CountingInputIteratorIllEEPS6_NSA_22TransformInputIteratorIbN2at6native12_GLOBAL__N_19NonZeroOpIfEEPKflEENS0_5tupleIJPlS6_EEENSN_IJSD_SD_EEES6_PiJS6_EEE10hipError_tPvRmT3_T4_T5_T6_T7_T9_mT8_P12ihipStream_tbDpT10_ENKUlT_T0_E_clISt17integral_constantIbLb0EES1B_EEDaS16_S17_EUlS16_E_NS1_11comp_targetILNS1_3genE0ELNS1_11target_archE4294967295ELNS1_3gpuE0ELNS1_3repE0EEENS1_30default_config_static_selectorELNS0_4arch9wavefront6targetE0EEEvT1_
                                        ; -- End function
	.section	.AMDGPU.csdata,"",@progbits
; Kernel info:
; codeLenInByte = 0
; NumSgprs: 0
; NumVgprs: 0
; ScratchSize: 0
; MemoryBound: 0
; FloatMode: 240
; IeeeMode: 1
; LDSByteSize: 0 bytes/workgroup (compile time only)
; SGPRBlocks: 0
; VGPRBlocks: 0
; NumSGPRsForWavesPerEU: 1
; NumVGPRsForWavesPerEU: 1
; Occupancy: 16
; WaveLimiterHint : 0
; COMPUTE_PGM_RSRC2:SCRATCH_EN: 0
; COMPUTE_PGM_RSRC2:USER_SGPR: 15
; COMPUTE_PGM_RSRC2:TRAP_HANDLER: 0
; COMPUTE_PGM_RSRC2:TGID_X_EN: 1
; COMPUTE_PGM_RSRC2:TGID_Y_EN: 0
; COMPUTE_PGM_RSRC2:TGID_Z_EN: 0
; COMPUTE_PGM_RSRC2:TIDIG_COMP_CNT: 0
	.section	.text._ZN7rocprim17ROCPRIM_400000_NS6detail17trampoline_kernelINS0_14default_configENS1_25partition_config_selectorILNS1_17partition_subalgoE5ElNS0_10empty_typeEbEEZZNS1_14partition_implILS5_5ELb0ES3_mN6hipcub16HIPCUB_304000_NS21CountingInputIteratorIllEEPS6_NSA_22TransformInputIteratorIbN2at6native12_GLOBAL__N_19NonZeroOpIfEEPKflEENS0_5tupleIJPlS6_EEENSN_IJSD_SD_EEES6_PiJS6_EEE10hipError_tPvRmT3_T4_T5_T6_T7_T9_mT8_P12ihipStream_tbDpT10_ENKUlT_T0_E_clISt17integral_constantIbLb0EES1B_EEDaS16_S17_EUlS16_E_NS1_11comp_targetILNS1_3genE5ELNS1_11target_archE942ELNS1_3gpuE9ELNS1_3repE0EEENS1_30default_config_static_selectorELNS0_4arch9wavefront6targetE0EEEvT1_,"axG",@progbits,_ZN7rocprim17ROCPRIM_400000_NS6detail17trampoline_kernelINS0_14default_configENS1_25partition_config_selectorILNS1_17partition_subalgoE5ElNS0_10empty_typeEbEEZZNS1_14partition_implILS5_5ELb0ES3_mN6hipcub16HIPCUB_304000_NS21CountingInputIteratorIllEEPS6_NSA_22TransformInputIteratorIbN2at6native12_GLOBAL__N_19NonZeroOpIfEEPKflEENS0_5tupleIJPlS6_EEENSN_IJSD_SD_EEES6_PiJS6_EEE10hipError_tPvRmT3_T4_T5_T6_T7_T9_mT8_P12ihipStream_tbDpT10_ENKUlT_T0_E_clISt17integral_constantIbLb0EES1B_EEDaS16_S17_EUlS16_E_NS1_11comp_targetILNS1_3genE5ELNS1_11target_archE942ELNS1_3gpuE9ELNS1_3repE0EEENS1_30default_config_static_selectorELNS0_4arch9wavefront6targetE0EEEvT1_,comdat
	.globl	_ZN7rocprim17ROCPRIM_400000_NS6detail17trampoline_kernelINS0_14default_configENS1_25partition_config_selectorILNS1_17partition_subalgoE5ElNS0_10empty_typeEbEEZZNS1_14partition_implILS5_5ELb0ES3_mN6hipcub16HIPCUB_304000_NS21CountingInputIteratorIllEEPS6_NSA_22TransformInputIteratorIbN2at6native12_GLOBAL__N_19NonZeroOpIfEEPKflEENS0_5tupleIJPlS6_EEENSN_IJSD_SD_EEES6_PiJS6_EEE10hipError_tPvRmT3_T4_T5_T6_T7_T9_mT8_P12ihipStream_tbDpT10_ENKUlT_T0_E_clISt17integral_constantIbLb0EES1B_EEDaS16_S17_EUlS16_E_NS1_11comp_targetILNS1_3genE5ELNS1_11target_archE942ELNS1_3gpuE9ELNS1_3repE0EEENS1_30default_config_static_selectorELNS0_4arch9wavefront6targetE0EEEvT1_ ; -- Begin function _ZN7rocprim17ROCPRIM_400000_NS6detail17trampoline_kernelINS0_14default_configENS1_25partition_config_selectorILNS1_17partition_subalgoE5ElNS0_10empty_typeEbEEZZNS1_14partition_implILS5_5ELb0ES3_mN6hipcub16HIPCUB_304000_NS21CountingInputIteratorIllEEPS6_NSA_22TransformInputIteratorIbN2at6native12_GLOBAL__N_19NonZeroOpIfEEPKflEENS0_5tupleIJPlS6_EEENSN_IJSD_SD_EEES6_PiJS6_EEE10hipError_tPvRmT3_T4_T5_T6_T7_T9_mT8_P12ihipStream_tbDpT10_ENKUlT_T0_E_clISt17integral_constantIbLb0EES1B_EEDaS16_S17_EUlS16_E_NS1_11comp_targetILNS1_3genE5ELNS1_11target_archE942ELNS1_3gpuE9ELNS1_3repE0EEENS1_30default_config_static_selectorELNS0_4arch9wavefront6targetE0EEEvT1_
	.p2align	8
	.type	_ZN7rocprim17ROCPRIM_400000_NS6detail17trampoline_kernelINS0_14default_configENS1_25partition_config_selectorILNS1_17partition_subalgoE5ElNS0_10empty_typeEbEEZZNS1_14partition_implILS5_5ELb0ES3_mN6hipcub16HIPCUB_304000_NS21CountingInputIteratorIllEEPS6_NSA_22TransformInputIteratorIbN2at6native12_GLOBAL__N_19NonZeroOpIfEEPKflEENS0_5tupleIJPlS6_EEENSN_IJSD_SD_EEES6_PiJS6_EEE10hipError_tPvRmT3_T4_T5_T6_T7_T9_mT8_P12ihipStream_tbDpT10_ENKUlT_T0_E_clISt17integral_constantIbLb0EES1B_EEDaS16_S17_EUlS16_E_NS1_11comp_targetILNS1_3genE5ELNS1_11target_archE942ELNS1_3gpuE9ELNS1_3repE0EEENS1_30default_config_static_selectorELNS0_4arch9wavefront6targetE0EEEvT1_,@function
_ZN7rocprim17ROCPRIM_400000_NS6detail17trampoline_kernelINS0_14default_configENS1_25partition_config_selectorILNS1_17partition_subalgoE5ElNS0_10empty_typeEbEEZZNS1_14partition_implILS5_5ELb0ES3_mN6hipcub16HIPCUB_304000_NS21CountingInputIteratorIllEEPS6_NSA_22TransformInputIteratorIbN2at6native12_GLOBAL__N_19NonZeroOpIfEEPKflEENS0_5tupleIJPlS6_EEENSN_IJSD_SD_EEES6_PiJS6_EEE10hipError_tPvRmT3_T4_T5_T6_T7_T9_mT8_P12ihipStream_tbDpT10_ENKUlT_T0_E_clISt17integral_constantIbLb0EES1B_EEDaS16_S17_EUlS16_E_NS1_11comp_targetILNS1_3genE5ELNS1_11target_archE942ELNS1_3gpuE9ELNS1_3repE0EEENS1_30default_config_static_selectorELNS0_4arch9wavefront6targetE0EEEvT1_: ; @_ZN7rocprim17ROCPRIM_400000_NS6detail17trampoline_kernelINS0_14default_configENS1_25partition_config_selectorILNS1_17partition_subalgoE5ElNS0_10empty_typeEbEEZZNS1_14partition_implILS5_5ELb0ES3_mN6hipcub16HIPCUB_304000_NS21CountingInputIteratorIllEEPS6_NSA_22TransformInputIteratorIbN2at6native12_GLOBAL__N_19NonZeroOpIfEEPKflEENS0_5tupleIJPlS6_EEENSN_IJSD_SD_EEES6_PiJS6_EEE10hipError_tPvRmT3_T4_T5_T6_T7_T9_mT8_P12ihipStream_tbDpT10_ENKUlT_T0_E_clISt17integral_constantIbLb0EES1B_EEDaS16_S17_EUlS16_E_NS1_11comp_targetILNS1_3genE5ELNS1_11target_archE942ELNS1_3gpuE9ELNS1_3repE0EEENS1_30default_config_static_selectorELNS0_4arch9wavefront6targetE0EEEvT1_
; %bb.0:
	.section	.rodata,"a",@progbits
	.p2align	6, 0x0
	.amdhsa_kernel _ZN7rocprim17ROCPRIM_400000_NS6detail17trampoline_kernelINS0_14default_configENS1_25partition_config_selectorILNS1_17partition_subalgoE5ElNS0_10empty_typeEbEEZZNS1_14partition_implILS5_5ELb0ES3_mN6hipcub16HIPCUB_304000_NS21CountingInputIteratorIllEEPS6_NSA_22TransformInputIteratorIbN2at6native12_GLOBAL__N_19NonZeroOpIfEEPKflEENS0_5tupleIJPlS6_EEENSN_IJSD_SD_EEES6_PiJS6_EEE10hipError_tPvRmT3_T4_T5_T6_T7_T9_mT8_P12ihipStream_tbDpT10_ENKUlT_T0_E_clISt17integral_constantIbLb0EES1B_EEDaS16_S17_EUlS16_E_NS1_11comp_targetILNS1_3genE5ELNS1_11target_archE942ELNS1_3gpuE9ELNS1_3repE0EEENS1_30default_config_static_selectorELNS0_4arch9wavefront6targetE0EEEvT1_
		.amdhsa_group_segment_fixed_size 0
		.amdhsa_private_segment_fixed_size 0
		.amdhsa_kernarg_size 120
		.amdhsa_user_sgpr_count 15
		.amdhsa_user_sgpr_dispatch_ptr 0
		.amdhsa_user_sgpr_queue_ptr 0
		.amdhsa_user_sgpr_kernarg_segment_ptr 1
		.amdhsa_user_sgpr_dispatch_id 0
		.amdhsa_user_sgpr_private_segment_size 0
		.amdhsa_wavefront_size32 1
		.amdhsa_uses_dynamic_stack 0
		.amdhsa_enable_private_segment 0
		.amdhsa_system_sgpr_workgroup_id_x 1
		.amdhsa_system_sgpr_workgroup_id_y 0
		.amdhsa_system_sgpr_workgroup_id_z 0
		.amdhsa_system_sgpr_workgroup_info 0
		.amdhsa_system_vgpr_workitem_id 0
		.amdhsa_next_free_vgpr 1
		.amdhsa_next_free_sgpr 1
		.amdhsa_reserve_vcc 0
		.amdhsa_float_round_mode_32 0
		.amdhsa_float_round_mode_16_64 0
		.amdhsa_float_denorm_mode_32 3
		.amdhsa_float_denorm_mode_16_64 3
		.amdhsa_dx10_clamp 1
		.amdhsa_ieee_mode 1
		.amdhsa_fp16_overflow 0
		.amdhsa_workgroup_processor_mode 1
		.amdhsa_memory_ordered 1
		.amdhsa_forward_progress 0
		.amdhsa_shared_vgpr_count 0
		.amdhsa_exception_fp_ieee_invalid_op 0
		.amdhsa_exception_fp_denorm_src 0
		.amdhsa_exception_fp_ieee_div_zero 0
		.amdhsa_exception_fp_ieee_overflow 0
		.amdhsa_exception_fp_ieee_underflow 0
		.amdhsa_exception_fp_ieee_inexact 0
		.amdhsa_exception_int_div_zero 0
	.end_amdhsa_kernel
	.section	.text._ZN7rocprim17ROCPRIM_400000_NS6detail17trampoline_kernelINS0_14default_configENS1_25partition_config_selectorILNS1_17partition_subalgoE5ElNS0_10empty_typeEbEEZZNS1_14partition_implILS5_5ELb0ES3_mN6hipcub16HIPCUB_304000_NS21CountingInputIteratorIllEEPS6_NSA_22TransformInputIteratorIbN2at6native12_GLOBAL__N_19NonZeroOpIfEEPKflEENS0_5tupleIJPlS6_EEENSN_IJSD_SD_EEES6_PiJS6_EEE10hipError_tPvRmT3_T4_T5_T6_T7_T9_mT8_P12ihipStream_tbDpT10_ENKUlT_T0_E_clISt17integral_constantIbLb0EES1B_EEDaS16_S17_EUlS16_E_NS1_11comp_targetILNS1_3genE5ELNS1_11target_archE942ELNS1_3gpuE9ELNS1_3repE0EEENS1_30default_config_static_selectorELNS0_4arch9wavefront6targetE0EEEvT1_,"axG",@progbits,_ZN7rocprim17ROCPRIM_400000_NS6detail17trampoline_kernelINS0_14default_configENS1_25partition_config_selectorILNS1_17partition_subalgoE5ElNS0_10empty_typeEbEEZZNS1_14partition_implILS5_5ELb0ES3_mN6hipcub16HIPCUB_304000_NS21CountingInputIteratorIllEEPS6_NSA_22TransformInputIteratorIbN2at6native12_GLOBAL__N_19NonZeroOpIfEEPKflEENS0_5tupleIJPlS6_EEENSN_IJSD_SD_EEES6_PiJS6_EEE10hipError_tPvRmT3_T4_T5_T6_T7_T9_mT8_P12ihipStream_tbDpT10_ENKUlT_T0_E_clISt17integral_constantIbLb0EES1B_EEDaS16_S17_EUlS16_E_NS1_11comp_targetILNS1_3genE5ELNS1_11target_archE942ELNS1_3gpuE9ELNS1_3repE0EEENS1_30default_config_static_selectorELNS0_4arch9wavefront6targetE0EEEvT1_,comdat
.Lfunc_end459:
	.size	_ZN7rocprim17ROCPRIM_400000_NS6detail17trampoline_kernelINS0_14default_configENS1_25partition_config_selectorILNS1_17partition_subalgoE5ElNS0_10empty_typeEbEEZZNS1_14partition_implILS5_5ELb0ES3_mN6hipcub16HIPCUB_304000_NS21CountingInputIteratorIllEEPS6_NSA_22TransformInputIteratorIbN2at6native12_GLOBAL__N_19NonZeroOpIfEEPKflEENS0_5tupleIJPlS6_EEENSN_IJSD_SD_EEES6_PiJS6_EEE10hipError_tPvRmT3_T4_T5_T6_T7_T9_mT8_P12ihipStream_tbDpT10_ENKUlT_T0_E_clISt17integral_constantIbLb0EES1B_EEDaS16_S17_EUlS16_E_NS1_11comp_targetILNS1_3genE5ELNS1_11target_archE942ELNS1_3gpuE9ELNS1_3repE0EEENS1_30default_config_static_selectorELNS0_4arch9wavefront6targetE0EEEvT1_, .Lfunc_end459-_ZN7rocprim17ROCPRIM_400000_NS6detail17trampoline_kernelINS0_14default_configENS1_25partition_config_selectorILNS1_17partition_subalgoE5ElNS0_10empty_typeEbEEZZNS1_14partition_implILS5_5ELb0ES3_mN6hipcub16HIPCUB_304000_NS21CountingInputIteratorIllEEPS6_NSA_22TransformInputIteratorIbN2at6native12_GLOBAL__N_19NonZeroOpIfEEPKflEENS0_5tupleIJPlS6_EEENSN_IJSD_SD_EEES6_PiJS6_EEE10hipError_tPvRmT3_T4_T5_T6_T7_T9_mT8_P12ihipStream_tbDpT10_ENKUlT_T0_E_clISt17integral_constantIbLb0EES1B_EEDaS16_S17_EUlS16_E_NS1_11comp_targetILNS1_3genE5ELNS1_11target_archE942ELNS1_3gpuE9ELNS1_3repE0EEENS1_30default_config_static_selectorELNS0_4arch9wavefront6targetE0EEEvT1_
                                        ; -- End function
	.section	.AMDGPU.csdata,"",@progbits
; Kernel info:
; codeLenInByte = 0
; NumSgprs: 0
; NumVgprs: 0
; ScratchSize: 0
; MemoryBound: 0
; FloatMode: 240
; IeeeMode: 1
; LDSByteSize: 0 bytes/workgroup (compile time only)
; SGPRBlocks: 0
; VGPRBlocks: 0
; NumSGPRsForWavesPerEU: 1
; NumVGPRsForWavesPerEU: 1
; Occupancy: 16
; WaveLimiterHint : 0
; COMPUTE_PGM_RSRC2:SCRATCH_EN: 0
; COMPUTE_PGM_RSRC2:USER_SGPR: 15
; COMPUTE_PGM_RSRC2:TRAP_HANDLER: 0
; COMPUTE_PGM_RSRC2:TGID_X_EN: 1
; COMPUTE_PGM_RSRC2:TGID_Y_EN: 0
; COMPUTE_PGM_RSRC2:TGID_Z_EN: 0
; COMPUTE_PGM_RSRC2:TIDIG_COMP_CNT: 0
	.section	.text._ZN7rocprim17ROCPRIM_400000_NS6detail17trampoline_kernelINS0_14default_configENS1_25partition_config_selectorILNS1_17partition_subalgoE5ElNS0_10empty_typeEbEEZZNS1_14partition_implILS5_5ELb0ES3_mN6hipcub16HIPCUB_304000_NS21CountingInputIteratorIllEEPS6_NSA_22TransformInputIteratorIbN2at6native12_GLOBAL__N_19NonZeroOpIfEEPKflEENS0_5tupleIJPlS6_EEENSN_IJSD_SD_EEES6_PiJS6_EEE10hipError_tPvRmT3_T4_T5_T6_T7_T9_mT8_P12ihipStream_tbDpT10_ENKUlT_T0_E_clISt17integral_constantIbLb0EES1B_EEDaS16_S17_EUlS16_E_NS1_11comp_targetILNS1_3genE4ELNS1_11target_archE910ELNS1_3gpuE8ELNS1_3repE0EEENS1_30default_config_static_selectorELNS0_4arch9wavefront6targetE0EEEvT1_,"axG",@progbits,_ZN7rocprim17ROCPRIM_400000_NS6detail17trampoline_kernelINS0_14default_configENS1_25partition_config_selectorILNS1_17partition_subalgoE5ElNS0_10empty_typeEbEEZZNS1_14partition_implILS5_5ELb0ES3_mN6hipcub16HIPCUB_304000_NS21CountingInputIteratorIllEEPS6_NSA_22TransformInputIteratorIbN2at6native12_GLOBAL__N_19NonZeroOpIfEEPKflEENS0_5tupleIJPlS6_EEENSN_IJSD_SD_EEES6_PiJS6_EEE10hipError_tPvRmT3_T4_T5_T6_T7_T9_mT8_P12ihipStream_tbDpT10_ENKUlT_T0_E_clISt17integral_constantIbLb0EES1B_EEDaS16_S17_EUlS16_E_NS1_11comp_targetILNS1_3genE4ELNS1_11target_archE910ELNS1_3gpuE8ELNS1_3repE0EEENS1_30default_config_static_selectorELNS0_4arch9wavefront6targetE0EEEvT1_,comdat
	.globl	_ZN7rocprim17ROCPRIM_400000_NS6detail17trampoline_kernelINS0_14default_configENS1_25partition_config_selectorILNS1_17partition_subalgoE5ElNS0_10empty_typeEbEEZZNS1_14partition_implILS5_5ELb0ES3_mN6hipcub16HIPCUB_304000_NS21CountingInputIteratorIllEEPS6_NSA_22TransformInputIteratorIbN2at6native12_GLOBAL__N_19NonZeroOpIfEEPKflEENS0_5tupleIJPlS6_EEENSN_IJSD_SD_EEES6_PiJS6_EEE10hipError_tPvRmT3_T4_T5_T6_T7_T9_mT8_P12ihipStream_tbDpT10_ENKUlT_T0_E_clISt17integral_constantIbLb0EES1B_EEDaS16_S17_EUlS16_E_NS1_11comp_targetILNS1_3genE4ELNS1_11target_archE910ELNS1_3gpuE8ELNS1_3repE0EEENS1_30default_config_static_selectorELNS0_4arch9wavefront6targetE0EEEvT1_ ; -- Begin function _ZN7rocprim17ROCPRIM_400000_NS6detail17trampoline_kernelINS0_14default_configENS1_25partition_config_selectorILNS1_17partition_subalgoE5ElNS0_10empty_typeEbEEZZNS1_14partition_implILS5_5ELb0ES3_mN6hipcub16HIPCUB_304000_NS21CountingInputIteratorIllEEPS6_NSA_22TransformInputIteratorIbN2at6native12_GLOBAL__N_19NonZeroOpIfEEPKflEENS0_5tupleIJPlS6_EEENSN_IJSD_SD_EEES6_PiJS6_EEE10hipError_tPvRmT3_T4_T5_T6_T7_T9_mT8_P12ihipStream_tbDpT10_ENKUlT_T0_E_clISt17integral_constantIbLb0EES1B_EEDaS16_S17_EUlS16_E_NS1_11comp_targetILNS1_3genE4ELNS1_11target_archE910ELNS1_3gpuE8ELNS1_3repE0EEENS1_30default_config_static_selectorELNS0_4arch9wavefront6targetE0EEEvT1_
	.p2align	8
	.type	_ZN7rocprim17ROCPRIM_400000_NS6detail17trampoline_kernelINS0_14default_configENS1_25partition_config_selectorILNS1_17partition_subalgoE5ElNS0_10empty_typeEbEEZZNS1_14partition_implILS5_5ELb0ES3_mN6hipcub16HIPCUB_304000_NS21CountingInputIteratorIllEEPS6_NSA_22TransformInputIteratorIbN2at6native12_GLOBAL__N_19NonZeroOpIfEEPKflEENS0_5tupleIJPlS6_EEENSN_IJSD_SD_EEES6_PiJS6_EEE10hipError_tPvRmT3_T4_T5_T6_T7_T9_mT8_P12ihipStream_tbDpT10_ENKUlT_T0_E_clISt17integral_constantIbLb0EES1B_EEDaS16_S17_EUlS16_E_NS1_11comp_targetILNS1_3genE4ELNS1_11target_archE910ELNS1_3gpuE8ELNS1_3repE0EEENS1_30default_config_static_selectorELNS0_4arch9wavefront6targetE0EEEvT1_,@function
_ZN7rocprim17ROCPRIM_400000_NS6detail17trampoline_kernelINS0_14default_configENS1_25partition_config_selectorILNS1_17partition_subalgoE5ElNS0_10empty_typeEbEEZZNS1_14partition_implILS5_5ELb0ES3_mN6hipcub16HIPCUB_304000_NS21CountingInputIteratorIllEEPS6_NSA_22TransformInputIteratorIbN2at6native12_GLOBAL__N_19NonZeroOpIfEEPKflEENS0_5tupleIJPlS6_EEENSN_IJSD_SD_EEES6_PiJS6_EEE10hipError_tPvRmT3_T4_T5_T6_T7_T9_mT8_P12ihipStream_tbDpT10_ENKUlT_T0_E_clISt17integral_constantIbLb0EES1B_EEDaS16_S17_EUlS16_E_NS1_11comp_targetILNS1_3genE4ELNS1_11target_archE910ELNS1_3gpuE8ELNS1_3repE0EEENS1_30default_config_static_selectorELNS0_4arch9wavefront6targetE0EEEvT1_: ; @_ZN7rocprim17ROCPRIM_400000_NS6detail17trampoline_kernelINS0_14default_configENS1_25partition_config_selectorILNS1_17partition_subalgoE5ElNS0_10empty_typeEbEEZZNS1_14partition_implILS5_5ELb0ES3_mN6hipcub16HIPCUB_304000_NS21CountingInputIteratorIllEEPS6_NSA_22TransformInputIteratorIbN2at6native12_GLOBAL__N_19NonZeroOpIfEEPKflEENS0_5tupleIJPlS6_EEENSN_IJSD_SD_EEES6_PiJS6_EEE10hipError_tPvRmT3_T4_T5_T6_T7_T9_mT8_P12ihipStream_tbDpT10_ENKUlT_T0_E_clISt17integral_constantIbLb0EES1B_EEDaS16_S17_EUlS16_E_NS1_11comp_targetILNS1_3genE4ELNS1_11target_archE910ELNS1_3gpuE8ELNS1_3repE0EEENS1_30default_config_static_selectorELNS0_4arch9wavefront6targetE0EEEvT1_
; %bb.0:
	.section	.rodata,"a",@progbits
	.p2align	6, 0x0
	.amdhsa_kernel _ZN7rocprim17ROCPRIM_400000_NS6detail17trampoline_kernelINS0_14default_configENS1_25partition_config_selectorILNS1_17partition_subalgoE5ElNS0_10empty_typeEbEEZZNS1_14partition_implILS5_5ELb0ES3_mN6hipcub16HIPCUB_304000_NS21CountingInputIteratorIllEEPS6_NSA_22TransformInputIteratorIbN2at6native12_GLOBAL__N_19NonZeroOpIfEEPKflEENS0_5tupleIJPlS6_EEENSN_IJSD_SD_EEES6_PiJS6_EEE10hipError_tPvRmT3_T4_T5_T6_T7_T9_mT8_P12ihipStream_tbDpT10_ENKUlT_T0_E_clISt17integral_constantIbLb0EES1B_EEDaS16_S17_EUlS16_E_NS1_11comp_targetILNS1_3genE4ELNS1_11target_archE910ELNS1_3gpuE8ELNS1_3repE0EEENS1_30default_config_static_selectorELNS0_4arch9wavefront6targetE0EEEvT1_
		.amdhsa_group_segment_fixed_size 0
		.amdhsa_private_segment_fixed_size 0
		.amdhsa_kernarg_size 120
		.amdhsa_user_sgpr_count 15
		.amdhsa_user_sgpr_dispatch_ptr 0
		.amdhsa_user_sgpr_queue_ptr 0
		.amdhsa_user_sgpr_kernarg_segment_ptr 1
		.amdhsa_user_sgpr_dispatch_id 0
		.amdhsa_user_sgpr_private_segment_size 0
		.amdhsa_wavefront_size32 1
		.amdhsa_uses_dynamic_stack 0
		.amdhsa_enable_private_segment 0
		.amdhsa_system_sgpr_workgroup_id_x 1
		.amdhsa_system_sgpr_workgroup_id_y 0
		.amdhsa_system_sgpr_workgroup_id_z 0
		.amdhsa_system_sgpr_workgroup_info 0
		.amdhsa_system_vgpr_workitem_id 0
		.amdhsa_next_free_vgpr 1
		.amdhsa_next_free_sgpr 1
		.amdhsa_reserve_vcc 0
		.amdhsa_float_round_mode_32 0
		.amdhsa_float_round_mode_16_64 0
		.amdhsa_float_denorm_mode_32 3
		.amdhsa_float_denorm_mode_16_64 3
		.amdhsa_dx10_clamp 1
		.amdhsa_ieee_mode 1
		.amdhsa_fp16_overflow 0
		.amdhsa_workgroup_processor_mode 1
		.amdhsa_memory_ordered 1
		.amdhsa_forward_progress 0
		.amdhsa_shared_vgpr_count 0
		.amdhsa_exception_fp_ieee_invalid_op 0
		.amdhsa_exception_fp_denorm_src 0
		.amdhsa_exception_fp_ieee_div_zero 0
		.amdhsa_exception_fp_ieee_overflow 0
		.amdhsa_exception_fp_ieee_underflow 0
		.amdhsa_exception_fp_ieee_inexact 0
		.amdhsa_exception_int_div_zero 0
	.end_amdhsa_kernel
	.section	.text._ZN7rocprim17ROCPRIM_400000_NS6detail17trampoline_kernelINS0_14default_configENS1_25partition_config_selectorILNS1_17partition_subalgoE5ElNS0_10empty_typeEbEEZZNS1_14partition_implILS5_5ELb0ES3_mN6hipcub16HIPCUB_304000_NS21CountingInputIteratorIllEEPS6_NSA_22TransformInputIteratorIbN2at6native12_GLOBAL__N_19NonZeroOpIfEEPKflEENS0_5tupleIJPlS6_EEENSN_IJSD_SD_EEES6_PiJS6_EEE10hipError_tPvRmT3_T4_T5_T6_T7_T9_mT8_P12ihipStream_tbDpT10_ENKUlT_T0_E_clISt17integral_constantIbLb0EES1B_EEDaS16_S17_EUlS16_E_NS1_11comp_targetILNS1_3genE4ELNS1_11target_archE910ELNS1_3gpuE8ELNS1_3repE0EEENS1_30default_config_static_selectorELNS0_4arch9wavefront6targetE0EEEvT1_,"axG",@progbits,_ZN7rocprim17ROCPRIM_400000_NS6detail17trampoline_kernelINS0_14default_configENS1_25partition_config_selectorILNS1_17partition_subalgoE5ElNS0_10empty_typeEbEEZZNS1_14partition_implILS5_5ELb0ES3_mN6hipcub16HIPCUB_304000_NS21CountingInputIteratorIllEEPS6_NSA_22TransformInputIteratorIbN2at6native12_GLOBAL__N_19NonZeroOpIfEEPKflEENS0_5tupleIJPlS6_EEENSN_IJSD_SD_EEES6_PiJS6_EEE10hipError_tPvRmT3_T4_T5_T6_T7_T9_mT8_P12ihipStream_tbDpT10_ENKUlT_T0_E_clISt17integral_constantIbLb0EES1B_EEDaS16_S17_EUlS16_E_NS1_11comp_targetILNS1_3genE4ELNS1_11target_archE910ELNS1_3gpuE8ELNS1_3repE0EEENS1_30default_config_static_selectorELNS0_4arch9wavefront6targetE0EEEvT1_,comdat
.Lfunc_end460:
	.size	_ZN7rocprim17ROCPRIM_400000_NS6detail17trampoline_kernelINS0_14default_configENS1_25partition_config_selectorILNS1_17partition_subalgoE5ElNS0_10empty_typeEbEEZZNS1_14partition_implILS5_5ELb0ES3_mN6hipcub16HIPCUB_304000_NS21CountingInputIteratorIllEEPS6_NSA_22TransformInputIteratorIbN2at6native12_GLOBAL__N_19NonZeroOpIfEEPKflEENS0_5tupleIJPlS6_EEENSN_IJSD_SD_EEES6_PiJS6_EEE10hipError_tPvRmT3_T4_T5_T6_T7_T9_mT8_P12ihipStream_tbDpT10_ENKUlT_T0_E_clISt17integral_constantIbLb0EES1B_EEDaS16_S17_EUlS16_E_NS1_11comp_targetILNS1_3genE4ELNS1_11target_archE910ELNS1_3gpuE8ELNS1_3repE0EEENS1_30default_config_static_selectorELNS0_4arch9wavefront6targetE0EEEvT1_, .Lfunc_end460-_ZN7rocprim17ROCPRIM_400000_NS6detail17trampoline_kernelINS0_14default_configENS1_25partition_config_selectorILNS1_17partition_subalgoE5ElNS0_10empty_typeEbEEZZNS1_14partition_implILS5_5ELb0ES3_mN6hipcub16HIPCUB_304000_NS21CountingInputIteratorIllEEPS6_NSA_22TransformInputIteratorIbN2at6native12_GLOBAL__N_19NonZeroOpIfEEPKflEENS0_5tupleIJPlS6_EEENSN_IJSD_SD_EEES6_PiJS6_EEE10hipError_tPvRmT3_T4_T5_T6_T7_T9_mT8_P12ihipStream_tbDpT10_ENKUlT_T0_E_clISt17integral_constantIbLb0EES1B_EEDaS16_S17_EUlS16_E_NS1_11comp_targetILNS1_3genE4ELNS1_11target_archE910ELNS1_3gpuE8ELNS1_3repE0EEENS1_30default_config_static_selectorELNS0_4arch9wavefront6targetE0EEEvT1_
                                        ; -- End function
	.section	.AMDGPU.csdata,"",@progbits
; Kernel info:
; codeLenInByte = 0
; NumSgprs: 0
; NumVgprs: 0
; ScratchSize: 0
; MemoryBound: 0
; FloatMode: 240
; IeeeMode: 1
; LDSByteSize: 0 bytes/workgroup (compile time only)
; SGPRBlocks: 0
; VGPRBlocks: 0
; NumSGPRsForWavesPerEU: 1
; NumVGPRsForWavesPerEU: 1
; Occupancy: 15
; WaveLimiterHint : 0
; COMPUTE_PGM_RSRC2:SCRATCH_EN: 0
; COMPUTE_PGM_RSRC2:USER_SGPR: 15
; COMPUTE_PGM_RSRC2:TRAP_HANDLER: 0
; COMPUTE_PGM_RSRC2:TGID_X_EN: 1
; COMPUTE_PGM_RSRC2:TGID_Y_EN: 0
; COMPUTE_PGM_RSRC2:TGID_Z_EN: 0
; COMPUTE_PGM_RSRC2:TIDIG_COMP_CNT: 0
	.section	.text._ZN7rocprim17ROCPRIM_400000_NS6detail17trampoline_kernelINS0_14default_configENS1_25partition_config_selectorILNS1_17partition_subalgoE5ElNS0_10empty_typeEbEEZZNS1_14partition_implILS5_5ELb0ES3_mN6hipcub16HIPCUB_304000_NS21CountingInputIteratorIllEEPS6_NSA_22TransformInputIteratorIbN2at6native12_GLOBAL__N_19NonZeroOpIfEEPKflEENS0_5tupleIJPlS6_EEENSN_IJSD_SD_EEES6_PiJS6_EEE10hipError_tPvRmT3_T4_T5_T6_T7_T9_mT8_P12ihipStream_tbDpT10_ENKUlT_T0_E_clISt17integral_constantIbLb0EES1B_EEDaS16_S17_EUlS16_E_NS1_11comp_targetILNS1_3genE3ELNS1_11target_archE908ELNS1_3gpuE7ELNS1_3repE0EEENS1_30default_config_static_selectorELNS0_4arch9wavefront6targetE0EEEvT1_,"axG",@progbits,_ZN7rocprim17ROCPRIM_400000_NS6detail17trampoline_kernelINS0_14default_configENS1_25partition_config_selectorILNS1_17partition_subalgoE5ElNS0_10empty_typeEbEEZZNS1_14partition_implILS5_5ELb0ES3_mN6hipcub16HIPCUB_304000_NS21CountingInputIteratorIllEEPS6_NSA_22TransformInputIteratorIbN2at6native12_GLOBAL__N_19NonZeroOpIfEEPKflEENS0_5tupleIJPlS6_EEENSN_IJSD_SD_EEES6_PiJS6_EEE10hipError_tPvRmT3_T4_T5_T6_T7_T9_mT8_P12ihipStream_tbDpT10_ENKUlT_T0_E_clISt17integral_constantIbLb0EES1B_EEDaS16_S17_EUlS16_E_NS1_11comp_targetILNS1_3genE3ELNS1_11target_archE908ELNS1_3gpuE7ELNS1_3repE0EEENS1_30default_config_static_selectorELNS0_4arch9wavefront6targetE0EEEvT1_,comdat
	.globl	_ZN7rocprim17ROCPRIM_400000_NS6detail17trampoline_kernelINS0_14default_configENS1_25partition_config_selectorILNS1_17partition_subalgoE5ElNS0_10empty_typeEbEEZZNS1_14partition_implILS5_5ELb0ES3_mN6hipcub16HIPCUB_304000_NS21CountingInputIteratorIllEEPS6_NSA_22TransformInputIteratorIbN2at6native12_GLOBAL__N_19NonZeroOpIfEEPKflEENS0_5tupleIJPlS6_EEENSN_IJSD_SD_EEES6_PiJS6_EEE10hipError_tPvRmT3_T4_T5_T6_T7_T9_mT8_P12ihipStream_tbDpT10_ENKUlT_T0_E_clISt17integral_constantIbLb0EES1B_EEDaS16_S17_EUlS16_E_NS1_11comp_targetILNS1_3genE3ELNS1_11target_archE908ELNS1_3gpuE7ELNS1_3repE0EEENS1_30default_config_static_selectorELNS0_4arch9wavefront6targetE0EEEvT1_ ; -- Begin function _ZN7rocprim17ROCPRIM_400000_NS6detail17trampoline_kernelINS0_14default_configENS1_25partition_config_selectorILNS1_17partition_subalgoE5ElNS0_10empty_typeEbEEZZNS1_14partition_implILS5_5ELb0ES3_mN6hipcub16HIPCUB_304000_NS21CountingInputIteratorIllEEPS6_NSA_22TransformInputIteratorIbN2at6native12_GLOBAL__N_19NonZeroOpIfEEPKflEENS0_5tupleIJPlS6_EEENSN_IJSD_SD_EEES6_PiJS6_EEE10hipError_tPvRmT3_T4_T5_T6_T7_T9_mT8_P12ihipStream_tbDpT10_ENKUlT_T0_E_clISt17integral_constantIbLb0EES1B_EEDaS16_S17_EUlS16_E_NS1_11comp_targetILNS1_3genE3ELNS1_11target_archE908ELNS1_3gpuE7ELNS1_3repE0EEENS1_30default_config_static_selectorELNS0_4arch9wavefront6targetE0EEEvT1_
	.p2align	8
	.type	_ZN7rocprim17ROCPRIM_400000_NS6detail17trampoline_kernelINS0_14default_configENS1_25partition_config_selectorILNS1_17partition_subalgoE5ElNS0_10empty_typeEbEEZZNS1_14partition_implILS5_5ELb0ES3_mN6hipcub16HIPCUB_304000_NS21CountingInputIteratorIllEEPS6_NSA_22TransformInputIteratorIbN2at6native12_GLOBAL__N_19NonZeroOpIfEEPKflEENS0_5tupleIJPlS6_EEENSN_IJSD_SD_EEES6_PiJS6_EEE10hipError_tPvRmT3_T4_T5_T6_T7_T9_mT8_P12ihipStream_tbDpT10_ENKUlT_T0_E_clISt17integral_constantIbLb0EES1B_EEDaS16_S17_EUlS16_E_NS1_11comp_targetILNS1_3genE3ELNS1_11target_archE908ELNS1_3gpuE7ELNS1_3repE0EEENS1_30default_config_static_selectorELNS0_4arch9wavefront6targetE0EEEvT1_,@function
_ZN7rocprim17ROCPRIM_400000_NS6detail17trampoline_kernelINS0_14default_configENS1_25partition_config_selectorILNS1_17partition_subalgoE5ElNS0_10empty_typeEbEEZZNS1_14partition_implILS5_5ELb0ES3_mN6hipcub16HIPCUB_304000_NS21CountingInputIteratorIllEEPS6_NSA_22TransformInputIteratorIbN2at6native12_GLOBAL__N_19NonZeroOpIfEEPKflEENS0_5tupleIJPlS6_EEENSN_IJSD_SD_EEES6_PiJS6_EEE10hipError_tPvRmT3_T4_T5_T6_T7_T9_mT8_P12ihipStream_tbDpT10_ENKUlT_T0_E_clISt17integral_constantIbLb0EES1B_EEDaS16_S17_EUlS16_E_NS1_11comp_targetILNS1_3genE3ELNS1_11target_archE908ELNS1_3gpuE7ELNS1_3repE0EEENS1_30default_config_static_selectorELNS0_4arch9wavefront6targetE0EEEvT1_: ; @_ZN7rocprim17ROCPRIM_400000_NS6detail17trampoline_kernelINS0_14default_configENS1_25partition_config_selectorILNS1_17partition_subalgoE5ElNS0_10empty_typeEbEEZZNS1_14partition_implILS5_5ELb0ES3_mN6hipcub16HIPCUB_304000_NS21CountingInputIteratorIllEEPS6_NSA_22TransformInputIteratorIbN2at6native12_GLOBAL__N_19NonZeroOpIfEEPKflEENS0_5tupleIJPlS6_EEENSN_IJSD_SD_EEES6_PiJS6_EEE10hipError_tPvRmT3_T4_T5_T6_T7_T9_mT8_P12ihipStream_tbDpT10_ENKUlT_T0_E_clISt17integral_constantIbLb0EES1B_EEDaS16_S17_EUlS16_E_NS1_11comp_targetILNS1_3genE3ELNS1_11target_archE908ELNS1_3gpuE7ELNS1_3repE0EEENS1_30default_config_static_selectorELNS0_4arch9wavefront6targetE0EEEvT1_
; %bb.0:
	.section	.rodata,"a",@progbits
	.p2align	6, 0x0
	.amdhsa_kernel _ZN7rocprim17ROCPRIM_400000_NS6detail17trampoline_kernelINS0_14default_configENS1_25partition_config_selectorILNS1_17partition_subalgoE5ElNS0_10empty_typeEbEEZZNS1_14partition_implILS5_5ELb0ES3_mN6hipcub16HIPCUB_304000_NS21CountingInputIteratorIllEEPS6_NSA_22TransformInputIteratorIbN2at6native12_GLOBAL__N_19NonZeroOpIfEEPKflEENS0_5tupleIJPlS6_EEENSN_IJSD_SD_EEES6_PiJS6_EEE10hipError_tPvRmT3_T4_T5_T6_T7_T9_mT8_P12ihipStream_tbDpT10_ENKUlT_T0_E_clISt17integral_constantIbLb0EES1B_EEDaS16_S17_EUlS16_E_NS1_11comp_targetILNS1_3genE3ELNS1_11target_archE908ELNS1_3gpuE7ELNS1_3repE0EEENS1_30default_config_static_selectorELNS0_4arch9wavefront6targetE0EEEvT1_
		.amdhsa_group_segment_fixed_size 0
		.amdhsa_private_segment_fixed_size 0
		.amdhsa_kernarg_size 120
		.amdhsa_user_sgpr_count 15
		.amdhsa_user_sgpr_dispatch_ptr 0
		.amdhsa_user_sgpr_queue_ptr 0
		.amdhsa_user_sgpr_kernarg_segment_ptr 1
		.amdhsa_user_sgpr_dispatch_id 0
		.amdhsa_user_sgpr_private_segment_size 0
		.amdhsa_wavefront_size32 1
		.amdhsa_uses_dynamic_stack 0
		.amdhsa_enable_private_segment 0
		.amdhsa_system_sgpr_workgroup_id_x 1
		.amdhsa_system_sgpr_workgroup_id_y 0
		.amdhsa_system_sgpr_workgroup_id_z 0
		.amdhsa_system_sgpr_workgroup_info 0
		.amdhsa_system_vgpr_workitem_id 0
		.amdhsa_next_free_vgpr 1
		.amdhsa_next_free_sgpr 1
		.amdhsa_reserve_vcc 0
		.amdhsa_float_round_mode_32 0
		.amdhsa_float_round_mode_16_64 0
		.amdhsa_float_denorm_mode_32 3
		.amdhsa_float_denorm_mode_16_64 3
		.amdhsa_dx10_clamp 1
		.amdhsa_ieee_mode 1
		.amdhsa_fp16_overflow 0
		.amdhsa_workgroup_processor_mode 1
		.amdhsa_memory_ordered 1
		.amdhsa_forward_progress 0
		.amdhsa_shared_vgpr_count 0
		.amdhsa_exception_fp_ieee_invalid_op 0
		.amdhsa_exception_fp_denorm_src 0
		.amdhsa_exception_fp_ieee_div_zero 0
		.amdhsa_exception_fp_ieee_overflow 0
		.amdhsa_exception_fp_ieee_underflow 0
		.amdhsa_exception_fp_ieee_inexact 0
		.amdhsa_exception_int_div_zero 0
	.end_amdhsa_kernel
	.section	.text._ZN7rocprim17ROCPRIM_400000_NS6detail17trampoline_kernelINS0_14default_configENS1_25partition_config_selectorILNS1_17partition_subalgoE5ElNS0_10empty_typeEbEEZZNS1_14partition_implILS5_5ELb0ES3_mN6hipcub16HIPCUB_304000_NS21CountingInputIteratorIllEEPS6_NSA_22TransformInputIteratorIbN2at6native12_GLOBAL__N_19NonZeroOpIfEEPKflEENS0_5tupleIJPlS6_EEENSN_IJSD_SD_EEES6_PiJS6_EEE10hipError_tPvRmT3_T4_T5_T6_T7_T9_mT8_P12ihipStream_tbDpT10_ENKUlT_T0_E_clISt17integral_constantIbLb0EES1B_EEDaS16_S17_EUlS16_E_NS1_11comp_targetILNS1_3genE3ELNS1_11target_archE908ELNS1_3gpuE7ELNS1_3repE0EEENS1_30default_config_static_selectorELNS0_4arch9wavefront6targetE0EEEvT1_,"axG",@progbits,_ZN7rocprim17ROCPRIM_400000_NS6detail17trampoline_kernelINS0_14default_configENS1_25partition_config_selectorILNS1_17partition_subalgoE5ElNS0_10empty_typeEbEEZZNS1_14partition_implILS5_5ELb0ES3_mN6hipcub16HIPCUB_304000_NS21CountingInputIteratorIllEEPS6_NSA_22TransformInputIteratorIbN2at6native12_GLOBAL__N_19NonZeroOpIfEEPKflEENS0_5tupleIJPlS6_EEENSN_IJSD_SD_EEES6_PiJS6_EEE10hipError_tPvRmT3_T4_T5_T6_T7_T9_mT8_P12ihipStream_tbDpT10_ENKUlT_T0_E_clISt17integral_constantIbLb0EES1B_EEDaS16_S17_EUlS16_E_NS1_11comp_targetILNS1_3genE3ELNS1_11target_archE908ELNS1_3gpuE7ELNS1_3repE0EEENS1_30default_config_static_selectorELNS0_4arch9wavefront6targetE0EEEvT1_,comdat
.Lfunc_end461:
	.size	_ZN7rocprim17ROCPRIM_400000_NS6detail17trampoline_kernelINS0_14default_configENS1_25partition_config_selectorILNS1_17partition_subalgoE5ElNS0_10empty_typeEbEEZZNS1_14partition_implILS5_5ELb0ES3_mN6hipcub16HIPCUB_304000_NS21CountingInputIteratorIllEEPS6_NSA_22TransformInputIteratorIbN2at6native12_GLOBAL__N_19NonZeroOpIfEEPKflEENS0_5tupleIJPlS6_EEENSN_IJSD_SD_EEES6_PiJS6_EEE10hipError_tPvRmT3_T4_T5_T6_T7_T9_mT8_P12ihipStream_tbDpT10_ENKUlT_T0_E_clISt17integral_constantIbLb0EES1B_EEDaS16_S17_EUlS16_E_NS1_11comp_targetILNS1_3genE3ELNS1_11target_archE908ELNS1_3gpuE7ELNS1_3repE0EEENS1_30default_config_static_selectorELNS0_4arch9wavefront6targetE0EEEvT1_, .Lfunc_end461-_ZN7rocprim17ROCPRIM_400000_NS6detail17trampoline_kernelINS0_14default_configENS1_25partition_config_selectorILNS1_17partition_subalgoE5ElNS0_10empty_typeEbEEZZNS1_14partition_implILS5_5ELb0ES3_mN6hipcub16HIPCUB_304000_NS21CountingInputIteratorIllEEPS6_NSA_22TransformInputIteratorIbN2at6native12_GLOBAL__N_19NonZeroOpIfEEPKflEENS0_5tupleIJPlS6_EEENSN_IJSD_SD_EEES6_PiJS6_EEE10hipError_tPvRmT3_T4_T5_T6_T7_T9_mT8_P12ihipStream_tbDpT10_ENKUlT_T0_E_clISt17integral_constantIbLb0EES1B_EEDaS16_S17_EUlS16_E_NS1_11comp_targetILNS1_3genE3ELNS1_11target_archE908ELNS1_3gpuE7ELNS1_3repE0EEENS1_30default_config_static_selectorELNS0_4arch9wavefront6targetE0EEEvT1_
                                        ; -- End function
	.section	.AMDGPU.csdata,"",@progbits
; Kernel info:
; codeLenInByte = 0
; NumSgprs: 0
; NumVgprs: 0
; ScratchSize: 0
; MemoryBound: 0
; FloatMode: 240
; IeeeMode: 1
; LDSByteSize: 0 bytes/workgroup (compile time only)
; SGPRBlocks: 0
; VGPRBlocks: 0
; NumSGPRsForWavesPerEU: 1
; NumVGPRsForWavesPerEU: 1
; Occupancy: 16
; WaveLimiterHint : 0
; COMPUTE_PGM_RSRC2:SCRATCH_EN: 0
; COMPUTE_PGM_RSRC2:USER_SGPR: 15
; COMPUTE_PGM_RSRC2:TRAP_HANDLER: 0
; COMPUTE_PGM_RSRC2:TGID_X_EN: 1
; COMPUTE_PGM_RSRC2:TGID_Y_EN: 0
; COMPUTE_PGM_RSRC2:TGID_Z_EN: 0
; COMPUTE_PGM_RSRC2:TIDIG_COMP_CNT: 0
	.section	.text._ZN7rocprim17ROCPRIM_400000_NS6detail17trampoline_kernelINS0_14default_configENS1_25partition_config_selectorILNS1_17partition_subalgoE5ElNS0_10empty_typeEbEEZZNS1_14partition_implILS5_5ELb0ES3_mN6hipcub16HIPCUB_304000_NS21CountingInputIteratorIllEEPS6_NSA_22TransformInputIteratorIbN2at6native12_GLOBAL__N_19NonZeroOpIfEEPKflEENS0_5tupleIJPlS6_EEENSN_IJSD_SD_EEES6_PiJS6_EEE10hipError_tPvRmT3_T4_T5_T6_T7_T9_mT8_P12ihipStream_tbDpT10_ENKUlT_T0_E_clISt17integral_constantIbLb0EES1B_EEDaS16_S17_EUlS16_E_NS1_11comp_targetILNS1_3genE2ELNS1_11target_archE906ELNS1_3gpuE6ELNS1_3repE0EEENS1_30default_config_static_selectorELNS0_4arch9wavefront6targetE0EEEvT1_,"axG",@progbits,_ZN7rocprim17ROCPRIM_400000_NS6detail17trampoline_kernelINS0_14default_configENS1_25partition_config_selectorILNS1_17partition_subalgoE5ElNS0_10empty_typeEbEEZZNS1_14partition_implILS5_5ELb0ES3_mN6hipcub16HIPCUB_304000_NS21CountingInputIteratorIllEEPS6_NSA_22TransformInputIteratorIbN2at6native12_GLOBAL__N_19NonZeroOpIfEEPKflEENS0_5tupleIJPlS6_EEENSN_IJSD_SD_EEES6_PiJS6_EEE10hipError_tPvRmT3_T4_T5_T6_T7_T9_mT8_P12ihipStream_tbDpT10_ENKUlT_T0_E_clISt17integral_constantIbLb0EES1B_EEDaS16_S17_EUlS16_E_NS1_11comp_targetILNS1_3genE2ELNS1_11target_archE906ELNS1_3gpuE6ELNS1_3repE0EEENS1_30default_config_static_selectorELNS0_4arch9wavefront6targetE0EEEvT1_,comdat
	.globl	_ZN7rocprim17ROCPRIM_400000_NS6detail17trampoline_kernelINS0_14default_configENS1_25partition_config_selectorILNS1_17partition_subalgoE5ElNS0_10empty_typeEbEEZZNS1_14partition_implILS5_5ELb0ES3_mN6hipcub16HIPCUB_304000_NS21CountingInputIteratorIllEEPS6_NSA_22TransformInputIteratorIbN2at6native12_GLOBAL__N_19NonZeroOpIfEEPKflEENS0_5tupleIJPlS6_EEENSN_IJSD_SD_EEES6_PiJS6_EEE10hipError_tPvRmT3_T4_T5_T6_T7_T9_mT8_P12ihipStream_tbDpT10_ENKUlT_T0_E_clISt17integral_constantIbLb0EES1B_EEDaS16_S17_EUlS16_E_NS1_11comp_targetILNS1_3genE2ELNS1_11target_archE906ELNS1_3gpuE6ELNS1_3repE0EEENS1_30default_config_static_selectorELNS0_4arch9wavefront6targetE0EEEvT1_ ; -- Begin function _ZN7rocprim17ROCPRIM_400000_NS6detail17trampoline_kernelINS0_14default_configENS1_25partition_config_selectorILNS1_17partition_subalgoE5ElNS0_10empty_typeEbEEZZNS1_14partition_implILS5_5ELb0ES3_mN6hipcub16HIPCUB_304000_NS21CountingInputIteratorIllEEPS6_NSA_22TransformInputIteratorIbN2at6native12_GLOBAL__N_19NonZeroOpIfEEPKflEENS0_5tupleIJPlS6_EEENSN_IJSD_SD_EEES6_PiJS6_EEE10hipError_tPvRmT3_T4_T5_T6_T7_T9_mT8_P12ihipStream_tbDpT10_ENKUlT_T0_E_clISt17integral_constantIbLb0EES1B_EEDaS16_S17_EUlS16_E_NS1_11comp_targetILNS1_3genE2ELNS1_11target_archE906ELNS1_3gpuE6ELNS1_3repE0EEENS1_30default_config_static_selectorELNS0_4arch9wavefront6targetE0EEEvT1_
	.p2align	8
	.type	_ZN7rocprim17ROCPRIM_400000_NS6detail17trampoline_kernelINS0_14default_configENS1_25partition_config_selectorILNS1_17partition_subalgoE5ElNS0_10empty_typeEbEEZZNS1_14partition_implILS5_5ELb0ES3_mN6hipcub16HIPCUB_304000_NS21CountingInputIteratorIllEEPS6_NSA_22TransformInputIteratorIbN2at6native12_GLOBAL__N_19NonZeroOpIfEEPKflEENS0_5tupleIJPlS6_EEENSN_IJSD_SD_EEES6_PiJS6_EEE10hipError_tPvRmT3_T4_T5_T6_T7_T9_mT8_P12ihipStream_tbDpT10_ENKUlT_T0_E_clISt17integral_constantIbLb0EES1B_EEDaS16_S17_EUlS16_E_NS1_11comp_targetILNS1_3genE2ELNS1_11target_archE906ELNS1_3gpuE6ELNS1_3repE0EEENS1_30default_config_static_selectorELNS0_4arch9wavefront6targetE0EEEvT1_,@function
_ZN7rocprim17ROCPRIM_400000_NS6detail17trampoline_kernelINS0_14default_configENS1_25partition_config_selectorILNS1_17partition_subalgoE5ElNS0_10empty_typeEbEEZZNS1_14partition_implILS5_5ELb0ES3_mN6hipcub16HIPCUB_304000_NS21CountingInputIteratorIllEEPS6_NSA_22TransformInputIteratorIbN2at6native12_GLOBAL__N_19NonZeroOpIfEEPKflEENS0_5tupleIJPlS6_EEENSN_IJSD_SD_EEES6_PiJS6_EEE10hipError_tPvRmT3_T4_T5_T6_T7_T9_mT8_P12ihipStream_tbDpT10_ENKUlT_T0_E_clISt17integral_constantIbLb0EES1B_EEDaS16_S17_EUlS16_E_NS1_11comp_targetILNS1_3genE2ELNS1_11target_archE906ELNS1_3gpuE6ELNS1_3repE0EEENS1_30default_config_static_selectorELNS0_4arch9wavefront6targetE0EEEvT1_: ; @_ZN7rocprim17ROCPRIM_400000_NS6detail17trampoline_kernelINS0_14default_configENS1_25partition_config_selectorILNS1_17partition_subalgoE5ElNS0_10empty_typeEbEEZZNS1_14partition_implILS5_5ELb0ES3_mN6hipcub16HIPCUB_304000_NS21CountingInputIteratorIllEEPS6_NSA_22TransformInputIteratorIbN2at6native12_GLOBAL__N_19NonZeroOpIfEEPKflEENS0_5tupleIJPlS6_EEENSN_IJSD_SD_EEES6_PiJS6_EEE10hipError_tPvRmT3_T4_T5_T6_T7_T9_mT8_P12ihipStream_tbDpT10_ENKUlT_T0_E_clISt17integral_constantIbLb0EES1B_EEDaS16_S17_EUlS16_E_NS1_11comp_targetILNS1_3genE2ELNS1_11target_archE906ELNS1_3gpuE6ELNS1_3repE0EEENS1_30default_config_static_selectorELNS0_4arch9wavefront6targetE0EEEvT1_
; %bb.0:
	.section	.rodata,"a",@progbits
	.p2align	6, 0x0
	.amdhsa_kernel _ZN7rocprim17ROCPRIM_400000_NS6detail17trampoline_kernelINS0_14default_configENS1_25partition_config_selectorILNS1_17partition_subalgoE5ElNS0_10empty_typeEbEEZZNS1_14partition_implILS5_5ELb0ES3_mN6hipcub16HIPCUB_304000_NS21CountingInputIteratorIllEEPS6_NSA_22TransformInputIteratorIbN2at6native12_GLOBAL__N_19NonZeroOpIfEEPKflEENS0_5tupleIJPlS6_EEENSN_IJSD_SD_EEES6_PiJS6_EEE10hipError_tPvRmT3_T4_T5_T6_T7_T9_mT8_P12ihipStream_tbDpT10_ENKUlT_T0_E_clISt17integral_constantIbLb0EES1B_EEDaS16_S17_EUlS16_E_NS1_11comp_targetILNS1_3genE2ELNS1_11target_archE906ELNS1_3gpuE6ELNS1_3repE0EEENS1_30default_config_static_selectorELNS0_4arch9wavefront6targetE0EEEvT1_
		.amdhsa_group_segment_fixed_size 0
		.amdhsa_private_segment_fixed_size 0
		.amdhsa_kernarg_size 120
		.amdhsa_user_sgpr_count 15
		.amdhsa_user_sgpr_dispatch_ptr 0
		.amdhsa_user_sgpr_queue_ptr 0
		.amdhsa_user_sgpr_kernarg_segment_ptr 1
		.amdhsa_user_sgpr_dispatch_id 0
		.amdhsa_user_sgpr_private_segment_size 0
		.amdhsa_wavefront_size32 1
		.amdhsa_uses_dynamic_stack 0
		.amdhsa_enable_private_segment 0
		.amdhsa_system_sgpr_workgroup_id_x 1
		.amdhsa_system_sgpr_workgroup_id_y 0
		.amdhsa_system_sgpr_workgroup_id_z 0
		.amdhsa_system_sgpr_workgroup_info 0
		.amdhsa_system_vgpr_workitem_id 0
		.amdhsa_next_free_vgpr 1
		.amdhsa_next_free_sgpr 1
		.amdhsa_reserve_vcc 0
		.amdhsa_float_round_mode_32 0
		.amdhsa_float_round_mode_16_64 0
		.amdhsa_float_denorm_mode_32 3
		.amdhsa_float_denorm_mode_16_64 3
		.amdhsa_dx10_clamp 1
		.amdhsa_ieee_mode 1
		.amdhsa_fp16_overflow 0
		.amdhsa_workgroup_processor_mode 1
		.amdhsa_memory_ordered 1
		.amdhsa_forward_progress 0
		.amdhsa_shared_vgpr_count 0
		.amdhsa_exception_fp_ieee_invalid_op 0
		.amdhsa_exception_fp_denorm_src 0
		.amdhsa_exception_fp_ieee_div_zero 0
		.amdhsa_exception_fp_ieee_overflow 0
		.amdhsa_exception_fp_ieee_underflow 0
		.amdhsa_exception_fp_ieee_inexact 0
		.amdhsa_exception_int_div_zero 0
	.end_amdhsa_kernel
	.section	.text._ZN7rocprim17ROCPRIM_400000_NS6detail17trampoline_kernelINS0_14default_configENS1_25partition_config_selectorILNS1_17partition_subalgoE5ElNS0_10empty_typeEbEEZZNS1_14partition_implILS5_5ELb0ES3_mN6hipcub16HIPCUB_304000_NS21CountingInputIteratorIllEEPS6_NSA_22TransformInputIteratorIbN2at6native12_GLOBAL__N_19NonZeroOpIfEEPKflEENS0_5tupleIJPlS6_EEENSN_IJSD_SD_EEES6_PiJS6_EEE10hipError_tPvRmT3_T4_T5_T6_T7_T9_mT8_P12ihipStream_tbDpT10_ENKUlT_T0_E_clISt17integral_constantIbLb0EES1B_EEDaS16_S17_EUlS16_E_NS1_11comp_targetILNS1_3genE2ELNS1_11target_archE906ELNS1_3gpuE6ELNS1_3repE0EEENS1_30default_config_static_selectorELNS0_4arch9wavefront6targetE0EEEvT1_,"axG",@progbits,_ZN7rocprim17ROCPRIM_400000_NS6detail17trampoline_kernelINS0_14default_configENS1_25partition_config_selectorILNS1_17partition_subalgoE5ElNS0_10empty_typeEbEEZZNS1_14partition_implILS5_5ELb0ES3_mN6hipcub16HIPCUB_304000_NS21CountingInputIteratorIllEEPS6_NSA_22TransformInputIteratorIbN2at6native12_GLOBAL__N_19NonZeroOpIfEEPKflEENS0_5tupleIJPlS6_EEENSN_IJSD_SD_EEES6_PiJS6_EEE10hipError_tPvRmT3_T4_T5_T6_T7_T9_mT8_P12ihipStream_tbDpT10_ENKUlT_T0_E_clISt17integral_constantIbLb0EES1B_EEDaS16_S17_EUlS16_E_NS1_11comp_targetILNS1_3genE2ELNS1_11target_archE906ELNS1_3gpuE6ELNS1_3repE0EEENS1_30default_config_static_selectorELNS0_4arch9wavefront6targetE0EEEvT1_,comdat
.Lfunc_end462:
	.size	_ZN7rocprim17ROCPRIM_400000_NS6detail17trampoline_kernelINS0_14default_configENS1_25partition_config_selectorILNS1_17partition_subalgoE5ElNS0_10empty_typeEbEEZZNS1_14partition_implILS5_5ELb0ES3_mN6hipcub16HIPCUB_304000_NS21CountingInputIteratorIllEEPS6_NSA_22TransformInputIteratorIbN2at6native12_GLOBAL__N_19NonZeroOpIfEEPKflEENS0_5tupleIJPlS6_EEENSN_IJSD_SD_EEES6_PiJS6_EEE10hipError_tPvRmT3_T4_T5_T6_T7_T9_mT8_P12ihipStream_tbDpT10_ENKUlT_T0_E_clISt17integral_constantIbLb0EES1B_EEDaS16_S17_EUlS16_E_NS1_11comp_targetILNS1_3genE2ELNS1_11target_archE906ELNS1_3gpuE6ELNS1_3repE0EEENS1_30default_config_static_selectorELNS0_4arch9wavefront6targetE0EEEvT1_, .Lfunc_end462-_ZN7rocprim17ROCPRIM_400000_NS6detail17trampoline_kernelINS0_14default_configENS1_25partition_config_selectorILNS1_17partition_subalgoE5ElNS0_10empty_typeEbEEZZNS1_14partition_implILS5_5ELb0ES3_mN6hipcub16HIPCUB_304000_NS21CountingInputIteratorIllEEPS6_NSA_22TransformInputIteratorIbN2at6native12_GLOBAL__N_19NonZeroOpIfEEPKflEENS0_5tupleIJPlS6_EEENSN_IJSD_SD_EEES6_PiJS6_EEE10hipError_tPvRmT3_T4_T5_T6_T7_T9_mT8_P12ihipStream_tbDpT10_ENKUlT_T0_E_clISt17integral_constantIbLb0EES1B_EEDaS16_S17_EUlS16_E_NS1_11comp_targetILNS1_3genE2ELNS1_11target_archE906ELNS1_3gpuE6ELNS1_3repE0EEENS1_30default_config_static_selectorELNS0_4arch9wavefront6targetE0EEEvT1_
                                        ; -- End function
	.section	.AMDGPU.csdata,"",@progbits
; Kernel info:
; codeLenInByte = 0
; NumSgprs: 0
; NumVgprs: 0
; ScratchSize: 0
; MemoryBound: 0
; FloatMode: 240
; IeeeMode: 1
; LDSByteSize: 0 bytes/workgroup (compile time only)
; SGPRBlocks: 0
; VGPRBlocks: 0
; NumSGPRsForWavesPerEU: 1
; NumVGPRsForWavesPerEU: 1
; Occupancy: 16
; WaveLimiterHint : 0
; COMPUTE_PGM_RSRC2:SCRATCH_EN: 0
; COMPUTE_PGM_RSRC2:USER_SGPR: 15
; COMPUTE_PGM_RSRC2:TRAP_HANDLER: 0
; COMPUTE_PGM_RSRC2:TGID_X_EN: 1
; COMPUTE_PGM_RSRC2:TGID_Y_EN: 0
; COMPUTE_PGM_RSRC2:TGID_Z_EN: 0
; COMPUTE_PGM_RSRC2:TIDIG_COMP_CNT: 0
	.section	.text._ZN7rocprim17ROCPRIM_400000_NS6detail17trampoline_kernelINS0_14default_configENS1_25partition_config_selectorILNS1_17partition_subalgoE5ElNS0_10empty_typeEbEEZZNS1_14partition_implILS5_5ELb0ES3_mN6hipcub16HIPCUB_304000_NS21CountingInputIteratorIllEEPS6_NSA_22TransformInputIteratorIbN2at6native12_GLOBAL__N_19NonZeroOpIfEEPKflEENS0_5tupleIJPlS6_EEENSN_IJSD_SD_EEES6_PiJS6_EEE10hipError_tPvRmT3_T4_T5_T6_T7_T9_mT8_P12ihipStream_tbDpT10_ENKUlT_T0_E_clISt17integral_constantIbLb0EES1B_EEDaS16_S17_EUlS16_E_NS1_11comp_targetILNS1_3genE10ELNS1_11target_archE1200ELNS1_3gpuE4ELNS1_3repE0EEENS1_30default_config_static_selectorELNS0_4arch9wavefront6targetE0EEEvT1_,"axG",@progbits,_ZN7rocprim17ROCPRIM_400000_NS6detail17trampoline_kernelINS0_14default_configENS1_25partition_config_selectorILNS1_17partition_subalgoE5ElNS0_10empty_typeEbEEZZNS1_14partition_implILS5_5ELb0ES3_mN6hipcub16HIPCUB_304000_NS21CountingInputIteratorIllEEPS6_NSA_22TransformInputIteratorIbN2at6native12_GLOBAL__N_19NonZeroOpIfEEPKflEENS0_5tupleIJPlS6_EEENSN_IJSD_SD_EEES6_PiJS6_EEE10hipError_tPvRmT3_T4_T5_T6_T7_T9_mT8_P12ihipStream_tbDpT10_ENKUlT_T0_E_clISt17integral_constantIbLb0EES1B_EEDaS16_S17_EUlS16_E_NS1_11comp_targetILNS1_3genE10ELNS1_11target_archE1200ELNS1_3gpuE4ELNS1_3repE0EEENS1_30default_config_static_selectorELNS0_4arch9wavefront6targetE0EEEvT1_,comdat
	.globl	_ZN7rocprim17ROCPRIM_400000_NS6detail17trampoline_kernelINS0_14default_configENS1_25partition_config_selectorILNS1_17partition_subalgoE5ElNS0_10empty_typeEbEEZZNS1_14partition_implILS5_5ELb0ES3_mN6hipcub16HIPCUB_304000_NS21CountingInputIteratorIllEEPS6_NSA_22TransformInputIteratorIbN2at6native12_GLOBAL__N_19NonZeroOpIfEEPKflEENS0_5tupleIJPlS6_EEENSN_IJSD_SD_EEES6_PiJS6_EEE10hipError_tPvRmT3_T4_T5_T6_T7_T9_mT8_P12ihipStream_tbDpT10_ENKUlT_T0_E_clISt17integral_constantIbLb0EES1B_EEDaS16_S17_EUlS16_E_NS1_11comp_targetILNS1_3genE10ELNS1_11target_archE1200ELNS1_3gpuE4ELNS1_3repE0EEENS1_30default_config_static_selectorELNS0_4arch9wavefront6targetE0EEEvT1_ ; -- Begin function _ZN7rocprim17ROCPRIM_400000_NS6detail17trampoline_kernelINS0_14default_configENS1_25partition_config_selectorILNS1_17partition_subalgoE5ElNS0_10empty_typeEbEEZZNS1_14partition_implILS5_5ELb0ES3_mN6hipcub16HIPCUB_304000_NS21CountingInputIteratorIllEEPS6_NSA_22TransformInputIteratorIbN2at6native12_GLOBAL__N_19NonZeroOpIfEEPKflEENS0_5tupleIJPlS6_EEENSN_IJSD_SD_EEES6_PiJS6_EEE10hipError_tPvRmT3_T4_T5_T6_T7_T9_mT8_P12ihipStream_tbDpT10_ENKUlT_T0_E_clISt17integral_constantIbLb0EES1B_EEDaS16_S17_EUlS16_E_NS1_11comp_targetILNS1_3genE10ELNS1_11target_archE1200ELNS1_3gpuE4ELNS1_3repE0EEENS1_30default_config_static_selectorELNS0_4arch9wavefront6targetE0EEEvT1_
	.p2align	8
	.type	_ZN7rocprim17ROCPRIM_400000_NS6detail17trampoline_kernelINS0_14default_configENS1_25partition_config_selectorILNS1_17partition_subalgoE5ElNS0_10empty_typeEbEEZZNS1_14partition_implILS5_5ELb0ES3_mN6hipcub16HIPCUB_304000_NS21CountingInputIteratorIllEEPS6_NSA_22TransformInputIteratorIbN2at6native12_GLOBAL__N_19NonZeroOpIfEEPKflEENS0_5tupleIJPlS6_EEENSN_IJSD_SD_EEES6_PiJS6_EEE10hipError_tPvRmT3_T4_T5_T6_T7_T9_mT8_P12ihipStream_tbDpT10_ENKUlT_T0_E_clISt17integral_constantIbLb0EES1B_EEDaS16_S17_EUlS16_E_NS1_11comp_targetILNS1_3genE10ELNS1_11target_archE1200ELNS1_3gpuE4ELNS1_3repE0EEENS1_30default_config_static_selectorELNS0_4arch9wavefront6targetE0EEEvT1_,@function
_ZN7rocprim17ROCPRIM_400000_NS6detail17trampoline_kernelINS0_14default_configENS1_25partition_config_selectorILNS1_17partition_subalgoE5ElNS0_10empty_typeEbEEZZNS1_14partition_implILS5_5ELb0ES3_mN6hipcub16HIPCUB_304000_NS21CountingInputIteratorIllEEPS6_NSA_22TransformInputIteratorIbN2at6native12_GLOBAL__N_19NonZeroOpIfEEPKflEENS0_5tupleIJPlS6_EEENSN_IJSD_SD_EEES6_PiJS6_EEE10hipError_tPvRmT3_T4_T5_T6_T7_T9_mT8_P12ihipStream_tbDpT10_ENKUlT_T0_E_clISt17integral_constantIbLb0EES1B_EEDaS16_S17_EUlS16_E_NS1_11comp_targetILNS1_3genE10ELNS1_11target_archE1200ELNS1_3gpuE4ELNS1_3repE0EEENS1_30default_config_static_selectorELNS0_4arch9wavefront6targetE0EEEvT1_: ; @_ZN7rocprim17ROCPRIM_400000_NS6detail17trampoline_kernelINS0_14default_configENS1_25partition_config_selectorILNS1_17partition_subalgoE5ElNS0_10empty_typeEbEEZZNS1_14partition_implILS5_5ELb0ES3_mN6hipcub16HIPCUB_304000_NS21CountingInputIteratorIllEEPS6_NSA_22TransformInputIteratorIbN2at6native12_GLOBAL__N_19NonZeroOpIfEEPKflEENS0_5tupleIJPlS6_EEENSN_IJSD_SD_EEES6_PiJS6_EEE10hipError_tPvRmT3_T4_T5_T6_T7_T9_mT8_P12ihipStream_tbDpT10_ENKUlT_T0_E_clISt17integral_constantIbLb0EES1B_EEDaS16_S17_EUlS16_E_NS1_11comp_targetILNS1_3genE10ELNS1_11target_archE1200ELNS1_3gpuE4ELNS1_3repE0EEENS1_30default_config_static_selectorELNS0_4arch9wavefront6targetE0EEEvT1_
; %bb.0:
	.section	.rodata,"a",@progbits
	.p2align	6, 0x0
	.amdhsa_kernel _ZN7rocprim17ROCPRIM_400000_NS6detail17trampoline_kernelINS0_14default_configENS1_25partition_config_selectorILNS1_17partition_subalgoE5ElNS0_10empty_typeEbEEZZNS1_14partition_implILS5_5ELb0ES3_mN6hipcub16HIPCUB_304000_NS21CountingInputIteratorIllEEPS6_NSA_22TransformInputIteratorIbN2at6native12_GLOBAL__N_19NonZeroOpIfEEPKflEENS0_5tupleIJPlS6_EEENSN_IJSD_SD_EEES6_PiJS6_EEE10hipError_tPvRmT3_T4_T5_T6_T7_T9_mT8_P12ihipStream_tbDpT10_ENKUlT_T0_E_clISt17integral_constantIbLb0EES1B_EEDaS16_S17_EUlS16_E_NS1_11comp_targetILNS1_3genE10ELNS1_11target_archE1200ELNS1_3gpuE4ELNS1_3repE0EEENS1_30default_config_static_selectorELNS0_4arch9wavefront6targetE0EEEvT1_
		.amdhsa_group_segment_fixed_size 0
		.amdhsa_private_segment_fixed_size 0
		.amdhsa_kernarg_size 120
		.amdhsa_user_sgpr_count 15
		.amdhsa_user_sgpr_dispatch_ptr 0
		.amdhsa_user_sgpr_queue_ptr 0
		.amdhsa_user_sgpr_kernarg_segment_ptr 1
		.amdhsa_user_sgpr_dispatch_id 0
		.amdhsa_user_sgpr_private_segment_size 0
		.amdhsa_wavefront_size32 1
		.amdhsa_uses_dynamic_stack 0
		.amdhsa_enable_private_segment 0
		.amdhsa_system_sgpr_workgroup_id_x 1
		.amdhsa_system_sgpr_workgroup_id_y 0
		.amdhsa_system_sgpr_workgroup_id_z 0
		.amdhsa_system_sgpr_workgroup_info 0
		.amdhsa_system_vgpr_workitem_id 0
		.amdhsa_next_free_vgpr 1
		.amdhsa_next_free_sgpr 1
		.amdhsa_reserve_vcc 0
		.amdhsa_float_round_mode_32 0
		.amdhsa_float_round_mode_16_64 0
		.amdhsa_float_denorm_mode_32 3
		.amdhsa_float_denorm_mode_16_64 3
		.amdhsa_dx10_clamp 1
		.amdhsa_ieee_mode 1
		.amdhsa_fp16_overflow 0
		.amdhsa_workgroup_processor_mode 1
		.amdhsa_memory_ordered 1
		.amdhsa_forward_progress 0
		.amdhsa_shared_vgpr_count 0
		.amdhsa_exception_fp_ieee_invalid_op 0
		.amdhsa_exception_fp_denorm_src 0
		.amdhsa_exception_fp_ieee_div_zero 0
		.amdhsa_exception_fp_ieee_overflow 0
		.amdhsa_exception_fp_ieee_underflow 0
		.amdhsa_exception_fp_ieee_inexact 0
		.amdhsa_exception_int_div_zero 0
	.end_amdhsa_kernel
	.section	.text._ZN7rocprim17ROCPRIM_400000_NS6detail17trampoline_kernelINS0_14default_configENS1_25partition_config_selectorILNS1_17partition_subalgoE5ElNS0_10empty_typeEbEEZZNS1_14partition_implILS5_5ELb0ES3_mN6hipcub16HIPCUB_304000_NS21CountingInputIteratorIllEEPS6_NSA_22TransformInputIteratorIbN2at6native12_GLOBAL__N_19NonZeroOpIfEEPKflEENS0_5tupleIJPlS6_EEENSN_IJSD_SD_EEES6_PiJS6_EEE10hipError_tPvRmT3_T4_T5_T6_T7_T9_mT8_P12ihipStream_tbDpT10_ENKUlT_T0_E_clISt17integral_constantIbLb0EES1B_EEDaS16_S17_EUlS16_E_NS1_11comp_targetILNS1_3genE10ELNS1_11target_archE1200ELNS1_3gpuE4ELNS1_3repE0EEENS1_30default_config_static_selectorELNS0_4arch9wavefront6targetE0EEEvT1_,"axG",@progbits,_ZN7rocprim17ROCPRIM_400000_NS6detail17trampoline_kernelINS0_14default_configENS1_25partition_config_selectorILNS1_17partition_subalgoE5ElNS0_10empty_typeEbEEZZNS1_14partition_implILS5_5ELb0ES3_mN6hipcub16HIPCUB_304000_NS21CountingInputIteratorIllEEPS6_NSA_22TransformInputIteratorIbN2at6native12_GLOBAL__N_19NonZeroOpIfEEPKflEENS0_5tupleIJPlS6_EEENSN_IJSD_SD_EEES6_PiJS6_EEE10hipError_tPvRmT3_T4_T5_T6_T7_T9_mT8_P12ihipStream_tbDpT10_ENKUlT_T0_E_clISt17integral_constantIbLb0EES1B_EEDaS16_S17_EUlS16_E_NS1_11comp_targetILNS1_3genE10ELNS1_11target_archE1200ELNS1_3gpuE4ELNS1_3repE0EEENS1_30default_config_static_selectorELNS0_4arch9wavefront6targetE0EEEvT1_,comdat
.Lfunc_end463:
	.size	_ZN7rocprim17ROCPRIM_400000_NS6detail17trampoline_kernelINS0_14default_configENS1_25partition_config_selectorILNS1_17partition_subalgoE5ElNS0_10empty_typeEbEEZZNS1_14partition_implILS5_5ELb0ES3_mN6hipcub16HIPCUB_304000_NS21CountingInputIteratorIllEEPS6_NSA_22TransformInputIteratorIbN2at6native12_GLOBAL__N_19NonZeroOpIfEEPKflEENS0_5tupleIJPlS6_EEENSN_IJSD_SD_EEES6_PiJS6_EEE10hipError_tPvRmT3_T4_T5_T6_T7_T9_mT8_P12ihipStream_tbDpT10_ENKUlT_T0_E_clISt17integral_constantIbLb0EES1B_EEDaS16_S17_EUlS16_E_NS1_11comp_targetILNS1_3genE10ELNS1_11target_archE1200ELNS1_3gpuE4ELNS1_3repE0EEENS1_30default_config_static_selectorELNS0_4arch9wavefront6targetE0EEEvT1_, .Lfunc_end463-_ZN7rocprim17ROCPRIM_400000_NS6detail17trampoline_kernelINS0_14default_configENS1_25partition_config_selectorILNS1_17partition_subalgoE5ElNS0_10empty_typeEbEEZZNS1_14partition_implILS5_5ELb0ES3_mN6hipcub16HIPCUB_304000_NS21CountingInputIteratorIllEEPS6_NSA_22TransformInputIteratorIbN2at6native12_GLOBAL__N_19NonZeroOpIfEEPKflEENS0_5tupleIJPlS6_EEENSN_IJSD_SD_EEES6_PiJS6_EEE10hipError_tPvRmT3_T4_T5_T6_T7_T9_mT8_P12ihipStream_tbDpT10_ENKUlT_T0_E_clISt17integral_constantIbLb0EES1B_EEDaS16_S17_EUlS16_E_NS1_11comp_targetILNS1_3genE10ELNS1_11target_archE1200ELNS1_3gpuE4ELNS1_3repE0EEENS1_30default_config_static_selectorELNS0_4arch9wavefront6targetE0EEEvT1_
                                        ; -- End function
	.section	.AMDGPU.csdata,"",@progbits
; Kernel info:
; codeLenInByte = 0
; NumSgprs: 0
; NumVgprs: 0
; ScratchSize: 0
; MemoryBound: 0
; FloatMode: 240
; IeeeMode: 1
; LDSByteSize: 0 bytes/workgroup (compile time only)
; SGPRBlocks: 0
; VGPRBlocks: 0
; NumSGPRsForWavesPerEU: 1
; NumVGPRsForWavesPerEU: 1
; Occupancy: 16
; WaveLimiterHint : 0
; COMPUTE_PGM_RSRC2:SCRATCH_EN: 0
; COMPUTE_PGM_RSRC2:USER_SGPR: 15
; COMPUTE_PGM_RSRC2:TRAP_HANDLER: 0
; COMPUTE_PGM_RSRC2:TGID_X_EN: 1
; COMPUTE_PGM_RSRC2:TGID_Y_EN: 0
; COMPUTE_PGM_RSRC2:TGID_Z_EN: 0
; COMPUTE_PGM_RSRC2:TIDIG_COMP_CNT: 0
	.section	.text._ZN7rocprim17ROCPRIM_400000_NS6detail17trampoline_kernelINS0_14default_configENS1_25partition_config_selectorILNS1_17partition_subalgoE5ElNS0_10empty_typeEbEEZZNS1_14partition_implILS5_5ELb0ES3_mN6hipcub16HIPCUB_304000_NS21CountingInputIteratorIllEEPS6_NSA_22TransformInputIteratorIbN2at6native12_GLOBAL__N_19NonZeroOpIfEEPKflEENS0_5tupleIJPlS6_EEENSN_IJSD_SD_EEES6_PiJS6_EEE10hipError_tPvRmT3_T4_T5_T6_T7_T9_mT8_P12ihipStream_tbDpT10_ENKUlT_T0_E_clISt17integral_constantIbLb0EES1B_EEDaS16_S17_EUlS16_E_NS1_11comp_targetILNS1_3genE9ELNS1_11target_archE1100ELNS1_3gpuE3ELNS1_3repE0EEENS1_30default_config_static_selectorELNS0_4arch9wavefront6targetE0EEEvT1_,"axG",@progbits,_ZN7rocprim17ROCPRIM_400000_NS6detail17trampoline_kernelINS0_14default_configENS1_25partition_config_selectorILNS1_17partition_subalgoE5ElNS0_10empty_typeEbEEZZNS1_14partition_implILS5_5ELb0ES3_mN6hipcub16HIPCUB_304000_NS21CountingInputIteratorIllEEPS6_NSA_22TransformInputIteratorIbN2at6native12_GLOBAL__N_19NonZeroOpIfEEPKflEENS0_5tupleIJPlS6_EEENSN_IJSD_SD_EEES6_PiJS6_EEE10hipError_tPvRmT3_T4_T5_T6_T7_T9_mT8_P12ihipStream_tbDpT10_ENKUlT_T0_E_clISt17integral_constantIbLb0EES1B_EEDaS16_S17_EUlS16_E_NS1_11comp_targetILNS1_3genE9ELNS1_11target_archE1100ELNS1_3gpuE3ELNS1_3repE0EEENS1_30default_config_static_selectorELNS0_4arch9wavefront6targetE0EEEvT1_,comdat
	.globl	_ZN7rocprim17ROCPRIM_400000_NS6detail17trampoline_kernelINS0_14default_configENS1_25partition_config_selectorILNS1_17partition_subalgoE5ElNS0_10empty_typeEbEEZZNS1_14partition_implILS5_5ELb0ES3_mN6hipcub16HIPCUB_304000_NS21CountingInputIteratorIllEEPS6_NSA_22TransformInputIteratorIbN2at6native12_GLOBAL__N_19NonZeroOpIfEEPKflEENS0_5tupleIJPlS6_EEENSN_IJSD_SD_EEES6_PiJS6_EEE10hipError_tPvRmT3_T4_T5_T6_T7_T9_mT8_P12ihipStream_tbDpT10_ENKUlT_T0_E_clISt17integral_constantIbLb0EES1B_EEDaS16_S17_EUlS16_E_NS1_11comp_targetILNS1_3genE9ELNS1_11target_archE1100ELNS1_3gpuE3ELNS1_3repE0EEENS1_30default_config_static_selectorELNS0_4arch9wavefront6targetE0EEEvT1_ ; -- Begin function _ZN7rocprim17ROCPRIM_400000_NS6detail17trampoline_kernelINS0_14default_configENS1_25partition_config_selectorILNS1_17partition_subalgoE5ElNS0_10empty_typeEbEEZZNS1_14partition_implILS5_5ELb0ES3_mN6hipcub16HIPCUB_304000_NS21CountingInputIteratorIllEEPS6_NSA_22TransformInputIteratorIbN2at6native12_GLOBAL__N_19NonZeroOpIfEEPKflEENS0_5tupleIJPlS6_EEENSN_IJSD_SD_EEES6_PiJS6_EEE10hipError_tPvRmT3_T4_T5_T6_T7_T9_mT8_P12ihipStream_tbDpT10_ENKUlT_T0_E_clISt17integral_constantIbLb0EES1B_EEDaS16_S17_EUlS16_E_NS1_11comp_targetILNS1_3genE9ELNS1_11target_archE1100ELNS1_3gpuE3ELNS1_3repE0EEENS1_30default_config_static_selectorELNS0_4arch9wavefront6targetE0EEEvT1_
	.p2align	8
	.type	_ZN7rocprim17ROCPRIM_400000_NS6detail17trampoline_kernelINS0_14default_configENS1_25partition_config_selectorILNS1_17partition_subalgoE5ElNS0_10empty_typeEbEEZZNS1_14partition_implILS5_5ELb0ES3_mN6hipcub16HIPCUB_304000_NS21CountingInputIteratorIllEEPS6_NSA_22TransformInputIteratorIbN2at6native12_GLOBAL__N_19NonZeroOpIfEEPKflEENS0_5tupleIJPlS6_EEENSN_IJSD_SD_EEES6_PiJS6_EEE10hipError_tPvRmT3_T4_T5_T6_T7_T9_mT8_P12ihipStream_tbDpT10_ENKUlT_T0_E_clISt17integral_constantIbLb0EES1B_EEDaS16_S17_EUlS16_E_NS1_11comp_targetILNS1_3genE9ELNS1_11target_archE1100ELNS1_3gpuE3ELNS1_3repE0EEENS1_30default_config_static_selectorELNS0_4arch9wavefront6targetE0EEEvT1_,@function
_ZN7rocprim17ROCPRIM_400000_NS6detail17trampoline_kernelINS0_14default_configENS1_25partition_config_selectorILNS1_17partition_subalgoE5ElNS0_10empty_typeEbEEZZNS1_14partition_implILS5_5ELb0ES3_mN6hipcub16HIPCUB_304000_NS21CountingInputIteratorIllEEPS6_NSA_22TransformInputIteratorIbN2at6native12_GLOBAL__N_19NonZeroOpIfEEPKflEENS0_5tupleIJPlS6_EEENSN_IJSD_SD_EEES6_PiJS6_EEE10hipError_tPvRmT3_T4_T5_T6_T7_T9_mT8_P12ihipStream_tbDpT10_ENKUlT_T0_E_clISt17integral_constantIbLb0EES1B_EEDaS16_S17_EUlS16_E_NS1_11comp_targetILNS1_3genE9ELNS1_11target_archE1100ELNS1_3gpuE3ELNS1_3repE0EEENS1_30default_config_static_selectorELNS0_4arch9wavefront6targetE0EEEvT1_: ; @_ZN7rocprim17ROCPRIM_400000_NS6detail17trampoline_kernelINS0_14default_configENS1_25partition_config_selectorILNS1_17partition_subalgoE5ElNS0_10empty_typeEbEEZZNS1_14partition_implILS5_5ELb0ES3_mN6hipcub16HIPCUB_304000_NS21CountingInputIteratorIllEEPS6_NSA_22TransformInputIteratorIbN2at6native12_GLOBAL__N_19NonZeroOpIfEEPKflEENS0_5tupleIJPlS6_EEENSN_IJSD_SD_EEES6_PiJS6_EEE10hipError_tPvRmT3_T4_T5_T6_T7_T9_mT8_P12ihipStream_tbDpT10_ENKUlT_T0_E_clISt17integral_constantIbLb0EES1B_EEDaS16_S17_EUlS16_E_NS1_11comp_targetILNS1_3genE9ELNS1_11target_archE1100ELNS1_3gpuE3ELNS1_3repE0EEENS1_30default_config_static_selectorELNS0_4arch9wavefront6targetE0EEEvT1_
; %bb.0:
	s_clause 0x4
	s_load_b128 s[8:11], s[0:1], 0x8
	s_load_b128 s[4:7], s[0:1], 0x48
	s_load_b32 s14, s[0:1], 0x70
	s_load_b64 s[2:3], s[0:1], 0x58
	s_load_b64 s[12:13], s[0:1], 0x20
	s_waitcnt lgkmcnt(0)
	s_add_u32 s18, s10, s8
	s_load_b64 s[6:7], s[6:7], 0x0
	s_mul_i32 s17, s14, 0x300
	s_addc_u32 s19, s11, s9
	s_add_i32 s14, s14, -1
	s_add_u32 s8, s10, s17
	s_addc_u32 s9, s11, 0
	s_cmp_eq_u32 s15, s14
	v_cmp_ge_u64_e64 s3, s[8:9], s[2:3]
	s_cselect_b32 s14, -1, 0
	s_mul_i32 s8, s15, 0x300
	s_mov_b32 s9, 0
	s_delay_alu instid0(VALU_DEP_1) | instskip(NEXT) | instid1(SALU_CYCLE_1)
	s_and_b32 s3, s14, s3
	s_xor_b32 s16, s3, -1
	s_mov_b32 s3, -1
	s_and_b32 vcc_lo, exec_lo, s16
	s_cbranch_vccz .LBB464_2
; %bb.1:
	s_add_u32 s3, s18, s8
	s_addc_u32 s20, s19, 0
	v_add_co_u32 v1, s3, s3, v0
	s_delay_alu instid0(VALU_DEP_1) | instskip(SKIP_1) | instid1(VALU_DEP_3)
	v_add_co_ci_u32_e64 v2, null, s20, 0, s3
	v_lshlrev_b32_e32 v13, 3, v0
	v_add_co_u32 v3, vcc_lo, 0x80, v1
	s_delay_alu instid0(VALU_DEP_3)
	v_add_co_ci_u32_e32 v4, vcc_lo, 0, v2, vcc_lo
	v_add_co_u32 v5, vcc_lo, 0x100, v1
	v_add_co_ci_u32_e32 v6, vcc_lo, 0, v2, vcc_lo
	v_add_co_u32 v7, vcc_lo, 0x180, v1
	;; [unrolled: 2-line block ×4, first 2 shown]
	v_add_co_ci_u32_e32 v12, vcc_lo, 0, v2, vcc_lo
	ds_store_2addr_stride64_b64 v13, v[1:2], v[3:4] offset1:2
	ds_store_2addr_stride64_b64 v13, v[5:6], v[7:8] offset0:4 offset1:6
	ds_store_2addr_stride64_b64 v13, v[9:10], v[11:12] offset0:8 offset1:10
	s_waitcnt lgkmcnt(0)
	s_mov_b32 s3, s9
	s_barrier
.LBB464_2:
	v_or_b32_e32 v17, 0x100, v0
	v_or_b32_e32 v16, 0x180, v0
	;; [unrolled: 1-line block ×4, first 2 shown]
	s_and_not1_b32 vcc_lo, exec_lo, s3
	s_cbranch_vccnz .LBB464_4
; %bb.3:
	v_or_b32_e32 v3, 0x80, v0
	s_add_u32 s3, s18, s8
	s_addc_u32 s18, s19, 0
	v_add_co_u32 v1, s19, s3, v0
	s_delay_alu instid0(VALU_DEP_1) | instskip(SKIP_1) | instid1(VALU_DEP_1)
	v_add_co_ci_u32_e64 v2, null, s18, 0, s19
	v_add_co_u32 v3, s19, s3, v3
	v_add_co_ci_u32_e64 v4, null, s18, 0, s19
	v_add_co_u32 v5, s19, s3, v17
	s_delay_alu instid0(VALU_DEP_1) | instskip(SKIP_1) | instid1(VALU_DEP_1)
	v_add_co_ci_u32_e64 v6, null, s18, 0, s19
	v_add_co_u32 v7, s19, s3, v16
	v_add_co_ci_u32_e64 v8, null, s18, 0, s19
	v_add_co_u32 v9, s19, s3, v14
	v_lshlrev_b32_e32 v15, 3, v0
	v_add_co_u32 v11, s3, s3, v13
	v_add_co_ci_u32_e64 v10, null, s18, 0, s19
	v_add_co_ci_u32_e64 v12, null, s18, 0, s3
	ds_store_2addr_stride64_b64 v15, v[1:2], v[3:4] offset1:2
	ds_store_2addr_stride64_b64 v15, v[5:6], v[7:8] offset0:4 offset1:6
	ds_store_2addr_stride64_b64 v15, v[9:10], v[11:12] offset0:8 offset1:10
	s_waitcnt lgkmcnt(0)
	s_barrier
.LBB464_4:
	v_mul_u32_u24_e32 v1, 6, v0
	s_waitcnt lgkmcnt(0)
	buffer_gl0_inv
	s_lshl_b64 s[18:19], s[10:11], 2
	v_lshlrev_b32_e32 v18, 2, v0
	s_add_u32 s3, s12, s18
	v_lshlrev_b32_e32 v15, 3, v1
	s_addc_u32 s11, s13, s19
	s_lshl_b64 s[8:9], s[8:9], 2
	ds_load_b128 v[9:12], v15
	ds_load_b128 v[5:8], v15 offset:16
	ds_load_b128 v[1:4], v15 offset:32
	s_add_u32 s12, s3, s8
	s_addc_u32 s13, s11, s9
	s_and_b32 vcc_lo, exec_lo, s16
	s_mov_b32 s3, -1
	s_waitcnt lgkmcnt(0)
	s_barrier
	buffer_gl0_inv
	s_cbranch_vccz .LBB464_6
; %bb.5:
	s_clause 0x5
	global_load_b32 v19, v18, s[12:13]
	global_load_b32 v20, v18, s[12:13] offset:512
	global_load_b32 v21, v18, s[12:13] offset:1024
	;; [unrolled: 1-line block ×5, first 2 shown]
	s_mov_b32 s3, 0
	s_waitcnt vmcnt(5)
	v_cmp_neq_f32_e32 vcc_lo, 0, v19
	v_cndmask_b32_e64 v19, 0, 1, vcc_lo
	s_waitcnt vmcnt(4)
	v_cmp_neq_f32_e32 vcc_lo, 0, v20
	v_cndmask_b32_e64 v20, 0, 1, vcc_lo
	;; [unrolled: 3-line block ×6, first 2 shown]
	ds_store_b8 v0, v19
	ds_store_b8 v0, v20 offset:128
	ds_store_b8 v0, v21 offset:256
	;; [unrolled: 1-line block ×5, first 2 shown]
	s_waitcnt lgkmcnt(0)
	s_barrier
.LBB464_6:
	s_load_b64 s[8:9], s[0:1], 0x68
	s_and_not1_b32 vcc_lo, exec_lo, s3
	s_cbranch_vccnz .LBB464_20
; %bb.7:
	s_add_i32 s17, s17, s10
	v_dual_mov_b32 v19, 0 :: v_dual_mov_b32 v20, 0
	s_sub_i32 s2, s2, s17
	s_mov_b32 s3, exec_lo
	s_addk_i32 s2, 0x300
	s_delay_alu instid0(SALU_CYCLE_1)
	v_cmpx_gt_u32_e64 s2, v0
	s_cbranch_execz .LBB464_9
; %bb.8:
	global_load_b32 v20, v18, s[12:13]
	s_waitcnt vmcnt(0)
	v_cmp_neq_f32_e32 vcc_lo, 0, v20
	v_cndmask_b32_e64 v20, 0, 1, vcc_lo
.LBB464_9:
	s_or_b32 exec_lo, exec_lo, s3
	v_or_b32_e32 v21, 0x80, v0
	s_mov_b32 s3, exec_lo
	s_delay_alu instid0(VALU_DEP_1)
	v_cmpx_gt_u32_e64 s2, v21
	s_cbranch_execz .LBB464_11
; %bb.10:
	global_load_b32 v19, v18, s[12:13] offset:512
	s_waitcnt vmcnt(0)
	v_cmp_neq_f32_e32 vcc_lo, 0, v19
	v_cndmask_b32_e64 v19, 0, 1, vcc_lo
.LBB464_11:
	s_or_b32 exec_lo, exec_lo, s3
	v_cmp_gt_u32_e32 vcc_lo, s2, v17
	v_mov_b32_e32 v17, 0
	v_mov_b32_e32 v21, 0
	s_and_saveexec_b32 s3, vcc_lo
	s_cbranch_execz .LBB464_13
; %bb.12:
	global_load_b32 v21, v18, s[12:13] offset:1024
	s_waitcnt vmcnt(0)
	v_cmp_neq_f32_e32 vcc_lo, 0, v21
	v_cndmask_b32_e64 v21, 0, 1, vcc_lo
.LBB464_13:
	s_or_b32 exec_lo, exec_lo, s3
	s_delay_alu instid0(SALU_CYCLE_1)
	s_mov_b32 s3, exec_lo
	v_cmpx_gt_u32_e64 s2, v16
	s_cbranch_execz .LBB464_15
; %bb.14:
	global_load_b32 v16, v18, s[12:13] offset:1536
	s_waitcnt vmcnt(0)
	v_cmp_neq_f32_e32 vcc_lo, 0, v16
	v_cndmask_b32_e64 v17, 0, 1, vcc_lo
.LBB464_15:
	s_or_b32 exec_lo, exec_lo, s3
	v_cmp_gt_u32_e32 vcc_lo, s2, v14
	v_mov_b32_e32 v14, 0
	v_mov_b32_e32 v16, 0
	s_and_saveexec_b32 s3, vcc_lo
	s_cbranch_execz .LBB464_17
; %bb.16:
	global_load_b32 v16, v18, s[12:13] offset:2048
	s_waitcnt vmcnt(0)
	v_cmp_neq_f32_e32 vcc_lo, 0, v16
	v_cndmask_b32_e64 v16, 0, 1, vcc_lo
.LBB464_17:
	s_or_b32 exec_lo, exec_lo, s3
	v_cmp_gt_u32_e32 vcc_lo, s2, v13
	s_and_saveexec_b32 s2, vcc_lo
	s_cbranch_execz .LBB464_19
; %bb.18:
	global_load_b32 v13, v18, s[12:13] offset:2560
	s_waitcnt vmcnt(0)
	v_cmp_neq_f32_e32 vcc_lo, 0, v13
	v_cndmask_b32_e64 v14, 0, 1, vcc_lo
.LBB464_19:
	s_or_b32 exec_lo, exec_lo, s2
	ds_store_b8 v0, v20
	ds_store_b8 v0, v19 offset:128
	ds_store_b8 v0, v21 offset:256
	;; [unrolled: 1-line block ×5, first 2 shown]
	s_waitcnt lgkmcnt(0)
	s_barrier
.LBB464_20:
	v_mad_i32_i24 v43, 0xffffffd6, v0, v15
	s_waitcnt lgkmcnt(0)
	buffer_gl0_inv
	v_mbcnt_lo_u32_b32 v42, -1, 0
	s_cmp_lg_u32 s15, 0
	s_mov_b32 s3, -1
	ds_load_u16 v36, v43
	ds_load_u16 v33, v43 offset:2
	ds_load_u16 v31, v43 offset:4
	v_mov_b32_e32 v14, 0
	v_and_b32_e32 v44, 15, v42
	s_waitcnt lgkmcnt(0)
	s_barrier
	buffer_gl0_inv
	v_and_b32_e32 v41, 0xff, v36
	v_lshrrev_b16 v34, 8, v36
	v_lshrrev_b16 v35, 8, v33
	v_and_b32_e32 v39, 0xff, v33
	v_lshrrev_b16 v32, 8, v31
	v_and_b32_e32 v37, 0xff, v31
	v_and_b32_e32 v40, 0xffff, v34
	;; [unrolled: 1-line block ×3, first 2 shown]
	s_delay_alu instid0(VALU_DEP_4) | instskip(NEXT) | instid1(VALU_DEP_3)
	v_and_b32_e32 v16, 0xffff, v32
	v_add_co_u32 v13, s2, v40, v41
	s_delay_alu instid0(VALU_DEP_1) | instskip(SKIP_1) | instid1(VALU_DEP_3)
	v_add_co_ci_u32_e64 v15, null, 0, 0, s2
	v_cmp_ne_u32_e64 s2, 0, v44
	v_add_co_u32 v13, vcc_lo, v13, v39
	s_delay_alu instid0(VALU_DEP_3) | instskip(NEXT) | instid1(VALU_DEP_2)
	v_add_co_ci_u32_e32 v15, vcc_lo, 0, v15, vcc_lo
	v_add_co_u32 v13, vcc_lo, v13, v38
	s_delay_alu instid0(VALU_DEP_2) | instskip(NEXT) | instid1(VALU_DEP_2)
	v_add_co_ci_u32_e32 v15, vcc_lo, 0, v15, vcc_lo
	v_add_co_u32 v13, vcc_lo, v13, v37
	s_delay_alu instid0(VALU_DEP_2) | instskip(NEXT) | instid1(VALU_DEP_2)
	v_add_co_ci_u32_e32 v15, vcc_lo, 0, v15, vcc_lo
	v_add_co_u32 v21, vcc_lo, v13, v16
	s_delay_alu instid0(VALU_DEP_2)
	v_add_co_ci_u32_e32 v22, vcc_lo, 0, v15, vcc_lo
	s_cbranch_scc0 .LBB464_84
; %bb.21:
	s_delay_alu instid0(VALU_DEP_2)
	v_mov_b32_e32 v15, v21
	v_mov_b32_dpp v13, v21 row_shr:1 row_mask:0xf bank_mask:0xf
	v_mov_b32_dpp v18, v14 row_shr:1 row_mask:0xf bank_mask:0xf
	v_dual_mov_b32 v17, v21 :: v_dual_mov_b32 v16, v22
	s_and_saveexec_b32 s3, s2
; %bb.22:
	s_delay_alu instid0(VALU_DEP_3) | instskip(SKIP_1) | instid1(VALU_DEP_2)
	v_add_co_u32 v17, vcc_lo, v21, v13
	v_add_co_ci_u32_e32 v14, vcc_lo, 0, v22, vcc_lo
	v_add_co_u32 v13, vcc_lo, 0, v17
	s_delay_alu instid0(VALU_DEP_2) | instskip(NEXT) | instid1(VALU_DEP_1)
	v_add_co_ci_u32_e32 v14, vcc_lo, v18, v14, vcc_lo
	v_dual_mov_b32 v16, v14 :: v_dual_mov_b32 v15, v13
; %bb.23:
	s_or_b32 exec_lo, exec_lo, s3
	v_mov_b32_dpp v13, v17 row_shr:2 row_mask:0xf bank_mask:0xf
	v_mov_b32_dpp v18, v14 row_shr:2 row_mask:0xf bank_mask:0xf
	s_mov_b32 s3, exec_lo
	v_cmpx_lt_u32_e32 1, v44
; %bb.24:
	s_delay_alu instid0(VALU_DEP_3) | instskip(SKIP_1) | instid1(VALU_DEP_2)
	v_add_co_u32 v17, vcc_lo, v15, v13
	v_add_co_ci_u32_e32 v14, vcc_lo, 0, v16, vcc_lo
	v_add_co_u32 v13, vcc_lo, 0, v17
	s_delay_alu instid0(VALU_DEP_2) | instskip(NEXT) | instid1(VALU_DEP_1)
	v_add_co_ci_u32_e32 v14, vcc_lo, v18, v14, vcc_lo
	v_dual_mov_b32 v16, v14 :: v_dual_mov_b32 v15, v13
; %bb.25:
	s_or_b32 exec_lo, exec_lo, s3
	v_mov_b32_dpp v13, v17 row_shr:4 row_mask:0xf bank_mask:0xf
	v_mov_b32_dpp v18, v14 row_shr:4 row_mask:0xf bank_mask:0xf
	s_mov_b32 s3, exec_lo
	v_cmpx_lt_u32_e32 3, v44
	;; [unrolled: 14-line block ×3, first 2 shown]
; %bb.28:
	s_delay_alu instid0(VALU_DEP_3) | instskip(SKIP_1) | instid1(VALU_DEP_2)
	v_add_co_u32 v17, vcc_lo, v15, v18
	v_add_co_ci_u32_e32 v14, vcc_lo, 0, v16, vcc_lo
	v_add_co_u32 v15, vcc_lo, 0, v17
	s_delay_alu instid0(VALU_DEP_2) | instskip(NEXT) | instid1(VALU_DEP_1)
	v_add_co_ci_u32_e32 v16, vcc_lo, v13, v14, vcc_lo
	v_mov_b32_e32 v14, v16
; %bb.29:
	s_or_b32 exec_lo, exec_lo, s3
	ds_swizzle_b32 v13, v17 offset:swizzle(BROADCAST,32,15)
	ds_swizzle_b32 v18, v14 offset:swizzle(BROADCAST,32,15)
	v_and_b32_e32 v19, 16, v42
	s_mov_b32 s3, exec_lo
	s_delay_alu instid0(VALU_DEP_1)
	v_cmpx_ne_u32_e32 0, v19
	s_cbranch_execz .LBB464_31
; %bb.30:
	s_waitcnt lgkmcnt(1)
	v_add_co_u32 v17, vcc_lo, v15, v13
	v_add_co_ci_u32_e32 v14, vcc_lo, 0, v16, vcc_lo
	s_delay_alu instid0(VALU_DEP_2) | instskip(SKIP_1) | instid1(VALU_DEP_2)
	v_add_co_u32 v13, vcc_lo, 0, v17
	s_waitcnt lgkmcnt(0)
	v_add_co_ci_u32_e32 v14, vcc_lo, v18, v14, vcc_lo
	s_delay_alu instid0(VALU_DEP_1)
	v_dual_mov_b32 v16, v14 :: v_dual_mov_b32 v15, v13
.LBB464_31:
	s_or_b32 exec_lo, exec_lo, s3
	s_waitcnt lgkmcnt(0)
	v_or_b32_e32 v18, 31, v0
	v_lshrrev_b32_e32 v13, 5, v0
	s_mov_b32 s3, exec_lo
	s_delay_alu instid0(VALU_DEP_2)
	v_cmpx_eq_u32_e64 v18, v0
	s_cbranch_execz .LBB464_33
; %bb.32:
	s_delay_alu instid0(VALU_DEP_2)
	v_lshlrev_b32_e32 v18, 3, v13
	ds_store_b64 v18, v[15:16]
.LBB464_33:
	s_or_b32 exec_lo, exec_lo, s3
	s_delay_alu instid0(SALU_CYCLE_1)
	s_mov_b32 s3, exec_lo
	s_waitcnt lgkmcnt(0)
	s_barrier
	buffer_gl0_inv
	v_cmpx_gt_u32_e32 4, v0
	s_cbranch_execz .LBB464_39
; %bb.34:
	v_lshlrev_b32_e32 v18, 3, v0
	s_mov_b32 s10, exec_lo
	ds_load_b64 v[15:16], v18
	s_waitcnt lgkmcnt(0)
	v_dual_mov_b32 v20, v15 :: v_dual_and_b32 v19, 3, v42
	v_mov_b32_dpp v24, v15 row_shr:1 row_mask:0xf bank_mask:0xf
	v_mov_b32_dpp v23, v16 row_shr:1 row_mask:0xf bank_mask:0xf
	s_delay_alu instid0(VALU_DEP_3)
	v_cmpx_ne_u32_e32 0, v19
; %bb.35:
	s_delay_alu instid0(VALU_DEP_3) | instskip(SKIP_1) | instid1(VALU_DEP_2)
	v_add_co_u32 v20, vcc_lo, v15, v24
	v_add_co_ci_u32_e32 v16, vcc_lo, 0, v16, vcc_lo
	v_add_co_u32 v15, vcc_lo, 0, v20
	s_delay_alu instid0(VALU_DEP_2)
	v_add_co_ci_u32_e32 v16, vcc_lo, v23, v16, vcc_lo
; %bb.36:
	s_or_b32 exec_lo, exec_lo, s10
	v_mov_b32_dpp v23, v20 row_shr:2 row_mask:0xf bank_mask:0xf
	s_delay_alu instid0(VALU_DEP_2)
	v_mov_b32_dpp v20, v16 row_shr:2 row_mask:0xf bank_mask:0xf
	s_mov_b32 s10, exec_lo
	v_cmpx_lt_u32_e32 1, v19
; %bb.37:
	s_delay_alu instid0(VALU_DEP_3) | instskip(SKIP_1) | instid1(VALU_DEP_2)
	v_add_co_u32 v15, vcc_lo, v15, v23
	v_add_co_ci_u32_e32 v16, vcc_lo, 0, v16, vcc_lo
	v_add_co_u32 v15, vcc_lo, v15, 0
	s_delay_alu instid0(VALU_DEP_2)
	v_add_co_ci_u32_e32 v16, vcc_lo, v16, v20, vcc_lo
; %bb.38:
	s_or_b32 exec_lo, exec_lo, s10
	ds_store_b64 v18, v[15:16]
.LBB464_39:
	s_or_b32 exec_lo, exec_lo, s3
	v_cmp_gt_u32_e32 vcc_lo, 32, v0
	s_mov_b32 s10, exec_lo
	s_waitcnt lgkmcnt(0)
	s_barrier
	buffer_gl0_inv
                                        ; implicit-def: $vgpr23_vgpr24
	v_cmpx_lt_u32_e32 31, v0
	s_cbranch_execz .LBB464_41
; %bb.40:
	v_lshl_add_u32 v13, v13, 3, -8
	ds_load_b64 v[23:24], v13
	s_waitcnt lgkmcnt(0)
	v_add_co_u32 v17, s3, v17, v23
	s_delay_alu instid0(VALU_DEP_1)
	v_add_co_ci_u32_e64 v14, s3, v14, v24, s3
.LBB464_41:
	s_or_b32 exec_lo, exec_lo, s10
	v_add_nc_u32_e32 v13, -1, v42
	s_delay_alu instid0(VALU_DEP_1) | instskip(NEXT) | instid1(VALU_DEP_1)
	v_cmp_gt_i32_e64 s3, 0, v13
	v_cndmask_b32_e64 v13, v13, v42, s3
	v_cmp_eq_u32_e64 s3, 0, v42
	s_delay_alu instid0(VALU_DEP_2)
	v_lshlrev_b32_e32 v13, 2, v13
	ds_bpermute_b32 v29, v13, v17
	ds_bpermute_b32 v30, v13, v14
	s_and_saveexec_b32 s10, vcc_lo
	s_cbranch_execz .LBB464_79
; %bb.42:
	v_mov_b32_e32 v16, 0
	ds_load_b64 v[13:14], v16 offset:24
	s_and_saveexec_b32 s11, s3
	s_cbranch_execz .LBB464_44
; %bb.43:
	s_add_i32 s12, s15, 32
	s_mov_b32 s13, 0
	s_delay_alu instid0(SALU_CYCLE_1) | instskip(NEXT) | instid1(SALU_CYCLE_1)
	s_lshl_b64 s[12:13], s[12:13], 4
	s_add_u32 s12, s8, s12
	s_addc_u32 s13, s9, s13
	s_delay_alu instid0(SALU_CYCLE_1)
	v_dual_mov_b32 v15, 1 :: v_dual_mov_b32 v18, s13
	v_mov_b32_e32 v17, s12
	s_waitcnt lgkmcnt(0)
	;;#ASMSTART
	global_store_dwordx4 v[17:18], v[13:16] off	
s_waitcnt vmcnt(0)
	;;#ASMEND
.LBB464_44:
	s_or_b32 exec_lo, exec_lo, s11
	v_xad_u32 v25, v42, -1, s15
	s_mov_b32 s12, 0
	s_mov_b32 s11, exec_lo
	s_delay_alu instid0(VALU_DEP_1) | instskip(NEXT) | instid1(VALU_DEP_1)
	v_add_nc_u32_e32 v15, 32, v25
	v_lshlrev_b64 v[15:16], 4, v[15:16]
	s_delay_alu instid0(VALU_DEP_1) | instskip(NEXT) | instid1(VALU_DEP_2)
	v_add_co_u32 v15, vcc_lo, s8, v15
	v_add_co_ci_u32_e32 v16, vcc_lo, s9, v16, vcc_lo
	;;#ASMSTART
	global_load_dwordx4 v[17:20], v[15:16] off glc	
s_waitcnt vmcnt(0)
	;;#ASMEND
	v_and_b32_e32 v20, 0xff, v18
	v_and_b32_e32 v26, 0xff00, v18
	v_or3_b32 v17, v17, 0, 0
	v_and_b32_e32 v27, 0xff000000, v18
	v_and_b32_e32 v18, 0xff0000, v18
	s_delay_alu instid0(VALU_DEP_4) | instskip(SKIP_2) | instid1(VALU_DEP_3)
	v_or3_b32 v20, 0, v20, v26
	v_and_b32_e32 v26, 0xff, v19
	v_or3_b32 v17, v17, 0, 0
	v_or3_b32 v18, v20, v18, v27
	s_delay_alu instid0(VALU_DEP_3)
	v_cmpx_eq_u16_e32 0, v26
	s_cbranch_execz .LBB464_47
.LBB464_45:                             ; =>This Inner Loop Header: Depth=1
	;;#ASMSTART
	global_load_dwordx4 v[17:20], v[15:16] off glc	
s_waitcnt vmcnt(0)
	;;#ASMEND
	v_and_b32_e32 v20, 0xff, v19
	s_delay_alu instid0(VALU_DEP_1) | instskip(SKIP_1) | instid1(SALU_CYCLE_1)
	v_cmp_ne_u16_e32 vcc_lo, 0, v20
	s_or_b32 s12, vcc_lo, s12
	s_and_not1_b32 exec_lo, exec_lo, s12
	s_cbranch_execnz .LBB464_45
; %bb.46:
	s_or_b32 exec_lo, exec_lo, s12
.LBB464_47:
	s_delay_alu instid0(SALU_CYCLE_1)
	s_or_b32 exec_lo, exec_lo, s11
	v_cmp_ne_u32_e32 vcc_lo, 31, v42
	v_and_b32_e32 v16, 0xff, v19
	v_lshlrev_b32_e64 v46, v42, -1
	s_mov_b32 s11, exec_lo
	v_add_co_ci_u32_e32 v15, vcc_lo, 0, v42, vcc_lo
	s_delay_alu instid0(VALU_DEP_3) | instskip(NEXT) | instid1(VALU_DEP_2)
	v_cmp_eq_u16_e32 vcc_lo, 2, v16
	v_dual_mov_b32 v16, v17 :: v_dual_lshlrev_b32 v45, 2, v15
	v_and_or_b32 v15, vcc_lo, v46, 0x80000000
	ds_bpermute_b32 v26, v45, v17
	ds_bpermute_b32 v20, v45, v18
	v_ctz_i32_b32_e32 v15, v15
	s_delay_alu instid0(VALU_DEP_1)
	v_cmpx_lt_u32_e64 v42, v15
	s_cbranch_execz .LBB464_49
; %bb.48:
	s_waitcnt lgkmcnt(1)
	v_add_co_u32 v16, vcc_lo, v17, v26
	v_add_co_ci_u32_e32 v18, vcc_lo, 0, v18, vcc_lo
	s_delay_alu instid0(VALU_DEP_2) | instskip(SKIP_1) | instid1(VALU_DEP_2)
	v_add_co_u32 v17, vcc_lo, 0, v16
	s_waitcnt lgkmcnt(0)
	v_add_co_ci_u32_e32 v18, vcc_lo, v20, v18, vcc_lo
.LBB464_49:
	s_or_b32 exec_lo, exec_lo, s11
	v_cmp_gt_u32_e32 vcc_lo, 30, v42
	v_add_nc_u32_e32 v48, 2, v42
	s_mov_b32 s11, exec_lo
	s_waitcnt lgkmcnt(0)
	v_cndmask_b32_e64 v20, 0, 1, vcc_lo
	s_delay_alu instid0(VALU_DEP_1) | instskip(NEXT) | instid1(VALU_DEP_1)
	v_lshlrev_b32_e32 v20, 1, v20
	v_add_lshl_u32 v47, v20, v42, 2
	ds_bpermute_b32 v26, v47, v16
	ds_bpermute_b32 v20, v47, v18
	v_cmpx_le_u32_e64 v48, v15
	s_cbranch_execz .LBB464_51
; %bb.50:
	s_waitcnt lgkmcnt(1)
	v_add_co_u32 v16, vcc_lo, v17, v26
	v_add_co_ci_u32_e32 v18, vcc_lo, 0, v18, vcc_lo
	s_delay_alu instid0(VALU_DEP_2) | instskip(SKIP_1) | instid1(VALU_DEP_2)
	v_add_co_u32 v17, vcc_lo, 0, v16
	s_waitcnt lgkmcnt(0)
	v_add_co_ci_u32_e32 v18, vcc_lo, v20, v18, vcc_lo
.LBB464_51:
	s_or_b32 exec_lo, exec_lo, s11
	v_cmp_gt_u32_e32 vcc_lo, 28, v42
	v_add_nc_u32_e32 v50, 4, v42
	s_mov_b32 s11, exec_lo
	s_waitcnt lgkmcnt(0)
	v_cndmask_b32_e64 v20, 0, 1, vcc_lo
	s_delay_alu instid0(VALU_DEP_1) | instskip(NEXT) | instid1(VALU_DEP_1)
	v_lshlrev_b32_e32 v20, 2, v20
	v_add_lshl_u32 v49, v20, v42, 2
	ds_bpermute_b32 v26, v49, v16
	ds_bpermute_b32 v20, v49, v18
	v_cmpx_le_u32_e64 v50, v15
	;; [unrolled: 22-line block ×4, first 2 shown]
	s_cbranch_execz .LBB464_57
; %bb.56:
	s_waitcnt lgkmcnt(1)
	v_add_co_u32 v15, vcc_lo, v17, v20
	v_add_co_ci_u32_e32 v18, vcc_lo, 0, v18, vcc_lo
	s_delay_alu instid0(VALU_DEP_2) | instskip(SKIP_1) | instid1(VALU_DEP_2)
	v_add_co_u32 v17, vcc_lo, v15, 0
	s_waitcnt lgkmcnt(0)
	v_add_co_ci_u32_e32 v18, vcc_lo, v18, v16, vcc_lo
.LBB464_57:
	s_or_b32 exec_lo, exec_lo, s11
	v_mov_b32_e32 v26, 0
	s_branch .LBB464_59
.LBB464_58:                             ;   in Loop: Header=BB464_59 Depth=1
	s_or_b32 exec_lo, exec_lo, s11
	v_add_co_u32 v17, vcc_lo, v17, v15
	v_subrev_nc_u32_e32 v25, 32, v25
	v_add_co_ci_u32_e32 v18, vcc_lo, v18, v16, vcc_lo
.LBB464_59:                             ; =>This Loop Header: Depth=1
                                        ;     Child Loop BB464_62 Depth 2
	v_and_b32_e32 v15, 0xff, v19
	s_delay_alu instid0(VALU_DEP_1) | instskip(SKIP_2) | instid1(VALU_DEP_1)
	v_cmp_ne_u16_e32 vcc_lo, 2, v15
	v_cndmask_b32_e64 v15, 0, 1, vcc_lo
	;;#ASMSTART
	;;#ASMEND
	v_cmp_ne_u32_e32 vcc_lo, 0, v15
	s_waitcnt lgkmcnt(0)
	v_dual_mov_b32 v15, v17 :: v_dual_mov_b32 v16, v18
	s_cmp_lg_u32 vcc_lo, exec_lo
	s_cbranch_scc1 .LBB464_74
; %bb.60:                               ;   in Loop: Header=BB464_59 Depth=1
	v_lshlrev_b64 v[17:18], 4, v[25:26]
	s_mov_b32 s11, exec_lo
	s_delay_alu instid0(VALU_DEP_1) | instskip(NEXT) | instid1(VALU_DEP_2)
	v_add_co_u32 v27, vcc_lo, s8, v17
	v_add_co_ci_u32_e32 v28, vcc_lo, s9, v18, vcc_lo
	;;#ASMSTART
	global_load_dwordx4 v[17:20], v[27:28] off glc	
s_waitcnt vmcnt(0)
	;;#ASMEND
	v_and_b32_e32 v20, 0xff, v18
	v_and_b32_e32 v55, 0xff00, v18
	v_or3_b32 v17, v17, 0, 0
	v_and_b32_e32 v56, 0xff000000, v18
	v_and_b32_e32 v18, 0xff0000, v18
	s_delay_alu instid0(VALU_DEP_4) | instskip(SKIP_2) | instid1(VALU_DEP_3)
	v_or3_b32 v20, 0, v20, v55
	v_and_b32_e32 v55, 0xff, v19
	v_or3_b32 v17, v17, 0, 0
	v_or3_b32 v18, v20, v18, v56
	s_delay_alu instid0(VALU_DEP_3)
	v_cmpx_eq_u16_e32 0, v55
	s_cbranch_execz .LBB464_64
; %bb.61:                               ;   in Loop: Header=BB464_59 Depth=1
	s_mov_b32 s12, 0
.LBB464_62:                             ;   Parent Loop BB464_59 Depth=1
                                        ; =>  This Inner Loop Header: Depth=2
	;;#ASMSTART
	global_load_dwordx4 v[17:20], v[27:28] off glc	
s_waitcnt vmcnt(0)
	;;#ASMEND
	v_and_b32_e32 v20, 0xff, v19
	s_delay_alu instid0(VALU_DEP_1) | instskip(SKIP_1) | instid1(SALU_CYCLE_1)
	v_cmp_ne_u16_e32 vcc_lo, 0, v20
	s_or_b32 s12, vcc_lo, s12
	s_and_not1_b32 exec_lo, exec_lo, s12
	s_cbranch_execnz .LBB464_62
; %bb.63:                               ;   in Loop: Header=BB464_59 Depth=1
	s_or_b32 exec_lo, exec_lo, s12
.LBB464_64:                             ;   in Loop: Header=BB464_59 Depth=1
	s_delay_alu instid0(SALU_CYCLE_1)
	s_or_b32 exec_lo, exec_lo, s11
	v_dual_mov_b32 v27, v17 :: v_dual_and_b32 v20, 0xff, v19
	ds_bpermute_b32 v55, v45, v17
	ds_bpermute_b32 v28, v45, v18
	s_mov_b32 s11, exec_lo
	v_cmp_eq_u16_e32 vcc_lo, 2, v20
	v_and_or_b32 v20, vcc_lo, v46, 0x80000000
	s_delay_alu instid0(VALU_DEP_1) | instskip(NEXT) | instid1(VALU_DEP_1)
	v_ctz_i32_b32_e32 v20, v20
	v_cmpx_lt_u32_e64 v42, v20
	s_cbranch_execz .LBB464_66
; %bb.65:                               ;   in Loop: Header=BB464_59 Depth=1
	s_waitcnt lgkmcnt(1)
	v_add_co_u32 v27, vcc_lo, v17, v55
	v_add_co_ci_u32_e32 v18, vcc_lo, 0, v18, vcc_lo
	s_delay_alu instid0(VALU_DEP_2) | instskip(SKIP_1) | instid1(VALU_DEP_2)
	v_add_co_u32 v17, vcc_lo, 0, v27
	s_waitcnt lgkmcnt(0)
	v_add_co_ci_u32_e32 v18, vcc_lo, v28, v18, vcc_lo
.LBB464_66:                             ;   in Loop: Header=BB464_59 Depth=1
	s_or_b32 exec_lo, exec_lo, s11
	s_waitcnt lgkmcnt(1)
	ds_bpermute_b32 v55, v47, v27
	s_waitcnt lgkmcnt(1)
	ds_bpermute_b32 v28, v47, v18
	s_mov_b32 s11, exec_lo
	v_cmpx_le_u32_e64 v48, v20
	s_cbranch_execz .LBB464_68
; %bb.67:                               ;   in Loop: Header=BB464_59 Depth=1
	s_waitcnt lgkmcnt(1)
	v_add_co_u32 v27, vcc_lo, v17, v55
	v_add_co_ci_u32_e32 v18, vcc_lo, 0, v18, vcc_lo
	s_delay_alu instid0(VALU_DEP_2) | instskip(SKIP_1) | instid1(VALU_DEP_2)
	v_add_co_u32 v17, vcc_lo, 0, v27
	s_waitcnt lgkmcnt(0)
	v_add_co_ci_u32_e32 v18, vcc_lo, v28, v18, vcc_lo
.LBB464_68:                             ;   in Loop: Header=BB464_59 Depth=1
	s_or_b32 exec_lo, exec_lo, s11
	s_waitcnt lgkmcnt(1)
	ds_bpermute_b32 v55, v49, v27
	s_waitcnt lgkmcnt(1)
	ds_bpermute_b32 v28, v49, v18
	s_mov_b32 s11, exec_lo
	v_cmpx_le_u32_e64 v50, v20
	;; [unrolled: 17-line block ×3, first 2 shown]
	s_cbranch_execz .LBB464_72
; %bb.71:                               ;   in Loop: Header=BB464_59 Depth=1
	s_waitcnt lgkmcnt(1)
	v_add_co_u32 v27, vcc_lo, v17, v55
	v_add_co_ci_u32_e32 v18, vcc_lo, 0, v18, vcc_lo
	s_delay_alu instid0(VALU_DEP_2) | instskip(SKIP_1) | instid1(VALU_DEP_2)
	v_add_co_u32 v17, vcc_lo, 0, v27
	s_waitcnt lgkmcnt(0)
	v_add_co_ci_u32_e32 v18, vcc_lo, v28, v18, vcc_lo
.LBB464_72:                             ;   in Loop: Header=BB464_59 Depth=1
	s_or_b32 exec_lo, exec_lo, s11
	s_waitcnt lgkmcnt(0)
	ds_bpermute_b32 v28, v53, v27
	ds_bpermute_b32 v27, v53, v18
	s_mov_b32 s11, exec_lo
	v_cmpx_le_u32_e64 v54, v20
	s_cbranch_execz .LBB464_58
; %bb.73:                               ;   in Loop: Header=BB464_59 Depth=1
	s_waitcnt lgkmcnt(1)
	v_add_co_u32 v17, vcc_lo, v17, v28
	v_add_co_ci_u32_e32 v18, vcc_lo, 0, v18, vcc_lo
	s_delay_alu instid0(VALU_DEP_2) | instskip(SKIP_1) | instid1(VALU_DEP_2)
	v_add_co_u32 v17, vcc_lo, v17, 0
	s_waitcnt lgkmcnt(0)
	v_add_co_ci_u32_e32 v18, vcc_lo, v18, v27, vcc_lo
	s_branch .LBB464_58
.LBB464_74:                             ;   in Loop: Header=BB464_59 Depth=1
                                        ; implicit-def: $vgpr17_vgpr18
	s_cbranch_execz .LBB464_59
; %bb.75:
	s_and_saveexec_b32 s11, s3
	s_cbranch_execz .LBB464_77
; %bb.76:
	s_add_i32 s12, s15, 32
	s_mov_b32 s13, 0
	v_add_co_u32 v17, vcc_lo, v15, v13
	s_lshl_b64 s[12:13], s[12:13], 4
	v_dual_mov_b32 v19, 2 :: v_dual_mov_b32 v20, 0
	s_add_u32 s12, s8, s12
	s_addc_u32 s13, s9, s13
	v_add_co_ci_u32_e32 v18, vcc_lo, v16, v14, vcc_lo
	v_dual_mov_b32 v26, s13 :: v_dual_mov_b32 v25, s12
	;;#ASMSTART
	global_store_dwordx4 v[25:26], v[17:20] off	
s_waitcnt vmcnt(0)
	;;#ASMEND
	ds_store_b128 v20, v[13:16] offset:6144
.LBB464_77:
	s_or_b32 exec_lo, exec_lo, s11
	v_cmp_eq_u32_e32 vcc_lo, 0, v0
	s_and_b32 exec_lo, exec_lo, vcc_lo
	s_cbranch_execz .LBB464_79
; %bb.78:
	v_mov_b32_e32 v13, 0
	ds_store_b64 v13, v[15:16] offset:24
.LBB464_79:
	s_or_b32 exec_lo, exec_lo, s10
	s_waitcnt lgkmcnt(1)
	v_cndmask_b32_e64 v16, v29, v23, s3
	v_cmp_ne_u32_e32 vcc_lo, 0, v0
	v_mov_b32_e32 v15, 0
	s_waitcnt lgkmcnt(0)
	s_barrier
	buffer_gl0_inv
	v_cndmask_b32_e32 v16, 0, v16, vcc_lo
	ds_load_b64 v[13:14], v15 offset:24
	v_cndmask_b32_e64 v17, v30, v24, s3
	s_waitcnt lgkmcnt(0)
	s_barrier
	buffer_gl0_inv
	v_cndmask_b32_e32 v17, 0, v17, vcc_lo
	v_add_co_u32 v29, vcc_lo, v13, v16
	s_delay_alu instid0(VALU_DEP_2) | instskip(SKIP_3) | instid1(VALU_DEP_2)
	v_add_co_ci_u32_e32 v30, vcc_lo, v14, v17, vcc_lo
	ds_load_b128 v[13:16], v15 offset:6144
	v_add_co_u32 v27, vcc_lo, v29, v41
	v_add_co_ci_u32_e32 v28, vcc_lo, 0, v30, vcc_lo
	v_add_co_u32 v25, vcc_lo, v27, v40
	s_delay_alu instid0(VALU_DEP_2) | instskip(NEXT) | instid1(VALU_DEP_2)
	v_add_co_ci_u32_e32 v26, vcc_lo, 0, v28, vcc_lo
	v_add_co_u32 v23, vcc_lo, v25, v39
	s_delay_alu instid0(VALU_DEP_2) | instskip(NEXT) | instid1(VALU_DEP_2)
	;; [unrolled: 3-line block ×3, first 2 shown]
	v_add_co_ci_u32_e32 v20, vcc_lo, 0, v24, vcc_lo
	v_add_co_u32 v17, vcc_lo, v19, v37
	s_delay_alu instid0(VALU_DEP_2)
	v_add_co_ci_u32_e32 v18, vcc_lo, 0, v20, vcc_lo
	s_load_b64 s[10:11], s[0:1], 0x30
.LBB464_80:
	s_waitcnt lgkmcnt(0)
	v_cmp_gt_u64_e32 vcc_lo, 0x81, v[13:14]
	s_mov_b32 s0, -1
	s_cbranch_vccnz .LBB464_108
.LBB464_81:
	s_and_b32 vcc_lo, exec_lo, s0
	s_cbranch_vccnz .LBB464_127
.LBB464_82:
	v_cmp_eq_u32_e32 vcc_lo, 0, v0
	s_and_b32 s0, vcc_lo, s14
	s_delay_alu instid0(SALU_CYCLE_1)
	s_and_saveexec_b32 s1, s0
	s_cbranch_execnz .LBB464_143
.LBB464_83:
	s_nop 0
	s_sendmsg sendmsg(MSG_DEALLOC_VGPRS)
	s_endpgm
.LBB464_84:
                                        ; kill: def $vgpr13_vgpr14 killed $sgpr0_sgpr1 killed $exec
                                        ; implicit-def: $vgpr17_vgpr18
                                        ; implicit-def: $vgpr19_vgpr20
                                        ; implicit-def: $vgpr23_vgpr24
                                        ; implicit-def: $vgpr25_vgpr26
                                        ; implicit-def: $vgpr27_vgpr28
                                        ; implicit-def: $vgpr29_vgpr30
                                        ; implicit-def: $vgpr15_vgpr16
	s_load_b64 s[10:11], s[0:1], 0x30
	s_and_b32 vcc_lo, exec_lo, s3
	s_cbranch_vccz .LBB464_80
; %bb.85:
	s_waitcnt lgkmcnt(0)
	v_dual_mov_b32 v14, 0 :: v_dual_mov_b32 v15, v21
	v_mov_b32_dpp v16, v21 row_shr:1 row_mask:0xf bank_mask:0xf
	s_delay_alu instid0(VALU_DEP_2)
	v_mov_b32_dpp v13, v14 row_shr:1 row_mask:0xf bank_mask:0xf
	s_and_saveexec_b32 s0, s2
; %bb.86:
	s_delay_alu instid0(VALU_DEP_2) | instskip(SKIP_1) | instid1(VALU_DEP_2)
	v_add_co_u32 v15, vcc_lo, v21, v16
	v_add_co_ci_u32_e32 v14, vcc_lo, 0, v22, vcc_lo
	v_add_co_u32 v21, vcc_lo, 0, v15
	s_delay_alu instid0(VALU_DEP_2) | instskip(NEXT) | instid1(VALU_DEP_1)
	v_add_co_ci_u32_e32 v22, vcc_lo, v13, v14, vcc_lo
	v_mov_b32_e32 v14, v22
; %bb.87:
	s_or_b32 exec_lo, exec_lo, s0
	v_mov_b32_dpp v13, v15 row_shr:2 row_mask:0xf bank_mask:0xf
	s_delay_alu instid0(VALU_DEP_2)
	v_mov_b32_dpp v16, v14 row_shr:2 row_mask:0xf bank_mask:0xf
	s_mov_b32 s0, exec_lo
	v_cmpx_lt_u32_e32 1, v44
; %bb.88:
	s_delay_alu instid0(VALU_DEP_3) | instskip(SKIP_1) | instid1(VALU_DEP_2)
	v_add_co_u32 v15, vcc_lo, v21, v13
	v_add_co_ci_u32_e32 v14, vcc_lo, 0, v22, vcc_lo
	v_add_co_u32 v13, vcc_lo, 0, v15
	s_delay_alu instid0(VALU_DEP_2) | instskip(NEXT) | instid1(VALU_DEP_1)
	v_add_co_ci_u32_e32 v14, vcc_lo, v16, v14, vcc_lo
	v_dual_mov_b32 v22, v14 :: v_dual_mov_b32 v21, v13
; %bb.89:
	s_or_b32 exec_lo, exec_lo, s0
	v_mov_b32_dpp v13, v15 row_shr:4 row_mask:0xf bank_mask:0xf
	v_mov_b32_dpp v16, v14 row_shr:4 row_mask:0xf bank_mask:0xf
	s_mov_b32 s0, exec_lo
	v_cmpx_lt_u32_e32 3, v44
; %bb.90:
	s_delay_alu instid0(VALU_DEP_3) | instskip(SKIP_1) | instid1(VALU_DEP_2)
	v_add_co_u32 v15, vcc_lo, v21, v13
	v_add_co_ci_u32_e32 v14, vcc_lo, 0, v22, vcc_lo
	v_add_co_u32 v13, vcc_lo, 0, v15
	s_delay_alu instid0(VALU_DEP_2) | instskip(NEXT) | instid1(VALU_DEP_1)
	v_add_co_ci_u32_e32 v14, vcc_lo, v16, v14, vcc_lo
	v_dual_mov_b32 v22, v14 :: v_dual_mov_b32 v21, v13
; %bb.91:
	s_or_b32 exec_lo, exec_lo, s0
	v_mov_b32_dpp v16, v15 row_shr:8 row_mask:0xf bank_mask:0xf
	v_mov_b32_dpp v13, v14 row_shr:8 row_mask:0xf bank_mask:0xf
	s_mov_b32 s0, exec_lo
	v_cmpx_lt_u32_e32 7, v44
; %bb.92:
	s_delay_alu instid0(VALU_DEP_3) | instskip(SKIP_1) | instid1(VALU_DEP_2)
	v_add_co_u32 v15, vcc_lo, v21, v16
	v_add_co_ci_u32_e32 v14, vcc_lo, 0, v22, vcc_lo
	v_add_co_u32 v21, vcc_lo, 0, v15
	s_delay_alu instid0(VALU_DEP_2) | instskip(NEXT) | instid1(VALU_DEP_1)
	v_add_co_ci_u32_e32 v22, vcc_lo, v13, v14, vcc_lo
	v_mov_b32_e32 v14, v22
; %bb.93:
	s_or_b32 exec_lo, exec_lo, s0
	ds_swizzle_b32 v15, v15 offset:swizzle(BROADCAST,32,15)
	ds_swizzle_b32 v13, v14 offset:swizzle(BROADCAST,32,15)
	v_and_b32_e32 v14, 16, v42
	s_mov_b32 s0, exec_lo
	s_delay_alu instid0(VALU_DEP_1)
	v_cmpx_ne_u32_e32 0, v14
	s_cbranch_execz .LBB464_95
; %bb.94:
	s_waitcnt lgkmcnt(1)
	v_add_co_u32 v14, vcc_lo, v21, v15
	v_add_co_ci_u32_e32 v15, vcc_lo, 0, v22, vcc_lo
	s_delay_alu instid0(VALU_DEP_2) | instskip(SKIP_1) | instid1(VALU_DEP_2)
	v_add_co_u32 v21, vcc_lo, v14, 0
	s_waitcnt lgkmcnt(0)
	v_add_co_ci_u32_e32 v22, vcc_lo, v15, v13, vcc_lo
.LBB464_95:
	s_or_b32 exec_lo, exec_lo, s0
	s_waitcnt lgkmcnt(0)
	v_or_b32_e32 v13, 31, v0
	v_lshrrev_b32_e32 v15, 5, v0
	s_mov_b32 s0, exec_lo
	s_delay_alu instid0(VALU_DEP_2)
	v_cmpx_eq_u32_e64 v13, v0
	s_cbranch_execz .LBB464_97
; %bb.96:
	s_delay_alu instid0(VALU_DEP_2)
	v_lshlrev_b32_e32 v13, 3, v15
	ds_store_b64 v13, v[21:22]
.LBB464_97:
	s_or_b32 exec_lo, exec_lo, s0
	s_delay_alu instid0(SALU_CYCLE_1)
	s_mov_b32 s0, exec_lo
	s_waitcnt lgkmcnt(0)
	s_barrier
	buffer_gl0_inv
	v_cmpx_gt_u32_e32 4, v0
	s_cbranch_execz .LBB464_103
; %bb.98:
	v_lshlrev_b32_e32 v13, 1, v0
	s_mov_b32 s1, exec_lo
	s_delay_alu instid0(VALU_DEP_1)
	v_add_nc_u32_e32 v16, v43, v13
	ds_load_b64 v[13:14], v16
	s_waitcnt lgkmcnt(0)
	v_dual_mov_b32 v18, v13 :: v_dual_and_b32 v17, 3, v42
	v_mov_b32_dpp v20, v13 row_shr:1 row_mask:0xf bank_mask:0xf
	v_mov_b32_dpp v19, v14 row_shr:1 row_mask:0xf bank_mask:0xf
	s_delay_alu instid0(VALU_DEP_3)
	v_cmpx_ne_u32_e32 0, v17
; %bb.99:
	s_delay_alu instid0(VALU_DEP_3) | instskip(SKIP_1) | instid1(VALU_DEP_2)
	v_add_co_u32 v18, vcc_lo, v13, v20
	v_add_co_ci_u32_e32 v14, vcc_lo, 0, v14, vcc_lo
	v_add_co_u32 v13, vcc_lo, 0, v18
	s_delay_alu instid0(VALU_DEP_2)
	v_add_co_ci_u32_e32 v14, vcc_lo, v19, v14, vcc_lo
; %bb.100:
	s_or_b32 exec_lo, exec_lo, s1
	v_mov_b32_dpp v19, v18 row_shr:2 row_mask:0xf bank_mask:0xf
	s_delay_alu instid0(VALU_DEP_2)
	v_mov_b32_dpp v18, v14 row_shr:2 row_mask:0xf bank_mask:0xf
	s_mov_b32 s1, exec_lo
	v_cmpx_lt_u32_e32 1, v17
; %bb.101:
	s_delay_alu instid0(VALU_DEP_3) | instskip(SKIP_1) | instid1(VALU_DEP_2)
	v_add_co_u32 v13, vcc_lo, v13, v19
	v_add_co_ci_u32_e32 v14, vcc_lo, 0, v14, vcc_lo
	v_add_co_u32 v13, vcc_lo, v13, 0
	s_delay_alu instid0(VALU_DEP_2)
	v_add_co_ci_u32_e32 v14, vcc_lo, v14, v18, vcc_lo
; %bb.102:
	s_or_b32 exec_lo, exec_lo, s1
	ds_store_b64 v16, v[13:14]
.LBB464_103:
	s_or_b32 exec_lo, exec_lo, s0
	v_mov_b32_e32 v17, 0
	v_mov_b32_e32 v18, 0
	s_mov_b32 s0, exec_lo
	s_waitcnt lgkmcnt(0)
	s_barrier
	buffer_gl0_inv
	v_cmpx_lt_u32_e32 31, v0
	s_cbranch_execz .LBB464_105
; %bb.104:
	v_lshl_add_u32 v13, v15, 3, -8
	ds_load_b64 v[17:18], v13
.LBB464_105:
	s_or_b32 exec_lo, exec_lo, s0
	v_dual_mov_b32 v16, 0 :: v_dual_add_nc_u32 v13, -1, v42
	s_delay_alu instid0(VALU_DEP_1) | instskip(SKIP_4) | instid1(VALU_DEP_3)
	v_cmp_gt_i32_e32 vcc_lo, 0, v13
	v_cndmask_b32_e32 v13, v13, v42, vcc_lo
	s_waitcnt lgkmcnt(0)
	v_add_co_u32 v14, vcc_lo, v17, v21
	v_add_co_ci_u32_e32 v15, vcc_lo, v18, v22, vcc_lo
	v_lshlrev_b32_e32 v13, 2, v13
	v_cmp_eq_u32_e32 vcc_lo, 0, v0
	ds_bpermute_b32 v19, v13, v14
	ds_bpermute_b32 v20, v13, v15
	ds_load_b64 v[13:14], v16 offset:24
	s_and_saveexec_b32 s0, vcc_lo
	s_cbranch_execz .LBB464_107
; %bb.106:
	s_add_u32 s2, s8, 0x200
	s_addc_u32 s3, s9, 0
	s_delay_alu instid0(SALU_CYCLE_1)
	v_dual_mov_b32 v15, 2 :: v_dual_mov_b32 v22, s3
	v_mov_b32_e32 v21, s2
	s_waitcnt lgkmcnt(0)
	;;#ASMSTART
	global_store_dwordx4 v[21:22], v[13:16] off	
s_waitcnt vmcnt(0)
	;;#ASMEND
.LBB464_107:
	s_or_b32 exec_lo, exec_lo, s0
	v_cmp_eq_u32_e64 s0, 0, v42
	s_waitcnt lgkmcnt(0)
	s_barrier
	buffer_gl0_inv
	v_cndmask_b32_e64 v15, v19, v17, s0
	v_cndmask_b32_e64 v16, v20, v18, s0
	s_delay_alu instid0(VALU_DEP_2) | instskip(NEXT) | instid1(VALU_DEP_2)
	v_cndmask_b32_e64 v29, v15, 0, vcc_lo
	v_cndmask_b32_e64 v30, v16, 0, vcc_lo
	v_mov_b32_e32 v15, 0
	v_mov_b32_e32 v16, 0
	s_delay_alu instid0(VALU_DEP_4) | instskip(NEXT) | instid1(VALU_DEP_4)
	v_add_co_u32 v27, vcc_lo, v29, v41
	v_add_co_ci_u32_e32 v28, vcc_lo, 0, v30, vcc_lo
	s_delay_alu instid0(VALU_DEP_2) | instskip(NEXT) | instid1(VALU_DEP_2)
	v_add_co_u32 v25, vcc_lo, v27, v40
	v_add_co_ci_u32_e32 v26, vcc_lo, 0, v28, vcc_lo
	s_delay_alu instid0(VALU_DEP_2) | instskip(NEXT) | instid1(VALU_DEP_2)
	;; [unrolled: 3-line block ×4, first 2 shown]
	v_add_co_u32 v17, vcc_lo, v19, v37
	v_add_co_ci_u32_e32 v18, vcc_lo, 0, v20, vcc_lo
	v_cmp_gt_u64_e32 vcc_lo, 0x81, v[13:14]
	s_mov_b32 s0, -1
	s_cbranch_vccz .LBB464_81
.LBB464_108:
	v_add_co_u32 v21, vcc_lo, v15, v13
	v_add_co_ci_u32_e32 v22, vcc_lo, v16, v14, vcc_lo
	s_delay_alu instid0(VALU_DEP_1) | instskip(SKIP_1) | instid1(SALU_CYCLE_1)
	v_cmp_lt_u64_e32 vcc_lo, v[29:30], v[21:22]
	s_or_b32 s1, s16, vcc_lo
	s_and_saveexec_b32 s0, s1
	s_cbranch_execz .LBB464_111
; %bb.109:
	v_and_b32_e32 v37, 1, v36
	s_delay_alu instid0(VALU_DEP_1)
	v_cmp_eq_u32_e32 vcc_lo, 1, v37
	s_and_b32 exec_lo, exec_lo, vcc_lo
	s_cbranch_execz .LBB464_111
; %bb.110:
	v_lshlrev_b64 v[37:38], 3, v[29:30]
	s_lshl_b64 s[2:3], s[6:7], 3
	s_delay_alu instid0(SALU_CYCLE_1) | instskip(SKIP_1) | instid1(VALU_DEP_1)
	s_add_u32 s1, s10, s2
	s_addc_u32 s2, s11, s3
	v_add_co_u32 v37, vcc_lo, s1, v37
	s_delay_alu instid0(VALU_DEP_2)
	v_add_co_ci_u32_e32 v38, vcc_lo, s2, v38, vcc_lo
	global_store_b64 v[37:38], v[9:10], off
.LBB464_111:
	s_or_b32 exec_lo, exec_lo, s0
	v_cmp_lt_u64_e32 vcc_lo, v[27:28], v[21:22]
	s_or_b32 s1, s16, vcc_lo
	s_delay_alu instid0(SALU_CYCLE_1)
	s_and_saveexec_b32 s0, s1
	s_cbranch_execz .LBB464_114
; %bb.112:
	v_and_b32_e32 v30, 1, v34
	s_delay_alu instid0(VALU_DEP_1)
	v_cmp_eq_u32_e32 vcc_lo, 1, v30
	s_and_b32 exec_lo, exec_lo, vcc_lo
	s_cbranch_execz .LBB464_114
; %bb.113:
	v_lshlrev_b64 v[37:38], 3, v[27:28]
	s_lshl_b64 s[2:3], s[6:7], 3
	s_delay_alu instid0(SALU_CYCLE_1) | instskip(SKIP_1) | instid1(VALU_DEP_1)
	s_add_u32 s1, s10, s2
	s_addc_u32 s2, s11, s3
	v_add_co_u32 v37, vcc_lo, s1, v37
	s_delay_alu instid0(VALU_DEP_2)
	v_add_co_ci_u32_e32 v38, vcc_lo, s2, v38, vcc_lo
	global_store_b64 v[37:38], v[11:12], off
.LBB464_114:
	s_or_b32 exec_lo, exec_lo, s0
	v_cmp_lt_u64_e32 vcc_lo, v[25:26], v[21:22]
	s_or_b32 s1, s16, vcc_lo
	s_delay_alu instid0(SALU_CYCLE_1)
	;; [unrolled: 23-line block ×5, first 2 shown]
	s_and_saveexec_b32 s0, s1
	s_cbranch_execz .LBB464_126
; %bb.124:
	v_and_b32_e32 v20, 1, v32
	s_delay_alu instid0(VALU_DEP_1)
	v_cmp_eq_u32_e32 vcc_lo, 1, v20
	s_and_b32 exec_lo, exec_lo, vcc_lo
	s_cbranch_execz .LBB464_126
; %bb.125:
	v_lshlrev_b64 v[20:21], 3, v[17:18]
	s_lshl_b64 s[2:3], s[6:7], 3
	s_delay_alu instid0(SALU_CYCLE_1) | instskip(SKIP_1) | instid1(VALU_DEP_1)
	s_add_u32 s1, s10, s2
	s_addc_u32 s2, s11, s3
	v_add_co_u32 v20, vcc_lo, s1, v20
	s_delay_alu instid0(VALU_DEP_2)
	v_add_co_ci_u32_e32 v21, vcc_lo, s2, v21, vcc_lo
	global_store_b64 v[20:21], v[3:4], off
.LBB464_126:
	s_or_b32 exec_lo, exec_lo, s0
	s_branch .LBB464_82
.LBB464_127:
	v_and_b32_e32 v18, 1, v36
	s_mov_b32 s0, exec_lo
	s_delay_alu instid0(VALU_DEP_1)
	v_cmpx_eq_u32_e32 1, v18
	s_cbranch_execz .LBB464_129
; %bb.128:
	v_sub_nc_u32_e32 v18, v29, v15
	s_delay_alu instid0(VALU_DEP_1)
	v_lshlrev_b32_e32 v18, 3, v18
	ds_store_b64 v18, v[9:10]
.LBB464_129:
	s_or_b32 exec_lo, exec_lo, s0
	v_and_b32_e32 v9, 1, v34
	s_mov_b32 s0, exec_lo
	s_delay_alu instid0(VALU_DEP_1)
	v_cmpx_eq_u32_e32 1, v9
	s_cbranch_execz .LBB464_131
; %bb.130:
	v_sub_nc_u32_e32 v9, v27, v15
	s_delay_alu instid0(VALU_DEP_1)
	v_lshlrev_b32_e32 v9, 3, v9
	ds_store_b64 v9, v[11:12]
.LBB464_131:
	s_or_b32 exec_lo, exec_lo, s0
	;; [unrolled: 12-line block ×6, first 2 shown]
	v_mov_b32_e32 v3, 0
	s_mov_b32 s1, exec_lo
	s_waitcnt lgkmcnt(0)
	s_waitcnt_vscnt null, 0x0
	s_barrier
	buffer_gl0_inv
	v_mov_b32_e32 v1, v3
	s_delay_alu instid0(VALU_DEP_1)
	v_cmpx_gt_u64_e64 v[13:14], v[0:1]
	s_cbranch_execz .LBB464_142
; %bb.140:
	v_lshlrev_b64 v[4:5], 3, v[15:16]
	s_lshl_b64 s[2:3], s[6:7], 3
	v_or_b32_e32 v2, 0x80, v0
	s_delay_alu instid0(VALU_DEP_2) | instskip(NEXT) | instid1(VALU_DEP_3)
	v_add_co_u32 v4, vcc_lo, s10, v4
	v_add_co_ci_u32_e32 v5, vcc_lo, s11, v5, vcc_lo
	s_delay_alu instid0(VALU_DEP_2) | instskip(NEXT) | instid1(VALU_DEP_2)
	v_add_co_u32 v6, vcc_lo, v4, s2
	v_add_co_ci_u32_e32 v7, vcc_lo, s3, v5, vcc_lo
	v_dual_mov_b32 v5, v1 :: v_dual_mov_b32 v4, v0
	s_mov_b32 s2, 0
	.p2align	6
.LBB464_141:                            ; =>This Inner Loop Header: Depth=1
	s_delay_alu instid0(VALU_DEP_1) | instskip(NEXT) | instid1(VALU_DEP_2)
	v_lshlrev_b32_e32 v1, 3, v4
	v_lshlrev_b64 v[10:11], 3, v[4:5]
	v_dual_mov_b32 v5, v3 :: v_dual_mov_b32 v4, v2
	v_cmp_le_u64_e32 vcc_lo, v[13:14], v[2:3]
	v_add_nc_u32_e32 v2, 0x80, v2
	ds_load_b64 v[8:9], v1
	v_add_co_u32 v10, s0, v6, v10
	s_delay_alu instid0(VALU_DEP_1)
	v_add_co_ci_u32_e64 v11, s0, v7, v11, s0
	s_or_b32 s2, vcc_lo, s2
	s_waitcnt lgkmcnt(0)
	global_store_b64 v[10:11], v[8:9], off
	s_and_not1_b32 exec_lo, exec_lo, s2
	s_cbranch_execnz .LBB464_141
.LBB464_142:
	s_or_b32 exec_lo, exec_lo, s1
	v_cmp_eq_u32_e32 vcc_lo, 0, v0
	s_and_b32 s0, vcc_lo, s14
	s_delay_alu instid0(SALU_CYCLE_1)
	s_and_saveexec_b32 s1, s0
	s_cbranch_execz .LBB464_83
.LBB464_143:
	v_add_co_u32 v0, vcc_lo, v15, v13
	v_add_co_ci_u32_e32 v1, vcc_lo, v16, v14, vcc_lo
	v_mov_b32_e32 v2, 0
	s_delay_alu instid0(VALU_DEP_3) | instskip(NEXT) | instid1(VALU_DEP_3)
	v_add_co_u32 v0, vcc_lo, v0, s6
	v_add_co_ci_u32_e32 v1, vcc_lo, s7, v1, vcc_lo
	global_store_b64 v2, v[0:1], s[4:5]
	s_nop 0
	s_sendmsg sendmsg(MSG_DEALLOC_VGPRS)
	s_endpgm
	.section	.rodata,"a",@progbits
	.p2align	6, 0x0
	.amdhsa_kernel _ZN7rocprim17ROCPRIM_400000_NS6detail17trampoline_kernelINS0_14default_configENS1_25partition_config_selectorILNS1_17partition_subalgoE5ElNS0_10empty_typeEbEEZZNS1_14partition_implILS5_5ELb0ES3_mN6hipcub16HIPCUB_304000_NS21CountingInputIteratorIllEEPS6_NSA_22TransformInputIteratorIbN2at6native12_GLOBAL__N_19NonZeroOpIfEEPKflEENS0_5tupleIJPlS6_EEENSN_IJSD_SD_EEES6_PiJS6_EEE10hipError_tPvRmT3_T4_T5_T6_T7_T9_mT8_P12ihipStream_tbDpT10_ENKUlT_T0_E_clISt17integral_constantIbLb0EES1B_EEDaS16_S17_EUlS16_E_NS1_11comp_targetILNS1_3genE9ELNS1_11target_archE1100ELNS1_3gpuE3ELNS1_3repE0EEENS1_30default_config_static_selectorELNS0_4arch9wavefront6targetE0EEEvT1_
		.amdhsa_group_segment_fixed_size 6160
		.amdhsa_private_segment_fixed_size 0
		.amdhsa_kernarg_size 120
		.amdhsa_user_sgpr_count 15
		.amdhsa_user_sgpr_dispatch_ptr 0
		.amdhsa_user_sgpr_queue_ptr 0
		.amdhsa_user_sgpr_kernarg_segment_ptr 1
		.amdhsa_user_sgpr_dispatch_id 0
		.amdhsa_user_sgpr_private_segment_size 0
		.amdhsa_wavefront_size32 1
		.amdhsa_uses_dynamic_stack 0
		.amdhsa_enable_private_segment 0
		.amdhsa_system_sgpr_workgroup_id_x 1
		.amdhsa_system_sgpr_workgroup_id_y 0
		.amdhsa_system_sgpr_workgroup_id_z 0
		.amdhsa_system_sgpr_workgroup_info 0
		.amdhsa_system_vgpr_workitem_id 0
		.amdhsa_next_free_vgpr 57
		.amdhsa_next_free_sgpr 21
		.amdhsa_reserve_vcc 1
		.amdhsa_float_round_mode_32 0
		.amdhsa_float_round_mode_16_64 0
		.amdhsa_float_denorm_mode_32 3
		.amdhsa_float_denorm_mode_16_64 3
		.amdhsa_dx10_clamp 1
		.amdhsa_ieee_mode 1
		.amdhsa_fp16_overflow 0
		.amdhsa_workgroup_processor_mode 1
		.amdhsa_memory_ordered 1
		.amdhsa_forward_progress 0
		.amdhsa_shared_vgpr_count 0
		.amdhsa_exception_fp_ieee_invalid_op 0
		.amdhsa_exception_fp_denorm_src 0
		.amdhsa_exception_fp_ieee_div_zero 0
		.amdhsa_exception_fp_ieee_overflow 0
		.amdhsa_exception_fp_ieee_underflow 0
		.amdhsa_exception_fp_ieee_inexact 0
		.amdhsa_exception_int_div_zero 0
	.end_amdhsa_kernel
	.section	.text._ZN7rocprim17ROCPRIM_400000_NS6detail17trampoline_kernelINS0_14default_configENS1_25partition_config_selectorILNS1_17partition_subalgoE5ElNS0_10empty_typeEbEEZZNS1_14partition_implILS5_5ELb0ES3_mN6hipcub16HIPCUB_304000_NS21CountingInputIteratorIllEEPS6_NSA_22TransformInputIteratorIbN2at6native12_GLOBAL__N_19NonZeroOpIfEEPKflEENS0_5tupleIJPlS6_EEENSN_IJSD_SD_EEES6_PiJS6_EEE10hipError_tPvRmT3_T4_T5_T6_T7_T9_mT8_P12ihipStream_tbDpT10_ENKUlT_T0_E_clISt17integral_constantIbLb0EES1B_EEDaS16_S17_EUlS16_E_NS1_11comp_targetILNS1_3genE9ELNS1_11target_archE1100ELNS1_3gpuE3ELNS1_3repE0EEENS1_30default_config_static_selectorELNS0_4arch9wavefront6targetE0EEEvT1_,"axG",@progbits,_ZN7rocprim17ROCPRIM_400000_NS6detail17trampoline_kernelINS0_14default_configENS1_25partition_config_selectorILNS1_17partition_subalgoE5ElNS0_10empty_typeEbEEZZNS1_14partition_implILS5_5ELb0ES3_mN6hipcub16HIPCUB_304000_NS21CountingInputIteratorIllEEPS6_NSA_22TransformInputIteratorIbN2at6native12_GLOBAL__N_19NonZeroOpIfEEPKflEENS0_5tupleIJPlS6_EEENSN_IJSD_SD_EEES6_PiJS6_EEE10hipError_tPvRmT3_T4_T5_T6_T7_T9_mT8_P12ihipStream_tbDpT10_ENKUlT_T0_E_clISt17integral_constantIbLb0EES1B_EEDaS16_S17_EUlS16_E_NS1_11comp_targetILNS1_3genE9ELNS1_11target_archE1100ELNS1_3gpuE3ELNS1_3repE0EEENS1_30default_config_static_selectorELNS0_4arch9wavefront6targetE0EEEvT1_,comdat
.Lfunc_end464:
	.size	_ZN7rocprim17ROCPRIM_400000_NS6detail17trampoline_kernelINS0_14default_configENS1_25partition_config_selectorILNS1_17partition_subalgoE5ElNS0_10empty_typeEbEEZZNS1_14partition_implILS5_5ELb0ES3_mN6hipcub16HIPCUB_304000_NS21CountingInputIteratorIllEEPS6_NSA_22TransformInputIteratorIbN2at6native12_GLOBAL__N_19NonZeroOpIfEEPKflEENS0_5tupleIJPlS6_EEENSN_IJSD_SD_EEES6_PiJS6_EEE10hipError_tPvRmT3_T4_T5_T6_T7_T9_mT8_P12ihipStream_tbDpT10_ENKUlT_T0_E_clISt17integral_constantIbLb0EES1B_EEDaS16_S17_EUlS16_E_NS1_11comp_targetILNS1_3genE9ELNS1_11target_archE1100ELNS1_3gpuE3ELNS1_3repE0EEENS1_30default_config_static_selectorELNS0_4arch9wavefront6targetE0EEEvT1_, .Lfunc_end464-_ZN7rocprim17ROCPRIM_400000_NS6detail17trampoline_kernelINS0_14default_configENS1_25partition_config_selectorILNS1_17partition_subalgoE5ElNS0_10empty_typeEbEEZZNS1_14partition_implILS5_5ELb0ES3_mN6hipcub16HIPCUB_304000_NS21CountingInputIteratorIllEEPS6_NSA_22TransformInputIteratorIbN2at6native12_GLOBAL__N_19NonZeroOpIfEEPKflEENS0_5tupleIJPlS6_EEENSN_IJSD_SD_EEES6_PiJS6_EEE10hipError_tPvRmT3_T4_T5_T6_T7_T9_mT8_P12ihipStream_tbDpT10_ENKUlT_T0_E_clISt17integral_constantIbLb0EES1B_EEDaS16_S17_EUlS16_E_NS1_11comp_targetILNS1_3genE9ELNS1_11target_archE1100ELNS1_3gpuE3ELNS1_3repE0EEENS1_30default_config_static_selectorELNS0_4arch9wavefront6targetE0EEEvT1_
                                        ; -- End function
	.section	.AMDGPU.csdata,"",@progbits
; Kernel info:
; codeLenInByte = 6348
; NumSgprs: 23
; NumVgprs: 57
; ScratchSize: 0
; MemoryBound: 0
; FloatMode: 240
; IeeeMode: 1
; LDSByteSize: 6160 bytes/workgroup (compile time only)
; SGPRBlocks: 2
; VGPRBlocks: 7
; NumSGPRsForWavesPerEU: 23
; NumVGPRsForWavesPerEU: 57
; Occupancy: 16
; WaveLimiterHint : 1
; COMPUTE_PGM_RSRC2:SCRATCH_EN: 0
; COMPUTE_PGM_RSRC2:USER_SGPR: 15
; COMPUTE_PGM_RSRC2:TRAP_HANDLER: 0
; COMPUTE_PGM_RSRC2:TGID_X_EN: 1
; COMPUTE_PGM_RSRC2:TGID_Y_EN: 0
; COMPUTE_PGM_RSRC2:TGID_Z_EN: 0
; COMPUTE_PGM_RSRC2:TIDIG_COMP_CNT: 0
	.section	.text._ZN7rocprim17ROCPRIM_400000_NS6detail17trampoline_kernelINS0_14default_configENS1_25partition_config_selectorILNS1_17partition_subalgoE5ElNS0_10empty_typeEbEEZZNS1_14partition_implILS5_5ELb0ES3_mN6hipcub16HIPCUB_304000_NS21CountingInputIteratorIllEEPS6_NSA_22TransformInputIteratorIbN2at6native12_GLOBAL__N_19NonZeroOpIfEEPKflEENS0_5tupleIJPlS6_EEENSN_IJSD_SD_EEES6_PiJS6_EEE10hipError_tPvRmT3_T4_T5_T6_T7_T9_mT8_P12ihipStream_tbDpT10_ENKUlT_T0_E_clISt17integral_constantIbLb0EES1B_EEDaS16_S17_EUlS16_E_NS1_11comp_targetILNS1_3genE8ELNS1_11target_archE1030ELNS1_3gpuE2ELNS1_3repE0EEENS1_30default_config_static_selectorELNS0_4arch9wavefront6targetE0EEEvT1_,"axG",@progbits,_ZN7rocprim17ROCPRIM_400000_NS6detail17trampoline_kernelINS0_14default_configENS1_25partition_config_selectorILNS1_17partition_subalgoE5ElNS0_10empty_typeEbEEZZNS1_14partition_implILS5_5ELb0ES3_mN6hipcub16HIPCUB_304000_NS21CountingInputIteratorIllEEPS6_NSA_22TransformInputIteratorIbN2at6native12_GLOBAL__N_19NonZeroOpIfEEPKflEENS0_5tupleIJPlS6_EEENSN_IJSD_SD_EEES6_PiJS6_EEE10hipError_tPvRmT3_T4_T5_T6_T7_T9_mT8_P12ihipStream_tbDpT10_ENKUlT_T0_E_clISt17integral_constantIbLb0EES1B_EEDaS16_S17_EUlS16_E_NS1_11comp_targetILNS1_3genE8ELNS1_11target_archE1030ELNS1_3gpuE2ELNS1_3repE0EEENS1_30default_config_static_selectorELNS0_4arch9wavefront6targetE0EEEvT1_,comdat
	.globl	_ZN7rocprim17ROCPRIM_400000_NS6detail17trampoline_kernelINS0_14default_configENS1_25partition_config_selectorILNS1_17partition_subalgoE5ElNS0_10empty_typeEbEEZZNS1_14partition_implILS5_5ELb0ES3_mN6hipcub16HIPCUB_304000_NS21CountingInputIteratorIllEEPS6_NSA_22TransformInputIteratorIbN2at6native12_GLOBAL__N_19NonZeroOpIfEEPKflEENS0_5tupleIJPlS6_EEENSN_IJSD_SD_EEES6_PiJS6_EEE10hipError_tPvRmT3_T4_T5_T6_T7_T9_mT8_P12ihipStream_tbDpT10_ENKUlT_T0_E_clISt17integral_constantIbLb0EES1B_EEDaS16_S17_EUlS16_E_NS1_11comp_targetILNS1_3genE8ELNS1_11target_archE1030ELNS1_3gpuE2ELNS1_3repE0EEENS1_30default_config_static_selectorELNS0_4arch9wavefront6targetE0EEEvT1_ ; -- Begin function _ZN7rocprim17ROCPRIM_400000_NS6detail17trampoline_kernelINS0_14default_configENS1_25partition_config_selectorILNS1_17partition_subalgoE5ElNS0_10empty_typeEbEEZZNS1_14partition_implILS5_5ELb0ES3_mN6hipcub16HIPCUB_304000_NS21CountingInputIteratorIllEEPS6_NSA_22TransformInputIteratorIbN2at6native12_GLOBAL__N_19NonZeroOpIfEEPKflEENS0_5tupleIJPlS6_EEENSN_IJSD_SD_EEES6_PiJS6_EEE10hipError_tPvRmT3_T4_T5_T6_T7_T9_mT8_P12ihipStream_tbDpT10_ENKUlT_T0_E_clISt17integral_constantIbLb0EES1B_EEDaS16_S17_EUlS16_E_NS1_11comp_targetILNS1_3genE8ELNS1_11target_archE1030ELNS1_3gpuE2ELNS1_3repE0EEENS1_30default_config_static_selectorELNS0_4arch9wavefront6targetE0EEEvT1_
	.p2align	8
	.type	_ZN7rocprim17ROCPRIM_400000_NS6detail17trampoline_kernelINS0_14default_configENS1_25partition_config_selectorILNS1_17partition_subalgoE5ElNS0_10empty_typeEbEEZZNS1_14partition_implILS5_5ELb0ES3_mN6hipcub16HIPCUB_304000_NS21CountingInputIteratorIllEEPS6_NSA_22TransformInputIteratorIbN2at6native12_GLOBAL__N_19NonZeroOpIfEEPKflEENS0_5tupleIJPlS6_EEENSN_IJSD_SD_EEES6_PiJS6_EEE10hipError_tPvRmT3_T4_T5_T6_T7_T9_mT8_P12ihipStream_tbDpT10_ENKUlT_T0_E_clISt17integral_constantIbLb0EES1B_EEDaS16_S17_EUlS16_E_NS1_11comp_targetILNS1_3genE8ELNS1_11target_archE1030ELNS1_3gpuE2ELNS1_3repE0EEENS1_30default_config_static_selectorELNS0_4arch9wavefront6targetE0EEEvT1_,@function
_ZN7rocprim17ROCPRIM_400000_NS6detail17trampoline_kernelINS0_14default_configENS1_25partition_config_selectorILNS1_17partition_subalgoE5ElNS0_10empty_typeEbEEZZNS1_14partition_implILS5_5ELb0ES3_mN6hipcub16HIPCUB_304000_NS21CountingInputIteratorIllEEPS6_NSA_22TransformInputIteratorIbN2at6native12_GLOBAL__N_19NonZeroOpIfEEPKflEENS0_5tupleIJPlS6_EEENSN_IJSD_SD_EEES6_PiJS6_EEE10hipError_tPvRmT3_T4_T5_T6_T7_T9_mT8_P12ihipStream_tbDpT10_ENKUlT_T0_E_clISt17integral_constantIbLb0EES1B_EEDaS16_S17_EUlS16_E_NS1_11comp_targetILNS1_3genE8ELNS1_11target_archE1030ELNS1_3gpuE2ELNS1_3repE0EEENS1_30default_config_static_selectorELNS0_4arch9wavefront6targetE0EEEvT1_: ; @_ZN7rocprim17ROCPRIM_400000_NS6detail17trampoline_kernelINS0_14default_configENS1_25partition_config_selectorILNS1_17partition_subalgoE5ElNS0_10empty_typeEbEEZZNS1_14partition_implILS5_5ELb0ES3_mN6hipcub16HIPCUB_304000_NS21CountingInputIteratorIllEEPS6_NSA_22TransformInputIteratorIbN2at6native12_GLOBAL__N_19NonZeroOpIfEEPKflEENS0_5tupleIJPlS6_EEENSN_IJSD_SD_EEES6_PiJS6_EEE10hipError_tPvRmT3_T4_T5_T6_T7_T9_mT8_P12ihipStream_tbDpT10_ENKUlT_T0_E_clISt17integral_constantIbLb0EES1B_EEDaS16_S17_EUlS16_E_NS1_11comp_targetILNS1_3genE8ELNS1_11target_archE1030ELNS1_3gpuE2ELNS1_3repE0EEENS1_30default_config_static_selectorELNS0_4arch9wavefront6targetE0EEEvT1_
; %bb.0:
	.section	.rodata,"a",@progbits
	.p2align	6, 0x0
	.amdhsa_kernel _ZN7rocprim17ROCPRIM_400000_NS6detail17trampoline_kernelINS0_14default_configENS1_25partition_config_selectorILNS1_17partition_subalgoE5ElNS0_10empty_typeEbEEZZNS1_14partition_implILS5_5ELb0ES3_mN6hipcub16HIPCUB_304000_NS21CountingInputIteratorIllEEPS6_NSA_22TransformInputIteratorIbN2at6native12_GLOBAL__N_19NonZeroOpIfEEPKflEENS0_5tupleIJPlS6_EEENSN_IJSD_SD_EEES6_PiJS6_EEE10hipError_tPvRmT3_T4_T5_T6_T7_T9_mT8_P12ihipStream_tbDpT10_ENKUlT_T0_E_clISt17integral_constantIbLb0EES1B_EEDaS16_S17_EUlS16_E_NS1_11comp_targetILNS1_3genE8ELNS1_11target_archE1030ELNS1_3gpuE2ELNS1_3repE0EEENS1_30default_config_static_selectorELNS0_4arch9wavefront6targetE0EEEvT1_
		.amdhsa_group_segment_fixed_size 0
		.amdhsa_private_segment_fixed_size 0
		.amdhsa_kernarg_size 120
		.amdhsa_user_sgpr_count 15
		.amdhsa_user_sgpr_dispatch_ptr 0
		.amdhsa_user_sgpr_queue_ptr 0
		.amdhsa_user_sgpr_kernarg_segment_ptr 1
		.amdhsa_user_sgpr_dispatch_id 0
		.amdhsa_user_sgpr_private_segment_size 0
		.amdhsa_wavefront_size32 1
		.amdhsa_uses_dynamic_stack 0
		.amdhsa_enable_private_segment 0
		.amdhsa_system_sgpr_workgroup_id_x 1
		.amdhsa_system_sgpr_workgroup_id_y 0
		.amdhsa_system_sgpr_workgroup_id_z 0
		.amdhsa_system_sgpr_workgroup_info 0
		.amdhsa_system_vgpr_workitem_id 0
		.amdhsa_next_free_vgpr 1
		.amdhsa_next_free_sgpr 1
		.amdhsa_reserve_vcc 0
		.amdhsa_float_round_mode_32 0
		.amdhsa_float_round_mode_16_64 0
		.amdhsa_float_denorm_mode_32 3
		.amdhsa_float_denorm_mode_16_64 3
		.amdhsa_dx10_clamp 1
		.amdhsa_ieee_mode 1
		.amdhsa_fp16_overflow 0
		.amdhsa_workgroup_processor_mode 1
		.amdhsa_memory_ordered 1
		.amdhsa_forward_progress 0
		.amdhsa_shared_vgpr_count 0
		.amdhsa_exception_fp_ieee_invalid_op 0
		.amdhsa_exception_fp_denorm_src 0
		.amdhsa_exception_fp_ieee_div_zero 0
		.amdhsa_exception_fp_ieee_overflow 0
		.amdhsa_exception_fp_ieee_underflow 0
		.amdhsa_exception_fp_ieee_inexact 0
		.amdhsa_exception_int_div_zero 0
	.end_amdhsa_kernel
	.section	.text._ZN7rocprim17ROCPRIM_400000_NS6detail17trampoline_kernelINS0_14default_configENS1_25partition_config_selectorILNS1_17partition_subalgoE5ElNS0_10empty_typeEbEEZZNS1_14partition_implILS5_5ELb0ES3_mN6hipcub16HIPCUB_304000_NS21CountingInputIteratorIllEEPS6_NSA_22TransformInputIteratorIbN2at6native12_GLOBAL__N_19NonZeroOpIfEEPKflEENS0_5tupleIJPlS6_EEENSN_IJSD_SD_EEES6_PiJS6_EEE10hipError_tPvRmT3_T4_T5_T6_T7_T9_mT8_P12ihipStream_tbDpT10_ENKUlT_T0_E_clISt17integral_constantIbLb0EES1B_EEDaS16_S17_EUlS16_E_NS1_11comp_targetILNS1_3genE8ELNS1_11target_archE1030ELNS1_3gpuE2ELNS1_3repE0EEENS1_30default_config_static_selectorELNS0_4arch9wavefront6targetE0EEEvT1_,"axG",@progbits,_ZN7rocprim17ROCPRIM_400000_NS6detail17trampoline_kernelINS0_14default_configENS1_25partition_config_selectorILNS1_17partition_subalgoE5ElNS0_10empty_typeEbEEZZNS1_14partition_implILS5_5ELb0ES3_mN6hipcub16HIPCUB_304000_NS21CountingInputIteratorIllEEPS6_NSA_22TransformInputIteratorIbN2at6native12_GLOBAL__N_19NonZeroOpIfEEPKflEENS0_5tupleIJPlS6_EEENSN_IJSD_SD_EEES6_PiJS6_EEE10hipError_tPvRmT3_T4_T5_T6_T7_T9_mT8_P12ihipStream_tbDpT10_ENKUlT_T0_E_clISt17integral_constantIbLb0EES1B_EEDaS16_S17_EUlS16_E_NS1_11comp_targetILNS1_3genE8ELNS1_11target_archE1030ELNS1_3gpuE2ELNS1_3repE0EEENS1_30default_config_static_selectorELNS0_4arch9wavefront6targetE0EEEvT1_,comdat
.Lfunc_end465:
	.size	_ZN7rocprim17ROCPRIM_400000_NS6detail17trampoline_kernelINS0_14default_configENS1_25partition_config_selectorILNS1_17partition_subalgoE5ElNS0_10empty_typeEbEEZZNS1_14partition_implILS5_5ELb0ES3_mN6hipcub16HIPCUB_304000_NS21CountingInputIteratorIllEEPS6_NSA_22TransformInputIteratorIbN2at6native12_GLOBAL__N_19NonZeroOpIfEEPKflEENS0_5tupleIJPlS6_EEENSN_IJSD_SD_EEES6_PiJS6_EEE10hipError_tPvRmT3_T4_T5_T6_T7_T9_mT8_P12ihipStream_tbDpT10_ENKUlT_T0_E_clISt17integral_constantIbLb0EES1B_EEDaS16_S17_EUlS16_E_NS1_11comp_targetILNS1_3genE8ELNS1_11target_archE1030ELNS1_3gpuE2ELNS1_3repE0EEENS1_30default_config_static_selectorELNS0_4arch9wavefront6targetE0EEEvT1_, .Lfunc_end465-_ZN7rocprim17ROCPRIM_400000_NS6detail17trampoline_kernelINS0_14default_configENS1_25partition_config_selectorILNS1_17partition_subalgoE5ElNS0_10empty_typeEbEEZZNS1_14partition_implILS5_5ELb0ES3_mN6hipcub16HIPCUB_304000_NS21CountingInputIteratorIllEEPS6_NSA_22TransformInputIteratorIbN2at6native12_GLOBAL__N_19NonZeroOpIfEEPKflEENS0_5tupleIJPlS6_EEENSN_IJSD_SD_EEES6_PiJS6_EEE10hipError_tPvRmT3_T4_T5_T6_T7_T9_mT8_P12ihipStream_tbDpT10_ENKUlT_T0_E_clISt17integral_constantIbLb0EES1B_EEDaS16_S17_EUlS16_E_NS1_11comp_targetILNS1_3genE8ELNS1_11target_archE1030ELNS1_3gpuE2ELNS1_3repE0EEENS1_30default_config_static_selectorELNS0_4arch9wavefront6targetE0EEEvT1_
                                        ; -- End function
	.section	.AMDGPU.csdata,"",@progbits
; Kernel info:
; codeLenInByte = 0
; NumSgprs: 0
; NumVgprs: 0
; ScratchSize: 0
; MemoryBound: 0
; FloatMode: 240
; IeeeMode: 1
; LDSByteSize: 0 bytes/workgroup (compile time only)
; SGPRBlocks: 0
; VGPRBlocks: 0
; NumSGPRsForWavesPerEU: 1
; NumVGPRsForWavesPerEU: 1
; Occupancy: 16
; WaveLimiterHint : 0
; COMPUTE_PGM_RSRC2:SCRATCH_EN: 0
; COMPUTE_PGM_RSRC2:USER_SGPR: 15
; COMPUTE_PGM_RSRC2:TRAP_HANDLER: 0
; COMPUTE_PGM_RSRC2:TGID_X_EN: 1
; COMPUTE_PGM_RSRC2:TGID_Y_EN: 0
; COMPUTE_PGM_RSRC2:TGID_Z_EN: 0
; COMPUTE_PGM_RSRC2:TIDIG_COMP_CNT: 0
	.section	.text._ZN7rocprim17ROCPRIM_400000_NS6detail17trampoline_kernelINS0_14default_configENS1_25partition_config_selectorILNS1_17partition_subalgoE5ElNS0_10empty_typeEbEEZZNS1_14partition_implILS5_5ELb0ES3_mN6hipcub16HIPCUB_304000_NS21CountingInputIteratorIllEEPS6_NSA_22TransformInputIteratorIbN2at6native12_GLOBAL__N_19NonZeroOpIfEEPKflEENS0_5tupleIJPlS6_EEENSN_IJSD_SD_EEES6_PiJS6_EEE10hipError_tPvRmT3_T4_T5_T6_T7_T9_mT8_P12ihipStream_tbDpT10_ENKUlT_T0_E_clISt17integral_constantIbLb1EES1B_EEDaS16_S17_EUlS16_E_NS1_11comp_targetILNS1_3genE0ELNS1_11target_archE4294967295ELNS1_3gpuE0ELNS1_3repE0EEENS1_30default_config_static_selectorELNS0_4arch9wavefront6targetE0EEEvT1_,"axG",@progbits,_ZN7rocprim17ROCPRIM_400000_NS6detail17trampoline_kernelINS0_14default_configENS1_25partition_config_selectorILNS1_17partition_subalgoE5ElNS0_10empty_typeEbEEZZNS1_14partition_implILS5_5ELb0ES3_mN6hipcub16HIPCUB_304000_NS21CountingInputIteratorIllEEPS6_NSA_22TransformInputIteratorIbN2at6native12_GLOBAL__N_19NonZeroOpIfEEPKflEENS0_5tupleIJPlS6_EEENSN_IJSD_SD_EEES6_PiJS6_EEE10hipError_tPvRmT3_T4_T5_T6_T7_T9_mT8_P12ihipStream_tbDpT10_ENKUlT_T0_E_clISt17integral_constantIbLb1EES1B_EEDaS16_S17_EUlS16_E_NS1_11comp_targetILNS1_3genE0ELNS1_11target_archE4294967295ELNS1_3gpuE0ELNS1_3repE0EEENS1_30default_config_static_selectorELNS0_4arch9wavefront6targetE0EEEvT1_,comdat
	.globl	_ZN7rocprim17ROCPRIM_400000_NS6detail17trampoline_kernelINS0_14default_configENS1_25partition_config_selectorILNS1_17partition_subalgoE5ElNS0_10empty_typeEbEEZZNS1_14partition_implILS5_5ELb0ES3_mN6hipcub16HIPCUB_304000_NS21CountingInputIteratorIllEEPS6_NSA_22TransformInputIteratorIbN2at6native12_GLOBAL__N_19NonZeroOpIfEEPKflEENS0_5tupleIJPlS6_EEENSN_IJSD_SD_EEES6_PiJS6_EEE10hipError_tPvRmT3_T4_T5_T6_T7_T9_mT8_P12ihipStream_tbDpT10_ENKUlT_T0_E_clISt17integral_constantIbLb1EES1B_EEDaS16_S17_EUlS16_E_NS1_11comp_targetILNS1_3genE0ELNS1_11target_archE4294967295ELNS1_3gpuE0ELNS1_3repE0EEENS1_30default_config_static_selectorELNS0_4arch9wavefront6targetE0EEEvT1_ ; -- Begin function _ZN7rocprim17ROCPRIM_400000_NS6detail17trampoline_kernelINS0_14default_configENS1_25partition_config_selectorILNS1_17partition_subalgoE5ElNS0_10empty_typeEbEEZZNS1_14partition_implILS5_5ELb0ES3_mN6hipcub16HIPCUB_304000_NS21CountingInputIteratorIllEEPS6_NSA_22TransformInputIteratorIbN2at6native12_GLOBAL__N_19NonZeroOpIfEEPKflEENS0_5tupleIJPlS6_EEENSN_IJSD_SD_EEES6_PiJS6_EEE10hipError_tPvRmT3_T4_T5_T6_T7_T9_mT8_P12ihipStream_tbDpT10_ENKUlT_T0_E_clISt17integral_constantIbLb1EES1B_EEDaS16_S17_EUlS16_E_NS1_11comp_targetILNS1_3genE0ELNS1_11target_archE4294967295ELNS1_3gpuE0ELNS1_3repE0EEENS1_30default_config_static_selectorELNS0_4arch9wavefront6targetE0EEEvT1_
	.p2align	8
	.type	_ZN7rocprim17ROCPRIM_400000_NS6detail17trampoline_kernelINS0_14default_configENS1_25partition_config_selectorILNS1_17partition_subalgoE5ElNS0_10empty_typeEbEEZZNS1_14partition_implILS5_5ELb0ES3_mN6hipcub16HIPCUB_304000_NS21CountingInputIteratorIllEEPS6_NSA_22TransformInputIteratorIbN2at6native12_GLOBAL__N_19NonZeroOpIfEEPKflEENS0_5tupleIJPlS6_EEENSN_IJSD_SD_EEES6_PiJS6_EEE10hipError_tPvRmT3_T4_T5_T6_T7_T9_mT8_P12ihipStream_tbDpT10_ENKUlT_T0_E_clISt17integral_constantIbLb1EES1B_EEDaS16_S17_EUlS16_E_NS1_11comp_targetILNS1_3genE0ELNS1_11target_archE4294967295ELNS1_3gpuE0ELNS1_3repE0EEENS1_30default_config_static_selectorELNS0_4arch9wavefront6targetE0EEEvT1_,@function
_ZN7rocprim17ROCPRIM_400000_NS6detail17trampoline_kernelINS0_14default_configENS1_25partition_config_selectorILNS1_17partition_subalgoE5ElNS0_10empty_typeEbEEZZNS1_14partition_implILS5_5ELb0ES3_mN6hipcub16HIPCUB_304000_NS21CountingInputIteratorIllEEPS6_NSA_22TransformInputIteratorIbN2at6native12_GLOBAL__N_19NonZeroOpIfEEPKflEENS0_5tupleIJPlS6_EEENSN_IJSD_SD_EEES6_PiJS6_EEE10hipError_tPvRmT3_T4_T5_T6_T7_T9_mT8_P12ihipStream_tbDpT10_ENKUlT_T0_E_clISt17integral_constantIbLb1EES1B_EEDaS16_S17_EUlS16_E_NS1_11comp_targetILNS1_3genE0ELNS1_11target_archE4294967295ELNS1_3gpuE0ELNS1_3repE0EEENS1_30default_config_static_selectorELNS0_4arch9wavefront6targetE0EEEvT1_: ; @_ZN7rocprim17ROCPRIM_400000_NS6detail17trampoline_kernelINS0_14default_configENS1_25partition_config_selectorILNS1_17partition_subalgoE5ElNS0_10empty_typeEbEEZZNS1_14partition_implILS5_5ELb0ES3_mN6hipcub16HIPCUB_304000_NS21CountingInputIteratorIllEEPS6_NSA_22TransformInputIteratorIbN2at6native12_GLOBAL__N_19NonZeroOpIfEEPKflEENS0_5tupleIJPlS6_EEENSN_IJSD_SD_EEES6_PiJS6_EEE10hipError_tPvRmT3_T4_T5_T6_T7_T9_mT8_P12ihipStream_tbDpT10_ENKUlT_T0_E_clISt17integral_constantIbLb1EES1B_EEDaS16_S17_EUlS16_E_NS1_11comp_targetILNS1_3genE0ELNS1_11target_archE4294967295ELNS1_3gpuE0ELNS1_3repE0EEENS1_30default_config_static_selectorELNS0_4arch9wavefront6targetE0EEEvT1_
; %bb.0:
	.section	.rodata,"a",@progbits
	.p2align	6, 0x0
	.amdhsa_kernel _ZN7rocprim17ROCPRIM_400000_NS6detail17trampoline_kernelINS0_14default_configENS1_25partition_config_selectorILNS1_17partition_subalgoE5ElNS0_10empty_typeEbEEZZNS1_14partition_implILS5_5ELb0ES3_mN6hipcub16HIPCUB_304000_NS21CountingInputIteratorIllEEPS6_NSA_22TransformInputIteratorIbN2at6native12_GLOBAL__N_19NonZeroOpIfEEPKflEENS0_5tupleIJPlS6_EEENSN_IJSD_SD_EEES6_PiJS6_EEE10hipError_tPvRmT3_T4_T5_T6_T7_T9_mT8_P12ihipStream_tbDpT10_ENKUlT_T0_E_clISt17integral_constantIbLb1EES1B_EEDaS16_S17_EUlS16_E_NS1_11comp_targetILNS1_3genE0ELNS1_11target_archE4294967295ELNS1_3gpuE0ELNS1_3repE0EEENS1_30default_config_static_selectorELNS0_4arch9wavefront6targetE0EEEvT1_
		.amdhsa_group_segment_fixed_size 0
		.amdhsa_private_segment_fixed_size 0
		.amdhsa_kernarg_size 136
		.amdhsa_user_sgpr_count 15
		.amdhsa_user_sgpr_dispatch_ptr 0
		.amdhsa_user_sgpr_queue_ptr 0
		.amdhsa_user_sgpr_kernarg_segment_ptr 1
		.amdhsa_user_sgpr_dispatch_id 0
		.amdhsa_user_sgpr_private_segment_size 0
		.amdhsa_wavefront_size32 1
		.amdhsa_uses_dynamic_stack 0
		.amdhsa_enable_private_segment 0
		.amdhsa_system_sgpr_workgroup_id_x 1
		.amdhsa_system_sgpr_workgroup_id_y 0
		.amdhsa_system_sgpr_workgroup_id_z 0
		.amdhsa_system_sgpr_workgroup_info 0
		.amdhsa_system_vgpr_workitem_id 0
		.amdhsa_next_free_vgpr 1
		.amdhsa_next_free_sgpr 1
		.amdhsa_reserve_vcc 0
		.amdhsa_float_round_mode_32 0
		.amdhsa_float_round_mode_16_64 0
		.amdhsa_float_denorm_mode_32 3
		.amdhsa_float_denorm_mode_16_64 3
		.amdhsa_dx10_clamp 1
		.amdhsa_ieee_mode 1
		.amdhsa_fp16_overflow 0
		.amdhsa_workgroup_processor_mode 1
		.amdhsa_memory_ordered 1
		.amdhsa_forward_progress 0
		.amdhsa_shared_vgpr_count 0
		.amdhsa_exception_fp_ieee_invalid_op 0
		.amdhsa_exception_fp_denorm_src 0
		.amdhsa_exception_fp_ieee_div_zero 0
		.amdhsa_exception_fp_ieee_overflow 0
		.amdhsa_exception_fp_ieee_underflow 0
		.amdhsa_exception_fp_ieee_inexact 0
		.amdhsa_exception_int_div_zero 0
	.end_amdhsa_kernel
	.section	.text._ZN7rocprim17ROCPRIM_400000_NS6detail17trampoline_kernelINS0_14default_configENS1_25partition_config_selectorILNS1_17partition_subalgoE5ElNS0_10empty_typeEbEEZZNS1_14partition_implILS5_5ELb0ES3_mN6hipcub16HIPCUB_304000_NS21CountingInputIteratorIllEEPS6_NSA_22TransformInputIteratorIbN2at6native12_GLOBAL__N_19NonZeroOpIfEEPKflEENS0_5tupleIJPlS6_EEENSN_IJSD_SD_EEES6_PiJS6_EEE10hipError_tPvRmT3_T4_T5_T6_T7_T9_mT8_P12ihipStream_tbDpT10_ENKUlT_T0_E_clISt17integral_constantIbLb1EES1B_EEDaS16_S17_EUlS16_E_NS1_11comp_targetILNS1_3genE0ELNS1_11target_archE4294967295ELNS1_3gpuE0ELNS1_3repE0EEENS1_30default_config_static_selectorELNS0_4arch9wavefront6targetE0EEEvT1_,"axG",@progbits,_ZN7rocprim17ROCPRIM_400000_NS6detail17trampoline_kernelINS0_14default_configENS1_25partition_config_selectorILNS1_17partition_subalgoE5ElNS0_10empty_typeEbEEZZNS1_14partition_implILS5_5ELb0ES3_mN6hipcub16HIPCUB_304000_NS21CountingInputIteratorIllEEPS6_NSA_22TransformInputIteratorIbN2at6native12_GLOBAL__N_19NonZeroOpIfEEPKflEENS0_5tupleIJPlS6_EEENSN_IJSD_SD_EEES6_PiJS6_EEE10hipError_tPvRmT3_T4_T5_T6_T7_T9_mT8_P12ihipStream_tbDpT10_ENKUlT_T0_E_clISt17integral_constantIbLb1EES1B_EEDaS16_S17_EUlS16_E_NS1_11comp_targetILNS1_3genE0ELNS1_11target_archE4294967295ELNS1_3gpuE0ELNS1_3repE0EEENS1_30default_config_static_selectorELNS0_4arch9wavefront6targetE0EEEvT1_,comdat
.Lfunc_end466:
	.size	_ZN7rocprim17ROCPRIM_400000_NS6detail17trampoline_kernelINS0_14default_configENS1_25partition_config_selectorILNS1_17partition_subalgoE5ElNS0_10empty_typeEbEEZZNS1_14partition_implILS5_5ELb0ES3_mN6hipcub16HIPCUB_304000_NS21CountingInputIteratorIllEEPS6_NSA_22TransformInputIteratorIbN2at6native12_GLOBAL__N_19NonZeroOpIfEEPKflEENS0_5tupleIJPlS6_EEENSN_IJSD_SD_EEES6_PiJS6_EEE10hipError_tPvRmT3_T4_T5_T6_T7_T9_mT8_P12ihipStream_tbDpT10_ENKUlT_T0_E_clISt17integral_constantIbLb1EES1B_EEDaS16_S17_EUlS16_E_NS1_11comp_targetILNS1_3genE0ELNS1_11target_archE4294967295ELNS1_3gpuE0ELNS1_3repE0EEENS1_30default_config_static_selectorELNS0_4arch9wavefront6targetE0EEEvT1_, .Lfunc_end466-_ZN7rocprim17ROCPRIM_400000_NS6detail17trampoline_kernelINS0_14default_configENS1_25partition_config_selectorILNS1_17partition_subalgoE5ElNS0_10empty_typeEbEEZZNS1_14partition_implILS5_5ELb0ES3_mN6hipcub16HIPCUB_304000_NS21CountingInputIteratorIllEEPS6_NSA_22TransformInputIteratorIbN2at6native12_GLOBAL__N_19NonZeroOpIfEEPKflEENS0_5tupleIJPlS6_EEENSN_IJSD_SD_EEES6_PiJS6_EEE10hipError_tPvRmT3_T4_T5_T6_T7_T9_mT8_P12ihipStream_tbDpT10_ENKUlT_T0_E_clISt17integral_constantIbLb1EES1B_EEDaS16_S17_EUlS16_E_NS1_11comp_targetILNS1_3genE0ELNS1_11target_archE4294967295ELNS1_3gpuE0ELNS1_3repE0EEENS1_30default_config_static_selectorELNS0_4arch9wavefront6targetE0EEEvT1_
                                        ; -- End function
	.section	.AMDGPU.csdata,"",@progbits
; Kernel info:
; codeLenInByte = 0
; NumSgprs: 0
; NumVgprs: 0
; ScratchSize: 0
; MemoryBound: 0
; FloatMode: 240
; IeeeMode: 1
; LDSByteSize: 0 bytes/workgroup (compile time only)
; SGPRBlocks: 0
; VGPRBlocks: 0
; NumSGPRsForWavesPerEU: 1
; NumVGPRsForWavesPerEU: 1
; Occupancy: 16
; WaveLimiterHint : 0
; COMPUTE_PGM_RSRC2:SCRATCH_EN: 0
; COMPUTE_PGM_RSRC2:USER_SGPR: 15
; COMPUTE_PGM_RSRC2:TRAP_HANDLER: 0
; COMPUTE_PGM_RSRC2:TGID_X_EN: 1
; COMPUTE_PGM_RSRC2:TGID_Y_EN: 0
; COMPUTE_PGM_RSRC2:TGID_Z_EN: 0
; COMPUTE_PGM_RSRC2:TIDIG_COMP_CNT: 0
	.section	.text._ZN7rocprim17ROCPRIM_400000_NS6detail17trampoline_kernelINS0_14default_configENS1_25partition_config_selectorILNS1_17partition_subalgoE5ElNS0_10empty_typeEbEEZZNS1_14partition_implILS5_5ELb0ES3_mN6hipcub16HIPCUB_304000_NS21CountingInputIteratorIllEEPS6_NSA_22TransformInputIteratorIbN2at6native12_GLOBAL__N_19NonZeroOpIfEEPKflEENS0_5tupleIJPlS6_EEENSN_IJSD_SD_EEES6_PiJS6_EEE10hipError_tPvRmT3_T4_T5_T6_T7_T9_mT8_P12ihipStream_tbDpT10_ENKUlT_T0_E_clISt17integral_constantIbLb1EES1B_EEDaS16_S17_EUlS16_E_NS1_11comp_targetILNS1_3genE5ELNS1_11target_archE942ELNS1_3gpuE9ELNS1_3repE0EEENS1_30default_config_static_selectorELNS0_4arch9wavefront6targetE0EEEvT1_,"axG",@progbits,_ZN7rocprim17ROCPRIM_400000_NS6detail17trampoline_kernelINS0_14default_configENS1_25partition_config_selectorILNS1_17partition_subalgoE5ElNS0_10empty_typeEbEEZZNS1_14partition_implILS5_5ELb0ES3_mN6hipcub16HIPCUB_304000_NS21CountingInputIteratorIllEEPS6_NSA_22TransformInputIteratorIbN2at6native12_GLOBAL__N_19NonZeroOpIfEEPKflEENS0_5tupleIJPlS6_EEENSN_IJSD_SD_EEES6_PiJS6_EEE10hipError_tPvRmT3_T4_T5_T6_T7_T9_mT8_P12ihipStream_tbDpT10_ENKUlT_T0_E_clISt17integral_constantIbLb1EES1B_EEDaS16_S17_EUlS16_E_NS1_11comp_targetILNS1_3genE5ELNS1_11target_archE942ELNS1_3gpuE9ELNS1_3repE0EEENS1_30default_config_static_selectorELNS0_4arch9wavefront6targetE0EEEvT1_,comdat
	.globl	_ZN7rocprim17ROCPRIM_400000_NS6detail17trampoline_kernelINS0_14default_configENS1_25partition_config_selectorILNS1_17partition_subalgoE5ElNS0_10empty_typeEbEEZZNS1_14partition_implILS5_5ELb0ES3_mN6hipcub16HIPCUB_304000_NS21CountingInputIteratorIllEEPS6_NSA_22TransformInputIteratorIbN2at6native12_GLOBAL__N_19NonZeroOpIfEEPKflEENS0_5tupleIJPlS6_EEENSN_IJSD_SD_EEES6_PiJS6_EEE10hipError_tPvRmT3_T4_T5_T6_T7_T9_mT8_P12ihipStream_tbDpT10_ENKUlT_T0_E_clISt17integral_constantIbLb1EES1B_EEDaS16_S17_EUlS16_E_NS1_11comp_targetILNS1_3genE5ELNS1_11target_archE942ELNS1_3gpuE9ELNS1_3repE0EEENS1_30default_config_static_selectorELNS0_4arch9wavefront6targetE0EEEvT1_ ; -- Begin function _ZN7rocprim17ROCPRIM_400000_NS6detail17trampoline_kernelINS0_14default_configENS1_25partition_config_selectorILNS1_17partition_subalgoE5ElNS0_10empty_typeEbEEZZNS1_14partition_implILS5_5ELb0ES3_mN6hipcub16HIPCUB_304000_NS21CountingInputIteratorIllEEPS6_NSA_22TransformInputIteratorIbN2at6native12_GLOBAL__N_19NonZeroOpIfEEPKflEENS0_5tupleIJPlS6_EEENSN_IJSD_SD_EEES6_PiJS6_EEE10hipError_tPvRmT3_T4_T5_T6_T7_T9_mT8_P12ihipStream_tbDpT10_ENKUlT_T0_E_clISt17integral_constantIbLb1EES1B_EEDaS16_S17_EUlS16_E_NS1_11comp_targetILNS1_3genE5ELNS1_11target_archE942ELNS1_3gpuE9ELNS1_3repE0EEENS1_30default_config_static_selectorELNS0_4arch9wavefront6targetE0EEEvT1_
	.p2align	8
	.type	_ZN7rocprim17ROCPRIM_400000_NS6detail17trampoline_kernelINS0_14default_configENS1_25partition_config_selectorILNS1_17partition_subalgoE5ElNS0_10empty_typeEbEEZZNS1_14partition_implILS5_5ELb0ES3_mN6hipcub16HIPCUB_304000_NS21CountingInputIteratorIllEEPS6_NSA_22TransformInputIteratorIbN2at6native12_GLOBAL__N_19NonZeroOpIfEEPKflEENS0_5tupleIJPlS6_EEENSN_IJSD_SD_EEES6_PiJS6_EEE10hipError_tPvRmT3_T4_T5_T6_T7_T9_mT8_P12ihipStream_tbDpT10_ENKUlT_T0_E_clISt17integral_constantIbLb1EES1B_EEDaS16_S17_EUlS16_E_NS1_11comp_targetILNS1_3genE5ELNS1_11target_archE942ELNS1_3gpuE9ELNS1_3repE0EEENS1_30default_config_static_selectorELNS0_4arch9wavefront6targetE0EEEvT1_,@function
_ZN7rocprim17ROCPRIM_400000_NS6detail17trampoline_kernelINS0_14default_configENS1_25partition_config_selectorILNS1_17partition_subalgoE5ElNS0_10empty_typeEbEEZZNS1_14partition_implILS5_5ELb0ES3_mN6hipcub16HIPCUB_304000_NS21CountingInputIteratorIllEEPS6_NSA_22TransformInputIteratorIbN2at6native12_GLOBAL__N_19NonZeroOpIfEEPKflEENS0_5tupleIJPlS6_EEENSN_IJSD_SD_EEES6_PiJS6_EEE10hipError_tPvRmT3_T4_T5_T6_T7_T9_mT8_P12ihipStream_tbDpT10_ENKUlT_T0_E_clISt17integral_constantIbLb1EES1B_EEDaS16_S17_EUlS16_E_NS1_11comp_targetILNS1_3genE5ELNS1_11target_archE942ELNS1_3gpuE9ELNS1_3repE0EEENS1_30default_config_static_selectorELNS0_4arch9wavefront6targetE0EEEvT1_: ; @_ZN7rocprim17ROCPRIM_400000_NS6detail17trampoline_kernelINS0_14default_configENS1_25partition_config_selectorILNS1_17partition_subalgoE5ElNS0_10empty_typeEbEEZZNS1_14partition_implILS5_5ELb0ES3_mN6hipcub16HIPCUB_304000_NS21CountingInputIteratorIllEEPS6_NSA_22TransformInputIteratorIbN2at6native12_GLOBAL__N_19NonZeroOpIfEEPKflEENS0_5tupleIJPlS6_EEENSN_IJSD_SD_EEES6_PiJS6_EEE10hipError_tPvRmT3_T4_T5_T6_T7_T9_mT8_P12ihipStream_tbDpT10_ENKUlT_T0_E_clISt17integral_constantIbLb1EES1B_EEDaS16_S17_EUlS16_E_NS1_11comp_targetILNS1_3genE5ELNS1_11target_archE942ELNS1_3gpuE9ELNS1_3repE0EEENS1_30default_config_static_selectorELNS0_4arch9wavefront6targetE0EEEvT1_
; %bb.0:
	.section	.rodata,"a",@progbits
	.p2align	6, 0x0
	.amdhsa_kernel _ZN7rocprim17ROCPRIM_400000_NS6detail17trampoline_kernelINS0_14default_configENS1_25partition_config_selectorILNS1_17partition_subalgoE5ElNS0_10empty_typeEbEEZZNS1_14partition_implILS5_5ELb0ES3_mN6hipcub16HIPCUB_304000_NS21CountingInputIteratorIllEEPS6_NSA_22TransformInputIteratorIbN2at6native12_GLOBAL__N_19NonZeroOpIfEEPKflEENS0_5tupleIJPlS6_EEENSN_IJSD_SD_EEES6_PiJS6_EEE10hipError_tPvRmT3_T4_T5_T6_T7_T9_mT8_P12ihipStream_tbDpT10_ENKUlT_T0_E_clISt17integral_constantIbLb1EES1B_EEDaS16_S17_EUlS16_E_NS1_11comp_targetILNS1_3genE5ELNS1_11target_archE942ELNS1_3gpuE9ELNS1_3repE0EEENS1_30default_config_static_selectorELNS0_4arch9wavefront6targetE0EEEvT1_
		.amdhsa_group_segment_fixed_size 0
		.amdhsa_private_segment_fixed_size 0
		.amdhsa_kernarg_size 136
		.amdhsa_user_sgpr_count 15
		.amdhsa_user_sgpr_dispatch_ptr 0
		.amdhsa_user_sgpr_queue_ptr 0
		.amdhsa_user_sgpr_kernarg_segment_ptr 1
		.amdhsa_user_sgpr_dispatch_id 0
		.amdhsa_user_sgpr_private_segment_size 0
		.amdhsa_wavefront_size32 1
		.amdhsa_uses_dynamic_stack 0
		.amdhsa_enable_private_segment 0
		.amdhsa_system_sgpr_workgroup_id_x 1
		.amdhsa_system_sgpr_workgroup_id_y 0
		.amdhsa_system_sgpr_workgroup_id_z 0
		.amdhsa_system_sgpr_workgroup_info 0
		.amdhsa_system_vgpr_workitem_id 0
		.amdhsa_next_free_vgpr 1
		.amdhsa_next_free_sgpr 1
		.amdhsa_reserve_vcc 0
		.amdhsa_float_round_mode_32 0
		.amdhsa_float_round_mode_16_64 0
		.amdhsa_float_denorm_mode_32 3
		.amdhsa_float_denorm_mode_16_64 3
		.amdhsa_dx10_clamp 1
		.amdhsa_ieee_mode 1
		.amdhsa_fp16_overflow 0
		.amdhsa_workgroup_processor_mode 1
		.amdhsa_memory_ordered 1
		.amdhsa_forward_progress 0
		.amdhsa_shared_vgpr_count 0
		.amdhsa_exception_fp_ieee_invalid_op 0
		.amdhsa_exception_fp_denorm_src 0
		.amdhsa_exception_fp_ieee_div_zero 0
		.amdhsa_exception_fp_ieee_overflow 0
		.amdhsa_exception_fp_ieee_underflow 0
		.amdhsa_exception_fp_ieee_inexact 0
		.amdhsa_exception_int_div_zero 0
	.end_amdhsa_kernel
	.section	.text._ZN7rocprim17ROCPRIM_400000_NS6detail17trampoline_kernelINS0_14default_configENS1_25partition_config_selectorILNS1_17partition_subalgoE5ElNS0_10empty_typeEbEEZZNS1_14partition_implILS5_5ELb0ES3_mN6hipcub16HIPCUB_304000_NS21CountingInputIteratorIllEEPS6_NSA_22TransformInputIteratorIbN2at6native12_GLOBAL__N_19NonZeroOpIfEEPKflEENS0_5tupleIJPlS6_EEENSN_IJSD_SD_EEES6_PiJS6_EEE10hipError_tPvRmT3_T4_T5_T6_T7_T9_mT8_P12ihipStream_tbDpT10_ENKUlT_T0_E_clISt17integral_constantIbLb1EES1B_EEDaS16_S17_EUlS16_E_NS1_11comp_targetILNS1_3genE5ELNS1_11target_archE942ELNS1_3gpuE9ELNS1_3repE0EEENS1_30default_config_static_selectorELNS0_4arch9wavefront6targetE0EEEvT1_,"axG",@progbits,_ZN7rocprim17ROCPRIM_400000_NS6detail17trampoline_kernelINS0_14default_configENS1_25partition_config_selectorILNS1_17partition_subalgoE5ElNS0_10empty_typeEbEEZZNS1_14partition_implILS5_5ELb0ES3_mN6hipcub16HIPCUB_304000_NS21CountingInputIteratorIllEEPS6_NSA_22TransformInputIteratorIbN2at6native12_GLOBAL__N_19NonZeroOpIfEEPKflEENS0_5tupleIJPlS6_EEENSN_IJSD_SD_EEES6_PiJS6_EEE10hipError_tPvRmT3_T4_T5_T6_T7_T9_mT8_P12ihipStream_tbDpT10_ENKUlT_T0_E_clISt17integral_constantIbLb1EES1B_EEDaS16_S17_EUlS16_E_NS1_11comp_targetILNS1_3genE5ELNS1_11target_archE942ELNS1_3gpuE9ELNS1_3repE0EEENS1_30default_config_static_selectorELNS0_4arch9wavefront6targetE0EEEvT1_,comdat
.Lfunc_end467:
	.size	_ZN7rocprim17ROCPRIM_400000_NS6detail17trampoline_kernelINS0_14default_configENS1_25partition_config_selectorILNS1_17partition_subalgoE5ElNS0_10empty_typeEbEEZZNS1_14partition_implILS5_5ELb0ES3_mN6hipcub16HIPCUB_304000_NS21CountingInputIteratorIllEEPS6_NSA_22TransformInputIteratorIbN2at6native12_GLOBAL__N_19NonZeroOpIfEEPKflEENS0_5tupleIJPlS6_EEENSN_IJSD_SD_EEES6_PiJS6_EEE10hipError_tPvRmT3_T4_T5_T6_T7_T9_mT8_P12ihipStream_tbDpT10_ENKUlT_T0_E_clISt17integral_constantIbLb1EES1B_EEDaS16_S17_EUlS16_E_NS1_11comp_targetILNS1_3genE5ELNS1_11target_archE942ELNS1_3gpuE9ELNS1_3repE0EEENS1_30default_config_static_selectorELNS0_4arch9wavefront6targetE0EEEvT1_, .Lfunc_end467-_ZN7rocprim17ROCPRIM_400000_NS6detail17trampoline_kernelINS0_14default_configENS1_25partition_config_selectorILNS1_17partition_subalgoE5ElNS0_10empty_typeEbEEZZNS1_14partition_implILS5_5ELb0ES3_mN6hipcub16HIPCUB_304000_NS21CountingInputIteratorIllEEPS6_NSA_22TransformInputIteratorIbN2at6native12_GLOBAL__N_19NonZeroOpIfEEPKflEENS0_5tupleIJPlS6_EEENSN_IJSD_SD_EEES6_PiJS6_EEE10hipError_tPvRmT3_T4_T5_T6_T7_T9_mT8_P12ihipStream_tbDpT10_ENKUlT_T0_E_clISt17integral_constantIbLb1EES1B_EEDaS16_S17_EUlS16_E_NS1_11comp_targetILNS1_3genE5ELNS1_11target_archE942ELNS1_3gpuE9ELNS1_3repE0EEENS1_30default_config_static_selectorELNS0_4arch9wavefront6targetE0EEEvT1_
                                        ; -- End function
	.section	.AMDGPU.csdata,"",@progbits
; Kernel info:
; codeLenInByte = 0
; NumSgprs: 0
; NumVgprs: 0
; ScratchSize: 0
; MemoryBound: 0
; FloatMode: 240
; IeeeMode: 1
; LDSByteSize: 0 bytes/workgroup (compile time only)
; SGPRBlocks: 0
; VGPRBlocks: 0
; NumSGPRsForWavesPerEU: 1
; NumVGPRsForWavesPerEU: 1
; Occupancy: 16
; WaveLimiterHint : 0
; COMPUTE_PGM_RSRC2:SCRATCH_EN: 0
; COMPUTE_PGM_RSRC2:USER_SGPR: 15
; COMPUTE_PGM_RSRC2:TRAP_HANDLER: 0
; COMPUTE_PGM_RSRC2:TGID_X_EN: 1
; COMPUTE_PGM_RSRC2:TGID_Y_EN: 0
; COMPUTE_PGM_RSRC2:TGID_Z_EN: 0
; COMPUTE_PGM_RSRC2:TIDIG_COMP_CNT: 0
	.section	.text._ZN7rocprim17ROCPRIM_400000_NS6detail17trampoline_kernelINS0_14default_configENS1_25partition_config_selectorILNS1_17partition_subalgoE5ElNS0_10empty_typeEbEEZZNS1_14partition_implILS5_5ELb0ES3_mN6hipcub16HIPCUB_304000_NS21CountingInputIteratorIllEEPS6_NSA_22TransformInputIteratorIbN2at6native12_GLOBAL__N_19NonZeroOpIfEEPKflEENS0_5tupleIJPlS6_EEENSN_IJSD_SD_EEES6_PiJS6_EEE10hipError_tPvRmT3_T4_T5_T6_T7_T9_mT8_P12ihipStream_tbDpT10_ENKUlT_T0_E_clISt17integral_constantIbLb1EES1B_EEDaS16_S17_EUlS16_E_NS1_11comp_targetILNS1_3genE4ELNS1_11target_archE910ELNS1_3gpuE8ELNS1_3repE0EEENS1_30default_config_static_selectorELNS0_4arch9wavefront6targetE0EEEvT1_,"axG",@progbits,_ZN7rocprim17ROCPRIM_400000_NS6detail17trampoline_kernelINS0_14default_configENS1_25partition_config_selectorILNS1_17partition_subalgoE5ElNS0_10empty_typeEbEEZZNS1_14partition_implILS5_5ELb0ES3_mN6hipcub16HIPCUB_304000_NS21CountingInputIteratorIllEEPS6_NSA_22TransformInputIteratorIbN2at6native12_GLOBAL__N_19NonZeroOpIfEEPKflEENS0_5tupleIJPlS6_EEENSN_IJSD_SD_EEES6_PiJS6_EEE10hipError_tPvRmT3_T4_T5_T6_T7_T9_mT8_P12ihipStream_tbDpT10_ENKUlT_T0_E_clISt17integral_constantIbLb1EES1B_EEDaS16_S17_EUlS16_E_NS1_11comp_targetILNS1_3genE4ELNS1_11target_archE910ELNS1_3gpuE8ELNS1_3repE0EEENS1_30default_config_static_selectorELNS0_4arch9wavefront6targetE0EEEvT1_,comdat
	.globl	_ZN7rocprim17ROCPRIM_400000_NS6detail17trampoline_kernelINS0_14default_configENS1_25partition_config_selectorILNS1_17partition_subalgoE5ElNS0_10empty_typeEbEEZZNS1_14partition_implILS5_5ELb0ES3_mN6hipcub16HIPCUB_304000_NS21CountingInputIteratorIllEEPS6_NSA_22TransformInputIteratorIbN2at6native12_GLOBAL__N_19NonZeroOpIfEEPKflEENS0_5tupleIJPlS6_EEENSN_IJSD_SD_EEES6_PiJS6_EEE10hipError_tPvRmT3_T4_T5_T6_T7_T9_mT8_P12ihipStream_tbDpT10_ENKUlT_T0_E_clISt17integral_constantIbLb1EES1B_EEDaS16_S17_EUlS16_E_NS1_11comp_targetILNS1_3genE4ELNS1_11target_archE910ELNS1_3gpuE8ELNS1_3repE0EEENS1_30default_config_static_selectorELNS0_4arch9wavefront6targetE0EEEvT1_ ; -- Begin function _ZN7rocprim17ROCPRIM_400000_NS6detail17trampoline_kernelINS0_14default_configENS1_25partition_config_selectorILNS1_17partition_subalgoE5ElNS0_10empty_typeEbEEZZNS1_14partition_implILS5_5ELb0ES3_mN6hipcub16HIPCUB_304000_NS21CountingInputIteratorIllEEPS6_NSA_22TransformInputIteratorIbN2at6native12_GLOBAL__N_19NonZeroOpIfEEPKflEENS0_5tupleIJPlS6_EEENSN_IJSD_SD_EEES6_PiJS6_EEE10hipError_tPvRmT3_T4_T5_T6_T7_T9_mT8_P12ihipStream_tbDpT10_ENKUlT_T0_E_clISt17integral_constantIbLb1EES1B_EEDaS16_S17_EUlS16_E_NS1_11comp_targetILNS1_3genE4ELNS1_11target_archE910ELNS1_3gpuE8ELNS1_3repE0EEENS1_30default_config_static_selectorELNS0_4arch9wavefront6targetE0EEEvT1_
	.p2align	8
	.type	_ZN7rocprim17ROCPRIM_400000_NS6detail17trampoline_kernelINS0_14default_configENS1_25partition_config_selectorILNS1_17partition_subalgoE5ElNS0_10empty_typeEbEEZZNS1_14partition_implILS5_5ELb0ES3_mN6hipcub16HIPCUB_304000_NS21CountingInputIteratorIllEEPS6_NSA_22TransformInputIteratorIbN2at6native12_GLOBAL__N_19NonZeroOpIfEEPKflEENS0_5tupleIJPlS6_EEENSN_IJSD_SD_EEES6_PiJS6_EEE10hipError_tPvRmT3_T4_T5_T6_T7_T9_mT8_P12ihipStream_tbDpT10_ENKUlT_T0_E_clISt17integral_constantIbLb1EES1B_EEDaS16_S17_EUlS16_E_NS1_11comp_targetILNS1_3genE4ELNS1_11target_archE910ELNS1_3gpuE8ELNS1_3repE0EEENS1_30default_config_static_selectorELNS0_4arch9wavefront6targetE0EEEvT1_,@function
_ZN7rocprim17ROCPRIM_400000_NS6detail17trampoline_kernelINS0_14default_configENS1_25partition_config_selectorILNS1_17partition_subalgoE5ElNS0_10empty_typeEbEEZZNS1_14partition_implILS5_5ELb0ES3_mN6hipcub16HIPCUB_304000_NS21CountingInputIteratorIllEEPS6_NSA_22TransformInputIteratorIbN2at6native12_GLOBAL__N_19NonZeroOpIfEEPKflEENS0_5tupleIJPlS6_EEENSN_IJSD_SD_EEES6_PiJS6_EEE10hipError_tPvRmT3_T4_T5_T6_T7_T9_mT8_P12ihipStream_tbDpT10_ENKUlT_T0_E_clISt17integral_constantIbLb1EES1B_EEDaS16_S17_EUlS16_E_NS1_11comp_targetILNS1_3genE4ELNS1_11target_archE910ELNS1_3gpuE8ELNS1_3repE0EEENS1_30default_config_static_selectorELNS0_4arch9wavefront6targetE0EEEvT1_: ; @_ZN7rocprim17ROCPRIM_400000_NS6detail17trampoline_kernelINS0_14default_configENS1_25partition_config_selectorILNS1_17partition_subalgoE5ElNS0_10empty_typeEbEEZZNS1_14partition_implILS5_5ELb0ES3_mN6hipcub16HIPCUB_304000_NS21CountingInputIteratorIllEEPS6_NSA_22TransformInputIteratorIbN2at6native12_GLOBAL__N_19NonZeroOpIfEEPKflEENS0_5tupleIJPlS6_EEENSN_IJSD_SD_EEES6_PiJS6_EEE10hipError_tPvRmT3_T4_T5_T6_T7_T9_mT8_P12ihipStream_tbDpT10_ENKUlT_T0_E_clISt17integral_constantIbLb1EES1B_EEDaS16_S17_EUlS16_E_NS1_11comp_targetILNS1_3genE4ELNS1_11target_archE910ELNS1_3gpuE8ELNS1_3repE0EEENS1_30default_config_static_selectorELNS0_4arch9wavefront6targetE0EEEvT1_
; %bb.0:
	.section	.rodata,"a",@progbits
	.p2align	6, 0x0
	.amdhsa_kernel _ZN7rocprim17ROCPRIM_400000_NS6detail17trampoline_kernelINS0_14default_configENS1_25partition_config_selectorILNS1_17partition_subalgoE5ElNS0_10empty_typeEbEEZZNS1_14partition_implILS5_5ELb0ES3_mN6hipcub16HIPCUB_304000_NS21CountingInputIteratorIllEEPS6_NSA_22TransformInputIteratorIbN2at6native12_GLOBAL__N_19NonZeroOpIfEEPKflEENS0_5tupleIJPlS6_EEENSN_IJSD_SD_EEES6_PiJS6_EEE10hipError_tPvRmT3_T4_T5_T6_T7_T9_mT8_P12ihipStream_tbDpT10_ENKUlT_T0_E_clISt17integral_constantIbLb1EES1B_EEDaS16_S17_EUlS16_E_NS1_11comp_targetILNS1_3genE4ELNS1_11target_archE910ELNS1_3gpuE8ELNS1_3repE0EEENS1_30default_config_static_selectorELNS0_4arch9wavefront6targetE0EEEvT1_
		.amdhsa_group_segment_fixed_size 0
		.amdhsa_private_segment_fixed_size 0
		.amdhsa_kernarg_size 136
		.amdhsa_user_sgpr_count 15
		.amdhsa_user_sgpr_dispatch_ptr 0
		.amdhsa_user_sgpr_queue_ptr 0
		.amdhsa_user_sgpr_kernarg_segment_ptr 1
		.amdhsa_user_sgpr_dispatch_id 0
		.amdhsa_user_sgpr_private_segment_size 0
		.amdhsa_wavefront_size32 1
		.amdhsa_uses_dynamic_stack 0
		.amdhsa_enable_private_segment 0
		.amdhsa_system_sgpr_workgroup_id_x 1
		.amdhsa_system_sgpr_workgroup_id_y 0
		.amdhsa_system_sgpr_workgroup_id_z 0
		.amdhsa_system_sgpr_workgroup_info 0
		.amdhsa_system_vgpr_workitem_id 0
		.amdhsa_next_free_vgpr 1
		.amdhsa_next_free_sgpr 1
		.amdhsa_reserve_vcc 0
		.amdhsa_float_round_mode_32 0
		.amdhsa_float_round_mode_16_64 0
		.amdhsa_float_denorm_mode_32 3
		.amdhsa_float_denorm_mode_16_64 3
		.amdhsa_dx10_clamp 1
		.amdhsa_ieee_mode 1
		.amdhsa_fp16_overflow 0
		.amdhsa_workgroup_processor_mode 1
		.amdhsa_memory_ordered 1
		.amdhsa_forward_progress 0
		.amdhsa_shared_vgpr_count 0
		.amdhsa_exception_fp_ieee_invalid_op 0
		.amdhsa_exception_fp_denorm_src 0
		.amdhsa_exception_fp_ieee_div_zero 0
		.amdhsa_exception_fp_ieee_overflow 0
		.amdhsa_exception_fp_ieee_underflow 0
		.amdhsa_exception_fp_ieee_inexact 0
		.amdhsa_exception_int_div_zero 0
	.end_amdhsa_kernel
	.section	.text._ZN7rocprim17ROCPRIM_400000_NS6detail17trampoline_kernelINS0_14default_configENS1_25partition_config_selectorILNS1_17partition_subalgoE5ElNS0_10empty_typeEbEEZZNS1_14partition_implILS5_5ELb0ES3_mN6hipcub16HIPCUB_304000_NS21CountingInputIteratorIllEEPS6_NSA_22TransformInputIteratorIbN2at6native12_GLOBAL__N_19NonZeroOpIfEEPKflEENS0_5tupleIJPlS6_EEENSN_IJSD_SD_EEES6_PiJS6_EEE10hipError_tPvRmT3_T4_T5_T6_T7_T9_mT8_P12ihipStream_tbDpT10_ENKUlT_T0_E_clISt17integral_constantIbLb1EES1B_EEDaS16_S17_EUlS16_E_NS1_11comp_targetILNS1_3genE4ELNS1_11target_archE910ELNS1_3gpuE8ELNS1_3repE0EEENS1_30default_config_static_selectorELNS0_4arch9wavefront6targetE0EEEvT1_,"axG",@progbits,_ZN7rocprim17ROCPRIM_400000_NS6detail17trampoline_kernelINS0_14default_configENS1_25partition_config_selectorILNS1_17partition_subalgoE5ElNS0_10empty_typeEbEEZZNS1_14partition_implILS5_5ELb0ES3_mN6hipcub16HIPCUB_304000_NS21CountingInputIteratorIllEEPS6_NSA_22TransformInputIteratorIbN2at6native12_GLOBAL__N_19NonZeroOpIfEEPKflEENS0_5tupleIJPlS6_EEENSN_IJSD_SD_EEES6_PiJS6_EEE10hipError_tPvRmT3_T4_T5_T6_T7_T9_mT8_P12ihipStream_tbDpT10_ENKUlT_T0_E_clISt17integral_constantIbLb1EES1B_EEDaS16_S17_EUlS16_E_NS1_11comp_targetILNS1_3genE4ELNS1_11target_archE910ELNS1_3gpuE8ELNS1_3repE0EEENS1_30default_config_static_selectorELNS0_4arch9wavefront6targetE0EEEvT1_,comdat
.Lfunc_end468:
	.size	_ZN7rocprim17ROCPRIM_400000_NS6detail17trampoline_kernelINS0_14default_configENS1_25partition_config_selectorILNS1_17partition_subalgoE5ElNS0_10empty_typeEbEEZZNS1_14partition_implILS5_5ELb0ES3_mN6hipcub16HIPCUB_304000_NS21CountingInputIteratorIllEEPS6_NSA_22TransformInputIteratorIbN2at6native12_GLOBAL__N_19NonZeroOpIfEEPKflEENS0_5tupleIJPlS6_EEENSN_IJSD_SD_EEES6_PiJS6_EEE10hipError_tPvRmT3_T4_T5_T6_T7_T9_mT8_P12ihipStream_tbDpT10_ENKUlT_T0_E_clISt17integral_constantIbLb1EES1B_EEDaS16_S17_EUlS16_E_NS1_11comp_targetILNS1_3genE4ELNS1_11target_archE910ELNS1_3gpuE8ELNS1_3repE0EEENS1_30default_config_static_selectorELNS0_4arch9wavefront6targetE0EEEvT1_, .Lfunc_end468-_ZN7rocprim17ROCPRIM_400000_NS6detail17trampoline_kernelINS0_14default_configENS1_25partition_config_selectorILNS1_17partition_subalgoE5ElNS0_10empty_typeEbEEZZNS1_14partition_implILS5_5ELb0ES3_mN6hipcub16HIPCUB_304000_NS21CountingInputIteratorIllEEPS6_NSA_22TransformInputIteratorIbN2at6native12_GLOBAL__N_19NonZeroOpIfEEPKflEENS0_5tupleIJPlS6_EEENSN_IJSD_SD_EEES6_PiJS6_EEE10hipError_tPvRmT3_T4_T5_T6_T7_T9_mT8_P12ihipStream_tbDpT10_ENKUlT_T0_E_clISt17integral_constantIbLb1EES1B_EEDaS16_S17_EUlS16_E_NS1_11comp_targetILNS1_3genE4ELNS1_11target_archE910ELNS1_3gpuE8ELNS1_3repE0EEENS1_30default_config_static_selectorELNS0_4arch9wavefront6targetE0EEEvT1_
                                        ; -- End function
	.section	.AMDGPU.csdata,"",@progbits
; Kernel info:
; codeLenInByte = 0
; NumSgprs: 0
; NumVgprs: 0
; ScratchSize: 0
; MemoryBound: 0
; FloatMode: 240
; IeeeMode: 1
; LDSByteSize: 0 bytes/workgroup (compile time only)
; SGPRBlocks: 0
; VGPRBlocks: 0
; NumSGPRsForWavesPerEU: 1
; NumVGPRsForWavesPerEU: 1
; Occupancy: 15
; WaveLimiterHint : 0
; COMPUTE_PGM_RSRC2:SCRATCH_EN: 0
; COMPUTE_PGM_RSRC2:USER_SGPR: 15
; COMPUTE_PGM_RSRC2:TRAP_HANDLER: 0
; COMPUTE_PGM_RSRC2:TGID_X_EN: 1
; COMPUTE_PGM_RSRC2:TGID_Y_EN: 0
; COMPUTE_PGM_RSRC2:TGID_Z_EN: 0
; COMPUTE_PGM_RSRC2:TIDIG_COMP_CNT: 0
	.section	.text._ZN7rocprim17ROCPRIM_400000_NS6detail17trampoline_kernelINS0_14default_configENS1_25partition_config_selectorILNS1_17partition_subalgoE5ElNS0_10empty_typeEbEEZZNS1_14partition_implILS5_5ELb0ES3_mN6hipcub16HIPCUB_304000_NS21CountingInputIteratorIllEEPS6_NSA_22TransformInputIteratorIbN2at6native12_GLOBAL__N_19NonZeroOpIfEEPKflEENS0_5tupleIJPlS6_EEENSN_IJSD_SD_EEES6_PiJS6_EEE10hipError_tPvRmT3_T4_T5_T6_T7_T9_mT8_P12ihipStream_tbDpT10_ENKUlT_T0_E_clISt17integral_constantIbLb1EES1B_EEDaS16_S17_EUlS16_E_NS1_11comp_targetILNS1_3genE3ELNS1_11target_archE908ELNS1_3gpuE7ELNS1_3repE0EEENS1_30default_config_static_selectorELNS0_4arch9wavefront6targetE0EEEvT1_,"axG",@progbits,_ZN7rocprim17ROCPRIM_400000_NS6detail17trampoline_kernelINS0_14default_configENS1_25partition_config_selectorILNS1_17partition_subalgoE5ElNS0_10empty_typeEbEEZZNS1_14partition_implILS5_5ELb0ES3_mN6hipcub16HIPCUB_304000_NS21CountingInputIteratorIllEEPS6_NSA_22TransformInputIteratorIbN2at6native12_GLOBAL__N_19NonZeroOpIfEEPKflEENS0_5tupleIJPlS6_EEENSN_IJSD_SD_EEES6_PiJS6_EEE10hipError_tPvRmT3_T4_T5_T6_T7_T9_mT8_P12ihipStream_tbDpT10_ENKUlT_T0_E_clISt17integral_constantIbLb1EES1B_EEDaS16_S17_EUlS16_E_NS1_11comp_targetILNS1_3genE3ELNS1_11target_archE908ELNS1_3gpuE7ELNS1_3repE0EEENS1_30default_config_static_selectorELNS0_4arch9wavefront6targetE0EEEvT1_,comdat
	.globl	_ZN7rocprim17ROCPRIM_400000_NS6detail17trampoline_kernelINS0_14default_configENS1_25partition_config_selectorILNS1_17partition_subalgoE5ElNS0_10empty_typeEbEEZZNS1_14partition_implILS5_5ELb0ES3_mN6hipcub16HIPCUB_304000_NS21CountingInputIteratorIllEEPS6_NSA_22TransformInputIteratorIbN2at6native12_GLOBAL__N_19NonZeroOpIfEEPKflEENS0_5tupleIJPlS6_EEENSN_IJSD_SD_EEES6_PiJS6_EEE10hipError_tPvRmT3_T4_T5_T6_T7_T9_mT8_P12ihipStream_tbDpT10_ENKUlT_T0_E_clISt17integral_constantIbLb1EES1B_EEDaS16_S17_EUlS16_E_NS1_11comp_targetILNS1_3genE3ELNS1_11target_archE908ELNS1_3gpuE7ELNS1_3repE0EEENS1_30default_config_static_selectorELNS0_4arch9wavefront6targetE0EEEvT1_ ; -- Begin function _ZN7rocprim17ROCPRIM_400000_NS6detail17trampoline_kernelINS0_14default_configENS1_25partition_config_selectorILNS1_17partition_subalgoE5ElNS0_10empty_typeEbEEZZNS1_14partition_implILS5_5ELb0ES3_mN6hipcub16HIPCUB_304000_NS21CountingInputIteratorIllEEPS6_NSA_22TransformInputIteratorIbN2at6native12_GLOBAL__N_19NonZeroOpIfEEPKflEENS0_5tupleIJPlS6_EEENSN_IJSD_SD_EEES6_PiJS6_EEE10hipError_tPvRmT3_T4_T5_T6_T7_T9_mT8_P12ihipStream_tbDpT10_ENKUlT_T0_E_clISt17integral_constantIbLb1EES1B_EEDaS16_S17_EUlS16_E_NS1_11comp_targetILNS1_3genE3ELNS1_11target_archE908ELNS1_3gpuE7ELNS1_3repE0EEENS1_30default_config_static_selectorELNS0_4arch9wavefront6targetE0EEEvT1_
	.p2align	8
	.type	_ZN7rocprim17ROCPRIM_400000_NS6detail17trampoline_kernelINS0_14default_configENS1_25partition_config_selectorILNS1_17partition_subalgoE5ElNS0_10empty_typeEbEEZZNS1_14partition_implILS5_5ELb0ES3_mN6hipcub16HIPCUB_304000_NS21CountingInputIteratorIllEEPS6_NSA_22TransformInputIteratorIbN2at6native12_GLOBAL__N_19NonZeroOpIfEEPKflEENS0_5tupleIJPlS6_EEENSN_IJSD_SD_EEES6_PiJS6_EEE10hipError_tPvRmT3_T4_T5_T6_T7_T9_mT8_P12ihipStream_tbDpT10_ENKUlT_T0_E_clISt17integral_constantIbLb1EES1B_EEDaS16_S17_EUlS16_E_NS1_11comp_targetILNS1_3genE3ELNS1_11target_archE908ELNS1_3gpuE7ELNS1_3repE0EEENS1_30default_config_static_selectorELNS0_4arch9wavefront6targetE0EEEvT1_,@function
_ZN7rocprim17ROCPRIM_400000_NS6detail17trampoline_kernelINS0_14default_configENS1_25partition_config_selectorILNS1_17partition_subalgoE5ElNS0_10empty_typeEbEEZZNS1_14partition_implILS5_5ELb0ES3_mN6hipcub16HIPCUB_304000_NS21CountingInputIteratorIllEEPS6_NSA_22TransformInputIteratorIbN2at6native12_GLOBAL__N_19NonZeroOpIfEEPKflEENS0_5tupleIJPlS6_EEENSN_IJSD_SD_EEES6_PiJS6_EEE10hipError_tPvRmT3_T4_T5_T6_T7_T9_mT8_P12ihipStream_tbDpT10_ENKUlT_T0_E_clISt17integral_constantIbLb1EES1B_EEDaS16_S17_EUlS16_E_NS1_11comp_targetILNS1_3genE3ELNS1_11target_archE908ELNS1_3gpuE7ELNS1_3repE0EEENS1_30default_config_static_selectorELNS0_4arch9wavefront6targetE0EEEvT1_: ; @_ZN7rocprim17ROCPRIM_400000_NS6detail17trampoline_kernelINS0_14default_configENS1_25partition_config_selectorILNS1_17partition_subalgoE5ElNS0_10empty_typeEbEEZZNS1_14partition_implILS5_5ELb0ES3_mN6hipcub16HIPCUB_304000_NS21CountingInputIteratorIllEEPS6_NSA_22TransformInputIteratorIbN2at6native12_GLOBAL__N_19NonZeroOpIfEEPKflEENS0_5tupleIJPlS6_EEENSN_IJSD_SD_EEES6_PiJS6_EEE10hipError_tPvRmT3_T4_T5_T6_T7_T9_mT8_P12ihipStream_tbDpT10_ENKUlT_T0_E_clISt17integral_constantIbLb1EES1B_EEDaS16_S17_EUlS16_E_NS1_11comp_targetILNS1_3genE3ELNS1_11target_archE908ELNS1_3gpuE7ELNS1_3repE0EEENS1_30default_config_static_selectorELNS0_4arch9wavefront6targetE0EEEvT1_
; %bb.0:
	.section	.rodata,"a",@progbits
	.p2align	6, 0x0
	.amdhsa_kernel _ZN7rocprim17ROCPRIM_400000_NS6detail17trampoline_kernelINS0_14default_configENS1_25partition_config_selectorILNS1_17partition_subalgoE5ElNS0_10empty_typeEbEEZZNS1_14partition_implILS5_5ELb0ES3_mN6hipcub16HIPCUB_304000_NS21CountingInputIteratorIllEEPS6_NSA_22TransformInputIteratorIbN2at6native12_GLOBAL__N_19NonZeroOpIfEEPKflEENS0_5tupleIJPlS6_EEENSN_IJSD_SD_EEES6_PiJS6_EEE10hipError_tPvRmT3_T4_T5_T6_T7_T9_mT8_P12ihipStream_tbDpT10_ENKUlT_T0_E_clISt17integral_constantIbLb1EES1B_EEDaS16_S17_EUlS16_E_NS1_11comp_targetILNS1_3genE3ELNS1_11target_archE908ELNS1_3gpuE7ELNS1_3repE0EEENS1_30default_config_static_selectorELNS0_4arch9wavefront6targetE0EEEvT1_
		.amdhsa_group_segment_fixed_size 0
		.amdhsa_private_segment_fixed_size 0
		.amdhsa_kernarg_size 136
		.amdhsa_user_sgpr_count 15
		.amdhsa_user_sgpr_dispatch_ptr 0
		.amdhsa_user_sgpr_queue_ptr 0
		.amdhsa_user_sgpr_kernarg_segment_ptr 1
		.amdhsa_user_sgpr_dispatch_id 0
		.amdhsa_user_sgpr_private_segment_size 0
		.amdhsa_wavefront_size32 1
		.amdhsa_uses_dynamic_stack 0
		.amdhsa_enable_private_segment 0
		.amdhsa_system_sgpr_workgroup_id_x 1
		.amdhsa_system_sgpr_workgroup_id_y 0
		.amdhsa_system_sgpr_workgroup_id_z 0
		.amdhsa_system_sgpr_workgroup_info 0
		.amdhsa_system_vgpr_workitem_id 0
		.amdhsa_next_free_vgpr 1
		.amdhsa_next_free_sgpr 1
		.amdhsa_reserve_vcc 0
		.amdhsa_float_round_mode_32 0
		.amdhsa_float_round_mode_16_64 0
		.amdhsa_float_denorm_mode_32 3
		.amdhsa_float_denorm_mode_16_64 3
		.amdhsa_dx10_clamp 1
		.amdhsa_ieee_mode 1
		.amdhsa_fp16_overflow 0
		.amdhsa_workgroup_processor_mode 1
		.amdhsa_memory_ordered 1
		.amdhsa_forward_progress 0
		.amdhsa_shared_vgpr_count 0
		.amdhsa_exception_fp_ieee_invalid_op 0
		.amdhsa_exception_fp_denorm_src 0
		.amdhsa_exception_fp_ieee_div_zero 0
		.amdhsa_exception_fp_ieee_overflow 0
		.amdhsa_exception_fp_ieee_underflow 0
		.amdhsa_exception_fp_ieee_inexact 0
		.amdhsa_exception_int_div_zero 0
	.end_amdhsa_kernel
	.section	.text._ZN7rocprim17ROCPRIM_400000_NS6detail17trampoline_kernelINS0_14default_configENS1_25partition_config_selectorILNS1_17partition_subalgoE5ElNS0_10empty_typeEbEEZZNS1_14partition_implILS5_5ELb0ES3_mN6hipcub16HIPCUB_304000_NS21CountingInputIteratorIllEEPS6_NSA_22TransformInputIteratorIbN2at6native12_GLOBAL__N_19NonZeroOpIfEEPKflEENS0_5tupleIJPlS6_EEENSN_IJSD_SD_EEES6_PiJS6_EEE10hipError_tPvRmT3_T4_T5_T6_T7_T9_mT8_P12ihipStream_tbDpT10_ENKUlT_T0_E_clISt17integral_constantIbLb1EES1B_EEDaS16_S17_EUlS16_E_NS1_11comp_targetILNS1_3genE3ELNS1_11target_archE908ELNS1_3gpuE7ELNS1_3repE0EEENS1_30default_config_static_selectorELNS0_4arch9wavefront6targetE0EEEvT1_,"axG",@progbits,_ZN7rocprim17ROCPRIM_400000_NS6detail17trampoline_kernelINS0_14default_configENS1_25partition_config_selectorILNS1_17partition_subalgoE5ElNS0_10empty_typeEbEEZZNS1_14partition_implILS5_5ELb0ES3_mN6hipcub16HIPCUB_304000_NS21CountingInputIteratorIllEEPS6_NSA_22TransformInputIteratorIbN2at6native12_GLOBAL__N_19NonZeroOpIfEEPKflEENS0_5tupleIJPlS6_EEENSN_IJSD_SD_EEES6_PiJS6_EEE10hipError_tPvRmT3_T4_T5_T6_T7_T9_mT8_P12ihipStream_tbDpT10_ENKUlT_T0_E_clISt17integral_constantIbLb1EES1B_EEDaS16_S17_EUlS16_E_NS1_11comp_targetILNS1_3genE3ELNS1_11target_archE908ELNS1_3gpuE7ELNS1_3repE0EEENS1_30default_config_static_selectorELNS0_4arch9wavefront6targetE0EEEvT1_,comdat
.Lfunc_end469:
	.size	_ZN7rocprim17ROCPRIM_400000_NS6detail17trampoline_kernelINS0_14default_configENS1_25partition_config_selectorILNS1_17partition_subalgoE5ElNS0_10empty_typeEbEEZZNS1_14partition_implILS5_5ELb0ES3_mN6hipcub16HIPCUB_304000_NS21CountingInputIteratorIllEEPS6_NSA_22TransformInputIteratorIbN2at6native12_GLOBAL__N_19NonZeroOpIfEEPKflEENS0_5tupleIJPlS6_EEENSN_IJSD_SD_EEES6_PiJS6_EEE10hipError_tPvRmT3_T4_T5_T6_T7_T9_mT8_P12ihipStream_tbDpT10_ENKUlT_T0_E_clISt17integral_constantIbLb1EES1B_EEDaS16_S17_EUlS16_E_NS1_11comp_targetILNS1_3genE3ELNS1_11target_archE908ELNS1_3gpuE7ELNS1_3repE0EEENS1_30default_config_static_selectorELNS0_4arch9wavefront6targetE0EEEvT1_, .Lfunc_end469-_ZN7rocprim17ROCPRIM_400000_NS6detail17trampoline_kernelINS0_14default_configENS1_25partition_config_selectorILNS1_17partition_subalgoE5ElNS0_10empty_typeEbEEZZNS1_14partition_implILS5_5ELb0ES3_mN6hipcub16HIPCUB_304000_NS21CountingInputIteratorIllEEPS6_NSA_22TransformInputIteratorIbN2at6native12_GLOBAL__N_19NonZeroOpIfEEPKflEENS0_5tupleIJPlS6_EEENSN_IJSD_SD_EEES6_PiJS6_EEE10hipError_tPvRmT3_T4_T5_T6_T7_T9_mT8_P12ihipStream_tbDpT10_ENKUlT_T0_E_clISt17integral_constantIbLb1EES1B_EEDaS16_S17_EUlS16_E_NS1_11comp_targetILNS1_3genE3ELNS1_11target_archE908ELNS1_3gpuE7ELNS1_3repE0EEENS1_30default_config_static_selectorELNS0_4arch9wavefront6targetE0EEEvT1_
                                        ; -- End function
	.section	.AMDGPU.csdata,"",@progbits
; Kernel info:
; codeLenInByte = 0
; NumSgprs: 0
; NumVgprs: 0
; ScratchSize: 0
; MemoryBound: 0
; FloatMode: 240
; IeeeMode: 1
; LDSByteSize: 0 bytes/workgroup (compile time only)
; SGPRBlocks: 0
; VGPRBlocks: 0
; NumSGPRsForWavesPerEU: 1
; NumVGPRsForWavesPerEU: 1
; Occupancy: 16
; WaveLimiterHint : 0
; COMPUTE_PGM_RSRC2:SCRATCH_EN: 0
; COMPUTE_PGM_RSRC2:USER_SGPR: 15
; COMPUTE_PGM_RSRC2:TRAP_HANDLER: 0
; COMPUTE_PGM_RSRC2:TGID_X_EN: 1
; COMPUTE_PGM_RSRC2:TGID_Y_EN: 0
; COMPUTE_PGM_RSRC2:TGID_Z_EN: 0
; COMPUTE_PGM_RSRC2:TIDIG_COMP_CNT: 0
	.section	.text._ZN7rocprim17ROCPRIM_400000_NS6detail17trampoline_kernelINS0_14default_configENS1_25partition_config_selectorILNS1_17partition_subalgoE5ElNS0_10empty_typeEbEEZZNS1_14partition_implILS5_5ELb0ES3_mN6hipcub16HIPCUB_304000_NS21CountingInputIteratorIllEEPS6_NSA_22TransformInputIteratorIbN2at6native12_GLOBAL__N_19NonZeroOpIfEEPKflEENS0_5tupleIJPlS6_EEENSN_IJSD_SD_EEES6_PiJS6_EEE10hipError_tPvRmT3_T4_T5_T6_T7_T9_mT8_P12ihipStream_tbDpT10_ENKUlT_T0_E_clISt17integral_constantIbLb1EES1B_EEDaS16_S17_EUlS16_E_NS1_11comp_targetILNS1_3genE2ELNS1_11target_archE906ELNS1_3gpuE6ELNS1_3repE0EEENS1_30default_config_static_selectorELNS0_4arch9wavefront6targetE0EEEvT1_,"axG",@progbits,_ZN7rocprim17ROCPRIM_400000_NS6detail17trampoline_kernelINS0_14default_configENS1_25partition_config_selectorILNS1_17partition_subalgoE5ElNS0_10empty_typeEbEEZZNS1_14partition_implILS5_5ELb0ES3_mN6hipcub16HIPCUB_304000_NS21CountingInputIteratorIllEEPS6_NSA_22TransformInputIteratorIbN2at6native12_GLOBAL__N_19NonZeroOpIfEEPKflEENS0_5tupleIJPlS6_EEENSN_IJSD_SD_EEES6_PiJS6_EEE10hipError_tPvRmT3_T4_T5_T6_T7_T9_mT8_P12ihipStream_tbDpT10_ENKUlT_T0_E_clISt17integral_constantIbLb1EES1B_EEDaS16_S17_EUlS16_E_NS1_11comp_targetILNS1_3genE2ELNS1_11target_archE906ELNS1_3gpuE6ELNS1_3repE0EEENS1_30default_config_static_selectorELNS0_4arch9wavefront6targetE0EEEvT1_,comdat
	.globl	_ZN7rocprim17ROCPRIM_400000_NS6detail17trampoline_kernelINS0_14default_configENS1_25partition_config_selectorILNS1_17partition_subalgoE5ElNS0_10empty_typeEbEEZZNS1_14partition_implILS5_5ELb0ES3_mN6hipcub16HIPCUB_304000_NS21CountingInputIteratorIllEEPS6_NSA_22TransformInputIteratorIbN2at6native12_GLOBAL__N_19NonZeroOpIfEEPKflEENS0_5tupleIJPlS6_EEENSN_IJSD_SD_EEES6_PiJS6_EEE10hipError_tPvRmT3_T4_T5_T6_T7_T9_mT8_P12ihipStream_tbDpT10_ENKUlT_T0_E_clISt17integral_constantIbLb1EES1B_EEDaS16_S17_EUlS16_E_NS1_11comp_targetILNS1_3genE2ELNS1_11target_archE906ELNS1_3gpuE6ELNS1_3repE0EEENS1_30default_config_static_selectorELNS0_4arch9wavefront6targetE0EEEvT1_ ; -- Begin function _ZN7rocprim17ROCPRIM_400000_NS6detail17trampoline_kernelINS0_14default_configENS1_25partition_config_selectorILNS1_17partition_subalgoE5ElNS0_10empty_typeEbEEZZNS1_14partition_implILS5_5ELb0ES3_mN6hipcub16HIPCUB_304000_NS21CountingInputIteratorIllEEPS6_NSA_22TransformInputIteratorIbN2at6native12_GLOBAL__N_19NonZeroOpIfEEPKflEENS0_5tupleIJPlS6_EEENSN_IJSD_SD_EEES6_PiJS6_EEE10hipError_tPvRmT3_T4_T5_T6_T7_T9_mT8_P12ihipStream_tbDpT10_ENKUlT_T0_E_clISt17integral_constantIbLb1EES1B_EEDaS16_S17_EUlS16_E_NS1_11comp_targetILNS1_3genE2ELNS1_11target_archE906ELNS1_3gpuE6ELNS1_3repE0EEENS1_30default_config_static_selectorELNS0_4arch9wavefront6targetE0EEEvT1_
	.p2align	8
	.type	_ZN7rocprim17ROCPRIM_400000_NS6detail17trampoline_kernelINS0_14default_configENS1_25partition_config_selectorILNS1_17partition_subalgoE5ElNS0_10empty_typeEbEEZZNS1_14partition_implILS5_5ELb0ES3_mN6hipcub16HIPCUB_304000_NS21CountingInputIteratorIllEEPS6_NSA_22TransformInputIteratorIbN2at6native12_GLOBAL__N_19NonZeroOpIfEEPKflEENS0_5tupleIJPlS6_EEENSN_IJSD_SD_EEES6_PiJS6_EEE10hipError_tPvRmT3_T4_T5_T6_T7_T9_mT8_P12ihipStream_tbDpT10_ENKUlT_T0_E_clISt17integral_constantIbLb1EES1B_EEDaS16_S17_EUlS16_E_NS1_11comp_targetILNS1_3genE2ELNS1_11target_archE906ELNS1_3gpuE6ELNS1_3repE0EEENS1_30default_config_static_selectorELNS0_4arch9wavefront6targetE0EEEvT1_,@function
_ZN7rocprim17ROCPRIM_400000_NS6detail17trampoline_kernelINS0_14default_configENS1_25partition_config_selectorILNS1_17partition_subalgoE5ElNS0_10empty_typeEbEEZZNS1_14partition_implILS5_5ELb0ES3_mN6hipcub16HIPCUB_304000_NS21CountingInputIteratorIllEEPS6_NSA_22TransformInputIteratorIbN2at6native12_GLOBAL__N_19NonZeroOpIfEEPKflEENS0_5tupleIJPlS6_EEENSN_IJSD_SD_EEES6_PiJS6_EEE10hipError_tPvRmT3_T4_T5_T6_T7_T9_mT8_P12ihipStream_tbDpT10_ENKUlT_T0_E_clISt17integral_constantIbLb1EES1B_EEDaS16_S17_EUlS16_E_NS1_11comp_targetILNS1_3genE2ELNS1_11target_archE906ELNS1_3gpuE6ELNS1_3repE0EEENS1_30default_config_static_selectorELNS0_4arch9wavefront6targetE0EEEvT1_: ; @_ZN7rocprim17ROCPRIM_400000_NS6detail17trampoline_kernelINS0_14default_configENS1_25partition_config_selectorILNS1_17partition_subalgoE5ElNS0_10empty_typeEbEEZZNS1_14partition_implILS5_5ELb0ES3_mN6hipcub16HIPCUB_304000_NS21CountingInputIteratorIllEEPS6_NSA_22TransformInputIteratorIbN2at6native12_GLOBAL__N_19NonZeroOpIfEEPKflEENS0_5tupleIJPlS6_EEENSN_IJSD_SD_EEES6_PiJS6_EEE10hipError_tPvRmT3_T4_T5_T6_T7_T9_mT8_P12ihipStream_tbDpT10_ENKUlT_T0_E_clISt17integral_constantIbLb1EES1B_EEDaS16_S17_EUlS16_E_NS1_11comp_targetILNS1_3genE2ELNS1_11target_archE906ELNS1_3gpuE6ELNS1_3repE0EEENS1_30default_config_static_selectorELNS0_4arch9wavefront6targetE0EEEvT1_
; %bb.0:
	.section	.rodata,"a",@progbits
	.p2align	6, 0x0
	.amdhsa_kernel _ZN7rocprim17ROCPRIM_400000_NS6detail17trampoline_kernelINS0_14default_configENS1_25partition_config_selectorILNS1_17partition_subalgoE5ElNS0_10empty_typeEbEEZZNS1_14partition_implILS5_5ELb0ES3_mN6hipcub16HIPCUB_304000_NS21CountingInputIteratorIllEEPS6_NSA_22TransformInputIteratorIbN2at6native12_GLOBAL__N_19NonZeroOpIfEEPKflEENS0_5tupleIJPlS6_EEENSN_IJSD_SD_EEES6_PiJS6_EEE10hipError_tPvRmT3_T4_T5_T6_T7_T9_mT8_P12ihipStream_tbDpT10_ENKUlT_T0_E_clISt17integral_constantIbLb1EES1B_EEDaS16_S17_EUlS16_E_NS1_11comp_targetILNS1_3genE2ELNS1_11target_archE906ELNS1_3gpuE6ELNS1_3repE0EEENS1_30default_config_static_selectorELNS0_4arch9wavefront6targetE0EEEvT1_
		.amdhsa_group_segment_fixed_size 0
		.amdhsa_private_segment_fixed_size 0
		.amdhsa_kernarg_size 136
		.amdhsa_user_sgpr_count 15
		.amdhsa_user_sgpr_dispatch_ptr 0
		.amdhsa_user_sgpr_queue_ptr 0
		.amdhsa_user_sgpr_kernarg_segment_ptr 1
		.amdhsa_user_sgpr_dispatch_id 0
		.amdhsa_user_sgpr_private_segment_size 0
		.amdhsa_wavefront_size32 1
		.amdhsa_uses_dynamic_stack 0
		.amdhsa_enable_private_segment 0
		.amdhsa_system_sgpr_workgroup_id_x 1
		.amdhsa_system_sgpr_workgroup_id_y 0
		.amdhsa_system_sgpr_workgroup_id_z 0
		.amdhsa_system_sgpr_workgroup_info 0
		.amdhsa_system_vgpr_workitem_id 0
		.amdhsa_next_free_vgpr 1
		.amdhsa_next_free_sgpr 1
		.amdhsa_reserve_vcc 0
		.amdhsa_float_round_mode_32 0
		.amdhsa_float_round_mode_16_64 0
		.amdhsa_float_denorm_mode_32 3
		.amdhsa_float_denorm_mode_16_64 3
		.amdhsa_dx10_clamp 1
		.amdhsa_ieee_mode 1
		.amdhsa_fp16_overflow 0
		.amdhsa_workgroup_processor_mode 1
		.amdhsa_memory_ordered 1
		.amdhsa_forward_progress 0
		.amdhsa_shared_vgpr_count 0
		.amdhsa_exception_fp_ieee_invalid_op 0
		.amdhsa_exception_fp_denorm_src 0
		.amdhsa_exception_fp_ieee_div_zero 0
		.amdhsa_exception_fp_ieee_overflow 0
		.amdhsa_exception_fp_ieee_underflow 0
		.amdhsa_exception_fp_ieee_inexact 0
		.amdhsa_exception_int_div_zero 0
	.end_amdhsa_kernel
	.section	.text._ZN7rocprim17ROCPRIM_400000_NS6detail17trampoline_kernelINS0_14default_configENS1_25partition_config_selectorILNS1_17partition_subalgoE5ElNS0_10empty_typeEbEEZZNS1_14partition_implILS5_5ELb0ES3_mN6hipcub16HIPCUB_304000_NS21CountingInputIteratorIllEEPS6_NSA_22TransformInputIteratorIbN2at6native12_GLOBAL__N_19NonZeroOpIfEEPKflEENS0_5tupleIJPlS6_EEENSN_IJSD_SD_EEES6_PiJS6_EEE10hipError_tPvRmT3_T4_T5_T6_T7_T9_mT8_P12ihipStream_tbDpT10_ENKUlT_T0_E_clISt17integral_constantIbLb1EES1B_EEDaS16_S17_EUlS16_E_NS1_11comp_targetILNS1_3genE2ELNS1_11target_archE906ELNS1_3gpuE6ELNS1_3repE0EEENS1_30default_config_static_selectorELNS0_4arch9wavefront6targetE0EEEvT1_,"axG",@progbits,_ZN7rocprim17ROCPRIM_400000_NS6detail17trampoline_kernelINS0_14default_configENS1_25partition_config_selectorILNS1_17partition_subalgoE5ElNS0_10empty_typeEbEEZZNS1_14partition_implILS5_5ELb0ES3_mN6hipcub16HIPCUB_304000_NS21CountingInputIteratorIllEEPS6_NSA_22TransformInputIteratorIbN2at6native12_GLOBAL__N_19NonZeroOpIfEEPKflEENS0_5tupleIJPlS6_EEENSN_IJSD_SD_EEES6_PiJS6_EEE10hipError_tPvRmT3_T4_T5_T6_T7_T9_mT8_P12ihipStream_tbDpT10_ENKUlT_T0_E_clISt17integral_constantIbLb1EES1B_EEDaS16_S17_EUlS16_E_NS1_11comp_targetILNS1_3genE2ELNS1_11target_archE906ELNS1_3gpuE6ELNS1_3repE0EEENS1_30default_config_static_selectorELNS0_4arch9wavefront6targetE0EEEvT1_,comdat
.Lfunc_end470:
	.size	_ZN7rocprim17ROCPRIM_400000_NS6detail17trampoline_kernelINS0_14default_configENS1_25partition_config_selectorILNS1_17partition_subalgoE5ElNS0_10empty_typeEbEEZZNS1_14partition_implILS5_5ELb0ES3_mN6hipcub16HIPCUB_304000_NS21CountingInputIteratorIllEEPS6_NSA_22TransformInputIteratorIbN2at6native12_GLOBAL__N_19NonZeroOpIfEEPKflEENS0_5tupleIJPlS6_EEENSN_IJSD_SD_EEES6_PiJS6_EEE10hipError_tPvRmT3_T4_T5_T6_T7_T9_mT8_P12ihipStream_tbDpT10_ENKUlT_T0_E_clISt17integral_constantIbLb1EES1B_EEDaS16_S17_EUlS16_E_NS1_11comp_targetILNS1_3genE2ELNS1_11target_archE906ELNS1_3gpuE6ELNS1_3repE0EEENS1_30default_config_static_selectorELNS0_4arch9wavefront6targetE0EEEvT1_, .Lfunc_end470-_ZN7rocprim17ROCPRIM_400000_NS6detail17trampoline_kernelINS0_14default_configENS1_25partition_config_selectorILNS1_17partition_subalgoE5ElNS0_10empty_typeEbEEZZNS1_14partition_implILS5_5ELb0ES3_mN6hipcub16HIPCUB_304000_NS21CountingInputIteratorIllEEPS6_NSA_22TransformInputIteratorIbN2at6native12_GLOBAL__N_19NonZeroOpIfEEPKflEENS0_5tupleIJPlS6_EEENSN_IJSD_SD_EEES6_PiJS6_EEE10hipError_tPvRmT3_T4_T5_T6_T7_T9_mT8_P12ihipStream_tbDpT10_ENKUlT_T0_E_clISt17integral_constantIbLb1EES1B_EEDaS16_S17_EUlS16_E_NS1_11comp_targetILNS1_3genE2ELNS1_11target_archE906ELNS1_3gpuE6ELNS1_3repE0EEENS1_30default_config_static_selectorELNS0_4arch9wavefront6targetE0EEEvT1_
                                        ; -- End function
	.section	.AMDGPU.csdata,"",@progbits
; Kernel info:
; codeLenInByte = 0
; NumSgprs: 0
; NumVgprs: 0
; ScratchSize: 0
; MemoryBound: 0
; FloatMode: 240
; IeeeMode: 1
; LDSByteSize: 0 bytes/workgroup (compile time only)
; SGPRBlocks: 0
; VGPRBlocks: 0
; NumSGPRsForWavesPerEU: 1
; NumVGPRsForWavesPerEU: 1
; Occupancy: 16
; WaveLimiterHint : 0
; COMPUTE_PGM_RSRC2:SCRATCH_EN: 0
; COMPUTE_PGM_RSRC2:USER_SGPR: 15
; COMPUTE_PGM_RSRC2:TRAP_HANDLER: 0
; COMPUTE_PGM_RSRC2:TGID_X_EN: 1
; COMPUTE_PGM_RSRC2:TGID_Y_EN: 0
; COMPUTE_PGM_RSRC2:TGID_Z_EN: 0
; COMPUTE_PGM_RSRC2:TIDIG_COMP_CNT: 0
	.section	.text._ZN7rocprim17ROCPRIM_400000_NS6detail17trampoline_kernelINS0_14default_configENS1_25partition_config_selectorILNS1_17partition_subalgoE5ElNS0_10empty_typeEbEEZZNS1_14partition_implILS5_5ELb0ES3_mN6hipcub16HIPCUB_304000_NS21CountingInputIteratorIllEEPS6_NSA_22TransformInputIteratorIbN2at6native12_GLOBAL__N_19NonZeroOpIfEEPKflEENS0_5tupleIJPlS6_EEENSN_IJSD_SD_EEES6_PiJS6_EEE10hipError_tPvRmT3_T4_T5_T6_T7_T9_mT8_P12ihipStream_tbDpT10_ENKUlT_T0_E_clISt17integral_constantIbLb1EES1B_EEDaS16_S17_EUlS16_E_NS1_11comp_targetILNS1_3genE10ELNS1_11target_archE1200ELNS1_3gpuE4ELNS1_3repE0EEENS1_30default_config_static_selectorELNS0_4arch9wavefront6targetE0EEEvT1_,"axG",@progbits,_ZN7rocprim17ROCPRIM_400000_NS6detail17trampoline_kernelINS0_14default_configENS1_25partition_config_selectorILNS1_17partition_subalgoE5ElNS0_10empty_typeEbEEZZNS1_14partition_implILS5_5ELb0ES3_mN6hipcub16HIPCUB_304000_NS21CountingInputIteratorIllEEPS6_NSA_22TransformInputIteratorIbN2at6native12_GLOBAL__N_19NonZeroOpIfEEPKflEENS0_5tupleIJPlS6_EEENSN_IJSD_SD_EEES6_PiJS6_EEE10hipError_tPvRmT3_T4_T5_T6_T7_T9_mT8_P12ihipStream_tbDpT10_ENKUlT_T0_E_clISt17integral_constantIbLb1EES1B_EEDaS16_S17_EUlS16_E_NS1_11comp_targetILNS1_3genE10ELNS1_11target_archE1200ELNS1_3gpuE4ELNS1_3repE0EEENS1_30default_config_static_selectorELNS0_4arch9wavefront6targetE0EEEvT1_,comdat
	.globl	_ZN7rocprim17ROCPRIM_400000_NS6detail17trampoline_kernelINS0_14default_configENS1_25partition_config_selectorILNS1_17partition_subalgoE5ElNS0_10empty_typeEbEEZZNS1_14partition_implILS5_5ELb0ES3_mN6hipcub16HIPCUB_304000_NS21CountingInputIteratorIllEEPS6_NSA_22TransformInputIteratorIbN2at6native12_GLOBAL__N_19NonZeroOpIfEEPKflEENS0_5tupleIJPlS6_EEENSN_IJSD_SD_EEES6_PiJS6_EEE10hipError_tPvRmT3_T4_T5_T6_T7_T9_mT8_P12ihipStream_tbDpT10_ENKUlT_T0_E_clISt17integral_constantIbLb1EES1B_EEDaS16_S17_EUlS16_E_NS1_11comp_targetILNS1_3genE10ELNS1_11target_archE1200ELNS1_3gpuE4ELNS1_3repE0EEENS1_30default_config_static_selectorELNS0_4arch9wavefront6targetE0EEEvT1_ ; -- Begin function _ZN7rocprim17ROCPRIM_400000_NS6detail17trampoline_kernelINS0_14default_configENS1_25partition_config_selectorILNS1_17partition_subalgoE5ElNS0_10empty_typeEbEEZZNS1_14partition_implILS5_5ELb0ES3_mN6hipcub16HIPCUB_304000_NS21CountingInputIteratorIllEEPS6_NSA_22TransformInputIteratorIbN2at6native12_GLOBAL__N_19NonZeroOpIfEEPKflEENS0_5tupleIJPlS6_EEENSN_IJSD_SD_EEES6_PiJS6_EEE10hipError_tPvRmT3_T4_T5_T6_T7_T9_mT8_P12ihipStream_tbDpT10_ENKUlT_T0_E_clISt17integral_constantIbLb1EES1B_EEDaS16_S17_EUlS16_E_NS1_11comp_targetILNS1_3genE10ELNS1_11target_archE1200ELNS1_3gpuE4ELNS1_3repE0EEENS1_30default_config_static_selectorELNS0_4arch9wavefront6targetE0EEEvT1_
	.p2align	8
	.type	_ZN7rocprim17ROCPRIM_400000_NS6detail17trampoline_kernelINS0_14default_configENS1_25partition_config_selectorILNS1_17partition_subalgoE5ElNS0_10empty_typeEbEEZZNS1_14partition_implILS5_5ELb0ES3_mN6hipcub16HIPCUB_304000_NS21CountingInputIteratorIllEEPS6_NSA_22TransformInputIteratorIbN2at6native12_GLOBAL__N_19NonZeroOpIfEEPKflEENS0_5tupleIJPlS6_EEENSN_IJSD_SD_EEES6_PiJS6_EEE10hipError_tPvRmT3_T4_T5_T6_T7_T9_mT8_P12ihipStream_tbDpT10_ENKUlT_T0_E_clISt17integral_constantIbLb1EES1B_EEDaS16_S17_EUlS16_E_NS1_11comp_targetILNS1_3genE10ELNS1_11target_archE1200ELNS1_3gpuE4ELNS1_3repE0EEENS1_30default_config_static_selectorELNS0_4arch9wavefront6targetE0EEEvT1_,@function
_ZN7rocprim17ROCPRIM_400000_NS6detail17trampoline_kernelINS0_14default_configENS1_25partition_config_selectorILNS1_17partition_subalgoE5ElNS0_10empty_typeEbEEZZNS1_14partition_implILS5_5ELb0ES3_mN6hipcub16HIPCUB_304000_NS21CountingInputIteratorIllEEPS6_NSA_22TransformInputIteratorIbN2at6native12_GLOBAL__N_19NonZeroOpIfEEPKflEENS0_5tupleIJPlS6_EEENSN_IJSD_SD_EEES6_PiJS6_EEE10hipError_tPvRmT3_T4_T5_T6_T7_T9_mT8_P12ihipStream_tbDpT10_ENKUlT_T0_E_clISt17integral_constantIbLb1EES1B_EEDaS16_S17_EUlS16_E_NS1_11comp_targetILNS1_3genE10ELNS1_11target_archE1200ELNS1_3gpuE4ELNS1_3repE0EEENS1_30default_config_static_selectorELNS0_4arch9wavefront6targetE0EEEvT1_: ; @_ZN7rocprim17ROCPRIM_400000_NS6detail17trampoline_kernelINS0_14default_configENS1_25partition_config_selectorILNS1_17partition_subalgoE5ElNS0_10empty_typeEbEEZZNS1_14partition_implILS5_5ELb0ES3_mN6hipcub16HIPCUB_304000_NS21CountingInputIteratorIllEEPS6_NSA_22TransformInputIteratorIbN2at6native12_GLOBAL__N_19NonZeroOpIfEEPKflEENS0_5tupleIJPlS6_EEENSN_IJSD_SD_EEES6_PiJS6_EEE10hipError_tPvRmT3_T4_T5_T6_T7_T9_mT8_P12ihipStream_tbDpT10_ENKUlT_T0_E_clISt17integral_constantIbLb1EES1B_EEDaS16_S17_EUlS16_E_NS1_11comp_targetILNS1_3genE10ELNS1_11target_archE1200ELNS1_3gpuE4ELNS1_3repE0EEENS1_30default_config_static_selectorELNS0_4arch9wavefront6targetE0EEEvT1_
; %bb.0:
	.section	.rodata,"a",@progbits
	.p2align	6, 0x0
	.amdhsa_kernel _ZN7rocprim17ROCPRIM_400000_NS6detail17trampoline_kernelINS0_14default_configENS1_25partition_config_selectorILNS1_17partition_subalgoE5ElNS0_10empty_typeEbEEZZNS1_14partition_implILS5_5ELb0ES3_mN6hipcub16HIPCUB_304000_NS21CountingInputIteratorIllEEPS6_NSA_22TransformInputIteratorIbN2at6native12_GLOBAL__N_19NonZeroOpIfEEPKflEENS0_5tupleIJPlS6_EEENSN_IJSD_SD_EEES6_PiJS6_EEE10hipError_tPvRmT3_T4_T5_T6_T7_T9_mT8_P12ihipStream_tbDpT10_ENKUlT_T0_E_clISt17integral_constantIbLb1EES1B_EEDaS16_S17_EUlS16_E_NS1_11comp_targetILNS1_3genE10ELNS1_11target_archE1200ELNS1_3gpuE4ELNS1_3repE0EEENS1_30default_config_static_selectorELNS0_4arch9wavefront6targetE0EEEvT1_
		.amdhsa_group_segment_fixed_size 0
		.amdhsa_private_segment_fixed_size 0
		.amdhsa_kernarg_size 136
		.amdhsa_user_sgpr_count 15
		.amdhsa_user_sgpr_dispatch_ptr 0
		.amdhsa_user_sgpr_queue_ptr 0
		.amdhsa_user_sgpr_kernarg_segment_ptr 1
		.amdhsa_user_sgpr_dispatch_id 0
		.amdhsa_user_sgpr_private_segment_size 0
		.amdhsa_wavefront_size32 1
		.amdhsa_uses_dynamic_stack 0
		.amdhsa_enable_private_segment 0
		.amdhsa_system_sgpr_workgroup_id_x 1
		.amdhsa_system_sgpr_workgroup_id_y 0
		.amdhsa_system_sgpr_workgroup_id_z 0
		.amdhsa_system_sgpr_workgroup_info 0
		.amdhsa_system_vgpr_workitem_id 0
		.amdhsa_next_free_vgpr 1
		.amdhsa_next_free_sgpr 1
		.amdhsa_reserve_vcc 0
		.amdhsa_float_round_mode_32 0
		.amdhsa_float_round_mode_16_64 0
		.amdhsa_float_denorm_mode_32 3
		.amdhsa_float_denorm_mode_16_64 3
		.amdhsa_dx10_clamp 1
		.amdhsa_ieee_mode 1
		.amdhsa_fp16_overflow 0
		.amdhsa_workgroup_processor_mode 1
		.amdhsa_memory_ordered 1
		.amdhsa_forward_progress 0
		.amdhsa_shared_vgpr_count 0
		.amdhsa_exception_fp_ieee_invalid_op 0
		.amdhsa_exception_fp_denorm_src 0
		.amdhsa_exception_fp_ieee_div_zero 0
		.amdhsa_exception_fp_ieee_overflow 0
		.amdhsa_exception_fp_ieee_underflow 0
		.amdhsa_exception_fp_ieee_inexact 0
		.amdhsa_exception_int_div_zero 0
	.end_amdhsa_kernel
	.section	.text._ZN7rocprim17ROCPRIM_400000_NS6detail17trampoline_kernelINS0_14default_configENS1_25partition_config_selectorILNS1_17partition_subalgoE5ElNS0_10empty_typeEbEEZZNS1_14partition_implILS5_5ELb0ES3_mN6hipcub16HIPCUB_304000_NS21CountingInputIteratorIllEEPS6_NSA_22TransformInputIteratorIbN2at6native12_GLOBAL__N_19NonZeroOpIfEEPKflEENS0_5tupleIJPlS6_EEENSN_IJSD_SD_EEES6_PiJS6_EEE10hipError_tPvRmT3_T4_T5_T6_T7_T9_mT8_P12ihipStream_tbDpT10_ENKUlT_T0_E_clISt17integral_constantIbLb1EES1B_EEDaS16_S17_EUlS16_E_NS1_11comp_targetILNS1_3genE10ELNS1_11target_archE1200ELNS1_3gpuE4ELNS1_3repE0EEENS1_30default_config_static_selectorELNS0_4arch9wavefront6targetE0EEEvT1_,"axG",@progbits,_ZN7rocprim17ROCPRIM_400000_NS6detail17trampoline_kernelINS0_14default_configENS1_25partition_config_selectorILNS1_17partition_subalgoE5ElNS0_10empty_typeEbEEZZNS1_14partition_implILS5_5ELb0ES3_mN6hipcub16HIPCUB_304000_NS21CountingInputIteratorIllEEPS6_NSA_22TransformInputIteratorIbN2at6native12_GLOBAL__N_19NonZeroOpIfEEPKflEENS0_5tupleIJPlS6_EEENSN_IJSD_SD_EEES6_PiJS6_EEE10hipError_tPvRmT3_T4_T5_T6_T7_T9_mT8_P12ihipStream_tbDpT10_ENKUlT_T0_E_clISt17integral_constantIbLb1EES1B_EEDaS16_S17_EUlS16_E_NS1_11comp_targetILNS1_3genE10ELNS1_11target_archE1200ELNS1_3gpuE4ELNS1_3repE0EEENS1_30default_config_static_selectorELNS0_4arch9wavefront6targetE0EEEvT1_,comdat
.Lfunc_end471:
	.size	_ZN7rocprim17ROCPRIM_400000_NS6detail17trampoline_kernelINS0_14default_configENS1_25partition_config_selectorILNS1_17partition_subalgoE5ElNS0_10empty_typeEbEEZZNS1_14partition_implILS5_5ELb0ES3_mN6hipcub16HIPCUB_304000_NS21CountingInputIteratorIllEEPS6_NSA_22TransformInputIteratorIbN2at6native12_GLOBAL__N_19NonZeroOpIfEEPKflEENS0_5tupleIJPlS6_EEENSN_IJSD_SD_EEES6_PiJS6_EEE10hipError_tPvRmT3_T4_T5_T6_T7_T9_mT8_P12ihipStream_tbDpT10_ENKUlT_T0_E_clISt17integral_constantIbLb1EES1B_EEDaS16_S17_EUlS16_E_NS1_11comp_targetILNS1_3genE10ELNS1_11target_archE1200ELNS1_3gpuE4ELNS1_3repE0EEENS1_30default_config_static_selectorELNS0_4arch9wavefront6targetE0EEEvT1_, .Lfunc_end471-_ZN7rocprim17ROCPRIM_400000_NS6detail17trampoline_kernelINS0_14default_configENS1_25partition_config_selectorILNS1_17partition_subalgoE5ElNS0_10empty_typeEbEEZZNS1_14partition_implILS5_5ELb0ES3_mN6hipcub16HIPCUB_304000_NS21CountingInputIteratorIllEEPS6_NSA_22TransformInputIteratorIbN2at6native12_GLOBAL__N_19NonZeroOpIfEEPKflEENS0_5tupleIJPlS6_EEENSN_IJSD_SD_EEES6_PiJS6_EEE10hipError_tPvRmT3_T4_T5_T6_T7_T9_mT8_P12ihipStream_tbDpT10_ENKUlT_T0_E_clISt17integral_constantIbLb1EES1B_EEDaS16_S17_EUlS16_E_NS1_11comp_targetILNS1_3genE10ELNS1_11target_archE1200ELNS1_3gpuE4ELNS1_3repE0EEENS1_30default_config_static_selectorELNS0_4arch9wavefront6targetE0EEEvT1_
                                        ; -- End function
	.section	.AMDGPU.csdata,"",@progbits
; Kernel info:
; codeLenInByte = 0
; NumSgprs: 0
; NumVgprs: 0
; ScratchSize: 0
; MemoryBound: 0
; FloatMode: 240
; IeeeMode: 1
; LDSByteSize: 0 bytes/workgroup (compile time only)
; SGPRBlocks: 0
; VGPRBlocks: 0
; NumSGPRsForWavesPerEU: 1
; NumVGPRsForWavesPerEU: 1
; Occupancy: 16
; WaveLimiterHint : 0
; COMPUTE_PGM_RSRC2:SCRATCH_EN: 0
; COMPUTE_PGM_RSRC2:USER_SGPR: 15
; COMPUTE_PGM_RSRC2:TRAP_HANDLER: 0
; COMPUTE_PGM_RSRC2:TGID_X_EN: 1
; COMPUTE_PGM_RSRC2:TGID_Y_EN: 0
; COMPUTE_PGM_RSRC2:TGID_Z_EN: 0
; COMPUTE_PGM_RSRC2:TIDIG_COMP_CNT: 0
	.section	.text._ZN7rocprim17ROCPRIM_400000_NS6detail17trampoline_kernelINS0_14default_configENS1_25partition_config_selectorILNS1_17partition_subalgoE5ElNS0_10empty_typeEbEEZZNS1_14partition_implILS5_5ELb0ES3_mN6hipcub16HIPCUB_304000_NS21CountingInputIteratorIllEEPS6_NSA_22TransformInputIteratorIbN2at6native12_GLOBAL__N_19NonZeroOpIfEEPKflEENS0_5tupleIJPlS6_EEENSN_IJSD_SD_EEES6_PiJS6_EEE10hipError_tPvRmT3_T4_T5_T6_T7_T9_mT8_P12ihipStream_tbDpT10_ENKUlT_T0_E_clISt17integral_constantIbLb1EES1B_EEDaS16_S17_EUlS16_E_NS1_11comp_targetILNS1_3genE9ELNS1_11target_archE1100ELNS1_3gpuE3ELNS1_3repE0EEENS1_30default_config_static_selectorELNS0_4arch9wavefront6targetE0EEEvT1_,"axG",@progbits,_ZN7rocprim17ROCPRIM_400000_NS6detail17trampoline_kernelINS0_14default_configENS1_25partition_config_selectorILNS1_17partition_subalgoE5ElNS0_10empty_typeEbEEZZNS1_14partition_implILS5_5ELb0ES3_mN6hipcub16HIPCUB_304000_NS21CountingInputIteratorIllEEPS6_NSA_22TransformInputIteratorIbN2at6native12_GLOBAL__N_19NonZeroOpIfEEPKflEENS0_5tupleIJPlS6_EEENSN_IJSD_SD_EEES6_PiJS6_EEE10hipError_tPvRmT3_T4_T5_T6_T7_T9_mT8_P12ihipStream_tbDpT10_ENKUlT_T0_E_clISt17integral_constantIbLb1EES1B_EEDaS16_S17_EUlS16_E_NS1_11comp_targetILNS1_3genE9ELNS1_11target_archE1100ELNS1_3gpuE3ELNS1_3repE0EEENS1_30default_config_static_selectorELNS0_4arch9wavefront6targetE0EEEvT1_,comdat
	.globl	_ZN7rocprim17ROCPRIM_400000_NS6detail17trampoline_kernelINS0_14default_configENS1_25partition_config_selectorILNS1_17partition_subalgoE5ElNS0_10empty_typeEbEEZZNS1_14partition_implILS5_5ELb0ES3_mN6hipcub16HIPCUB_304000_NS21CountingInputIteratorIllEEPS6_NSA_22TransformInputIteratorIbN2at6native12_GLOBAL__N_19NonZeroOpIfEEPKflEENS0_5tupleIJPlS6_EEENSN_IJSD_SD_EEES6_PiJS6_EEE10hipError_tPvRmT3_T4_T5_T6_T7_T9_mT8_P12ihipStream_tbDpT10_ENKUlT_T0_E_clISt17integral_constantIbLb1EES1B_EEDaS16_S17_EUlS16_E_NS1_11comp_targetILNS1_3genE9ELNS1_11target_archE1100ELNS1_3gpuE3ELNS1_3repE0EEENS1_30default_config_static_selectorELNS0_4arch9wavefront6targetE0EEEvT1_ ; -- Begin function _ZN7rocprim17ROCPRIM_400000_NS6detail17trampoline_kernelINS0_14default_configENS1_25partition_config_selectorILNS1_17partition_subalgoE5ElNS0_10empty_typeEbEEZZNS1_14partition_implILS5_5ELb0ES3_mN6hipcub16HIPCUB_304000_NS21CountingInputIteratorIllEEPS6_NSA_22TransformInputIteratorIbN2at6native12_GLOBAL__N_19NonZeroOpIfEEPKflEENS0_5tupleIJPlS6_EEENSN_IJSD_SD_EEES6_PiJS6_EEE10hipError_tPvRmT3_T4_T5_T6_T7_T9_mT8_P12ihipStream_tbDpT10_ENKUlT_T0_E_clISt17integral_constantIbLb1EES1B_EEDaS16_S17_EUlS16_E_NS1_11comp_targetILNS1_3genE9ELNS1_11target_archE1100ELNS1_3gpuE3ELNS1_3repE0EEENS1_30default_config_static_selectorELNS0_4arch9wavefront6targetE0EEEvT1_
	.p2align	8
	.type	_ZN7rocprim17ROCPRIM_400000_NS6detail17trampoline_kernelINS0_14default_configENS1_25partition_config_selectorILNS1_17partition_subalgoE5ElNS0_10empty_typeEbEEZZNS1_14partition_implILS5_5ELb0ES3_mN6hipcub16HIPCUB_304000_NS21CountingInputIteratorIllEEPS6_NSA_22TransformInputIteratorIbN2at6native12_GLOBAL__N_19NonZeroOpIfEEPKflEENS0_5tupleIJPlS6_EEENSN_IJSD_SD_EEES6_PiJS6_EEE10hipError_tPvRmT3_T4_T5_T6_T7_T9_mT8_P12ihipStream_tbDpT10_ENKUlT_T0_E_clISt17integral_constantIbLb1EES1B_EEDaS16_S17_EUlS16_E_NS1_11comp_targetILNS1_3genE9ELNS1_11target_archE1100ELNS1_3gpuE3ELNS1_3repE0EEENS1_30default_config_static_selectorELNS0_4arch9wavefront6targetE0EEEvT1_,@function
_ZN7rocprim17ROCPRIM_400000_NS6detail17trampoline_kernelINS0_14default_configENS1_25partition_config_selectorILNS1_17partition_subalgoE5ElNS0_10empty_typeEbEEZZNS1_14partition_implILS5_5ELb0ES3_mN6hipcub16HIPCUB_304000_NS21CountingInputIteratorIllEEPS6_NSA_22TransformInputIteratorIbN2at6native12_GLOBAL__N_19NonZeroOpIfEEPKflEENS0_5tupleIJPlS6_EEENSN_IJSD_SD_EEES6_PiJS6_EEE10hipError_tPvRmT3_T4_T5_T6_T7_T9_mT8_P12ihipStream_tbDpT10_ENKUlT_T0_E_clISt17integral_constantIbLb1EES1B_EEDaS16_S17_EUlS16_E_NS1_11comp_targetILNS1_3genE9ELNS1_11target_archE1100ELNS1_3gpuE3ELNS1_3repE0EEENS1_30default_config_static_selectorELNS0_4arch9wavefront6targetE0EEEvT1_: ; @_ZN7rocprim17ROCPRIM_400000_NS6detail17trampoline_kernelINS0_14default_configENS1_25partition_config_selectorILNS1_17partition_subalgoE5ElNS0_10empty_typeEbEEZZNS1_14partition_implILS5_5ELb0ES3_mN6hipcub16HIPCUB_304000_NS21CountingInputIteratorIllEEPS6_NSA_22TransformInputIteratorIbN2at6native12_GLOBAL__N_19NonZeroOpIfEEPKflEENS0_5tupleIJPlS6_EEENSN_IJSD_SD_EEES6_PiJS6_EEE10hipError_tPvRmT3_T4_T5_T6_T7_T9_mT8_P12ihipStream_tbDpT10_ENKUlT_T0_E_clISt17integral_constantIbLb1EES1B_EEDaS16_S17_EUlS16_E_NS1_11comp_targetILNS1_3genE9ELNS1_11target_archE1100ELNS1_3gpuE3ELNS1_3repE0EEENS1_30default_config_static_selectorELNS0_4arch9wavefront6targetE0EEEvT1_
; %bb.0:
	s_clause 0x4
	s_load_b64 s[18:19], s[0:1], 0x20
	s_load_b64 s[12:13], s[0:1], 0x30
	;; [unrolled: 1-line block ×3, first 2 shown]
	s_load_b128 s[4:7], s[0:1], 0x48
	s_load_b64 s[14:15], s[0:1], 0x68
	v_cmp_eq_u32_e64 s2, 0, v0
	s_delay_alu instid0(VALU_DEP_1)
	s_and_saveexec_b32 s3, s2
	s_cbranch_execz .LBB472_4
; %bb.1:
	s_mov_b32 s9, exec_lo
	s_mov_b32 s8, exec_lo
	v_mbcnt_lo_u32_b32 v1, s9, 0
                                        ; implicit-def: $vgpr2
	s_delay_alu instid0(VALU_DEP_1)
	v_cmpx_eq_u32_e32 0, v1
	s_cbranch_execz .LBB472_3
; %bb.2:
	s_load_b64 s[10:11], s[0:1], 0x78
	s_bcnt1_i32_b32 s9, s9
	s_delay_alu instid0(SALU_CYCLE_1)
	v_dual_mov_b32 v2, 0 :: v_dual_mov_b32 v3, s9
	s_waitcnt lgkmcnt(0)
	global_atomic_add_u32 v2, v2, v3, s[10:11] glc
.LBB472_3:
	s_or_b32 exec_lo, exec_lo, s8
	s_waitcnt vmcnt(0)
	v_readfirstlane_b32 s8, v2
	s_delay_alu instid0(VALU_DEP_1)
	v_dual_mov_b32 v2, 0 :: v_dual_add_nc_u32 v1, s8, v1
	ds_store_b32 v2, v1
.LBB472_4:
	s_or_b32 exec_lo, exec_lo, s3
	v_mov_b32_e32 v1, 0
	s_clause 0x1
	s_load_b128 s[8:11], s[0:1], 0x8
	s_load_b32 s0, s[0:1], 0x70
	s_waitcnt lgkmcnt(0)
	s_barrier
	buffer_gl0_inv
	ds_load_b32 v3, v1
	s_waitcnt lgkmcnt(0)
	s_barrier
	buffer_gl0_inv
	global_load_b64 v[1:2], v1, s[6:7]
	s_add_u32 s21, s10, s8
	s_mul_i32 s20, s0, 0x300
	s_addc_u32 s22, s11, s9
	s_add_i32 s3, s0, -1
	s_add_u32 s0, s10, s20
	v_readfirstlane_b32 s9, v3
	s_addc_u32 s1, s11, 0
	s_delay_alu instid0(SALU_CYCLE_1) | instskip(SKIP_1) | instid1(VALU_DEP_2)
	v_cmp_ge_u64_e64 s0, s[0:1], s[16:17]
	s_mov_b32 s17, -1
	s_cmp_eq_u32 s9, s3
	s_cselect_b32 s3, -1, 0
	s_delay_alu instid0(VALU_DEP_1) | instid1(SALU_CYCLE_1)
	s_and_b32 s1, s0, s3
	s_mul_i32 s0, s9, 0x300
	s_xor_b32 s8, s1, -1
	s_mov_b32 s1, 0
	s_and_b32 vcc_lo, exec_lo, s8
	s_waitcnt vmcnt(0)
	v_readfirstlane_b32 s6, v1
	v_readfirstlane_b32 s7, v2
	s_cbranch_vccz .LBB472_6
; %bb.5:
	s_add_u32 s17, s0, s21
	s_addc_u32 s23, 0, s22
	v_add_co_u32 v1, s17, s17, v0
	s_delay_alu instid0(VALU_DEP_1) | instskip(SKIP_1) | instid1(VALU_DEP_3)
	v_add_co_ci_u32_e64 v2, null, s23, 0, s17
	v_lshlrev_b32_e32 v13, 3, v0
	v_add_co_u32 v3, vcc_lo, 0x80, v1
	s_delay_alu instid0(VALU_DEP_3)
	v_add_co_ci_u32_e32 v4, vcc_lo, 0, v2, vcc_lo
	v_add_co_u32 v5, vcc_lo, 0x100, v1
	v_add_co_ci_u32_e32 v6, vcc_lo, 0, v2, vcc_lo
	v_add_co_u32 v7, vcc_lo, 0x180, v1
	;; [unrolled: 2-line block ×4, first 2 shown]
	v_add_co_ci_u32_e32 v12, vcc_lo, 0, v2, vcc_lo
	ds_store_2addr_stride64_b64 v13, v[1:2], v[3:4] offset1:2
	ds_store_2addr_stride64_b64 v13, v[5:6], v[7:8] offset0:4 offset1:6
	ds_store_2addr_stride64_b64 v13, v[9:10], v[11:12] offset0:8 offset1:10
	s_waitcnt lgkmcnt(0)
	s_mov_b32 s17, s1
	s_barrier
.LBB472_6:
	v_or_b32_e32 v17, 0x100, v0
	v_or_b32_e32 v16, 0x180, v0
	;; [unrolled: 1-line block ×4, first 2 shown]
	s_and_not1_b32 vcc_lo, exec_lo, s17
	s_cbranch_vccnz .LBB472_8
; %bb.7:
	v_or_b32_e32 v3, 0x80, v0
	s_add_u32 s17, s21, s0
	s_addc_u32 s21, s22, 0
	v_add_co_u32 v1, s22, s17, v0
	s_delay_alu instid0(VALU_DEP_1) | instskip(SKIP_1) | instid1(VALU_DEP_1)
	v_add_co_ci_u32_e64 v2, null, s21, 0, s22
	v_add_co_u32 v3, s22, s17, v3
	v_add_co_ci_u32_e64 v4, null, s21, 0, s22
	v_add_co_u32 v5, s22, s17, v17
	s_delay_alu instid0(VALU_DEP_1) | instskip(SKIP_1) | instid1(VALU_DEP_1)
	v_add_co_ci_u32_e64 v6, null, s21, 0, s22
	v_add_co_u32 v7, s22, s17, v16
	v_add_co_ci_u32_e64 v8, null, s21, 0, s22
	v_add_co_u32 v9, s22, s17, v14
	v_lshlrev_b32_e32 v15, 3, v0
	v_add_co_u32 v11, s17, s17, v13
	v_add_co_ci_u32_e64 v10, null, s21, 0, s22
	v_add_co_ci_u32_e64 v12, null, s21, 0, s17
	ds_store_2addr_stride64_b64 v15, v[1:2], v[3:4] offset1:2
	ds_store_2addr_stride64_b64 v15, v[5:6], v[7:8] offset0:4 offset1:6
	ds_store_2addr_stride64_b64 v15, v[9:10], v[11:12] offset0:8 offset1:10
	s_waitcnt lgkmcnt(0)
	s_barrier
.LBB472_8:
	v_mul_u32_u24_e32 v1, 6, v0
	buffer_gl0_inv
	s_lshl_b64 s[22:23], s[10:11], 2
	s_delay_alu instid0(SALU_CYCLE_1)
	s_add_u32 s11, s18, s22
	v_lshlrev_b32_e32 v15, 3, v1
	s_addc_u32 s17, s19, s23
	s_lshl_b64 s[0:1], s[0:1], 2
	ds_load_b128 v[9:12], v15
	ds_load_b128 v[5:8], v15 offset:16
	ds_load_b128 v[1:4], v15 offset:32
	s_add_u32 s0, s11, s0
	s_addc_u32 s1, s17, s1
	s_and_b32 vcc_lo, exec_lo, s8
	s_mov_b32 s11, -1
	s_waitcnt lgkmcnt(0)
	s_barrier
	buffer_gl0_inv
	s_cbranch_vccz .LBB472_10
; %bb.9:
	v_lshlrev_b32_e32 v18, 2, v0
	s_mov_b32 s11, 0
	s_clause 0x5
	global_load_b32 v19, v18, s[0:1]
	global_load_b32 v20, v18, s[0:1] offset:512
	global_load_b32 v21, v18, s[0:1] offset:1024
	;; [unrolled: 1-line block ×5, first 2 shown]
	s_waitcnt vmcnt(5)
	v_cmp_neq_f32_e32 vcc_lo, 0, v19
	v_cndmask_b32_e64 v19, 0, 1, vcc_lo
	s_waitcnt vmcnt(4)
	v_cmp_neq_f32_e32 vcc_lo, 0, v20
	v_cndmask_b32_e64 v20, 0, 1, vcc_lo
	;; [unrolled: 3-line block ×6, first 2 shown]
	ds_store_b8 v0, v19
	ds_store_b8 v0, v20 offset:128
	ds_store_b8 v0, v21 offset:256
	;; [unrolled: 1-line block ×5, first 2 shown]
	s_waitcnt lgkmcnt(0)
	s_barrier
.LBB472_10:
	s_and_not1_b32 vcc_lo, exec_lo, s11
	s_cbranch_vccnz .LBB472_24
; %bb.11:
	s_add_i32 s20, s20, s10
	v_dual_mov_b32 v18, 0 :: v_dual_mov_b32 v19, 0
	s_sub_i32 s10, s16, s20
	s_mov_b32 s11, exec_lo
	s_addk_i32 s10, 0x300
	s_delay_alu instid0(SALU_CYCLE_1)
	v_cmpx_gt_u32_e64 s10, v0
	s_cbranch_execz .LBB472_13
; %bb.12:
	v_lshlrev_b32_e32 v19, 2, v0
	global_load_b32 v19, v19, s[0:1]
	s_waitcnt vmcnt(0)
	v_cmp_neq_f32_e32 vcc_lo, 0, v19
	v_cndmask_b32_e64 v19, 0, 1, vcc_lo
.LBB472_13:
	s_or_b32 exec_lo, exec_lo, s11
	v_or_b32_e32 v20, 0x80, v0
	s_mov_b32 s11, exec_lo
	s_delay_alu instid0(VALU_DEP_1)
	v_cmpx_gt_u32_e64 s10, v20
	s_cbranch_execz .LBB472_15
; %bb.14:
	v_lshlrev_b32_e32 v18, 2, v0
	global_load_b32 v18, v18, s[0:1] offset:512
	s_waitcnt vmcnt(0)
	v_cmp_neq_f32_e32 vcc_lo, 0, v18
	v_cndmask_b32_e64 v18, 0, 1, vcc_lo
.LBB472_15:
	s_or_b32 exec_lo, exec_lo, s11
	v_cmp_gt_u32_e32 vcc_lo, s10, v17
	v_dual_mov_b32 v17, 0 :: v_dual_mov_b32 v20, 0
	s_and_saveexec_b32 s11, vcc_lo
	s_cbranch_execz .LBB472_17
; %bb.16:
	v_lshlrev_b32_e32 v20, 2, v0
	global_load_b32 v20, v20, s[0:1] offset:1024
	s_waitcnt vmcnt(0)
	v_cmp_neq_f32_e32 vcc_lo, 0, v20
	v_cndmask_b32_e64 v20, 0, 1, vcc_lo
.LBB472_17:
	s_or_b32 exec_lo, exec_lo, s11
	s_delay_alu instid0(SALU_CYCLE_1)
	s_mov_b32 s11, exec_lo
	v_cmpx_gt_u32_e64 s10, v16
	s_cbranch_execz .LBB472_19
; %bb.18:
	v_lshlrev_b32_e32 v16, 2, v0
	global_load_b32 v16, v16, s[0:1] offset:1536
	s_waitcnt vmcnt(0)
	v_cmp_neq_f32_e32 vcc_lo, 0, v16
	v_cndmask_b32_e64 v17, 0, 1, vcc_lo
.LBB472_19:
	s_or_b32 exec_lo, exec_lo, s11
	v_cmp_gt_u32_e32 vcc_lo, s10, v14
	v_mov_b32_e32 v14, 0
	v_mov_b32_e32 v16, 0
	s_and_saveexec_b32 s11, vcc_lo
	s_cbranch_execz .LBB472_21
; %bb.20:
	v_lshlrev_b32_e32 v16, 2, v0
	global_load_b32 v16, v16, s[0:1] offset:2048
	s_waitcnt vmcnt(0)
	v_cmp_neq_f32_e32 vcc_lo, 0, v16
	v_cndmask_b32_e64 v16, 0, 1, vcc_lo
.LBB472_21:
	s_or_b32 exec_lo, exec_lo, s11
	v_cmp_gt_u32_e32 vcc_lo, s10, v13
	s_and_saveexec_b32 s10, vcc_lo
	s_cbranch_execz .LBB472_23
; %bb.22:
	v_lshlrev_b32_e32 v13, 2, v0
	global_load_b32 v13, v13, s[0:1] offset:2560
	s_waitcnt vmcnt(0)
	v_cmp_neq_f32_e32 vcc_lo, 0, v13
	v_cndmask_b32_e64 v14, 0, 1, vcc_lo
.LBB472_23:
	s_or_b32 exec_lo, exec_lo, s10
	ds_store_b8 v0, v19
	ds_store_b8 v0, v18 offset:128
	ds_store_b8 v0, v20 offset:256
	;; [unrolled: 1-line block ×5, first 2 shown]
	s_waitcnt lgkmcnt(0)
	s_barrier
.LBB472_24:
	v_mad_i32_i24 v43, 0xffffffd6, v0, v15
	buffer_gl0_inv
	v_mbcnt_lo_u32_b32 v42, -1, 0
	s_cmp_lg_u32 s9, 0
	s_mov_b32 s1, -1
	ds_load_u16 v36, v43
	ds_load_u16 v33, v43 offset:2
	ds_load_u16 v31, v43 offset:4
	v_mov_b32_e32 v14, 0
	v_and_b32_e32 v44, 15, v42
	s_waitcnt lgkmcnt(0)
	s_barrier
	buffer_gl0_inv
	v_and_b32_e32 v41, 0xff, v36
	v_lshrrev_b16 v34, 8, v36
	v_lshrrev_b16 v35, 8, v33
	v_and_b32_e32 v39, 0xff, v33
	v_lshrrev_b16 v32, 8, v31
	v_and_b32_e32 v37, 0xff, v31
	v_and_b32_e32 v40, 0xffff, v34
	;; [unrolled: 1-line block ×3, first 2 shown]
	s_delay_alu instid0(VALU_DEP_4) | instskip(NEXT) | instid1(VALU_DEP_3)
	v_and_b32_e32 v16, 0xffff, v32
	v_add_co_u32 v13, s0, v40, v41
	s_delay_alu instid0(VALU_DEP_1) | instskip(SKIP_1) | instid1(VALU_DEP_3)
	v_add_co_ci_u32_e64 v15, null, 0, 0, s0
	v_cmp_ne_u32_e64 s0, 0, v44
	v_add_co_u32 v13, vcc_lo, v13, v39
	s_delay_alu instid0(VALU_DEP_3) | instskip(NEXT) | instid1(VALU_DEP_2)
	v_add_co_ci_u32_e32 v15, vcc_lo, 0, v15, vcc_lo
	v_add_co_u32 v13, vcc_lo, v13, v38
	s_delay_alu instid0(VALU_DEP_2) | instskip(NEXT) | instid1(VALU_DEP_2)
	v_add_co_ci_u32_e32 v15, vcc_lo, 0, v15, vcc_lo
	v_add_co_u32 v13, vcc_lo, v13, v37
	s_delay_alu instid0(VALU_DEP_2) | instskip(NEXT) | instid1(VALU_DEP_2)
	v_add_co_ci_u32_e32 v15, vcc_lo, 0, v15, vcc_lo
	v_add_co_u32 v21, vcc_lo, v13, v16
	s_delay_alu instid0(VALU_DEP_2)
	v_add_co_ci_u32_e32 v22, vcc_lo, 0, v15, vcc_lo
	s_cbranch_scc0 .LBB472_93
; %bb.25:
	s_delay_alu instid0(VALU_DEP_2)
	v_mov_b32_e32 v15, v21
	v_mov_b32_dpp v13, v21 row_shr:1 row_mask:0xf bank_mask:0xf
	v_mov_b32_dpp v18, v14 row_shr:1 row_mask:0xf bank_mask:0xf
	v_dual_mov_b32 v17, v21 :: v_dual_mov_b32 v16, v22
	s_and_saveexec_b32 s1, s0
; %bb.26:
	s_delay_alu instid0(VALU_DEP_3) | instskip(SKIP_1) | instid1(VALU_DEP_2)
	v_add_co_u32 v17, vcc_lo, v21, v13
	v_add_co_ci_u32_e32 v14, vcc_lo, 0, v22, vcc_lo
	v_add_co_u32 v13, vcc_lo, 0, v17
	s_delay_alu instid0(VALU_DEP_2) | instskip(NEXT) | instid1(VALU_DEP_1)
	v_add_co_ci_u32_e32 v14, vcc_lo, v18, v14, vcc_lo
	v_dual_mov_b32 v16, v14 :: v_dual_mov_b32 v15, v13
; %bb.27:
	s_or_b32 exec_lo, exec_lo, s1
	v_mov_b32_dpp v13, v17 row_shr:2 row_mask:0xf bank_mask:0xf
	v_mov_b32_dpp v18, v14 row_shr:2 row_mask:0xf bank_mask:0xf
	s_mov_b32 s1, exec_lo
	v_cmpx_lt_u32_e32 1, v44
; %bb.28:
	s_delay_alu instid0(VALU_DEP_3) | instskip(SKIP_1) | instid1(VALU_DEP_2)
	v_add_co_u32 v17, vcc_lo, v15, v13
	v_add_co_ci_u32_e32 v14, vcc_lo, 0, v16, vcc_lo
	v_add_co_u32 v13, vcc_lo, 0, v17
	s_delay_alu instid0(VALU_DEP_2) | instskip(NEXT) | instid1(VALU_DEP_1)
	v_add_co_ci_u32_e32 v14, vcc_lo, v18, v14, vcc_lo
	v_dual_mov_b32 v16, v14 :: v_dual_mov_b32 v15, v13
; %bb.29:
	s_or_b32 exec_lo, exec_lo, s1
	v_mov_b32_dpp v13, v17 row_shr:4 row_mask:0xf bank_mask:0xf
	v_mov_b32_dpp v18, v14 row_shr:4 row_mask:0xf bank_mask:0xf
	s_mov_b32 s1, exec_lo
	v_cmpx_lt_u32_e32 3, v44
	;; [unrolled: 14-line block ×3, first 2 shown]
; %bb.32:
	s_delay_alu instid0(VALU_DEP_3) | instskip(SKIP_1) | instid1(VALU_DEP_2)
	v_add_co_u32 v17, vcc_lo, v15, v18
	v_add_co_ci_u32_e32 v14, vcc_lo, 0, v16, vcc_lo
	v_add_co_u32 v15, vcc_lo, 0, v17
	s_delay_alu instid0(VALU_DEP_2) | instskip(NEXT) | instid1(VALU_DEP_1)
	v_add_co_ci_u32_e32 v16, vcc_lo, v13, v14, vcc_lo
	v_mov_b32_e32 v14, v16
; %bb.33:
	s_or_b32 exec_lo, exec_lo, s1
	ds_swizzle_b32 v13, v17 offset:swizzle(BROADCAST,32,15)
	ds_swizzle_b32 v18, v14 offset:swizzle(BROADCAST,32,15)
	v_and_b32_e32 v19, 16, v42
	s_mov_b32 s1, exec_lo
	s_delay_alu instid0(VALU_DEP_1)
	v_cmpx_ne_u32_e32 0, v19
	s_cbranch_execz .LBB472_35
; %bb.34:
	s_waitcnt lgkmcnt(1)
	v_add_co_u32 v17, vcc_lo, v15, v13
	v_add_co_ci_u32_e32 v14, vcc_lo, 0, v16, vcc_lo
	s_delay_alu instid0(VALU_DEP_2) | instskip(SKIP_1) | instid1(VALU_DEP_2)
	v_add_co_u32 v13, vcc_lo, 0, v17
	s_waitcnt lgkmcnt(0)
	v_add_co_ci_u32_e32 v14, vcc_lo, v18, v14, vcc_lo
	s_delay_alu instid0(VALU_DEP_1)
	v_dual_mov_b32 v16, v14 :: v_dual_mov_b32 v15, v13
.LBB472_35:
	s_or_b32 exec_lo, exec_lo, s1
	s_waitcnt lgkmcnt(0)
	v_or_b32_e32 v18, 31, v0
	v_lshrrev_b32_e32 v13, 5, v0
	s_mov_b32 s1, exec_lo
	s_delay_alu instid0(VALU_DEP_2)
	v_cmpx_eq_u32_e64 v18, v0
	s_cbranch_execz .LBB472_37
; %bb.36:
	s_delay_alu instid0(VALU_DEP_2)
	v_lshlrev_b32_e32 v18, 3, v13
	ds_store_b64 v18, v[15:16]
.LBB472_37:
	s_or_b32 exec_lo, exec_lo, s1
	s_delay_alu instid0(SALU_CYCLE_1)
	s_mov_b32 s1, exec_lo
	s_waitcnt lgkmcnt(0)
	s_barrier
	buffer_gl0_inv
	v_cmpx_gt_u32_e32 4, v0
	s_cbranch_execz .LBB472_43
; %bb.38:
	v_lshlrev_b32_e32 v18, 3, v0
	s_mov_b32 s10, exec_lo
	ds_load_b64 v[15:16], v18
	s_waitcnt lgkmcnt(0)
	v_dual_mov_b32 v20, v15 :: v_dual_and_b32 v19, 3, v42
	v_mov_b32_dpp v24, v15 row_shr:1 row_mask:0xf bank_mask:0xf
	v_mov_b32_dpp v23, v16 row_shr:1 row_mask:0xf bank_mask:0xf
	s_delay_alu instid0(VALU_DEP_3)
	v_cmpx_ne_u32_e32 0, v19
; %bb.39:
	s_delay_alu instid0(VALU_DEP_3) | instskip(SKIP_1) | instid1(VALU_DEP_2)
	v_add_co_u32 v20, vcc_lo, v15, v24
	v_add_co_ci_u32_e32 v16, vcc_lo, 0, v16, vcc_lo
	v_add_co_u32 v15, vcc_lo, 0, v20
	s_delay_alu instid0(VALU_DEP_2)
	v_add_co_ci_u32_e32 v16, vcc_lo, v23, v16, vcc_lo
; %bb.40:
	s_or_b32 exec_lo, exec_lo, s10
	v_mov_b32_dpp v23, v20 row_shr:2 row_mask:0xf bank_mask:0xf
	s_delay_alu instid0(VALU_DEP_2)
	v_mov_b32_dpp v20, v16 row_shr:2 row_mask:0xf bank_mask:0xf
	s_mov_b32 s10, exec_lo
	v_cmpx_lt_u32_e32 1, v19
; %bb.41:
	s_delay_alu instid0(VALU_DEP_3) | instskip(SKIP_1) | instid1(VALU_DEP_2)
	v_add_co_u32 v15, vcc_lo, v15, v23
	v_add_co_ci_u32_e32 v16, vcc_lo, 0, v16, vcc_lo
	v_add_co_u32 v15, vcc_lo, v15, 0
	s_delay_alu instid0(VALU_DEP_2)
	v_add_co_ci_u32_e32 v16, vcc_lo, v16, v20, vcc_lo
; %bb.42:
	s_or_b32 exec_lo, exec_lo, s10
	ds_store_b64 v18, v[15:16]
.LBB472_43:
	s_or_b32 exec_lo, exec_lo, s1
	v_cmp_gt_u32_e32 vcc_lo, 32, v0
	s_mov_b32 s10, exec_lo
	s_waitcnt lgkmcnt(0)
	s_barrier
	buffer_gl0_inv
                                        ; implicit-def: $vgpr23_vgpr24
	v_cmpx_lt_u32_e32 31, v0
	s_cbranch_execz .LBB472_45
; %bb.44:
	v_lshl_add_u32 v13, v13, 3, -8
	ds_load_b64 v[23:24], v13
	s_waitcnt lgkmcnt(0)
	v_add_co_u32 v17, s1, v17, v23
	s_delay_alu instid0(VALU_DEP_1)
	v_add_co_ci_u32_e64 v14, s1, v14, v24, s1
.LBB472_45:
	s_or_b32 exec_lo, exec_lo, s10
	v_add_nc_u32_e32 v13, -1, v42
	s_delay_alu instid0(VALU_DEP_1) | instskip(NEXT) | instid1(VALU_DEP_1)
	v_cmp_gt_i32_e64 s1, 0, v13
	v_cndmask_b32_e64 v13, v13, v42, s1
	v_cmp_eq_u32_e64 s1, 0, v42
	s_delay_alu instid0(VALU_DEP_2)
	v_lshlrev_b32_e32 v13, 2, v13
	ds_bpermute_b32 v29, v13, v17
	ds_bpermute_b32 v30, v13, v14
	s_and_saveexec_b32 s10, vcc_lo
	s_cbranch_execz .LBB472_88
; %bb.46:
	v_mov_b32_e32 v16, 0
	ds_load_b64 v[13:14], v16 offset:24
	s_and_saveexec_b32 s11, s1
	s_cbranch_execz .LBB472_48
; %bb.47:
	s_add_i32 s16, s9, 32
	s_mov_b32 s17, 0
	s_delay_alu instid0(SALU_CYCLE_1) | instskip(NEXT) | instid1(SALU_CYCLE_1)
	s_lshl_b64 s[16:17], s[16:17], 4
	s_add_u32 s16, s14, s16
	s_addc_u32 s17, s15, s17
	s_delay_alu instid0(SALU_CYCLE_1)
	v_dual_mov_b32 v15, 1 :: v_dual_mov_b32 v18, s17
	v_mov_b32_e32 v17, s16
	s_waitcnt lgkmcnt(0)
	;;#ASMSTART
	global_store_dwordx4 v[17:18], v[13:16] off	
s_waitcnt vmcnt(0)
	;;#ASMEND
.LBB472_48:
	s_or_b32 exec_lo, exec_lo, s11
	v_xad_u32 v25, v42, -1, s9
	s_mov_b32 s16, 0
	s_mov_b32 s11, exec_lo
	s_delay_alu instid0(VALU_DEP_1) | instskip(NEXT) | instid1(VALU_DEP_1)
	v_add_nc_u32_e32 v15, 32, v25
	v_lshlrev_b64 v[15:16], 4, v[15:16]
	s_delay_alu instid0(VALU_DEP_1) | instskip(NEXT) | instid1(VALU_DEP_2)
	v_add_co_u32 v15, vcc_lo, s14, v15
	v_add_co_ci_u32_e32 v16, vcc_lo, s15, v16, vcc_lo
	;;#ASMSTART
	global_load_dwordx4 v[17:20], v[15:16] off glc	
s_waitcnt vmcnt(0)
	;;#ASMEND
	v_and_b32_e32 v20, 0xff, v18
	v_and_b32_e32 v26, 0xff00, v18
	v_or3_b32 v17, v17, 0, 0
	v_and_b32_e32 v27, 0xff000000, v18
	v_and_b32_e32 v18, 0xff0000, v18
	s_delay_alu instid0(VALU_DEP_4) | instskip(SKIP_2) | instid1(VALU_DEP_3)
	v_or3_b32 v20, 0, v20, v26
	v_and_b32_e32 v26, 0xff, v19
	v_or3_b32 v17, v17, 0, 0
	v_or3_b32 v18, v20, v18, v27
	s_delay_alu instid0(VALU_DEP_3)
	v_cmpx_eq_u16_e32 0, v26
	s_cbranch_execz .LBB472_54
; %bb.49:
	s_mov_b32 s17, 1
	.p2align	6
.LBB472_50:                             ; =>This Loop Header: Depth=1
                                        ;     Child Loop BB472_51 Depth 2
	s_delay_alu instid0(SALU_CYCLE_1)
	s_max_u32 s18, s17, 1
.LBB472_51:                             ;   Parent Loop BB472_50 Depth=1
                                        ; =>  This Inner Loop Header: Depth=2
	s_delay_alu instid0(SALU_CYCLE_1)
	s_add_i32 s18, s18, -1
	s_sleep 1
	s_cmp_eq_u32 s18, 0
	s_cbranch_scc0 .LBB472_51
; %bb.52:                               ;   in Loop: Header=BB472_50 Depth=1
	;;#ASMSTART
	global_load_dwordx4 v[17:20], v[15:16] off glc	
s_waitcnt vmcnt(0)
	;;#ASMEND
	v_and_b32_e32 v20, 0xff, v19
	s_cmp_lt_u32 s17, 32
	s_cselect_b32 s18, -1, 0
	s_delay_alu instid0(SALU_CYCLE_1) | instskip(NEXT) | instid1(VALU_DEP_1)
	s_cmp_lg_u32 s18, 0
	v_cmp_ne_u16_e32 vcc_lo, 0, v20
	s_addc_u32 s17, s17, 0
	s_or_b32 s16, vcc_lo, s16
	s_delay_alu instid0(SALU_CYCLE_1)
	s_and_not1_b32 exec_lo, exec_lo, s16
	s_cbranch_execnz .LBB472_50
; %bb.53:
	s_or_b32 exec_lo, exec_lo, s16
.LBB472_54:
	s_delay_alu instid0(SALU_CYCLE_1)
	s_or_b32 exec_lo, exec_lo, s11
	v_cmp_ne_u32_e32 vcc_lo, 31, v42
	v_and_b32_e32 v16, 0xff, v19
	v_lshlrev_b32_e64 v46, v42, -1
	s_mov_b32 s11, exec_lo
	v_add_co_ci_u32_e32 v15, vcc_lo, 0, v42, vcc_lo
	s_delay_alu instid0(VALU_DEP_3) | instskip(NEXT) | instid1(VALU_DEP_2)
	v_cmp_eq_u16_e32 vcc_lo, 2, v16
	v_dual_mov_b32 v16, v17 :: v_dual_lshlrev_b32 v45, 2, v15
	v_and_or_b32 v15, vcc_lo, v46, 0x80000000
	ds_bpermute_b32 v26, v45, v17
	ds_bpermute_b32 v20, v45, v18
	v_ctz_i32_b32_e32 v15, v15
	s_delay_alu instid0(VALU_DEP_1)
	v_cmpx_lt_u32_e64 v42, v15
	s_cbranch_execz .LBB472_56
; %bb.55:
	s_waitcnt lgkmcnt(1)
	v_add_co_u32 v16, vcc_lo, v17, v26
	v_add_co_ci_u32_e32 v18, vcc_lo, 0, v18, vcc_lo
	s_delay_alu instid0(VALU_DEP_2) | instskip(SKIP_1) | instid1(VALU_DEP_2)
	v_add_co_u32 v17, vcc_lo, 0, v16
	s_waitcnt lgkmcnt(0)
	v_add_co_ci_u32_e32 v18, vcc_lo, v20, v18, vcc_lo
.LBB472_56:
	s_or_b32 exec_lo, exec_lo, s11
	v_cmp_gt_u32_e32 vcc_lo, 30, v42
	v_add_nc_u32_e32 v48, 2, v42
	s_mov_b32 s11, exec_lo
	s_waitcnt lgkmcnt(0)
	v_cndmask_b32_e64 v20, 0, 1, vcc_lo
	s_delay_alu instid0(VALU_DEP_1) | instskip(NEXT) | instid1(VALU_DEP_1)
	v_lshlrev_b32_e32 v20, 1, v20
	v_add_lshl_u32 v47, v20, v42, 2
	ds_bpermute_b32 v26, v47, v16
	ds_bpermute_b32 v20, v47, v18
	v_cmpx_le_u32_e64 v48, v15
	s_cbranch_execz .LBB472_58
; %bb.57:
	s_waitcnt lgkmcnt(1)
	v_add_co_u32 v16, vcc_lo, v17, v26
	v_add_co_ci_u32_e32 v18, vcc_lo, 0, v18, vcc_lo
	s_delay_alu instid0(VALU_DEP_2) | instskip(SKIP_1) | instid1(VALU_DEP_2)
	v_add_co_u32 v17, vcc_lo, 0, v16
	s_waitcnt lgkmcnt(0)
	v_add_co_ci_u32_e32 v18, vcc_lo, v20, v18, vcc_lo
.LBB472_58:
	s_or_b32 exec_lo, exec_lo, s11
	v_cmp_gt_u32_e32 vcc_lo, 28, v42
	v_add_nc_u32_e32 v50, 4, v42
	s_mov_b32 s11, exec_lo
	s_waitcnt lgkmcnt(0)
	v_cndmask_b32_e64 v20, 0, 1, vcc_lo
	s_delay_alu instid0(VALU_DEP_1) | instskip(NEXT) | instid1(VALU_DEP_1)
	v_lshlrev_b32_e32 v20, 2, v20
	v_add_lshl_u32 v49, v20, v42, 2
	ds_bpermute_b32 v26, v49, v16
	ds_bpermute_b32 v20, v49, v18
	v_cmpx_le_u32_e64 v50, v15
	;; [unrolled: 22-line block ×4, first 2 shown]
	s_cbranch_execz .LBB472_64
; %bb.63:
	s_waitcnt lgkmcnt(1)
	v_add_co_u32 v15, vcc_lo, v17, v20
	v_add_co_ci_u32_e32 v18, vcc_lo, 0, v18, vcc_lo
	s_delay_alu instid0(VALU_DEP_2) | instskip(SKIP_1) | instid1(VALU_DEP_2)
	v_add_co_u32 v17, vcc_lo, v15, 0
	s_waitcnt lgkmcnt(0)
	v_add_co_ci_u32_e32 v18, vcc_lo, v18, v16, vcc_lo
.LBB472_64:
	s_or_b32 exec_lo, exec_lo, s11
	v_mov_b32_e32 v26, 0
	s_branch .LBB472_66
.LBB472_65:                             ;   in Loop: Header=BB472_66 Depth=1
	s_or_b32 exec_lo, exec_lo, s11
	v_add_co_u32 v17, vcc_lo, v17, v15
	v_subrev_nc_u32_e32 v25, 32, v25
	v_add_co_ci_u32_e32 v18, vcc_lo, v18, v16, vcc_lo
.LBB472_66:                             ; =>This Loop Header: Depth=1
                                        ;     Child Loop BB472_69 Depth 2
                                        ;       Child Loop BB472_70 Depth 3
	v_and_b32_e32 v15, 0xff, v19
	s_delay_alu instid0(VALU_DEP_1) | instskip(SKIP_2) | instid1(VALU_DEP_1)
	v_cmp_ne_u16_e32 vcc_lo, 2, v15
	v_cndmask_b32_e64 v15, 0, 1, vcc_lo
	;;#ASMSTART
	;;#ASMEND
	v_cmp_ne_u32_e32 vcc_lo, 0, v15
	s_waitcnt lgkmcnt(0)
	v_dual_mov_b32 v15, v17 :: v_dual_mov_b32 v16, v18
	s_cmp_lg_u32 vcc_lo, exec_lo
	s_cbranch_scc1 .LBB472_83
; %bb.67:                               ;   in Loop: Header=BB472_66 Depth=1
	v_lshlrev_b64 v[17:18], 4, v[25:26]
	s_mov_b32 s11, exec_lo
	s_delay_alu instid0(VALU_DEP_1) | instskip(NEXT) | instid1(VALU_DEP_2)
	v_add_co_u32 v27, vcc_lo, s14, v17
	v_add_co_ci_u32_e32 v28, vcc_lo, s15, v18, vcc_lo
	;;#ASMSTART
	global_load_dwordx4 v[17:20], v[27:28] off glc	
s_waitcnt vmcnt(0)
	;;#ASMEND
	v_and_b32_e32 v20, 0xff, v18
	v_and_b32_e32 v55, 0xff00, v18
	v_or3_b32 v17, v17, 0, 0
	v_and_b32_e32 v56, 0xff000000, v18
	v_and_b32_e32 v18, 0xff0000, v18
	s_delay_alu instid0(VALU_DEP_4) | instskip(SKIP_2) | instid1(VALU_DEP_3)
	v_or3_b32 v20, 0, v20, v55
	v_and_b32_e32 v55, 0xff, v19
	v_or3_b32 v17, v17, 0, 0
	v_or3_b32 v18, v20, v18, v56
	s_delay_alu instid0(VALU_DEP_3)
	v_cmpx_eq_u16_e32 0, v55
	s_cbranch_execz .LBB472_73
; %bb.68:                               ;   in Loop: Header=BB472_66 Depth=1
	s_mov_b32 s17, 1
	s_mov_b32 s16, 0
	.p2align	6
.LBB472_69:                             ;   Parent Loop BB472_66 Depth=1
                                        ; =>  This Loop Header: Depth=2
                                        ;       Child Loop BB472_70 Depth 3
	s_max_u32 s18, s17, 1
.LBB472_70:                             ;   Parent Loop BB472_66 Depth=1
                                        ;     Parent Loop BB472_69 Depth=2
                                        ; =>    This Inner Loop Header: Depth=3
	s_delay_alu instid0(SALU_CYCLE_1)
	s_add_i32 s18, s18, -1
	s_sleep 1
	s_cmp_eq_u32 s18, 0
	s_cbranch_scc0 .LBB472_70
; %bb.71:                               ;   in Loop: Header=BB472_69 Depth=2
	;;#ASMSTART
	global_load_dwordx4 v[17:20], v[27:28] off glc	
s_waitcnt vmcnt(0)
	;;#ASMEND
	v_and_b32_e32 v20, 0xff, v19
	s_cmp_lt_u32 s17, 32
	s_cselect_b32 s18, -1, 0
	s_delay_alu instid0(SALU_CYCLE_1) | instskip(NEXT) | instid1(VALU_DEP_1)
	s_cmp_lg_u32 s18, 0
	v_cmp_ne_u16_e32 vcc_lo, 0, v20
	s_addc_u32 s17, s17, 0
	s_or_b32 s16, vcc_lo, s16
	s_delay_alu instid0(SALU_CYCLE_1)
	s_and_not1_b32 exec_lo, exec_lo, s16
	s_cbranch_execnz .LBB472_69
; %bb.72:                               ;   in Loop: Header=BB472_66 Depth=1
	s_or_b32 exec_lo, exec_lo, s16
.LBB472_73:                             ;   in Loop: Header=BB472_66 Depth=1
	s_delay_alu instid0(SALU_CYCLE_1)
	s_or_b32 exec_lo, exec_lo, s11
	v_dual_mov_b32 v27, v17 :: v_dual_and_b32 v20, 0xff, v19
	ds_bpermute_b32 v55, v45, v17
	ds_bpermute_b32 v28, v45, v18
	s_mov_b32 s11, exec_lo
	v_cmp_eq_u16_e32 vcc_lo, 2, v20
	v_and_or_b32 v20, vcc_lo, v46, 0x80000000
	s_delay_alu instid0(VALU_DEP_1) | instskip(NEXT) | instid1(VALU_DEP_1)
	v_ctz_i32_b32_e32 v20, v20
	v_cmpx_lt_u32_e64 v42, v20
	s_cbranch_execz .LBB472_75
; %bb.74:                               ;   in Loop: Header=BB472_66 Depth=1
	s_waitcnt lgkmcnt(1)
	v_add_co_u32 v27, vcc_lo, v17, v55
	v_add_co_ci_u32_e32 v18, vcc_lo, 0, v18, vcc_lo
	s_delay_alu instid0(VALU_DEP_2) | instskip(SKIP_1) | instid1(VALU_DEP_2)
	v_add_co_u32 v17, vcc_lo, 0, v27
	s_waitcnt lgkmcnt(0)
	v_add_co_ci_u32_e32 v18, vcc_lo, v28, v18, vcc_lo
.LBB472_75:                             ;   in Loop: Header=BB472_66 Depth=1
	s_or_b32 exec_lo, exec_lo, s11
	s_waitcnt lgkmcnt(1)
	ds_bpermute_b32 v55, v47, v27
	s_waitcnt lgkmcnt(1)
	ds_bpermute_b32 v28, v47, v18
	s_mov_b32 s11, exec_lo
	v_cmpx_le_u32_e64 v48, v20
	s_cbranch_execz .LBB472_77
; %bb.76:                               ;   in Loop: Header=BB472_66 Depth=1
	s_waitcnt lgkmcnt(1)
	v_add_co_u32 v27, vcc_lo, v17, v55
	v_add_co_ci_u32_e32 v18, vcc_lo, 0, v18, vcc_lo
	s_delay_alu instid0(VALU_DEP_2) | instskip(SKIP_1) | instid1(VALU_DEP_2)
	v_add_co_u32 v17, vcc_lo, 0, v27
	s_waitcnt lgkmcnt(0)
	v_add_co_ci_u32_e32 v18, vcc_lo, v28, v18, vcc_lo
.LBB472_77:                             ;   in Loop: Header=BB472_66 Depth=1
	s_or_b32 exec_lo, exec_lo, s11
	s_waitcnt lgkmcnt(1)
	ds_bpermute_b32 v55, v49, v27
	s_waitcnt lgkmcnt(1)
	ds_bpermute_b32 v28, v49, v18
	s_mov_b32 s11, exec_lo
	v_cmpx_le_u32_e64 v50, v20
	;; [unrolled: 17-line block ×3, first 2 shown]
	s_cbranch_execz .LBB472_81
; %bb.80:                               ;   in Loop: Header=BB472_66 Depth=1
	s_waitcnt lgkmcnt(1)
	v_add_co_u32 v27, vcc_lo, v17, v55
	v_add_co_ci_u32_e32 v18, vcc_lo, 0, v18, vcc_lo
	s_delay_alu instid0(VALU_DEP_2) | instskip(SKIP_1) | instid1(VALU_DEP_2)
	v_add_co_u32 v17, vcc_lo, 0, v27
	s_waitcnt lgkmcnt(0)
	v_add_co_ci_u32_e32 v18, vcc_lo, v28, v18, vcc_lo
.LBB472_81:                             ;   in Loop: Header=BB472_66 Depth=1
	s_or_b32 exec_lo, exec_lo, s11
	s_waitcnt lgkmcnt(0)
	ds_bpermute_b32 v28, v53, v27
	ds_bpermute_b32 v27, v53, v18
	s_mov_b32 s11, exec_lo
	v_cmpx_le_u32_e64 v54, v20
	s_cbranch_execz .LBB472_65
; %bb.82:                               ;   in Loop: Header=BB472_66 Depth=1
	s_waitcnt lgkmcnt(1)
	v_add_co_u32 v17, vcc_lo, v17, v28
	v_add_co_ci_u32_e32 v18, vcc_lo, 0, v18, vcc_lo
	s_delay_alu instid0(VALU_DEP_2) | instskip(SKIP_1) | instid1(VALU_DEP_2)
	v_add_co_u32 v17, vcc_lo, v17, 0
	s_waitcnt lgkmcnt(0)
	v_add_co_ci_u32_e32 v18, vcc_lo, v18, v27, vcc_lo
	s_branch .LBB472_65
.LBB472_83:                             ;   in Loop: Header=BB472_66 Depth=1
                                        ; implicit-def: $vgpr17_vgpr18
	s_cbranch_execz .LBB472_66
; %bb.84:
	s_and_saveexec_b32 s11, s1
	s_cbranch_execz .LBB472_86
; %bb.85:
	s_add_i32 s16, s9, 32
	s_mov_b32 s17, 0
	v_add_co_u32 v17, vcc_lo, v15, v13
	s_lshl_b64 s[16:17], s[16:17], 4
	v_dual_mov_b32 v19, 2 :: v_dual_mov_b32 v20, 0
	s_add_u32 s16, s14, s16
	s_addc_u32 s17, s15, s17
	v_add_co_ci_u32_e32 v18, vcc_lo, v16, v14, vcc_lo
	v_dual_mov_b32 v26, s17 :: v_dual_mov_b32 v25, s16
	;;#ASMSTART
	global_store_dwordx4 v[25:26], v[17:20] off	
s_waitcnt vmcnt(0)
	;;#ASMEND
	ds_store_b128 v20, v[13:16] offset:6144
.LBB472_86:
	s_or_b32 exec_lo, exec_lo, s11
	s_delay_alu instid0(SALU_CYCLE_1)
	s_and_b32 exec_lo, exec_lo, s2
	s_cbranch_execz .LBB472_88
; %bb.87:
	v_mov_b32_e32 v13, 0
	ds_store_b64 v13, v[15:16] offset:24
.LBB472_88:
	s_or_b32 exec_lo, exec_lo, s10
	v_mov_b32_e32 v15, 0
	s_waitcnt lgkmcnt(0)
	s_barrier
	buffer_gl0_inv
	v_cndmask_b32_e64 v16, v29, v23, s1
	ds_load_b64 v[13:14], v15 offset:24
	v_cndmask_b32_e64 v17, v30, v24, s1
	s_waitcnt lgkmcnt(0)
	s_barrier
	v_cndmask_b32_e64 v16, v16, 0, s2
	buffer_gl0_inv
	v_cndmask_b32_e64 v17, v17, 0, s2
	v_add_co_u32 v29, vcc_lo, v13, v16
	s_delay_alu instid0(VALU_DEP_2) | instskip(SKIP_3) | instid1(VALU_DEP_2)
	v_add_co_ci_u32_e32 v30, vcc_lo, v14, v17, vcc_lo
	ds_load_b128 v[13:16], v15 offset:6144
	v_add_co_u32 v27, vcc_lo, v29, v41
	v_add_co_ci_u32_e32 v28, vcc_lo, 0, v30, vcc_lo
	v_add_co_u32 v25, vcc_lo, v27, v40
	s_delay_alu instid0(VALU_DEP_2) | instskip(NEXT) | instid1(VALU_DEP_2)
	v_add_co_ci_u32_e32 v26, vcc_lo, 0, v28, vcc_lo
	v_add_co_u32 v23, vcc_lo, v25, v39
	s_delay_alu instid0(VALU_DEP_2) | instskip(NEXT) | instid1(VALU_DEP_2)
	;; [unrolled: 3-line block ×3, first 2 shown]
	v_add_co_ci_u32_e32 v20, vcc_lo, 0, v24, vcc_lo
	v_add_co_u32 v17, vcc_lo, v19, v37
	s_delay_alu instid0(VALU_DEP_2)
	v_add_co_ci_u32_e32 v18, vcc_lo, 0, v20, vcc_lo
.LBB472_89:
	s_waitcnt lgkmcnt(0)
	v_cmp_gt_u64_e32 vcc_lo, 0x81, v[13:14]
	s_mov_b32 s0, -1
	s_cbranch_vccnz .LBB472_117
.LBB472_90:
	s_and_b32 vcc_lo, exec_lo, s0
	s_cbranch_vccnz .LBB472_136
.LBB472_91:
	s_and_b32 s0, s2, s3
	s_delay_alu instid0(SALU_CYCLE_1)
	s_and_saveexec_b32 s1, s0
	s_cbranch_execnz .LBB472_152
.LBB472_92:
	s_nop 0
	s_sendmsg sendmsg(MSG_DEALLOC_VGPRS)
	s_endpgm
.LBB472_93:
                                        ; kill: def $vgpr13_vgpr14 killed $sgpr0_sgpr1 killed $exec
                                        ; implicit-def: $vgpr17_vgpr18
                                        ; implicit-def: $vgpr19_vgpr20
                                        ; implicit-def: $vgpr23_vgpr24
                                        ; implicit-def: $vgpr25_vgpr26
                                        ; implicit-def: $vgpr27_vgpr28
                                        ; implicit-def: $vgpr29_vgpr30
                                        ; implicit-def: $vgpr15_vgpr16
	s_and_b32 vcc_lo, exec_lo, s1
	s_cbranch_vccz .LBB472_89
; %bb.94:
	s_waitcnt lgkmcnt(0)
	v_dual_mov_b32 v14, 0 :: v_dual_mov_b32 v15, v21
	v_mov_b32_dpp v16, v21 row_shr:1 row_mask:0xf bank_mask:0xf
	s_delay_alu instid0(VALU_DEP_2)
	v_mov_b32_dpp v13, v14 row_shr:1 row_mask:0xf bank_mask:0xf
	s_and_saveexec_b32 s1, s0
; %bb.95:
	s_delay_alu instid0(VALU_DEP_2) | instskip(SKIP_1) | instid1(VALU_DEP_2)
	v_add_co_u32 v15, vcc_lo, v21, v16
	v_add_co_ci_u32_e32 v14, vcc_lo, 0, v22, vcc_lo
	v_add_co_u32 v21, vcc_lo, 0, v15
	s_delay_alu instid0(VALU_DEP_2) | instskip(NEXT) | instid1(VALU_DEP_1)
	v_add_co_ci_u32_e32 v22, vcc_lo, v13, v14, vcc_lo
	v_mov_b32_e32 v14, v22
; %bb.96:
	s_or_b32 exec_lo, exec_lo, s1
	v_mov_b32_dpp v13, v15 row_shr:2 row_mask:0xf bank_mask:0xf
	s_delay_alu instid0(VALU_DEP_2)
	v_mov_b32_dpp v16, v14 row_shr:2 row_mask:0xf bank_mask:0xf
	s_mov_b32 s0, exec_lo
	v_cmpx_lt_u32_e32 1, v44
; %bb.97:
	s_delay_alu instid0(VALU_DEP_3) | instskip(SKIP_1) | instid1(VALU_DEP_2)
	v_add_co_u32 v15, vcc_lo, v21, v13
	v_add_co_ci_u32_e32 v14, vcc_lo, 0, v22, vcc_lo
	v_add_co_u32 v13, vcc_lo, 0, v15
	s_delay_alu instid0(VALU_DEP_2) | instskip(NEXT) | instid1(VALU_DEP_1)
	v_add_co_ci_u32_e32 v14, vcc_lo, v16, v14, vcc_lo
	v_dual_mov_b32 v22, v14 :: v_dual_mov_b32 v21, v13
; %bb.98:
	s_or_b32 exec_lo, exec_lo, s0
	v_mov_b32_dpp v13, v15 row_shr:4 row_mask:0xf bank_mask:0xf
	v_mov_b32_dpp v16, v14 row_shr:4 row_mask:0xf bank_mask:0xf
	s_mov_b32 s0, exec_lo
	v_cmpx_lt_u32_e32 3, v44
; %bb.99:
	s_delay_alu instid0(VALU_DEP_3) | instskip(SKIP_1) | instid1(VALU_DEP_2)
	v_add_co_u32 v15, vcc_lo, v21, v13
	v_add_co_ci_u32_e32 v14, vcc_lo, 0, v22, vcc_lo
	v_add_co_u32 v13, vcc_lo, 0, v15
	s_delay_alu instid0(VALU_DEP_2) | instskip(NEXT) | instid1(VALU_DEP_1)
	v_add_co_ci_u32_e32 v14, vcc_lo, v16, v14, vcc_lo
	v_dual_mov_b32 v22, v14 :: v_dual_mov_b32 v21, v13
; %bb.100:
	s_or_b32 exec_lo, exec_lo, s0
	v_mov_b32_dpp v16, v15 row_shr:8 row_mask:0xf bank_mask:0xf
	v_mov_b32_dpp v13, v14 row_shr:8 row_mask:0xf bank_mask:0xf
	s_mov_b32 s0, exec_lo
	v_cmpx_lt_u32_e32 7, v44
; %bb.101:
	s_delay_alu instid0(VALU_DEP_3) | instskip(SKIP_1) | instid1(VALU_DEP_2)
	v_add_co_u32 v15, vcc_lo, v21, v16
	v_add_co_ci_u32_e32 v14, vcc_lo, 0, v22, vcc_lo
	v_add_co_u32 v21, vcc_lo, 0, v15
	s_delay_alu instid0(VALU_DEP_2) | instskip(NEXT) | instid1(VALU_DEP_1)
	v_add_co_ci_u32_e32 v22, vcc_lo, v13, v14, vcc_lo
	v_mov_b32_e32 v14, v22
; %bb.102:
	s_or_b32 exec_lo, exec_lo, s0
	ds_swizzle_b32 v15, v15 offset:swizzle(BROADCAST,32,15)
	ds_swizzle_b32 v13, v14 offset:swizzle(BROADCAST,32,15)
	v_and_b32_e32 v14, 16, v42
	s_mov_b32 s0, exec_lo
	s_delay_alu instid0(VALU_DEP_1)
	v_cmpx_ne_u32_e32 0, v14
	s_cbranch_execz .LBB472_104
; %bb.103:
	s_waitcnt lgkmcnt(1)
	v_add_co_u32 v14, vcc_lo, v21, v15
	v_add_co_ci_u32_e32 v15, vcc_lo, 0, v22, vcc_lo
	s_delay_alu instid0(VALU_DEP_2) | instskip(SKIP_1) | instid1(VALU_DEP_2)
	v_add_co_u32 v21, vcc_lo, v14, 0
	s_waitcnt lgkmcnt(0)
	v_add_co_ci_u32_e32 v22, vcc_lo, v15, v13, vcc_lo
.LBB472_104:
	s_or_b32 exec_lo, exec_lo, s0
	s_waitcnt lgkmcnt(0)
	v_or_b32_e32 v13, 31, v0
	v_lshrrev_b32_e32 v15, 5, v0
	s_mov_b32 s0, exec_lo
	s_delay_alu instid0(VALU_DEP_2)
	v_cmpx_eq_u32_e64 v13, v0
	s_cbranch_execz .LBB472_106
; %bb.105:
	s_delay_alu instid0(VALU_DEP_2)
	v_lshlrev_b32_e32 v13, 3, v15
	ds_store_b64 v13, v[21:22]
.LBB472_106:
	s_or_b32 exec_lo, exec_lo, s0
	s_delay_alu instid0(SALU_CYCLE_1)
	s_mov_b32 s0, exec_lo
	s_waitcnt lgkmcnt(0)
	s_barrier
	buffer_gl0_inv
	v_cmpx_gt_u32_e32 4, v0
	s_cbranch_execz .LBB472_112
; %bb.107:
	v_lshlrev_b32_e32 v13, 1, v0
	s_mov_b32 s1, exec_lo
	s_delay_alu instid0(VALU_DEP_1)
	v_add_nc_u32_e32 v16, v43, v13
	ds_load_b64 v[13:14], v16
	s_waitcnt lgkmcnt(0)
	v_dual_mov_b32 v18, v13 :: v_dual_and_b32 v17, 3, v42
	v_mov_b32_dpp v20, v13 row_shr:1 row_mask:0xf bank_mask:0xf
	v_mov_b32_dpp v19, v14 row_shr:1 row_mask:0xf bank_mask:0xf
	s_delay_alu instid0(VALU_DEP_3)
	v_cmpx_ne_u32_e32 0, v17
; %bb.108:
	s_delay_alu instid0(VALU_DEP_3) | instskip(SKIP_1) | instid1(VALU_DEP_2)
	v_add_co_u32 v18, vcc_lo, v13, v20
	v_add_co_ci_u32_e32 v14, vcc_lo, 0, v14, vcc_lo
	v_add_co_u32 v13, vcc_lo, 0, v18
	s_delay_alu instid0(VALU_DEP_2)
	v_add_co_ci_u32_e32 v14, vcc_lo, v19, v14, vcc_lo
; %bb.109:
	s_or_b32 exec_lo, exec_lo, s1
	v_mov_b32_dpp v19, v18 row_shr:2 row_mask:0xf bank_mask:0xf
	s_delay_alu instid0(VALU_DEP_2)
	v_mov_b32_dpp v18, v14 row_shr:2 row_mask:0xf bank_mask:0xf
	s_mov_b32 s1, exec_lo
	v_cmpx_lt_u32_e32 1, v17
; %bb.110:
	s_delay_alu instid0(VALU_DEP_3) | instskip(SKIP_1) | instid1(VALU_DEP_2)
	v_add_co_u32 v13, vcc_lo, v13, v19
	v_add_co_ci_u32_e32 v14, vcc_lo, 0, v14, vcc_lo
	v_add_co_u32 v13, vcc_lo, v13, 0
	s_delay_alu instid0(VALU_DEP_2)
	v_add_co_ci_u32_e32 v14, vcc_lo, v14, v18, vcc_lo
; %bb.111:
	s_or_b32 exec_lo, exec_lo, s1
	ds_store_b64 v16, v[13:14]
.LBB472_112:
	s_or_b32 exec_lo, exec_lo, s0
	v_mov_b32_e32 v17, 0
	v_mov_b32_e32 v18, 0
	s_mov_b32 s0, exec_lo
	s_waitcnt lgkmcnt(0)
	s_barrier
	buffer_gl0_inv
	v_cmpx_lt_u32_e32 31, v0
	s_cbranch_execz .LBB472_114
; %bb.113:
	v_lshl_add_u32 v13, v15, 3, -8
	ds_load_b64 v[17:18], v13
.LBB472_114:
	s_or_b32 exec_lo, exec_lo, s0
	v_dual_mov_b32 v16, 0 :: v_dual_add_nc_u32 v13, -1, v42
	s_delay_alu instid0(VALU_DEP_1) | instskip(SKIP_4) | instid1(VALU_DEP_3)
	v_cmp_gt_i32_e32 vcc_lo, 0, v13
	v_cndmask_b32_e32 v13, v13, v42, vcc_lo
	s_waitcnt lgkmcnt(0)
	v_add_co_u32 v14, vcc_lo, v17, v21
	v_add_co_ci_u32_e32 v15, vcc_lo, v18, v22, vcc_lo
	v_lshlrev_b32_e32 v13, 2, v13
	ds_bpermute_b32 v19, v13, v14
	ds_bpermute_b32 v20, v13, v15
	ds_load_b64 v[13:14], v16 offset:24
	s_and_saveexec_b32 s0, s2
	s_cbranch_execz .LBB472_116
; %bb.115:
	s_add_u32 s10, s14, 0x200
	s_addc_u32 s11, s15, 0
	s_delay_alu instid0(SALU_CYCLE_1)
	v_dual_mov_b32 v15, 2 :: v_dual_mov_b32 v22, s11
	v_mov_b32_e32 v21, s10
	s_waitcnt lgkmcnt(0)
	;;#ASMSTART
	global_store_dwordx4 v[21:22], v[13:16] off	
s_waitcnt vmcnt(0)
	;;#ASMEND
.LBB472_116:
	s_or_b32 exec_lo, exec_lo, s0
	v_cmp_eq_u32_e32 vcc_lo, 0, v42
	s_waitcnt lgkmcnt(0)
	s_barrier
	buffer_gl0_inv
	v_dual_cndmask_b32 v15, v19, v17 :: v_dual_cndmask_b32 v16, v20, v18
	s_delay_alu instid0(VALU_DEP_1) | instskip(NEXT) | instid1(VALU_DEP_2)
	v_cndmask_b32_e64 v29, v15, 0, s2
	v_cndmask_b32_e64 v30, v16, 0, s2
	v_mov_b32_e32 v15, 0
	v_mov_b32_e32 v16, 0
	s_delay_alu instid0(VALU_DEP_4) | instskip(NEXT) | instid1(VALU_DEP_4)
	v_add_co_u32 v27, vcc_lo, v29, v41
	v_add_co_ci_u32_e32 v28, vcc_lo, 0, v30, vcc_lo
	s_delay_alu instid0(VALU_DEP_2) | instskip(NEXT) | instid1(VALU_DEP_2)
	v_add_co_u32 v25, vcc_lo, v27, v40
	v_add_co_ci_u32_e32 v26, vcc_lo, 0, v28, vcc_lo
	s_delay_alu instid0(VALU_DEP_2) | instskip(NEXT) | instid1(VALU_DEP_2)
	;; [unrolled: 3-line block ×4, first 2 shown]
	v_add_co_u32 v17, vcc_lo, v19, v37
	v_add_co_ci_u32_e32 v18, vcc_lo, 0, v20, vcc_lo
	v_cmp_gt_u64_e32 vcc_lo, 0x81, v[13:14]
	s_mov_b32 s0, -1
	s_cbranch_vccz .LBB472_90
.LBB472_117:
	v_add_co_u32 v21, vcc_lo, v15, v13
	v_add_co_ci_u32_e32 v22, vcc_lo, v16, v14, vcc_lo
	s_delay_alu instid0(VALU_DEP_1) | instskip(SKIP_1) | instid1(SALU_CYCLE_1)
	v_cmp_lt_u64_e32 vcc_lo, v[29:30], v[21:22]
	s_or_b32 s1, s8, vcc_lo
	s_and_saveexec_b32 s0, s1
	s_cbranch_execz .LBB472_120
; %bb.118:
	v_and_b32_e32 v37, 1, v36
	s_delay_alu instid0(VALU_DEP_1)
	v_cmp_eq_u32_e32 vcc_lo, 1, v37
	s_and_b32 exec_lo, exec_lo, vcc_lo
	s_cbranch_execz .LBB472_120
; %bb.119:
	v_lshlrev_b64 v[37:38], 3, v[29:30]
	s_lshl_b64 s[10:11], s[6:7], 3
	s_delay_alu instid0(SALU_CYCLE_1) | instskip(SKIP_1) | instid1(VALU_DEP_1)
	s_add_u32 s1, s12, s10
	s_addc_u32 s9, s13, s11
	v_add_co_u32 v37, vcc_lo, s1, v37
	s_delay_alu instid0(VALU_DEP_2)
	v_add_co_ci_u32_e32 v38, vcc_lo, s9, v38, vcc_lo
	global_store_b64 v[37:38], v[9:10], off
.LBB472_120:
	s_or_b32 exec_lo, exec_lo, s0
	v_cmp_lt_u64_e32 vcc_lo, v[27:28], v[21:22]
	s_or_b32 s1, s8, vcc_lo
	s_delay_alu instid0(SALU_CYCLE_1)
	s_and_saveexec_b32 s0, s1
	s_cbranch_execz .LBB472_123
; %bb.121:
	v_and_b32_e32 v30, 1, v34
	s_delay_alu instid0(VALU_DEP_1)
	v_cmp_eq_u32_e32 vcc_lo, 1, v30
	s_and_b32 exec_lo, exec_lo, vcc_lo
	s_cbranch_execz .LBB472_123
; %bb.122:
	v_lshlrev_b64 v[37:38], 3, v[27:28]
	s_lshl_b64 s[10:11], s[6:7], 3
	s_delay_alu instid0(SALU_CYCLE_1) | instskip(SKIP_1) | instid1(VALU_DEP_1)
	s_add_u32 s1, s12, s10
	s_addc_u32 s9, s13, s11
	v_add_co_u32 v37, vcc_lo, s1, v37
	s_delay_alu instid0(VALU_DEP_2)
	v_add_co_ci_u32_e32 v38, vcc_lo, s9, v38, vcc_lo
	global_store_b64 v[37:38], v[11:12], off
.LBB472_123:
	s_or_b32 exec_lo, exec_lo, s0
	v_cmp_lt_u64_e32 vcc_lo, v[25:26], v[21:22]
	s_or_b32 s1, s8, vcc_lo
	s_delay_alu instid0(SALU_CYCLE_1)
	;; [unrolled: 23-line block ×5, first 2 shown]
	s_and_saveexec_b32 s0, s1
	s_cbranch_execz .LBB472_135
; %bb.133:
	v_and_b32_e32 v20, 1, v32
	s_delay_alu instid0(VALU_DEP_1)
	v_cmp_eq_u32_e32 vcc_lo, 1, v20
	s_and_b32 exec_lo, exec_lo, vcc_lo
	s_cbranch_execz .LBB472_135
; %bb.134:
	v_lshlrev_b64 v[20:21], 3, v[17:18]
	s_lshl_b64 s[8:9], s[6:7], 3
	s_delay_alu instid0(SALU_CYCLE_1) | instskip(SKIP_1) | instid1(VALU_DEP_1)
	s_add_u32 s1, s12, s8
	s_addc_u32 s8, s13, s9
	v_add_co_u32 v20, vcc_lo, s1, v20
	s_delay_alu instid0(VALU_DEP_2)
	v_add_co_ci_u32_e32 v21, vcc_lo, s8, v21, vcc_lo
	global_store_b64 v[20:21], v[3:4], off
.LBB472_135:
	s_or_b32 exec_lo, exec_lo, s0
	s_branch .LBB472_91
.LBB472_136:
	v_and_b32_e32 v18, 1, v36
	s_mov_b32 s0, exec_lo
	s_delay_alu instid0(VALU_DEP_1)
	v_cmpx_eq_u32_e32 1, v18
	s_cbranch_execz .LBB472_138
; %bb.137:
	v_sub_nc_u32_e32 v18, v29, v15
	s_delay_alu instid0(VALU_DEP_1)
	v_lshlrev_b32_e32 v18, 3, v18
	ds_store_b64 v18, v[9:10]
.LBB472_138:
	s_or_b32 exec_lo, exec_lo, s0
	v_and_b32_e32 v9, 1, v34
	s_mov_b32 s0, exec_lo
	s_delay_alu instid0(VALU_DEP_1)
	v_cmpx_eq_u32_e32 1, v9
	s_cbranch_execz .LBB472_140
; %bb.139:
	v_sub_nc_u32_e32 v9, v27, v15
	s_delay_alu instid0(VALU_DEP_1)
	v_lshlrev_b32_e32 v9, 3, v9
	ds_store_b64 v9, v[11:12]
.LBB472_140:
	s_or_b32 exec_lo, exec_lo, s0
	;; [unrolled: 12-line block ×6, first 2 shown]
	v_mov_b32_e32 v1, 0
	s_mov_b32 s1, exec_lo
	s_waitcnt lgkmcnt(0)
	s_waitcnt_vscnt null, 0x0
	s_barrier
	buffer_gl0_inv
	v_cmpx_gt_u64_e64 v[13:14], v[0:1]
	s_cbranch_execz .LBB472_151
; %bb.149:
	v_lshlrev_b64 v[4:5], 3, v[15:16]
	s_lshl_b64 s[8:9], s[6:7], 3
	v_dual_mov_b32 v3, v1 :: v_dual_mov_b32 v2, v0
	v_or_b32_e32 v0, 0x80, v0
	s_delay_alu instid0(VALU_DEP_3) | instskip(NEXT) | instid1(VALU_DEP_4)
	v_add_co_u32 v4, vcc_lo, s12, v4
	v_add_co_ci_u32_e32 v5, vcc_lo, s13, v5, vcc_lo
	s_delay_alu instid0(VALU_DEP_2) | instskip(NEXT) | instid1(VALU_DEP_2)
	v_add_co_u32 v4, vcc_lo, v4, s8
	v_add_co_ci_u32_e32 v5, vcc_lo, s9, v5, vcc_lo
	s_mov_b32 s8, 0
	.p2align	6
.LBB472_150:                            ; =>This Inner Loop Header: Depth=1
	v_lshlrev_b32_e32 v6, 3, v2
	v_lshlrev_b64 v[8:9], 3, v[2:3]
	v_mov_b32_e32 v3, v1
	v_cmp_le_u64_e32 vcc_lo, v[13:14], v[0:1]
	v_mov_b32_e32 v2, v0
	ds_load_b64 v[6:7], v6
	v_add_nc_u32_e32 v0, 0x80, v0
	v_add_co_u32 v8, s0, v4, v8
	s_delay_alu instid0(VALU_DEP_1)
	v_add_co_ci_u32_e64 v9, s0, v5, v9, s0
	s_or_b32 s8, vcc_lo, s8
	s_waitcnt lgkmcnt(0)
	global_store_b64 v[8:9], v[6:7], off
	s_and_not1_b32 exec_lo, exec_lo, s8
	s_cbranch_execnz .LBB472_150
.LBB472_151:
	s_or_b32 exec_lo, exec_lo, s1
	s_and_b32 s0, s2, s3
	s_delay_alu instid0(SALU_CYCLE_1)
	s_and_saveexec_b32 s1, s0
	s_cbranch_execz .LBB472_92
.LBB472_152:
	v_add_co_u32 v0, vcc_lo, v15, v13
	v_add_co_ci_u32_e32 v1, vcc_lo, v16, v14, vcc_lo
	v_mov_b32_e32 v2, 0
	s_delay_alu instid0(VALU_DEP_3) | instskip(NEXT) | instid1(VALU_DEP_3)
	v_add_co_u32 v0, vcc_lo, v0, s6
	v_add_co_ci_u32_e32 v1, vcc_lo, s7, v1, vcc_lo
	global_store_b64 v2, v[0:1], s[4:5]
	s_nop 0
	s_sendmsg sendmsg(MSG_DEALLOC_VGPRS)
	s_endpgm
	.section	.rodata,"a",@progbits
	.p2align	6, 0x0
	.amdhsa_kernel _ZN7rocprim17ROCPRIM_400000_NS6detail17trampoline_kernelINS0_14default_configENS1_25partition_config_selectorILNS1_17partition_subalgoE5ElNS0_10empty_typeEbEEZZNS1_14partition_implILS5_5ELb0ES3_mN6hipcub16HIPCUB_304000_NS21CountingInputIteratorIllEEPS6_NSA_22TransformInputIteratorIbN2at6native12_GLOBAL__N_19NonZeroOpIfEEPKflEENS0_5tupleIJPlS6_EEENSN_IJSD_SD_EEES6_PiJS6_EEE10hipError_tPvRmT3_T4_T5_T6_T7_T9_mT8_P12ihipStream_tbDpT10_ENKUlT_T0_E_clISt17integral_constantIbLb1EES1B_EEDaS16_S17_EUlS16_E_NS1_11comp_targetILNS1_3genE9ELNS1_11target_archE1100ELNS1_3gpuE3ELNS1_3repE0EEENS1_30default_config_static_selectorELNS0_4arch9wavefront6targetE0EEEvT1_
		.amdhsa_group_segment_fixed_size 6160
		.amdhsa_private_segment_fixed_size 0
		.amdhsa_kernarg_size 136
		.amdhsa_user_sgpr_count 15
		.amdhsa_user_sgpr_dispatch_ptr 0
		.amdhsa_user_sgpr_queue_ptr 0
		.amdhsa_user_sgpr_kernarg_segment_ptr 1
		.amdhsa_user_sgpr_dispatch_id 0
		.amdhsa_user_sgpr_private_segment_size 0
		.amdhsa_wavefront_size32 1
		.amdhsa_uses_dynamic_stack 0
		.amdhsa_enable_private_segment 0
		.amdhsa_system_sgpr_workgroup_id_x 1
		.amdhsa_system_sgpr_workgroup_id_y 0
		.amdhsa_system_sgpr_workgroup_id_z 0
		.amdhsa_system_sgpr_workgroup_info 0
		.amdhsa_system_vgpr_workitem_id 0
		.amdhsa_next_free_vgpr 57
		.amdhsa_next_free_sgpr 24
		.amdhsa_reserve_vcc 1
		.amdhsa_float_round_mode_32 0
		.amdhsa_float_round_mode_16_64 0
		.amdhsa_float_denorm_mode_32 3
		.amdhsa_float_denorm_mode_16_64 3
		.amdhsa_dx10_clamp 1
		.amdhsa_ieee_mode 1
		.amdhsa_fp16_overflow 0
		.amdhsa_workgroup_processor_mode 1
		.amdhsa_memory_ordered 1
		.amdhsa_forward_progress 0
		.amdhsa_shared_vgpr_count 0
		.amdhsa_exception_fp_ieee_invalid_op 0
		.amdhsa_exception_fp_denorm_src 0
		.amdhsa_exception_fp_ieee_div_zero 0
		.amdhsa_exception_fp_ieee_overflow 0
		.amdhsa_exception_fp_ieee_underflow 0
		.amdhsa_exception_fp_ieee_inexact 0
		.amdhsa_exception_int_div_zero 0
	.end_amdhsa_kernel
	.section	.text._ZN7rocprim17ROCPRIM_400000_NS6detail17trampoline_kernelINS0_14default_configENS1_25partition_config_selectorILNS1_17partition_subalgoE5ElNS0_10empty_typeEbEEZZNS1_14partition_implILS5_5ELb0ES3_mN6hipcub16HIPCUB_304000_NS21CountingInputIteratorIllEEPS6_NSA_22TransformInputIteratorIbN2at6native12_GLOBAL__N_19NonZeroOpIfEEPKflEENS0_5tupleIJPlS6_EEENSN_IJSD_SD_EEES6_PiJS6_EEE10hipError_tPvRmT3_T4_T5_T6_T7_T9_mT8_P12ihipStream_tbDpT10_ENKUlT_T0_E_clISt17integral_constantIbLb1EES1B_EEDaS16_S17_EUlS16_E_NS1_11comp_targetILNS1_3genE9ELNS1_11target_archE1100ELNS1_3gpuE3ELNS1_3repE0EEENS1_30default_config_static_selectorELNS0_4arch9wavefront6targetE0EEEvT1_,"axG",@progbits,_ZN7rocprim17ROCPRIM_400000_NS6detail17trampoline_kernelINS0_14default_configENS1_25partition_config_selectorILNS1_17partition_subalgoE5ElNS0_10empty_typeEbEEZZNS1_14partition_implILS5_5ELb0ES3_mN6hipcub16HIPCUB_304000_NS21CountingInputIteratorIllEEPS6_NSA_22TransformInputIteratorIbN2at6native12_GLOBAL__N_19NonZeroOpIfEEPKflEENS0_5tupleIJPlS6_EEENSN_IJSD_SD_EEES6_PiJS6_EEE10hipError_tPvRmT3_T4_T5_T6_T7_T9_mT8_P12ihipStream_tbDpT10_ENKUlT_T0_E_clISt17integral_constantIbLb1EES1B_EEDaS16_S17_EUlS16_E_NS1_11comp_targetILNS1_3genE9ELNS1_11target_archE1100ELNS1_3gpuE3ELNS1_3repE0EEENS1_30default_config_static_selectorELNS0_4arch9wavefront6targetE0EEEvT1_,comdat
.Lfunc_end472:
	.size	_ZN7rocprim17ROCPRIM_400000_NS6detail17trampoline_kernelINS0_14default_configENS1_25partition_config_selectorILNS1_17partition_subalgoE5ElNS0_10empty_typeEbEEZZNS1_14partition_implILS5_5ELb0ES3_mN6hipcub16HIPCUB_304000_NS21CountingInputIteratorIllEEPS6_NSA_22TransformInputIteratorIbN2at6native12_GLOBAL__N_19NonZeroOpIfEEPKflEENS0_5tupleIJPlS6_EEENSN_IJSD_SD_EEES6_PiJS6_EEE10hipError_tPvRmT3_T4_T5_T6_T7_T9_mT8_P12ihipStream_tbDpT10_ENKUlT_T0_E_clISt17integral_constantIbLb1EES1B_EEDaS16_S17_EUlS16_E_NS1_11comp_targetILNS1_3genE9ELNS1_11target_archE1100ELNS1_3gpuE3ELNS1_3repE0EEENS1_30default_config_static_selectorELNS0_4arch9wavefront6targetE0EEEvT1_, .Lfunc_end472-_ZN7rocprim17ROCPRIM_400000_NS6detail17trampoline_kernelINS0_14default_configENS1_25partition_config_selectorILNS1_17partition_subalgoE5ElNS0_10empty_typeEbEEZZNS1_14partition_implILS5_5ELb0ES3_mN6hipcub16HIPCUB_304000_NS21CountingInputIteratorIllEEPS6_NSA_22TransformInputIteratorIbN2at6native12_GLOBAL__N_19NonZeroOpIfEEPKflEENS0_5tupleIJPlS6_EEENSN_IJSD_SD_EEES6_PiJS6_EEE10hipError_tPvRmT3_T4_T5_T6_T7_T9_mT8_P12ihipStream_tbDpT10_ENKUlT_T0_E_clISt17integral_constantIbLb1EES1B_EEDaS16_S17_EUlS16_E_NS1_11comp_targetILNS1_3genE9ELNS1_11target_archE1100ELNS1_3gpuE3ELNS1_3repE0EEENS1_30default_config_static_selectorELNS0_4arch9wavefront6targetE0EEEvT1_
                                        ; -- End function
	.section	.AMDGPU.csdata,"",@progbits
; Kernel info:
; codeLenInByte = 6608
; NumSgprs: 26
; NumVgprs: 57
; ScratchSize: 0
; MemoryBound: 0
; FloatMode: 240
; IeeeMode: 1
; LDSByteSize: 6160 bytes/workgroup (compile time only)
; SGPRBlocks: 3
; VGPRBlocks: 7
; NumSGPRsForWavesPerEU: 26
; NumVGPRsForWavesPerEU: 57
; Occupancy: 16
; WaveLimiterHint : 1
; COMPUTE_PGM_RSRC2:SCRATCH_EN: 0
; COMPUTE_PGM_RSRC2:USER_SGPR: 15
; COMPUTE_PGM_RSRC2:TRAP_HANDLER: 0
; COMPUTE_PGM_RSRC2:TGID_X_EN: 1
; COMPUTE_PGM_RSRC2:TGID_Y_EN: 0
; COMPUTE_PGM_RSRC2:TGID_Z_EN: 0
; COMPUTE_PGM_RSRC2:TIDIG_COMP_CNT: 0
	.section	.text._ZN7rocprim17ROCPRIM_400000_NS6detail17trampoline_kernelINS0_14default_configENS1_25partition_config_selectorILNS1_17partition_subalgoE5ElNS0_10empty_typeEbEEZZNS1_14partition_implILS5_5ELb0ES3_mN6hipcub16HIPCUB_304000_NS21CountingInputIteratorIllEEPS6_NSA_22TransformInputIteratorIbN2at6native12_GLOBAL__N_19NonZeroOpIfEEPKflEENS0_5tupleIJPlS6_EEENSN_IJSD_SD_EEES6_PiJS6_EEE10hipError_tPvRmT3_T4_T5_T6_T7_T9_mT8_P12ihipStream_tbDpT10_ENKUlT_T0_E_clISt17integral_constantIbLb1EES1B_EEDaS16_S17_EUlS16_E_NS1_11comp_targetILNS1_3genE8ELNS1_11target_archE1030ELNS1_3gpuE2ELNS1_3repE0EEENS1_30default_config_static_selectorELNS0_4arch9wavefront6targetE0EEEvT1_,"axG",@progbits,_ZN7rocprim17ROCPRIM_400000_NS6detail17trampoline_kernelINS0_14default_configENS1_25partition_config_selectorILNS1_17partition_subalgoE5ElNS0_10empty_typeEbEEZZNS1_14partition_implILS5_5ELb0ES3_mN6hipcub16HIPCUB_304000_NS21CountingInputIteratorIllEEPS6_NSA_22TransformInputIteratorIbN2at6native12_GLOBAL__N_19NonZeroOpIfEEPKflEENS0_5tupleIJPlS6_EEENSN_IJSD_SD_EEES6_PiJS6_EEE10hipError_tPvRmT3_T4_T5_T6_T7_T9_mT8_P12ihipStream_tbDpT10_ENKUlT_T0_E_clISt17integral_constantIbLb1EES1B_EEDaS16_S17_EUlS16_E_NS1_11comp_targetILNS1_3genE8ELNS1_11target_archE1030ELNS1_3gpuE2ELNS1_3repE0EEENS1_30default_config_static_selectorELNS0_4arch9wavefront6targetE0EEEvT1_,comdat
	.globl	_ZN7rocprim17ROCPRIM_400000_NS6detail17trampoline_kernelINS0_14default_configENS1_25partition_config_selectorILNS1_17partition_subalgoE5ElNS0_10empty_typeEbEEZZNS1_14partition_implILS5_5ELb0ES3_mN6hipcub16HIPCUB_304000_NS21CountingInputIteratorIllEEPS6_NSA_22TransformInputIteratorIbN2at6native12_GLOBAL__N_19NonZeroOpIfEEPKflEENS0_5tupleIJPlS6_EEENSN_IJSD_SD_EEES6_PiJS6_EEE10hipError_tPvRmT3_T4_T5_T6_T7_T9_mT8_P12ihipStream_tbDpT10_ENKUlT_T0_E_clISt17integral_constantIbLb1EES1B_EEDaS16_S17_EUlS16_E_NS1_11comp_targetILNS1_3genE8ELNS1_11target_archE1030ELNS1_3gpuE2ELNS1_3repE0EEENS1_30default_config_static_selectorELNS0_4arch9wavefront6targetE0EEEvT1_ ; -- Begin function _ZN7rocprim17ROCPRIM_400000_NS6detail17trampoline_kernelINS0_14default_configENS1_25partition_config_selectorILNS1_17partition_subalgoE5ElNS0_10empty_typeEbEEZZNS1_14partition_implILS5_5ELb0ES3_mN6hipcub16HIPCUB_304000_NS21CountingInputIteratorIllEEPS6_NSA_22TransformInputIteratorIbN2at6native12_GLOBAL__N_19NonZeroOpIfEEPKflEENS0_5tupleIJPlS6_EEENSN_IJSD_SD_EEES6_PiJS6_EEE10hipError_tPvRmT3_T4_T5_T6_T7_T9_mT8_P12ihipStream_tbDpT10_ENKUlT_T0_E_clISt17integral_constantIbLb1EES1B_EEDaS16_S17_EUlS16_E_NS1_11comp_targetILNS1_3genE8ELNS1_11target_archE1030ELNS1_3gpuE2ELNS1_3repE0EEENS1_30default_config_static_selectorELNS0_4arch9wavefront6targetE0EEEvT1_
	.p2align	8
	.type	_ZN7rocprim17ROCPRIM_400000_NS6detail17trampoline_kernelINS0_14default_configENS1_25partition_config_selectorILNS1_17partition_subalgoE5ElNS0_10empty_typeEbEEZZNS1_14partition_implILS5_5ELb0ES3_mN6hipcub16HIPCUB_304000_NS21CountingInputIteratorIllEEPS6_NSA_22TransformInputIteratorIbN2at6native12_GLOBAL__N_19NonZeroOpIfEEPKflEENS0_5tupleIJPlS6_EEENSN_IJSD_SD_EEES6_PiJS6_EEE10hipError_tPvRmT3_T4_T5_T6_T7_T9_mT8_P12ihipStream_tbDpT10_ENKUlT_T0_E_clISt17integral_constantIbLb1EES1B_EEDaS16_S17_EUlS16_E_NS1_11comp_targetILNS1_3genE8ELNS1_11target_archE1030ELNS1_3gpuE2ELNS1_3repE0EEENS1_30default_config_static_selectorELNS0_4arch9wavefront6targetE0EEEvT1_,@function
_ZN7rocprim17ROCPRIM_400000_NS6detail17trampoline_kernelINS0_14default_configENS1_25partition_config_selectorILNS1_17partition_subalgoE5ElNS0_10empty_typeEbEEZZNS1_14partition_implILS5_5ELb0ES3_mN6hipcub16HIPCUB_304000_NS21CountingInputIteratorIllEEPS6_NSA_22TransformInputIteratorIbN2at6native12_GLOBAL__N_19NonZeroOpIfEEPKflEENS0_5tupleIJPlS6_EEENSN_IJSD_SD_EEES6_PiJS6_EEE10hipError_tPvRmT3_T4_T5_T6_T7_T9_mT8_P12ihipStream_tbDpT10_ENKUlT_T0_E_clISt17integral_constantIbLb1EES1B_EEDaS16_S17_EUlS16_E_NS1_11comp_targetILNS1_3genE8ELNS1_11target_archE1030ELNS1_3gpuE2ELNS1_3repE0EEENS1_30default_config_static_selectorELNS0_4arch9wavefront6targetE0EEEvT1_: ; @_ZN7rocprim17ROCPRIM_400000_NS6detail17trampoline_kernelINS0_14default_configENS1_25partition_config_selectorILNS1_17partition_subalgoE5ElNS0_10empty_typeEbEEZZNS1_14partition_implILS5_5ELb0ES3_mN6hipcub16HIPCUB_304000_NS21CountingInputIteratorIllEEPS6_NSA_22TransformInputIteratorIbN2at6native12_GLOBAL__N_19NonZeroOpIfEEPKflEENS0_5tupleIJPlS6_EEENSN_IJSD_SD_EEES6_PiJS6_EEE10hipError_tPvRmT3_T4_T5_T6_T7_T9_mT8_P12ihipStream_tbDpT10_ENKUlT_T0_E_clISt17integral_constantIbLb1EES1B_EEDaS16_S17_EUlS16_E_NS1_11comp_targetILNS1_3genE8ELNS1_11target_archE1030ELNS1_3gpuE2ELNS1_3repE0EEENS1_30default_config_static_selectorELNS0_4arch9wavefront6targetE0EEEvT1_
; %bb.0:
	.section	.rodata,"a",@progbits
	.p2align	6, 0x0
	.amdhsa_kernel _ZN7rocprim17ROCPRIM_400000_NS6detail17trampoline_kernelINS0_14default_configENS1_25partition_config_selectorILNS1_17partition_subalgoE5ElNS0_10empty_typeEbEEZZNS1_14partition_implILS5_5ELb0ES3_mN6hipcub16HIPCUB_304000_NS21CountingInputIteratorIllEEPS6_NSA_22TransformInputIteratorIbN2at6native12_GLOBAL__N_19NonZeroOpIfEEPKflEENS0_5tupleIJPlS6_EEENSN_IJSD_SD_EEES6_PiJS6_EEE10hipError_tPvRmT3_T4_T5_T6_T7_T9_mT8_P12ihipStream_tbDpT10_ENKUlT_T0_E_clISt17integral_constantIbLb1EES1B_EEDaS16_S17_EUlS16_E_NS1_11comp_targetILNS1_3genE8ELNS1_11target_archE1030ELNS1_3gpuE2ELNS1_3repE0EEENS1_30default_config_static_selectorELNS0_4arch9wavefront6targetE0EEEvT1_
		.amdhsa_group_segment_fixed_size 0
		.amdhsa_private_segment_fixed_size 0
		.amdhsa_kernarg_size 136
		.amdhsa_user_sgpr_count 15
		.amdhsa_user_sgpr_dispatch_ptr 0
		.amdhsa_user_sgpr_queue_ptr 0
		.amdhsa_user_sgpr_kernarg_segment_ptr 1
		.amdhsa_user_sgpr_dispatch_id 0
		.amdhsa_user_sgpr_private_segment_size 0
		.amdhsa_wavefront_size32 1
		.amdhsa_uses_dynamic_stack 0
		.amdhsa_enable_private_segment 0
		.amdhsa_system_sgpr_workgroup_id_x 1
		.amdhsa_system_sgpr_workgroup_id_y 0
		.amdhsa_system_sgpr_workgroup_id_z 0
		.amdhsa_system_sgpr_workgroup_info 0
		.amdhsa_system_vgpr_workitem_id 0
		.amdhsa_next_free_vgpr 1
		.amdhsa_next_free_sgpr 1
		.amdhsa_reserve_vcc 0
		.amdhsa_float_round_mode_32 0
		.amdhsa_float_round_mode_16_64 0
		.amdhsa_float_denorm_mode_32 3
		.amdhsa_float_denorm_mode_16_64 3
		.amdhsa_dx10_clamp 1
		.amdhsa_ieee_mode 1
		.amdhsa_fp16_overflow 0
		.amdhsa_workgroup_processor_mode 1
		.amdhsa_memory_ordered 1
		.amdhsa_forward_progress 0
		.amdhsa_shared_vgpr_count 0
		.amdhsa_exception_fp_ieee_invalid_op 0
		.amdhsa_exception_fp_denorm_src 0
		.amdhsa_exception_fp_ieee_div_zero 0
		.amdhsa_exception_fp_ieee_overflow 0
		.amdhsa_exception_fp_ieee_underflow 0
		.amdhsa_exception_fp_ieee_inexact 0
		.amdhsa_exception_int_div_zero 0
	.end_amdhsa_kernel
	.section	.text._ZN7rocprim17ROCPRIM_400000_NS6detail17trampoline_kernelINS0_14default_configENS1_25partition_config_selectorILNS1_17partition_subalgoE5ElNS0_10empty_typeEbEEZZNS1_14partition_implILS5_5ELb0ES3_mN6hipcub16HIPCUB_304000_NS21CountingInputIteratorIllEEPS6_NSA_22TransformInputIteratorIbN2at6native12_GLOBAL__N_19NonZeroOpIfEEPKflEENS0_5tupleIJPlS6_EEENSN_IJSD_SD_EEES6_PiJS6_EEE10hipError_tPvRmT3_T4_T5_T6_T7_T9_mT8_P12ihipStream_tbDpT10_ENKUlT_T0_E_clISt17integral_constantIbLb1EES1B_EEDaS16_S17_EUlS16_E_NS1_11comp_targetILNS1_3genE8ELNS1_11target_archE1030ELNS1_3gpuE2ELNS1_3repE0EEENS1_30default_config_static_selectorELNS0_4arch9wavefront6targetE0EEEvT1_,"axG",@progbits,_ZN7rocprim17ROCPRIM_400000_NS6detail17trampoline_kernelINS0_14default_configENS1_25partition_config_selectorILNS1_17partition_subalgoE5ElNS0_10empty_typeEbEEZZNS1_14partition_implILS5_5ELb0ES3_mN6hipcub16HIPCUB_304000_NS21CountingInputIteratorIllEEPS6_NSA_22TransformInputIteratorIbN2at6native12_GLOBAL__N_19NonZeroOpIfEEPKflEENS0_5tupleIJPlS6_EEENSN_IJSD_SD_EEES6_PiJS6_EEE10hipError_tPvRmT3_T4_T5_T6_T7_T9_mT8_P12ihipStream_tbDpT10_ENKUlT_T0_E_clISt17integral_constantIbLb1EES1B_EEDaS16_S17_EUlS16_E_NS1_11comp_targetILNS1_3genE8ELNS1_11target_archE1030ELNS1_3gpuE2ELNS1_3repE0EEENS1_30default_config_static_selectorELNS0_4arch9wavefront6targetE0EEEvT1_,comdat
.Lfunc_end473:
	.size	_ZN7rocprim17ROCPRIM_400000_NS6detail17trampoline_kernelINS0_14default_configENS1_25partition_config_selectorILNS1_17partition_subalgoE5ElNS0_10empty_typeEbEEZZNS1_14partition_implILS5_5ELb0ES3_mN6hipcub16HIPCUB_304000_NS21CountingInputIteratorIllEEPS6_NSA_22TransformInputIteratorIbN2at6native12_GLOBAL__N_19NonZeroOpIfEEPKflEENS0_5tupleIJPlS6_EEENSN_IJSD_SD_EEES6_PiJS6_EEE10hipError_tPvRmT3_T4_T5_T6_T7_T9_mT8_P12ihipStream_tbDpT10_ENKUlT_T0_E_clISt17integral_constantIbLb1EES1B_EEDaS16_S17_EUlS16_E_NS1_11comp_targetILNS1_3genE8ELNS1_11target_archE1030ELNS1_3gpuE2ELNS1_3repE0EEENS1_30default_config_static_selectorELNS0_4arch9wavefront6targetE0EEEvT1_, .Lfunc_end473-_ZN7rocprim17ROCPRIM_400000_NS6detail17trampoline_kernelINS0_14default_configENS1_25partition_config_selectorILNS1_17partition_subalgoE5ElNS0_10empty_typeEbEEZZNS1_14partition_implILS5_5ELb0ES3_mN6hipcub16HIPCUB_304000_NS21CountingInputIteratorIllEEPS6_NSA_22TransformInputIteratorIbN2at6native12_GLOBAL__N_19NonZeroOpIfEEPKflEENS0_5tupleIJPlS6_EEENSN_IJSD_SD_EEES6_PiJS6_EEE10hipError_tPvRmT3_T4_T5_T6_T7_T9_mT8_P12ihipStream_tbDpT10_ENKUlT_T0_E_clISt17integral_constantIbLb1EES1B_EEDaS16_S17_EUlS16_E_NS1_11comp_targetILNS1_3genE8ELNS1_11target_archE1030ELNS1_3gpuE2ELNS1_3repE0EEENS1_30default_config_static_selectorELNS0_4arch9wavefront6targetE0EEEvT1_
                                        ; -- End function
	.section	.AMDGPU.csdata,"",@progbits
; Kernel info:
; codeLenInByte = 0
; NumSgprs: 0
; NumVgprs: 0
; ScratchSize: 0
; MemoryBound: 0
; FloatMode: 240
; IeeeMode: 1
; LDSByteSize: 0 bytes/workgroup (compile time only)
; SGPRBlocks: 0
; VGPRBlocks: 0
; NumSGPRsForWavesPerEU: 1
; NumVGPRsForWavesPerEU: 1
; Occupancy: 16
; WaveLimiterHint : 0
; COMPUTE_PGM_RSRC2:SCRATCH_EN: 0
; COMPUTE_PGM_RSRC2:USER_SGPR: 15
; COMPUTE_PGM_RSRC2:TRAP_HANDLER: 0
; COMPUTE_PGM_RSRC2:TGID_X_EN: 1
; COMPUTE_PGM_RSRC2:TGID_Y_EN: 0
; COMPUTE_PGM_RSRC2:TGID_Z_EN: 0
; COMPUTE_PGM_RSRC2:TIDIG_COMP_CNT: 0
	.section	.text._ZN7rocprim17ROCPRIM_400000_NS6detail17trampoline_kernelINS0_14default_configENS1_25partition_config_selectorILNS1_17partition_subalgoE5ElNS0_10empty_typeEbEEZZNS1_14partition_implILS5_5ELb0ES3_mN6hipcub16HIPCUB_304000_NS21CountingInputIteratorIllEEPS6_NSA_22TransformInputIteratorIbN2at6native12_GLOBAL__N_19NonZeroOpIfEEPKflEENS0_5tupleIJPlS6_EEENSN_IJSD_SD_EEES6_PiJS6_EEE10hipError_tPvRmT3_T4_T5_T6_T7_T9_mT8_P12ihipStream_tbDpT10_ENKUlT_T0_E_clISt17integral_constantIbLb1EES1A_IbLb0EEEEDaS16_S17_EUlS16_E_NS1_11comp_targetILNS1_3genE0ELNS1_11target_archE4294967295ELNS1_3gpuE0ELNS1_3repE0EEENS1_30default_config_static_selectorELNS0_4arch9wavefront6targetE0EEEvT1_,"axG",@progbits,_ZN7rocprim17ROCPRIM_400000_NS6detail17trampoline_kernelINS0_14default_configENS1_25partition_config_selectorILNS1_17partition_subalgoE5ElNS0_10empty_typeEbEEZZNS1_14partition_implILS5_5ELb0ES3_mN6hipcub16HIPCUB_304000_NS21CountingInputIteratorIllEEPS6_NSA_22TransformInputIteratorIbN2at6native12_GLOBAL__N_19NonZeroOpIfEEPKflEENS0_5tupleIJPlS6_EEENSN_IJSD_SD_EEES6_PiJS6_EEE10hipError_tPvRmT3_T4_T5_T6_T7_T9_mT8_P12ihipStream_tbDpT10_ENKUlT_T0_E_clISt17integral_constantIbLb1EES1A_IbLb0EEEEDaS16_S17_EUlS16_E_NS1_11comp_targetILNS1_3genE0ELNS1_11target_archE4294967295ELNS1_3gpuE0ELNS1_3repE0EEENS1_30default_config_static_selectorELNS0_4arch9wavefront6targetE0EEEvT1_,comdat
	.globl	_ZN7rocprim17ROCPRIM_400000_NS6detail17trampoline_kernelINS0_14default_configENS1_25partition_config_selectorILNS1_17partition_subalgoE5ElNS0_10empty_typeEbEEZZNS1_14partition_implILS5_5ELb0ES3_mN6hipcub16HIPCUB_304000_NS21CountingInputIteratorIllEEPS6_NSA_22TransformInputIteratorIbN2at6native12_GLOBAL__N_19NonZeroOpIfEEPKflEENS0_5tupleIJPlS6_EEENSN_IJSD_SD_EEES6_PiJS6_EEE10hipError_tPvRmT3_T4_T5_T6_T7_T9_mT8_P12ihipStream_tbDpT10_ENKUlT_T0_E_clISt17integral_constantIbLb1EES1A_IbLb0EEEEDaS16_S17_EUlS16_E_NS1_11comp_targetILNS1_3genE0ELNS1_11target_archE4294967295ELNS1_3gpuE0ELNS1_3repE0EEENS1_30default_config_static_selectorELNS0_4arch9wavefront6targetE0EEEvT1_ ; -- Begin function _ZN7rocprim17ROCPRIM_400000_NS6detail17trampoline_kernelINS0_14default_configENS1_25partition_config_selectorILNS1_17partition_subalgoE5ElNS0_10empty_typeEbEEZZNS1_14partition_implILS5_5ELb0ES3_mN6hipcub16HIPCUB_304000_NS21CountingInputIteratorIllEEPS6_NSA_22TransformInputIteratorIbN2at6native12_GLOBAL__N_19NonZeroOpIfEEPKflEENS0_5tupleIJPlS6_EEENSN_IJSD_SD_EEES6_PiJS6_EEE10hipError_tPvRmT3_T4_T5_T6_T7_T9_mT8_P12ihipStream_tbDpT10_ENKUlT_T0_E_clISt17integral_constantIbLb1EES1A_IbLb0EEEEDaS16_S17_EUlS16_E_NS1_11comp_targetILNS1_3genE0ELNS1_11target_archE4294967295ELNS1_3gpuE0ELNS1_3repE0EEENS1_30default_config_static_selectorELNS0_4arch9wavefront6targetE0EEEvT1_
	.p2align	8
	.type	_ZN7rocprim17ROCPRIM_400000_NS6detail17trampoline_kernelINS0_14default_configENS1_25partition_config_selectorILNS1_17partition_subalgoE5ElNS0_10empty_typeEbEEZZNS1_14partition_implILS5_5ELb0ES3_mN6hipcub16HIPCUB_304000_NS21CountingInputIteratorIllEEPS6_NSA_22TransformInputIteratorIbN2at6native12_GLOBAL__N_19NonZeroOpIfEEPKflEENS0_5tupleIJPlS6_EEENSN_IJSD_SD_EEES6_PiJS6_EEE10hipError_tPvRmT3_T4_T5_T6_T7_T9_mT8_P12ihipStream_tbDpT10_ENKUlT_T0_E_clISt17integral_constantIbLb1EES1A_IbLb0EEEEDaS16_S17_EUlS16_E_NS1_11comp_targetILNS1_3genE0ELNS1_11target_archE4294967295ELNS1_3gpuE0ELNS1_3repE0EEENS1_30default_config_static_selectorELNS0_4arch9wavefront6targetE0EEEvT1_,@function
_ZN7rocprim17ROCPRIM_400000_NS6detail17trampoline_kernelINS0_14default_configENS1_25partition_config_selectorILNS1_17partition_subalgoE5ElNS0_10empty_typeEbEEZZNS1_14partition_implILS5_5ELb0ES3_mN6hipcub16HIPCUB_304000_NS21CountingInputIteratorIllEEPS6_NSA_22TransformInputIteratorIbN2at6native12_GLOBAL__N_19NonZeroOpIfEEPKflEENS0_5tupleIJPlS6_EEENSN_IJSD_SD_EEES6_PiJS6_EEE10hipError_tPvRmT3_T4_T5_T6_T7_T9_mT8_P12ihipStream_tbDpT10_ENKUlT_T0_E_clISt17integral_constantIbLb1EES1A_IbLb0EEEEDaS16_S17_EUlS16_E_NS1_11comp_targetILNS1_3genE0ELNS1_11target_archE4294967295ELNS1_3gpuE0ELNS1_3repE0EEENS1_30default_config_static_selectorELNS0_4arch9wavefront6targetE0EEEvT1_: ; @_ZN7rocprim17ROCPRIM_400000_NS6detail17trampoline_kernelINS0_14default_configENS1_25partition_config_selectorILNS1_17partition_subalgoE5ElNS0_10empty_typeEbEEZZNS1_14partition_implILS5_5ELb0ES3_mN6hipcub16HIPCUB_304000_NS21CountingInputIteratorIllEEPS6_NSA_22TransformInputIteratorIbN2at6native12_GLOBAL__N_19NonZeroOpIfEEPKflEENS0_5tupleIJPlS6_EEENSN_IJSD_SD_EEES6_PiJS6_EEE10hipError_tPvRmT3_T4_T5_T6_T7_T9_mT8_P12ihipStream_tbDpT10_ENKUlT_T0_E_clISt17integral_constantIbLb1EES1A_IbLb0EEEEDaS16_S17_EUlS16_E_NS1_11comp_targetILNS1_3genE0ELNS1_11target_archE4294967295ELNS1_3gpuE0ELNS1_3repE0EEENS1_30default_config_static_selectorELNS0_4arch9wavefront6targetE0EEEvT1_
; %bb.0:
	.section	.rodata,"a",@progbits
	.p2align	6, 0x0
	.amdhsa_kernel _ZN7rocprim17ROCPRIM_400000_NS6detail17trampoline_kernelINS0_14default_configENS1_25partition_config_selectorILNS1_17partition_subalgoE5ElNS0_10empty_typeEbEEZZNS1_14partition_implILS5_5ELb0ES3_mN6hipcub16HIPCUB_304000_NS21CountingInputIteratorIllEEPS6_NSA_22TransformInputIteratorIbN2at6native12_GLOBAL__N_19NonZeroOpIfEEPKflEENS0_5tupleIJPlS6_EEENSN_IJSD_SD_EEES6_PiJS6_EEE10hipError_tPvRmT3_T4_T5_T6_T7_T9_mT8_P12ihipStream_tbDpT10_ENKUlT_T0_E_clISt17integral_constantIbLb1EES1A_IbLb0EEEEDaS16_S17_EUlS16_E_NS1_11comp_targetILNS1_3genE0ELNS1_11target_archE4294967295ELNS1_3gpuE0ELNS1_3repE0EEENS1_30default_config_static_selectorELNS0_4arch9wavefront6targetE0EEEvT1_
		.amdhsa_group_segment_fixed_size 0
		.amdhsa_private_segment_fixed_size 0
		.amdhsa_kernarg_size 120
		.amdhsa_user_sgpr_count 15
		.amdhsa_user_sgpr_dispatch_ptr 0
		.amdhsa_user_sgpr_queue_ptr 0
		.amdhsa_user_sgpr_kernarg_segment_ptr 1
		.amdhsa_user_sgpr_dispatch_id 0
		.amdhsa_user_sgpr_private_segment_size 0
		.amdhsa_wavefront_size32 1
		.amdhsa_uses_dynamic_stack 0
		.amdhsa_enable_private_segment 0
		.amdhsa_system_sgpr_workgroup_id_x 1
		.amdhsa_system_sgpr_workgroup_id_y 0
		.amdhsa_system_sgpr_workgroup_id_z 0
		.amdhsa_system_sgpr_workgroup_info 0
		.amdhsa_system_vgpr_workitem_id 0
		.amdhsa_next_free_vgpr 1
		.amdhsa_next_free_sgpr 1
		.amdhsa_reserve_vcc 0
		.amdhsa_float_round_mode_32 0
		.amdhsa_float_round_mode_16_64 0
		.amdhsa_float_denorm_mode_32 3
		.amdhsa_float_denorm_mode_16_64 3
		.amdhsa_dx10_clamp 1
		.amdhsa_ieee_mode 1
		.amdhsa_fp16_overflow 0
		.amdhsa_workgroup_processor_mode 1
		.amdhsa_memory_ordered 1
		.amdhsa_forward_progress 0
		.amdhsa_shared_vgpr_count 0
		.amdhsa_exception_fp_ieee_invalid_op 0
		.amdhsa_exception_fp_denorm_src 0
		.amdhsa_exception_fp_ieee_div_zero 0
		.amdhsa_exception_fp_ieee_overflow 0
		.amdhsa_exception_fp_ieee_underflow 0
		.amdhsa_exception_fp_ieee_inexact 0
		.amdhsa_exception_int_div_zero 0
	.end_amdhsa_kernel
	.section	.text._ZN7rocprim17ROCPRIM_400000_NS6detail17trampoline_kernelINS0_14default_configENS1_25partition_config_selectorILNS1_17partition_subalgoE5ElNS0_10empty_typeEbEEZZNS1_14partition_implILS5_5ELb0ES3_mN6hipcub16HIPCUB_304000_NS21CountingInputIteratorIllEEPS6_NSA_22TransformInputIteratorIbN2at6native12_GLOBAL__N_19NonZeroOpIfEEPKflEENS0_5tupleIJPlS6_EEENSN_IJSD_SD_EEES6_PiJS6_EEE10hipError_tPvRmT3_T4_T5_T6_T7_T9_mT8_P12ihipStream_tbDpT10_ENKUlT_T0_E_clISt17integral_constantIbLb1EES1A_IbLb0EEEEDaS16_S17_EUlS16_E_NS1_11comp_targetILNS1_3genE0ELNS1_11target_archE4294967295ELNS1_3gpuE0ELNS1_3repE0EEENS1_30default_config_static_selectorELNS0_4arch9wavefront6targetE0EEEvT1_,"axG",@progbits,_ZN7rocprim17ROCPRIM_400000_NS6detail17trampoline_kernelINS0_14default_configENS1_25partition_config_selectorILNS1_17partition_subalgoE5ElNS0_10empty_typeEbEEZZNS1_14partition_implILS5_5ELb0ES3_mN6hipcub16HIPCUB_304000_NS21CountingInputIteratorIllEEPS6_NSA_22TransformInputIteratorIbN2at6native12_GLOBAL__N_19NonZeroOpIfEEPKflEENS0_5tupleIJPlS6_EEENSN_IJSD_SD_EEES6_PiJS6_EEE10hipError_tPvRmT3_T4_T5_T6_T7_T9_mT8_P12ihipStream_tbDpT10_ENKUlT_T0_E_clISt17integral_constantIbLb1EES1A_IbLb0EEEEDaS16_S17_EUlS16_E_NS1_11comp_targetILNS1_3genE0ELNS1_11target_archE4294967295ELNS1_3gpuE0ELNS1_3repE0EEENS1_30default_config_static_selectorELNS0_4arch9wavefront6targetE0EEEvT1_,comdat
.Lfunc_end474:
	.size	_ZN7rocprim17ROCPRIM_400000_NS6detail17trampoline_kernelINS0_14default_configENS1_25partition_config_selectorILNS1_17partition_subalgoE5ElNS0_10empty_typeEbEEZZNS1_14partition_implILS5_5ELb0ES3_mN6hipcub16HIPCUB_304000_NS21CountingInputIteratorIllEEPS6_NSA_22TransformInputIteratorIbN2at6native12_GLOBAL__N_19NonZeroOpIfEEPKflEENS0_5tupleIJPlS6_EEENSN_IJSD_SD_EEES6_PiJS6_EEE10hipError_tPvRmT3_T4_T5_T6_T7_T9_mT8_P12ihipStream_tbDpT10_ENKUlT_T0_E_clISt17integral_constantIbLb1EES1A_IbLb0EEEEDaS16_S17_EUlS16_E_NS1_11comp_targetILNS1_3genE0ELNS1_11target_archE4294967295ELNS1_3gpuE0ELNS1_3repE0EEENS1_30default_config_static_selectorELNS0_4arch9wavefront6targetE0EEEvT1_, .Lfunc_end474-_ZN7rocprim17ROCPRIM_400000_NS6detail17trampoline_kernelINS0_14default_configENS1_25partition_config_selectorILNS1_17partition_subalgoE5ElNS0_10empty_typeEbEEZZNS1_14partition_implILS5_5ELb0ES3_mN6hipcub16HIPCUB_304000_NS21CountingInputIteratorIllEEPS6_NSA_22TransformInputIteratorIbN2at6native12_GLOBAL__N_19NonZeroOpIfEEPKflEENS0_5tupleIJPlS6_EEENSN_IJSD_SD_EEES6_PiJS6_EEE10hipError_tPvRmT3_T4_T5_T6_T7_T9_mT8_P12ihipStream_tbDpT10_ENKUlT_T0_E_clISt17integral_constantIbLb1EES1A_IbLb0EEEEDaS16_S17_EUlS16_E_NS1_11comp_targetILNS1_3genE0ELNS1_11target_archE4294967295ELNS1_3gpuE0ELNS1_3repE0EEENS1_30default_config_static_selectorELNS0_4arch9wavefront6targetE0EEEvT1_
                                        ; -- End function
	.section	.AMDGPU.csdata,"",@progbits
; Kernel info:
; codeLenInByte = 0
; NumSgprs: 0
; NumVgprs: 0
; ScratchSize: 0
; MemoryBound: 0
; FloatMode: 240
; IeeeMode: 1
; LDSByteSize: 0 bytes/workgroup (compile time only)
; SGPRBlocks: 0
; VGPRBlocks: 0
; NumSGPRsForWavesPerEU: 1
; NumVGPRsForWavesPerEU: 1
; Occupancy: 16
; WaveLimiterHint : 0
; COMPUTE_PGM_RSRC2:SCRATCH_EN: 0
; COMPUTE_PGM_RSRC2:USER_SGPR: 15
; COMPUTE_PGM_RSRC2:TRAP_HANDLER: 0
; COMPUTE_PGM_RSRC2:TGID_X_EN: 1
; COMPUTE_PGM_RSRC2:TGID_Y_EN: 0
; COMPUTE_PGM_RSRC2:TGID_Z_EN: 0
; COMPUTE_PGM_RSRC2:TIDIG_COMP_CNT: 0
	.section	.text._ZN7rocprim17ROCPRIM_400000_NS6detail17trampoline_kernelINS0_14default_configENS1_25partition_config_selectorILNS1_17partition_subalgoE5ElNS0_10empty_typeEbEEZZNS1_14partition_implILS5_5ELb0ES3_mN6hipcub16HIPCUB_304000_NS21CountingInputIteratorIllEEPS6_NSA_22TransformInputIteratorIbN2at6native12_GLOBAL__N_19NonZeroOpIfEEPKflEENS0_5tupleIJPlS6_EEENSN_IJSD_SD_EEES6_PiJS6_EEE10hipError_tPvRmT3_T4_T5_T6_T7_T9_mT8_P12ihipStream_tbDpT10_ENKUlT_T0_E_clISt17integral_constantIbLb1EES1A_IbLb0EEEEDaS16_S17_EUlS16_E_NS1_11comp_targetILNS1_3genE5ELNS1_11target_archE942ELNS1_3gpuE9ELNS1_3repE0EEENS1_30default_config_static_selectorELNS0_4arch9wavefront6targetE0EEEvT1_,"axG",@progbits,_ZN7rocprim17ROCPRIM_400000_NS6detail17trampoline_kernelINS0_14default_configENS1_25partition_config_selectorILNS1_17partition_subalgoE5ElNS0_10empty_typeEbEEZZNS1_14partition_implILS5_5ELb0ES3_mN6hipcub16HIPCUB_304000_NS21CountingInputIteratorIllEEPS6_NSA_22TransformInputIteratorIbN2at6native12_GLOBAL__N_19NonZeroOpIfEEPKflEENS0_5tupleIJPlS6_EEENSN_IJSD_SD_EEES6_PiJS6_EEE10hipError_tPvRmT3_T4_T5_T6_T7_T9_mT8_P12ihipStream_tbDpT10_ENKUlT_T0_E_clISt17integral_constantIbLb1EES1A_IbLb0EEEEDaS16_S17_EUlS16_E_NS1_11comp_targetILNS1_3genE5ELNS1_11target_archE942ELNS1_3gpuE9ELNS1_3repE0EEENS1_30default_config_static_selectorELNS0_4arch9wavefront6targetE0EEEvT1_,comdat
	.globl	_ZN7rocprim17ROCPRIM_400000_NS6detail17trampoline_kernelINS0_14default_configENS1_25partition_config_selectorILNS1_17partition_subalgoE5ElNS0_10empty_typeEbEEZZNS1_14partition_implILS5_5ELb0ES3_mN6hipcub16HIPCUB_304000_NS21CountingInputIteratorIllEEPS6_NSA_22TransformInputIteratorIbN2at6native12_GLOBAL__N_19NonZeroOpIfEEPKflEENS0_5tupleIJPlS6_EEENSN_IJSD_SD_EEES6_PiJS6_EEE10hipError_tPvRmT3_T4_T5_T6_T7_T9_mT8_P12ihipStream_tbDpT10_ENKUlT_T0_E_clISt17integral_constantIbLb1EES1A_IbLb0EEEEDaS16_S17_EUlS16_E_NS1_11comp_targetILNS1_3genE5ELNS1_11target_archE942ELNS1_3gpuE9ELNS1_3repE0EEENS1_30default_config_static_selectorELNS0_4arch9wavefront6targetE0EEEvT1_ ; -- Begin function _ZN7rocprim17ROCPRIM_400000_NS6detail17trampoline_kernelINS0_14default_configENS1_25partition_config_selectorILNS1_17partition_subalgoE5ElNS0_10empty_typeEbEEZZNS1_14partition_implILS5_5ELb0ES3_mN6hipcub16HIPCUB_304000_NS21CountingInputIteratorIllEEPS6_NSA_22TransformInputIteratorIbN2at6native12_GLOBAL__N_19NonZeroOpIfEEPKflEENS0_5tupleIJPlS6_EEENSN_IJSD_SD_EEES6_PiJS6_EEE10hipError_tPvRmT3_T4_T5_T6_T7_T9_mT8_P12ihipStream_tbDpT10_ENKUlT_T0_E_clISt17integral_constantIbLb1EES1A_IbLb0EEEEDaS16_S17_EUlS16_E_NS1_11comp_targetILNS1_3genE5ELNS1_11target_archE942ELNS1_3gpuE9ELNS1_3repE0EEENS1_30default_config_static_selectorELNS0_4arch9wavefront6targetE0EEEvT1_
	.p2align	8
	.type	_ZN7rocprim17ROCPRIM_400000_NS6detail17trampoline_kernelINS0_14default_configENS1_25partition_config_selectorILNS1_17partition_subalgoE5ElNS0_10empty_typeEbEEZZNS1_14partition_implILS5_5ELb0ES3_mN6hipcub16HIPCUB_304000_NS21CountingInputIteratorIllEEPS6_NSA_22TransformInputIteratorIbN2at6native12_GLOBAL__N_19NonZeroOpIfEEPKflEENS0_5tupleIJPlS6_EEENSN_IJSD_SD_EEES6_PiJS6_EEE10hipError_tPvRmT3_T4_T5_T6_T7_T9_mT8_P12ihipStream_tbDpT10_ENKUlT_T0_E_clISt17integral_constantIbLb1EES1A_IbLb0EEEEDaS16_S17_EUlS16_E_NS1_11comp_targetILNS1_3genE5ELNS1_11target_archE942ELNS1_3gpuE9ELNS1_3repE0EEENS1_30default_config_static_selectorELNS0_4arch9wavefront6targetE0EEEvT1_,@function
_ZN7rocprim17ROCPRIM_400000_NS6detail17trampoline_kernelINS0_14default_configENS1_25partition_config_selectorILNS1_17partition_subalgoE5ElNS0_10empty_typeEbEEZZNS1_14partition_implILS5_5ELb0ES3_mN6hipcub16HIPCUB_304000_NS21CountingInputIteratorIllEEPS6_NSA_22TransformInputIteratorIbN2at6native12_GLOBAL__N_19NonZeroOpIfEEPKflEENS0_5tupleIJPlS6_EEENSN_IJSD_SD_EEES6_PiJS6_EEE10hipError_tPvRmT3_T4_T5_T6_T7_T9_mT8_P12ihipStream_tbDpT10_ENKUlT_T0_E_clISt17integral_constantIbLb1EES1A_IbLb0EEEEDaS16_S17_EUlS16_E_NS1_11comp_targetILNS1_3genE5ELNS1_11target_archE942ELNS1_3gpuE9ELNS1_3repE0EEENS1_30default_config_static_selectorELNS0_4arch9wavefront6targetE0EEEvT1_: ; @_ZN7rocprim17ROCPRIM_400000_NS6detail17trampoline_kernelINS0_14default_configENS1_25partition_config_selectorILNS1_17partition_subalgoE5ElNS0_10empty_typeEbEEZZNS1_14partition_implILS5_5ELb0ES3_mN6hipcub16HIPCUB_304000_NS21CountingInputIteratorIllEEPS6_NSA_22TransformInputIteratorIbN2at6native12_GLOBAL__N_19NonZeroOpIfEEPKflEENS0_5tupleIJPlS6_EEENSN_IJSD_SD_EEES6_PiJS6_EEE10hipError_tPvRmT3_T4_T5_T6_T7_T9_mT8_P12ihipStream_tbDpT10_ENKUlT_T0_E_clISt17integral_constantIbLb1EES1A_IbLb0EEEEDaS16_S17_EUlS16_E_NS1_11comp_targetILNS1_3genE5ELNS1_11target_archE942ELNS1_3gpuE9ELNS1_3repE0EEENS1_30default_config_static_selectorELNS0_4arch9wavefront6targetE0EEEvT1_
; %bb.0:
	.section	.rodata,"a",@progbits
	.p2align	6, 0x0
	.amdhsa_kernel _ZN7rocprim17ROCPRIM_400000_NS6detail17trampoline_kernelINS0_14default_configENS1_25partition_config_selectorILNS1_17partition_subalgoE5ElNS0_10empty_typeEbEEZZNS1_14partition_implILS5_5ELb0ES3_mN6hipcub16HIPCUB_304000_NS21CountingInputIteratorIllEEPS6_NSA_22TransformInputIteratorIbN2at6native12_GLOBAL__N_19NonZeroOpIfEEPKflEENS0_5tupleIJPlS6_EEENSN_IJSD_SD_EEES6_PiJS6_EEE10hipError_tPvRmT3_T4_T5_T6_T7_T9_mT8_P12ihipStream_tbDpT10_ENKUlT_T0_E_clISt17integral_constantIbLb1EES1A_IbLb0EEEEDaS16_S17_EUlS16_E_NS1_11comp_targetILNS1_3genE5ELNS1_11target_archE942ELNS1_3gpuE9ELNS1_3repE0EEENS1_30default_config_static_selectorELNS0_4arch9wavefront6targetE0EEEvT1_
		.amdhsa_group_segment_fixed_size 0
		.amdhsa_private_segment_fixed_size 0
		.amdhsa_kernarg_size 120
		.amdhsa_user_sgpr_count 15
		.amdhsa_user_sgpr_dispatch_ptr 0
		.amdhsa_user_sgpr_queue_ptr 0
		.amdhsa_user_sgpr_kernarg_segment_ptr 1
		.amdhsa_user_sgpr_dispatch_id 0
		.amdhsa_user_sgpr_private_segment_size 0
		.amdhsa_wavefront_size32 1
		.amdhsa_uses_dynamic_stack 0
		.amdhsa_enable_private_segment 0
		.amdhsa_system_sgpr_workgroup_id_x 1
		.amdhsa_system_sgpr_workgroup_id_y 0
		.amdhsa_system_sgpr_workgroup_id_z 0
		.amdhsa_system_sgpr_workgroup_info 0
		.amdhsa_system_vgpr_workitem_id 0
		.amdhsa_next_free_vgpr 1
		.amdhsa_next_free_sgpr 1
		.amdhsa_reserve_vcc 0
		.amdhsa_float_round_mode_32 0
		.amdhsa_float_round_mode_16_64 0
		.amdhsa_float_denorm_mode_32 3
		.amdhsa_float_denorm_mode_16_64 3
		.amdhsa_dx10_clamp 1
		.amdhsa_ieee_mode 1
		.amdhsa_fp16_overflow 0
		.amdhsa_workgroup_processor_mode 1
		.amdhsa_memory_ordered 1
		.amdhsa_forward_progress 0
		.amdhsa_shared_vgpr_count 0
		.amdhsa_exception_fp_ieee_invalid_op 0
		.amdhsa_exception_fp_denorm_src 0
		.amdhsa_exception_fp_ieee_div_zero 0
		.amdhsa_exception_fp_ieee_overflow 0
		.amdhsa_exception_fp_ieee_underflow 0
		.amdhsa_exception_fp_ieee_inexact 0
		.amdhsa_exception_int_div_zero 0
	.end_amdhsa_kernel
	.section	.text._ZN7rocprim17ROCPRIM_400000_NS6detail17trampoline_kernelINS0_14default_configENS1_25partition_config_selectorILNS1_17partition_subalgoE5ElNS0_10empty_typeEbEEZZNS1_14partition_implILS5_5ELb0ES3_mN6hipcub16HIPCUB_304000_NS21CountingInputIteratorIllEEPS6_NSA_22TransformInputIteratorIbN2at6native12_GLOBAL__N_19NonZeroOpIfEEPKflEENS0_5tupleIJPlS6_EEENSN_IJSD_SD_EEES6_PiJS6_EEE10hipError_tPvRmT3_T4_T5_T6_T7_T9_mT8_P12ihipStream_tbDpT10_ENKUlT_T0_E_clISt17integral_constantIbLb1EES1A_IbLb0EEEEDaS16_S17_EUlS16_E_NS1_11comp_targetILNS1_3genE5ELNS1_11target_archE942ELNS1_3gpuE9ELNS1_3repE0EEENS1_30default_config_static_selectorELNS0_4arch9wavefront6targetE0EEEvT1_,"axG",@progbits,_ZN7rocprim17ROCPRIM_400000_NS6detail17trampoline_kernelINS0_14default_configENS1_25partition_config_selectorILNS1_17partition_subalgoE5ElNS0_10empty_typeEbEEZZNS1_14partition_implILS5_5ELb0ES3_mN6hipcub16HIPCUB_304000_NS21CountingInputIteratorIllEEPS6_NSA_22TransformInputIteratorIbN2at6native12_GLOBAL__N_19NonZeroOpIfEEPKflEENS0_5tupleIJPlS6_EEENSN_IJSD_SD_EEES6_PiJS6_EEE10hipError_tPvRmT3_T4_T5_T6_T7_T9_mT8_P12ihipStream_tbDpT10_ENKUlT_T0_E_clISt17integral_constantIbLb1EES1A_IbLb0EEEEDaS16_S17_EUlS16_E_NS1_11comp_targetILNS1_3genE5ELNS1_11target_archE942ELNS1_3gpuE9ELNS1_3repE0EEENS1_30default_config_static_selectorELNS0_4arch9wavefront6targetE0EEEvT1_,comdat
.Lfunc_end475:
	.size	_ZN7rocprim17ROCPRIM_400000_NS6detail17trampoline_kernelINS0_14default_configENS1_25partition_config_selectorILNS1_17partition_subalgoE5ElNS0_10empty_typeEbEEZZNS1_14partition_implILS5_5ELb0ES3_mN6hipcub16HIPCUB_304000_NS21CountingInputIteratorIllEEPS6_NSA_22TransformInputIteratorIbN2at6native12_GLOBAL__N_19NonZeroOpIfEEPKflEENS0_5tupleIJPlS6_EEENSN_IJSD_SD_EEES6_PiJS6_EEE10hipError_tPvRmT3_T4_T5_T6_T7_T9_mT8_P12ihipStream_tbDpT10_ENKUlT_T0_E_clISt17integral_constantIbLb1EES1A_IbLb0EEEEDaS16_S17_EUlS16_E_NS1_11comp_targetILNS1_3genE5ELNS1_11target_archE942ELNS1_3gpuE9ELNS1_3repE0EEENS1_30default_config_static_selectorELNS0_4arch9wavefront6targetE0EEEvT1_, .Lfunc_end475-_ZN7rocprim17ROCPRIM_400000_NS6detail17trampoline_kernelINS0_14default_configENS1_25partition_config_selectorILNS1_17partition_subalgoE5ElNS0_10empty_typeEbEEZZNS1_14partition_implILS5_5ELb0ES3_mN6hipcub16HIPCUB_304000_NS21CountingInputIteratorIllEEPS6_NSA_22TransformInputIteratorIbN2at6native12_GLOBAL__N_19NonZeroOpIfEEPKflEENS0_5tupleIJPlS6_EEENSN_IJSD_SD_EEES6_PiJS6_EEE10hipError_tPvRmT3_T4_T5_T6_T7_T9_mT8_P12ihipStream_tbDpT10_ENKUlT_T0_E_clISt17integral_constantIbLb1EES1A_IbLb0EEEEDaS16_S17_EUlS16_E_NS1_11comp_targetILNS1_3genE5ELNS1_11target_archE942ELNS1_3gpuE9ELNS1_3repE0EEENS1_30default_config_static_selectorELNS0_4arch9wavefront6targetE0EEEvT1_
                                        ; -- End function
	.section	.AMDGPU.csdata,"",@progbits
; Kernel info:
; codeLenInByte = 0
; NumSgprs: 0
; NumVgprs: 0
; ScratchSize: 0
; MemoryBound: 0
; FloatMode: 240
; IeeeMode: 1
; LDSByteSize: 0 bytes/workgroup (compile time only)
; SGPRBlocks: 0
; VGPRBlocks: 0
; NumSGPRsForWavesPerEU: 1
; NumVGPRsForWavesPerEU: 1
; Occupancy: 16
; WaveLimiterHint : 0
; COMPUTE_PGM_RSRC2:SCRATCH_EN: 0
; COMPUTE_PGM_RSRC2:USER_SGPR: 15
; COMPUTE_PGM_RSRC2:TRAP_HANDLER: 0
; COMPUTE_PGM_RSRC2:TGID_X_EN: 1
; COMPUTE_PGM_RSRC2:TGID_Y_EN: 0
; COMPUTE_PGM_RSRC2:TGID_Z_EN: 0
; COMPUTE_PGM_RSRC2:TIDIG_COMP_CNT: 0
	.section	.text._ZN7rocprim17ROCPRIM_400000_NS6detail17trampoline_kernelINS0_14default_configENS1_25partition_config_selectorILNS1_17partition_subalgoE5ElNS0_10empty_typeEbEEZZNS1_14partition_implILS5_5ELb0ES3_mN6hipcub16HIPCUB_304000_NS21CountingInputIteratorIllEEPS6_NSA_22TransformInputIteratorIbN2at6native12_GLOBAL__N_19NonZeroOpIfEEPKflEENS0_5tupleIJPlS6_EEENSN_IJSD_SD_EEES6_PiJS6_EEE10hipError_tPvRmT3_T4_T5_T6_T7_T9_mT8_P12ihipStream_tbDpT10_ENKUlT_T0_E_clISt17integral_constantIbLb1EES1A_IbLb0EEEEDaS16_S17_EUlS16_E_NS1_11comp_targetILNS1_3genE4ELNS1_11target_archE910ELNS1_3gpuE8ELNS1_3repE0EEENS1_30default_config_static_selectorELNS0_4arch9wavefront6targetE0EEEvT1_,"axG",@progbits,_ZN7rocprim17ROCPRIM_400000_NS6detail17trampoline_kernelINS0_14default_configENS1_25partition_config_selectorILNS1_17partition_subalgoE5ElNS0_10empty_typeEbEEZZNS1_14partition_implILS5_5ELb0ES3_mN6hipcub16HIPCUB_304000_NS21CountingInputIteratorIllEEPS6_NSA_22TransformInputIteratorIbN2at6native12_GLOBAL__N_19NonZeroOpIfEEPKflEENS0_5tupleIJPlS6_EEENSN_IJSD_SD_EEES6_PiJS6_EEE10hipError_tPvRmT3_T4_T5_T6_T7_T9_mT8_P12ihipStream_tbDpT10_ENKUlT_T0_E_clISt17integral_constantIbLb1EES1A_IbLb0EEEEDaS16_S17_EUlS16_E_NS1_11comp_targetILNS1_3genE4ELNS1_11target_archE910ELNS1_3gpuE8ELNS1_3repE0EEENS1_30default_config_static_selectorELNS0_4arch9wavefront6targetE0EEEvT1_,comdat
	.globl	_ZN7rocprim17ROCPRIM_400000_NS6detail17trampoline_kernelINS0_14default_configENS1_25partition_config_selectorILNS1_17partition_subalgoE5ElNS0_10empty_typeEbEEZZNS1_14partition_implILS5_5ELb0ES3_mN6hipcub16HIPCUB_304000_NS21CountingInputIteratorIllEEPS6_NSA_22TransformInputIteratorIbN2at6native12_GLOBAL__N_19NonZeroOpIfEEPKflEENS0_5tupleIJPlS6_EEENSN_IJSD_SD_EEES6_PiJS6_EEE10hipError_tPvRmT3_T4_T5_T6_T7_T9_mT8_P12ihipStream_tbDpT10_ENKUlT_T0_E_clISt17integral_constantIbLb1EES1A_IbLb0EEEEDaS16_S17_EUlS16_E_NS1_11comp_targetILNS1_3genE4ELNS1_11target_archE910ELNS1_3gpuE8ELNS1_3repE0EEENS1_30default_config_static_selectorELNS0_4arch9wavefront6targetE0EEEvT1_ ; -- Begin function _ZN7rocprim17ROCPRIM_400000_NS6detail17trampoline_kernelINS0_14default_configENS1_25partition_config_selectorILNS1_17partition_subalgoE5ElNS0_10empty_typeEbEEZZNS1_14partition_implILS5_5ELb0ES3_mN6hipcub16HIPCUB_304000_NS21CountingInputIteratorIllEEPS6_NSA_22TransformInputIteratorIbN2at6native12_GLOBAL__N_19NonZeroOpIfEEPKflEENS0_5tupleIJPlS6_EEENSN_IJSD_SD_EEES6_PiJS6_EEE10hipError_tPvRmT3_T4_T5_T6_T7_T9_mT8_P12ihipStream_tbDpT10_ENKUlT_T0_E_clISt17integral_constantIbLb1EES1A_IbLb0EEEEDaS16_S17_EUlS16_E_NS1_11comp_targetILNS1_3genE4ELNS1_11target_archE910ELNS1_3gpuE8ELNS1_3repE0EEENS1_30default_config_static_selectorELNS0_4arch9wavefront6targetE0EEEvT1_
	.p2align	8
	.type	_ZN7rocprim17ROCPRIM_400000_NS6detail17trampoline_kernelINS0_14default_configENS1_25partition_config_selectorILNS1_17partition_subalgoE5ElNS0_10empty_typeEbEEZZNS1_14partition_implILS5_5ELb0ES3_mN6hipcub16HIPCUB_304000_NS21CountingInputIteratorIllEEPS6_NSA_22TransformInputIteratorIbN2at6native12_GLOBAL__N_19NonZeroOpIfEEPKflEENS0_5tupleIJPlS6_EEENSN_IJSD_SD_EEES6_PiJS6_EEE10hipError_tPvRmT3_T4_T5_T6_T7_T9_mT8_P12ihipStream_tbDpT10_ENKUlT_T0_E_clISt17integral_constantIbLb1EES1A_IbLb0EEEEDaS16_S17_EUlS16_E_NS1_11comp_targetILNS1_3genE4ELNS1_11target_archE910ELNS1_3gpuE8ELNS1_3repE0EEENS1_30default_config_static_selectorELNS0_4arch9wavefront6targetE0EEEvT1_,@function
_ZN7rocprim17ROCPRIM_400000_NS6detail17trampoline_kernelINS0_14default_configENS1_25partition_config_selectorILNS1_17partition_subalgoE5ElNS0_10empty_typeEbEEZZNS1_14partition_implILS5_5ELb0ES3_mN6hipcub16HIPCUB_304000_NS21CountingInputIteratorIllEEPS6_NSA_22TransformInputIteratorIbN2at6native12_GLOBAL__N_19NonZeroOpIfEEPKflEENS0_5tupleIJPlS6_EEENSN_IJSD_SD_EEES6_PiJS6_EEE10hipError_tPvRmT3_T4_T5_T6_T7_T9_mT8_P12ihipStream_tbDpT10_ENKUlT_T0_E_clISt17integral_constantIbLb1EES1A_IbLb0EEEEDaS16_S17_EUlS16_E_NS1_11comp_targetILNS1_3genE4ELNS1_11target_archE910ELNS1_3gpuE8ELNS1_3repE0EEENS1_30default_config_static_selectorELNS0_4arch9wavefront6targetE0EEEvT1_: ; @_ZN7rocprim17ROCPRIM_400000_NS6detail17trampoline_kernelINS0_14default_configENS1_25partition_config_selectorILNS1_17partition_subalgoE5ElNS0_10empty_typeEbEEZZNS1_14partition_implILS5_5ELb0ES3_mN6hipcub16HIPCUB_304000_NS21CountingInputIteratorIllEEPS6_NSA_22TransformInputIteratorIbN2at6native12_GLOBAL__N_19NonZeroOpIfEEPKflEENS0_5tupleIJPlS6_EEENSN_IJSD_SD_EEES6_PiJS6_EEE10hipError_tPvRmT3_T4_T5_T6_T7_T9_mT8_P12ihipStream_tbDpT10_ENKUlT_T0_E_clISt17integral_constantIbLb1EES1A_IbLb0EEEEDaS16_S17_EUlS16_E_NS1_11comp_targetILNS1_3genE4ELNS1_11target_archE910ELNS1_3gpuE8ELNS1_3repE0EEENS1_30default_config_static_selectorELNS0_4arch9wavefront6targetE0EEEvT1_
; %bb.0:
	.section	.rodata,"a",@progbits
	.p2align	6, 0x0
	.amdhsa_kernel _ZN7rocprim17ROCPRIM_400000_NS6detail17trampoline_kernelINS0_14default_configENS1_25partition_config_selectorILNS1_17partition_subalgoE5ElNS0_10empty_typeEbEEZZNS1_14partition_implILS5_5ELb0ES3_mN6hipcub16HIPCUB_304000_NS21CountingInputIteratorIllEEPS6_NSA_22TransformInputIteratorIbN2at6native12_GLOBAL__N_19NonZeroOpIfEEPKflEENS0_5tupleIJPlS6_EEENSN_IJSD_SD_EEES6_PiJS6_EEE10hipError_tPvRmT3_T4_T5_T6_T7_T9_mT8_P12ihipStream_tbDpT10_ENKUlT_T0_E_clISt17integral_constantIbLb1EES1A_IbLb0EEEEDaS16_S17_EUlS16_E_NS1_11comp_targetILNS1_3genE4ELNS1_11target_archE910ELNS1_3gpuE8ELNS1_3repE0EEENS1_30default_config_static_selectorELNS0_4arch9wavefront6targetE0EEEvT1_
		.amdhsa_group_segment_fixed_size 0
		.amdhsa_private_segment_fixed_size 0
		.amdhsa_kernarg_size 120
		.amdhsa_user_sgpr_count 15
		.amdhsa_user_sgpr_dispatch_ptr 0
		.amdhsa_user_sgpr_queue_ptr 0
		.amdhsa_user_sgpr_kernarg_segment_ptr 1
		.amdhsa_user_sgpr_dispatch_id 0
		.amdhsa_user_sgpr_private_segment_size 0
		.amdhsa_wavefront_size32 1
		.amdhsa_uses_dynamic_stack 0
		.amdhsa_enable_private_segment 0
		.amdhsa_system_sgpr_workgroup_id_x 1
		.amdhsa_system_sgpr_workgroup_id_y 0
		.amdhsa_system_sgpr_workgroup_id_z 0
		.amdhsa_system_sgpr_workgroup_info 0
		.amdhsa_system_vgpr_workitem_id 0
		.amdhsa_next_free_vgpr 1
		.amdhsa_next_free_sgpr 1
		.amdhsa_reserve_vcc 0
		.amdhsa_float_round_mode_32 0
		.amdhsa_float_round_mode_16_64 0
		.amdhsa_float_denorm_mode_32 3
		.amdhsa_float_denorm_mode_16_64 3
		.amdhsa_dx10_clamp 1
		.amdhsa_ieee_mode 1
		.amdhsa_fp16_overflow 0
		.amdhsa_workgroup_processor_mode 1
		.amdhsa_memory_ordered 1
		.amdhsa_forward_progress 0
		.amdhsa_shared_vgpr_count 0
		.amdhsa_exception_fp_ieee_invalid_op 0
		.amdhsa_exception_fp_denorm_src 0
		.amdhsa_exception_fp_ieee_div_zero 0
		.amdhsa_exception_fp_ieee_overflow 0
		.amdhsa_exception_fp_ieee_underflow 0
		.amdhsa_exception_fp_ieee_inexact 0
		.amdhsa_exception_int_div_zero 0
	.end_amdhsa_kernel
	.section	.text._ZN7rocprim17ROCPRIM_400000_NS6detail17trampoline_kernelINS0_14default_configENS1_25partition_config_selectorILNS1_17partition_subalgoE5ElNS0_10empty_typeEbEEZZNS1_14partition_implILS5_5ELb0ES3_mN6hipcub16HIPCUB_304000_NS21CountingInputIteratorIllEEPS6_NSA_22TransformInputIteratorIbN2at6native12_GLOBAL__N_19NonZeroOpIfEEPKflEENS0_5tupleIJPlS6_EEENSN_IJSD_SD_EEES6_PiJS6_EEE10hipError_tPvRmT3_T4_T5_T6_T7_T9_mT8_P12ihipStream_tbDpT10_ENKUlT_T0_E_clISt17integral_constantIbLb1EES1A_IbLb0EEEEDaS16_S17_EUlS16_E_NS1_11comp_targetILNS1_3genE4ELNS1_11target_archE910ELNS1_3gpuE8ELNS1_3repE0EEENS1_30default_config_static_selectorELNS0_4arch9wavefront6targetE0EEEvT1_,"axG",@progbits,_ZN7rocprim17ROCPRIM_400000_NS6detail17trampoline_kernelINS0_14default_configENS1_25partition_config_selectorILNS1_17partition_subalgoE5ElNS0_10empty_typeEbEEZZNS1_14partition_implILS5_5ELb0ES3_mN6hipcub16HIPCUB_304000_NS21CountingInputIteratorIllEEPS6_NSA_22TransformInputIteratorIbN2at6native12_GLOBAL__N_19NonZeroOpIfEEPKflEENS0_5tupleIJPlS6_EEENSN_IJSD_SD_EEES6_PiJS6_EEE10hipError_tPvRmT3_T4_T5_T6_T7_T9_mT8_P12ihipStream_tbDpT10_ENKUlT_T0_E_clISt17integral_constantIbLb1EES1A_IbLb0EEEEDaS16_S17_EUlS16_E_NS1_11comp_targetILNS1_3genE4ELNS1_11target_archE910ELNS1_3gpuE8ELNS1_3repE0EEENS1_30default_config_static_selectorELNS0_4arch9wavefront6targetE0EEEvT1_,comdat
.Lfunc_end476:
	.size	_ZN7rocprim17ROCPRIM_400000_NS6detail17trampoline_kernelINS0_14default_configENS1_25partition_config_selectorILNS1_17partition_subalgoE5ElNS0_10empty_typeEbEEZZNS1_14partition_implILS5_5ELb0ES3_mN6hipcub16HIPCUB_304000_NS21CountingInputIteratorIllEEPS6_NSA_22TransformInputIteratorIbN2at6native12_GLOBAL__N_19NonZeroOpIfEEPKflEENS0_5tupleIJPlS6_EEENSN_IJSD_SD_EEES6_PiJS6_EEE10hipError_tPvRmT3_T4_T5_T6_T7_T9_mT8_P12ihipStream_tbDpT10_ENKUlT_T0_E_clISt17integral_constantIbLb1EES1A_IbLb0EEEEDaS16_S17_EUlS16_E_NS1_11comp_targetILNS1_3genE4ELNS1_11target_archE910ELNS1_3gpuE8ELNS1_3repE0EEENS1_30default_config_static_selectorELNS0_4arch9wavefront6targetE0EEEvT1_, .Lfunc_end476-_ZN7rocprim17ROCPRIM_400000_NS6detail17trampoline_kernelINS0_14default_configENS1_25partition_config_selectorILNS1_17partition_subalgoE5ElNS0_10empty_typeEbEEZZNS1_14partition_implILS5_5ELb0ES3_mN6hipcub16HIPCUB_304000_NS21CountingInputIteratorIllEEPS6_NSA_22TransformInputIteratorIbN2at6native12_GLOBAL__N_19NonZeroOpIfEEPKflEENS0_5tupleIJPlS6_EEENSN_IJSD_SD_EEES6_PiJS6_EEE10hipError_tPvRmT3_T4_T5_T6_T7_T9_mT8_P12ihipStream_tbDpT10_ENKUlT_T0_E_clISt17integral_constantIbLb1EES1A_IbLb0EEEEDaS16_S17_EUlS16_E_NS1_11comp_targetILNS1_3genE4ELNS1_11target_archE910ELNS1_3gpuE8ELNS1_3repE0EEENS1_30default_config_static_selectorELNS0_4arch9wavefront6targetE0EEEvT1_
                                        ; -- End function
	.section	.AMDGPU.csdata,"",@progbits
; Kernel info:
; codeLenInByte = 0
; NumSgprs: 0
; NumVgprs: 0
; ScratchSize: 0
; MemoryBound: 0
; FloatMode: 240
; IeeeMode: 1
; LDSByteSize: 0 bytes/workgroup (compile time only)
; SGPRBlocks: 0
; VGPRBlocks: 0
; NumSGPRsForWavesPerEU: 1
; NumVGPRsForWavesPerEU: 1
; Occupancy: 15
; WaveLimiterHint : 0
; COMPUTE_PGM_RSRC2:SCRATCH_EN: 0
; COMPUTE_PGM_RSRC2:USER_SGPR: 15
; COMPUTE_PGM_RSRC2:TRAP_HANDLER: 0
; COMPUTE_PGM_RSRC2:TGID_X_EN: 1
; COMPUTE_PGM_RSRC2:TGID_Y_EN: 0
; COMPUTE_PGM_RSRC2:TGID_Z_EN: 0
; COMPUTE_PGM_RSRC2:TIDIG_COMP_CNT: 0
	.section	.text._ZN7rocprim17ROCPRIM_400000_NS6detail17trampoline_kernelINS0_14default_configENS1_25partition_config_selectorILNS1_17partition_subalgoE5ElNS0_10empty_typeEbEEZZNS1_14partition_implILS5_5ELb0ES3_mN6hipcub16HIPCUB_304000_NS21CountingInputIteratorIllEEPS6_NSA_22TransformInputIteratorIbN2at6native12_GLOBAL__N_19NonZeroOpIfEEPKflEENS0_5tupleIJPlS6_EEENSN_IJSD_SD_EEES6_PiJS6_EEE10hipError_tPvRmT3_T4_T5_T6_T7_T9_mT8_P12ihipStream_tbDpT10_ENKUlT_T0_E_clISt17integral_constantIbLb1EES1A_IbLb0EEEEDaS16_S17_EUlS16_E_NS1_11comp_targetILNS1_3genE3ELNS1_11target_archE908ELNS1_3gpuE7ELNS1_3repE0EEENS1_30default_config_static_selectorELNS0_4arch9wavefront6targetE0EEEvT1_,"axG",@progbits,_ZN7rocprim17ROCPRIM_400000_NS6detail17trampoline_kernelINS0_14default_configENS1_25partition_config_selectorILNS1_17partition_subalgoE5ElNS0_10empty_typeEbEEZZNS1_14partition_implILS5_5ELb0ES3_mN6hipcub16HIPCUB_304000_NS21CountingInputIteratorIllEEPS6_NSA_22TransformInputIteratorIbN2at6native12_GLOBAL__N_19NonZeroOpIfEEPKflEENS0_5tupleIJPlS6_EEENSN_IJSD_SD_EEES6_PiJS6_EEE10hipError_tPvRmT3_T4_T5_T6_T7_T9_mT8_P12ihipStream_tbDpT10_ENKUlT_T0_E_clISt17integral_constantIbLb1EES1A_IbLb0EEEEDaS16_S17_EUlS16_E_NS1_11comp_targetILNS1_3genE3ELNS1_11target_archE908ELNS1_3gpuE7ELNS1_3repE0EEENS1_30default_config_static_selectorELNS0_4arch9wavefront6targetE0EEEvT1_,comdat
	.globl	_ZN7rocprim17ROCPRIM_400000_NS6detail17trampoline_kernelINS0_14default_configENS1_25partition_config_selectorILNS1_17partition_subalgoE5ElNS0_10empty_typeEbEEZZNS1_14partition_implILS5_5ELb0ES3_mN6hipcub16HIPCUB_304000_NS21CountingInputIteratorIllEEPS6_NSA_22TransformInputIteratorIbN2at6native12_GLOBAL__N_19NonZeroOpIfEEPKflEENS0_5tupleIJPlS6_EEENSN_IJSD_SD_EEES6_PiJS6_EEE10hipError_tPvRmT3_T4_T5_T6_T7_T9_mT8_P12ihipStream_tbDpT10_ENKUlT_T0_E_clISt17integral_constantIbLb1EES1A_IbLb0EEEEDaS16_S17_EUlS16_E_NS1_11comp_targetILNS1_3genE3ELNS1_11target_archE908ELNS1_3gpuE7ELNS1_3repE0EEENS1_30default_config_static_selectorELNS0_4arch9wavefront6targetE0EEEvT1_ ; -- Begin function _ZN7rocprim17ROCPRIM_400000_NS6detail17trampoline_kernelINS0_14default_configENS1_25partition_config_selectorILNS1_17partition_subalgoE5ElNS0_10empty_typeEbEEZZNS1_14partition_implILS5_5ELb0ES3_mN6hipcub16HIPCUB_304000_NS21CountingInputIteratorIllEEPS6_NSA_22TransformInputIteratorIbN2at6native12_GLOBAL__N_19NonZeroOpIfEEPKflEENS0_5tupleIJPlS6_EEENSN_IJSD_SD_EEES6_PiJS6_EEE10hipError_tPvRmT3_T4_T5_T6_T7_T9_mT8_P12ihipStream_tbDpT10_ENKUlT_T0_E_clISt17integral_constantIbLb1EES1A_IbLb0EEEEDaS16_S17_EUlS16_E_NS1_11comp_targetILNS1_3genE3ELNS1_11target_archE908ELNS1_3gpuE7ELNS1_3repE0EEENS1_30default_config_static_selectorELNS0_4arch9wavefront6targetE0EEEvT1_
	.p2align	8
	.type	_ZN7rocprim17ROCPRIM_400000_NS6detail17trampoline_kernelINS0_14default_configENS1_25partition_config_selectorILNS1_17partition_subalgoE5ElNS0_10empty_typeEbEEZZNS1_14partition_implILS5_5ELb0ES3_mN6hipcub16HIPCUB_304000_NS21CountingInputIteratorIllEEPS6_NSA_22TransformInputIteratorIbN2at6native12_GLOBAL__N_19NonZeroOpIfEEPKflEENS0_5tupleIJPlS6_EEENSN_IJSD_SD_EEES6_PiJS6_EEE10hipError_tPvRmT3_T4_T5_T6_T7_T9_mT8_P12ihipStream_tbDpT10_ENKUlT_T0_E_clISt17integral_constantIbLb1EES1A_IbLb0EEEEDaS16_S17_EUlS16_E_NS1_11comp_targetILNS1_3genE3ELNS1_11target_archE908ELNS1_3gpuE7ELNS1_3repE0EEENS1_30default_config_static_selectorELNS0_4arch9wavefront6targetE0EEEvT1_,@function
_ZN7rocprim17ROCPRIM_400000_NS6detail17trampoline_kernelINS0_14default_configENS1_25partition_config_selectorILNS1_17partition_subalgoE5ElNS0_10empty_typeEbEEZZNS1_14partition_implILS5_5ELb0ES3_mN6hipcub16HIPCUB_304000_NS21CountingInputIteratorIllEEPS6_NSA_22TransformInputIteratorIbN2at6native12_GLOBAL__N_19NonZeroOpIfEEPKflEENS0_5tupleIJPlS6_EEENSN_IJSD_SD_EEES6_PiJS6_EEE10hipError_tPvRmT3_T4_T5_T6_T7_T9_mT8_P12ihipStream_tbDpT10_ENKUlT_T0_E_clISt17integral_constantIbLb1EES1A_IbLb0EEEEDaS16_S17_EUlS16_E_NS1_11comp_targetILNS1_3genE3ELNS1_11target_archE908ELNS1_3gpuE7ELNS1_3repE0EEENS1_30default_config_static_selectorELNS0_4arch9wavefront6targetE0EEEvT1_: ; @_ZN7rocprim17ROCPRIM_400000_NS6detail17trampoline_kernelINS0_14default_configENS1_25partition_config_selectorILNS1_17partition_subalgoE5ElNS0_10empty_typeEbEEZZNS1_14partition_implILS5_5ELb0ES3_mN6hipcub16HIPCUB_304000_NS21CountingInputIteratorIllEEPS6_NSA_22TransformInputIteratorIbN2at6native12_GLOBAL__N_19NonZeroOpIfEEPKflEENS0_5tupleIJPlS6_EEENSN_IJSD_SD_EEES6_PiJS6_EEE10hipError_tPvRmT3_T4_T5_T6_T7_T9_mT8_P12ihipStream_tbDpT10_ENKUlT_T0_E_clISt17integral_constantIbLb1EES1A_IbLb0EEEEDaS16_S17_EUlS16_E_NS1_11comp_targetILNS1_3genE3ELNS1_11target_archE908ELNS1_3gpuE7ELNS1_3repE0EEENS1_30default_config_static_selectorELNS0_4arch9wavefront6targetE0EEEvT1_
; %bb.0:
	.section	.rodata,"a",@progbits
	.p2align	6, 0x0
	.amdhsa_kernel _ZN7rocprim17ROCPRIM_400000_NS6detail17trampoline_kernelINS0_14default_configENS1_25partition_config_selectorILNS1_17partition_subalgoE5ElNS0_10empty_typeEbEEZZNS1_14partition_implILS5_5ELb0ES3_mN6hipcub16HIPCUB_304000_NS21CountingInputIteratorIllEEPS6_NSA_22TransformInputIteratorIbN2at6native12_GLOBAL__N_19NonZeroOpIfEEPKflEENS0_5tupleIJPlS6_EEENSN_IJSD_SD_EEES6_PiJS6_EEE10hipError_tPvRmT3_T4_T5_T6_T7_T9_mT8_P12ihipStream_tbDpT10_ENKUlT_T0_E_clISt17integral_constantIbLb1EES1A_IbLb0EEEEDaS16_S17_EUlS16_E_NS1_11comp_targetILNS1_3genE3ELNS1_11target_archE908ELNS1_3gpuE7ELNS1_3repE0EEENS1_30default_config_static_selectorELNS0_4arch9wavefront6targetE0EEEvT1_
		.amdhsa_group_segment_fixed_size 0
		.amdhsa_private_segment_fixed_size 0
		.amdhsa_kernarg_size 120
		.amdhsa_user_sgpr_count 15
		.amdhsa_user_sgpr_dispatch_ptr 0
		.amdhsa_user_sgpr_queue_ptr 0
		.amdhsa_user_sgpr_kernarg_segment_ptr 1
		.amdhsa_user_sgpr_dispatch_id 0
		.amdhsa_user_sgpr_private_segment_size 0
		.amdhsa_wavefront_size32 1
		.amdhsa_uses_dynamic_stack 0
		.amdhsa_enable_private_segment 0
		.amdhsa_system_sgpr_workgroup_id_x 1
		.amdhsa_system_sgpr_workgroup_id_y 0
		.amdhsa_system_sgpr_workgroup_id_z 0
		.amdhsa_system_sgpr_workgroup_info 0
		.amdhsa_system_vgpr_workitem_id 0
		.amdhsa_next_free_vgpr 1
		.amdhsa_next_free_sgpr 1
		.amdhsa_reserve_vcc 0
		.amdhsa_float_round_mode_32 0
		.amdhsa_float_round_mode_16_64 0
		.amdhsa_float_denorm_mode_32 3
		.amdhsa_float_denorm_mode_16_64 3
		.amdhsa_dx10_clamp 1
		.amdhsa_ieee_mode 1
		.amdhsa_fp16_overflow 0
		.amdhsa_workgroup_processor_mode 1
		.amdhsa_memory_ordered 1
		.amdhsa_forward_progress 0
		.amdhsa_shared_vgpr_count 0
		.amdhsa_exception_fp_ieee_invalid_op 0
		.amdhsa_exception_fp_denorm_src 0
		.amdhsa_exception_fp_ieee_div_zero 0
		.amdhsa_exception_fp_ieee_overflow 0
		.amdhsa_exception_fp_ieee_underflow 0
		.amdhsa_exception_fp_ieee_inexact 0
		.amdhsa_exception_int_div_zero 0
	.end_amdhsa_kernel
	.section	.text._ZN7rocprim17ROCPRIM_400000_NS6detail17trampoline_kernelINS0_14default_configENS1_25partition_config_selectorILNS1_17partition_subalgoE5ElNS0_10empty_typeEbEEZZNS1_14partition_implILS5_5ELb0ES3_mN6hipcub16HIPCUB_304000_NS21CountingInputIteratorIllEEPS6_NSA_22TransformInputIteratorIbN2at6native12_GLOBAL__N_19NonZeroOpIfEEPKflEENS0_5tupleIJPlS6_EEENSN_IJSD_SD_EEES6_PiJS6_EEE10hipError_tPvRmT3_T4_T5_T6_T7_T9_mT8_P12ihipStream_tbDpT10_ENKUlT_T0_E_clISt17integral_constantIbLb1EES1A_IbLb0EEEEDaS16_S17_EUlS16_E_NS1_11comp_targetILNS1_3genE3ELNS1_11target_archE908ELNS1_3gpuE7ELNS1_3repE0EEENS1_30default_config_static_selectorELNS0_4arch9wavefront6targetE0EEEvT1_,"axG",@progbits,_ZN7rocprim17ROCPRIM_400000_NS6detail17trampoline_kernelINS0_14default_configENS1_25partition_config_selectorILNS1_17partition_subalgoE5ElNS0_10empty_typeEbEEZZNS1_14partition_implILS5_5ELb0ES3_mN6hipcub16HIPCUB_304000_NS21CountingInputIteratorIllEEPS6_NSA_22TransformInputIteratorIbN2at6native12_GLOBAL__N_19NonZeroOpIfEEPKflEENS0_5tupleIJPlS6_EEENSN_IJSD_SD_EEES6_PiJS6_EEE10hipError_tPvRmT3_T4_T5_T6_T7_T9_mT8_P12ihipStream_tbDpT10_ENKUlT_T0_E_clISt17integral_constantIbLb1EES1A_IbLb0EEEEDaS16_S17_EUlS16_E_NS1_11comp_targetILNS1_3genE3ELNS1_11target_archE908ELNS1_3gpuE7ELNS1_3repE0EEENS1_30default_config_static_selectorELNS0_4arch9wavefront6targetE0EEEvT1_,comdat
.Lfunc_end477:
	.size	_ZN7rocprim17ROCPRIM_400000_NS6detail17trampoline_kernelINS0_14default_configENS1_25partition_config_selectorILNS1_17partition_subalgoE5ElNS0_10empty_typeEbEEZZNS1_14partition_implILS5_5ELb0ES3_mN6hipcub16HIPCUB_304000_NS21CountingInputIteratorIllEEPS6_NSA_22TransformInputIteratorIbN2at6native12_GLOBAL__N_19NonZeroOpIfEEPKflEENS0_5tupleIJPlS6_EEENSN_IJSD_SD_EEES6_PiJS6_EEE10hipError_tPvRmT3_T4_T5_T6_T7_T9_mT8_P12ihipStream_tbDpT10_ENKUlT_T0_E_clISt17integral_constantIbLb1EES1A_IbLb0EEEEDaS16_S17_EUlS16_E_NS1_11comp_targetILNS1_3genE3ELNS1_11target_archE908ELNS1_3gpuE7ELNS1_3repE0EEENS1_30default_config_static_selectorELNS0_4arch9wavefront6targetE0EEEvT1_, .Lfunc_end477-_ZN7rocprim17ROCPRIM_400000_NS6detail17trampoline_kernelINS0_14default_configENS1_25partition_config_selectorILNS1_17partition_subalgoE5ElNS0_10empty_typeEbEEZZNS1_14partition_implILS5_5ELb0ES3_mN6hipcub16HIPCUB_304000_NS21CountingInputIteratorIllEEPS6_NSA_22TransformInputIteratorIbN2at6native12_GLOBAL__N_19NonZeroOpIfEEPKflEENS0_5tupleIJPlS6_EEENSN_IJSD_SD_EEES6_PiJS6_EEE10hipError_tPvRmT3_T4_T5_T6_T7_T9_mT8_P12ihipStream_tbDpT10_ENKUlT_T0_E_clISt17integral_constantIbLb1EES1A_IbLb0EEEEDaS16_S17_EUlS16_E_NS1_11comp_targetILNS1_3genE3ELNS1_11target_archE908ELNS1_3gpuE7ELNS1_3repE0EEENS1_30default_config_static_selectorELNS0_4arch9wavefront6targetE0EEEvT1_
                                        ; -- End function
	.section	.AMDGPU.csdata,"",@progbits
; Kernel info:
; codeLenInByte = 0
; NumSgprs: 0
; NumVgprs: 0
; ScratchSize: 0
; MemoryBound: 0
; FloatMode: 240
; IeeeMode: 1
; LDSByteSize: 0 bytes/workgroup (compile time only)
; SGPRBlocks: 0
; VGPRBlocks: 0
; NumSGPRsForWavesPerEU: 1
; NumVGPRsForWavesPerEU: 1
; Occupancy: 16
; WaveLimiterHint : 0
; COMPUTE_PGM_RSRC2:SCRATCH_EN: 0
; COMPUTE_PGM_RSRC2:USER_SGPR: 15
; COMPUTE_PGM_RSRC2:TRAP_HANDLER: 0
; COMPUTE_PGM_RSRC2:TGID_X_EN: 1
; COMPUTE_PGM_RSRC2:TGID_Y_EN: 0
; COMPUTE_PGM_RSRC2:TGID_Z_EN: 0
; COMPUTE_PGM_RSRC2:TIDIG_COMP_CNT: 0
	.section	.text._ZN7rocprim17ROCPRIM_400000_NS6detail17trampoline_kernelINS0_14default_configENS1_25partition_config_selectorILNS1_17partition_subalgoE5ElNS0_10empty_typeEbEEZZNS1_14partition_implILS5_5ELb0ES3_mN6hipcub16HIPCUB_304000_NS21CountingInputIteratorIllEEPS6_NSA_22TransformInputIteratorIbN2at6native12_GLOBAL__N_19NonZeroOpIfEEPKflEENS0_5tupleIJPlS6_EEENSN_IJSD_SD_EEES6_PiJS6_EEE10hipError_tPvRmT3_T4_T5_T6_T7_T9_mT8_P12ihipStream_tbDpT10_ENKUlT_T0_E_clISt17integral_constantIbLb1EES1A_IbLb0EEEEDaS16_S17_EUlS16_E_NS1_11comp_targetILNS1_3genE2ELNS1_11target_archE906ELNS1_3gpuE6ELNS1_3repE0EEENS1_30default_config_static_selectorELNS0_4arch9wavefront6targetE0EEEvT1_,"axG",@progbits,_ZN7rocprim17ROCPRIM_400000_NS6detail17trampoline_kernelINS0_14default_configENS1_25partition_config_selectorILNS1_17partition_subalgoE5ElNS0_10empty_typeEbEEZZNS1_14partition_implILS5_5ELb0ES3_mN6hipcub16HIPCUB_304000_NS21CountingInputIteratorIllEEPS6_NSA_22TransformInputIteratorIbN2at6native12_GLOBAL__N_19NonZeroOpIfEEPKflEENS0_5tupleIJPlS6_EEENSN_IJSD_SD_EEES6_PiJS6_EEE10hipError_tPvRmT3_T4_T5_T6_T7_T9_mT8_P12ihipStream_tbDpT10_ENKUlT_T0_E_clISt17integral_constantIbLb1EES1A_IbLb0EEEEDaS16_S17_EUlS16_E_NS1_11comp_targetILNS1_3genE2ELNS1_11target_archE906ELNS1_3gpuE6ELNS1_3repE0EEENS1_30default_config_static_selectorELNS0_4arch9wavefront6targetE0EEEvT1_,comdat
	.globl	_ZN7rocprim17ROCPRIM_400000_NS6detail17trampoline_kernelINS0_14default_configENS1_25partition_config_selectorILNS1_17partition_subalgoE5ElNS0_10empty_typeEbEEZZNS1_14partition_implILS5_5ELb0ES3_mN6hipcub16HIPCUB_304000_NS21CountingInputIteratorIllEEPS6_NSA_22TransformInputIteratorIbN2at6native12_GLOBAL__N_19NonZeroOpIfEEPKflEENS0_5tupleIJPlS6_EEENSN_IJSD_SD_EEES6_PiJS6_EEE10hipError_tPvRmT3_T4_T5_T6_T7_T9_mT8_P12ihipStream_tbDpT10_ENKUlT_T0_E_clISt17integral_constantIbLb1EES1A_IbLb0EEEEDaS16_S17_EUlS16_E_NS1_11comp_targetILNS1_3genE2ELNS1_11target_archE906ELNS1_3gpuE6ELNS1_3repE0EEENS1_30default_config_static_selectorELNS0_4arch9wavefront6targetE0EEEvT1_ ; -- Begin function _ZN7rocprim17ROCPRIM_400000_NS6detail17trampoline_kernelINS0_14default_configENS1_25partition_config_selectorILNS1_17partition_subalgoE5ElNS0_10empty_typeEbEEZZNS1_14partition_implILS5_5ELb0ES3_mN6hipcub16HIPCUB_304000_NS21CountingInputIteratorIllEEPS6_NSA_22TransformInputIteratorIbN2at6native12_GLOBAL__N_19NonZeroOpIfEEPKflEENS0_5tupleIJPlS6_EEENSN_IJSD_SD_EEES6_PiJS6_EEE10hipError_tPvRmT3_T4_T5_T6_T7_T9_mT8_P12ihipStream_tbDpT10_ENKUlT_T0_E_clISt17integral_constantIbLb1EES1A_IbLb0EEEEDaS16_S17_EUlS16_E_NS1_11comp_targetILNS1_3genE2ELNS1_11target_archE906ELNS1_3gpuE6ELNS1_3repE0EEENS1_30default_config_static_selectorELNS0_4arch9wavefront6targetE0EEEvT1_
	.p2align	8
	.type	_ZN7rocprim17ROCPRIM_400000_NS6detail17trampoline_kernelINS0_14default_configENS1_25partition_config_selectorILNS1_17partition_subalgoE5ElNS0_10empty_typeEbEEZZNS1_14partition_implILS5_5ELb0ES3_mN6hipcub16HIPCUB_304000_NS21CountingInputIteratorIllEEPS6_NSA_22TransformInputIteratorIbN2at6native12_GLOBAL__N_19NonZeroOpIfEEPKflEENS0_5tupleIJPlS6_EEENSN_IJSD_SD_EEES6_PiJS6_EEE10hipError_tPvRmT3_T4_T5_T6_T7_T9_mT8_P12ihipStream_tbDpT10_ENKUlT_T0_E_clISt17integral_constantIbLb1EES1A_IbLb0EEEEDaS16_S17_EUlS16_E_NS1_11comp_targetILNS1_3genE2ELNS1_11target_archE906ELNS1_3gpuE6ELNS1_3repE0EEENS1_30default_config_static_selectorELNS0_4arch9wavefront6targetE0EEEvT1_,@function
_ZN7rocprim17ROCPRIM_400000_NS6detail17trampoline_kernelINS0_14default_configENS1_25partition_config_selectorILNS1_17partition_subalgoE5ElNS0_10empty_typeEbEEZZNS1_14partition_implILS5_5ELb0ES3_mN6hipcub16HIPCUB_304000_NS21CountingInputIteratorIllEEPS6_NSA_22TransformInputIteratorIbN2at6native12_GLOBAL__N_19NonZeroOpIfEEPKflEENS0_5tupleIJPlS6_EEENSN_IJSD_SD_EEES6_PiJS6_EEE10hipError_tPvRmT3_T4_T5_T6_T7_T9_mT8_P12ihipStream_tbDpT10_ENKUlT_T0_E_clISt17integral_constantIbLb1EES1A_IbLb0EEEEDaS16_S17_EUlS16_E_NS1_11comp_targetILNS1_3genE2ELNS1_11target_archE906ELNS1_3gpuE6ELNS1_3repE0EEENS1_30default_config_static_selectorELNS0_4arch9wavefront6targetE0EEEvT1_: ; @_ZN7rocprim17ROCPRIM_400000_NS6detail17trampoline_kernelINS0_14default_configENS1_25partition_config_selectorILNS1_17partition_subalgoE5ElNS0_10empty_typeEbEEZZNS1_14partition_implILS5_5ELb0ES3_mN6hipcub16HIPCUB_304000_NS21CountingInputIteratorIllEEPS6_NSA_22TransformInputIteratorIbN2at6native12_GLOBAL__N_19NonZeroOpIfEEPKflEENS0_5tupleIJPlS6_EEENSN_IJSD_SD_EEES6_PiJS6_EEE10hipError_tPvRmT3_T4_T5_T6_T7_T9_mT8_P12ihipStream_tbDpT10_ENKUlT_T0_E_clISt17integral_constantIbLb1EES1A_IbLb0EEEEDaS16_S17_EUlS16_E_NS1_11comp_targetILNS1_3genE2ELNS1_11target_archE906ELNS1_3gpuE6ELNS1_3repE0EEENS1_30default_config_static_selectorELNS0_4arch9wavefront6targetE0EEEvT1_
; %bb.0:
	.section	.rodata,"a",@progbits
	.p2align	6, 0x0
	.amdhsa_kernel _ZN7rocprim17ROCPRIM_400000_NS6detail17trampoline_kernelINS0_14default_configENS1_25partition_config_selectorILNS1_17partition_subalgoE5ElNS0_10empty_typeEbEEZZNS1_14partition_implILS5_5ELb0ES3_mN6hipcub16HIPCUB_304000_NS21CountingInputIteratorIllEEPS6_NSA_22TransformInputIteratorIbN2at6native12_GLOBAL__N_19NonZeroOpIfEEPKflEENS0_5tupleIJPlS6_EEENSN_IJSD_SD_EEES6_PiJS6_EEE10hipError_tPvRmT3_T4_T5_T6_T7_T9_mT8_P12ihipStream_tbDpT10_ENKUlT_T0_E_clISt17integral_constantIbLb1EES1A_IbLb0EEEEDaS16_S17_EUlS16_E_NS1_11comp_targetILNS1_3genE2ELNS1_11target_archE906ELNS1_3gpuE6ELNS1_3repE0EEENS1_30default_config_static_selectorELNS0_4arch9wavefront6targetE0EEEvT1_
		.amdhsa_group_segment_fixed_size 0
		.amdhsa_private_segment_fixed_size 0
		.amdhsa_kernarg_size 120
		.amdhsa_user_sgpr_count 15
		.amdhsa_user_sgpr_dispatch_ptr 0
		.amdhsa_user_sgpr_queue_ptr 0
		.amdhsa_user_sgpr_kernarg_segment_ptr 1
		.amdhsa_user_sgpr_dispatch_id 0
		.amdhsa_user_sgpr_private_segment_size 0
		.amdhsa_wavefront_size32 1
		.amdhsa_uses_dynamic_stack 0
		.amdhsa_enable_private_segment 0
		.amdhsa_system_sgpr_workgroup_id_x 1
		.amdhsa_system_sgpr_workgroup_id_y 0
		.amdhsa_system_sgpr_workgroup_id_z 0
		.amdhsa_system_sgpr_workgroup_info 0
		.amdhsa_system_vgpr_workitem_id 0
		.amdhsa_next_free_vgpr 1
		.amdhsa_next_free_sgpr 1
		.amdhsa_reserve_vcc 0
		.amdhsa_float_round_mode_32 0
		.amdhsa_float_round_mode_16_64 0
		.amdhsa_float_denorm_mode_32 3
		.amdhsa_float_denorm_mode_16_64 3
		.amdhsa_dx10_clamp 1
		.amdhsa_ieee_mode 1
		.amdhsa_fp16_overflow 0
		.amdhsa_workgroup_processor_mode 1
		.amdhsa_memory_ordered 1
		.amdhsa_forward_progress 0
		.amdhsa_shared_vgpr_count 0
		.amdhsa_exception_fp_ieee_invalid_op 0
		.amdhsa_exception_fp_denorm_src 0
		.amdhsa_exception_fp_ieee_div_zero 0
		.amdhsa_exception_fp_ieee_overflow 0
		.amdhsa_exception_fp_ieee_underflow 0
		.amdhsa_exception_fp_ieee_inexact 0
		.amdhsa_exception_int_div_zero 0
	.end_amdhsa_kernel
	.section	.text._ZN7rocprim17ROCPRIM_400000_NS6detail17trampoline_kernelINS0_14default_configENS1_25partition_config_selectorILNS1_17partition_subalgoE5ElNS0_10empty_typeEbEEZZNS1_14partition_implILS5_5ELb0ES3_mN6hipcub16HIPCUB_304000_NS21CountingInputIteratorIllEEPS6_NSA_22TransformInputIteratorIbN2at6native12_GLOBAL__N_19NonZeroOpIfEEPKflEENS0_5tupleIJPlS6_EEENSN_IJSD_SD_EEES6_PiJS6_EEE10hipError_tPvRmT3_T4_T5_T6_T7_T9_mT8_P12ihipStream_tbDpT10_ENKUlT_T0_E_clISt17integral_constantIbLb1EES1A_IbLb0EEEEDaS16_S17_EUlS16_E_NS1_11comp_targetILNS1_3genE2ELNS1_11target_archE906ELNS1_3gpuE6ELNS1_3repE0EEENS1_30default_config_static_selectorELNS0_4arch9wavefront6targetE0EEEvT1_,"axG",@progbits,_ZN7rocprim17ROCPRIM_400000_NS6detail17trampoline_kernelINS0_14default_configENS1_25partition_config_selectorILNS1_17partition_subalgoE5ElNS0_10empty_typeEbEEZZNS1_14partition_implILS5_5ELb0ES3_mN6hipcub16HIPCUB_304000_NS21CountingInputIteratorIllEEPS6_NSA_22TransformInputIteratorIbN2at6native12_GLOBAL__N_19NonZeroOpIfEEPKflEENS0_5tupleIJPlS6_EEENSN_IJSD_SD_EEES6_PiJS6_EEE10hipError_tPvRmT3_T4_T5_T6_T7_T9_mT8_P12ihipStream_tbDpT10_ENKUlT_T0_E_clISt17integral_constantIbLb1EES1A_IbLb0EEEEDaS16_S17_EUlS16_E_NS1_11comp_targetILNS1_3genE2ELNS1_11target_archE906ELNS1_3gpuE6ELNS1_3repE0EEENS1_30default_config_static_selectorELNS0_4arch9wavefront6targetE0EEEvT1_,comdat
.Lfunc_end478:
	.size	_ZN7rocprim17ROCPRIM_400000_NS6detail17trampoline_kernelINS0_14default_configENS1_25partition_config_selectorILNS1_17partition_subalgoE5ElNS0_10empty_typeEbEEZZNS1_14partition_implILS5_5ELb0ES3_mN6hipcub16HIPCUB_304000_NS21CountingInputIteratorIllEEPS6_NSA_22TransformInputIteratorIbN2at6native12_GLOBAL__N_19NonZeroOpIfEEPKflEENS0_5tupleIJPlS6_EEENSN_IJSD_SD_EEES6_PiJS6_EEE10hipError_tPvRmT3_T4_T5_T6_T7_T9_mT8_P12ihipStream_tbDpT10_ENKUlT_T0_E_clISt17integral_constantIbLb1EES1A_IbLb0EEEEDaS16_S17_EUlS16_E_NS1_11comp_targetILNS1_3genE2ELNS1_11target_archE906ELNS1_3gpuE6ELNS1_3repE0EEENS1_30default_config_static_selectorELNS0_4arch9wavefront6targetE0EEEvT1_, .Lfunc_end478-_ZN7rocprim17ROCPRIM_400000_NS6detail17trampoline_kernelINS0_14default_configENS1_25partition_config_selectorILNS1_17partition_subalgoE5ElNS0_10empty_typeEbEEZZNS1_14partition_implILS5_5ELb0ES3_mN6hipcub16HIPCUB_304000_NS21CountingInputIteratorIllEEPS6_NSA_22TransformInputIteratorIbN2at6native12_GLOBAL__N_19NonZeroOpIfEEPKflEENS0_5tupleIJPlS6_EEENSN_IJSD_SD_EEES6_PiJS6_EEE10hipError_tPvRmT3_T4_T5_T6_T7_T9_mT8_P12ihipStream_tbDpT10_ENKUlT_T0_E_clISt17integral_constantIbLb1EES1A_IbLb0EEEEDaS16_S17_EUlS16_E_NS1_11comp_targetILNS1_3genE2ELNS1_11target_archE906ELNS1_3gpuE6ELNS1_3repE0EEENS1_30default_config_static_selectorELNS0_4arch9wavefront6targetE0EEEvT1_
                                        ; -- End function
	.section	.AMDGPU.csdata,"",@progbits
; Kernel info:
; codeLenInByte = 0
; NumSgprs: 0
; NumVgprs: 0
; ScratchSize: 0
; MemoryBound: 0
; FloatMode: 240
; IeeeMode: 1
; LDSByteSize: 0 bytes/workgroup (compile time only)
; SGPRBlocks: 0
; VGPRBlocks: 0
; NumSGPRsForWavesPerEU: 1
; NumVGPRsForWavesPerEU: 1
; Occupancy: 16
; WaveLimiterHint : 0
; COMPUTE_PGM_RSRC2:SCRATCH_EN: 0
; COMPUTE_PGM_RSRC2:USER_SGPR: 15
; COMPUTE_PGM_RSRC2:TRAP_HANDLER: 0
; COMPUTE_PGM_RSRC2:TGID_X_EN: 1
; COMPUTE_PGM_RSRC2:TGID_Y_EN: 0
; COMPUTE_PGM_RSRC2:TGID_Z_EN: 0
; COMPUTE_PGM_RSRC2:TIDIG_COMP_CNT: 0
	.section	.text._ZN7rocprim17ROCPRIM_400000_NS6detail17trampoline_kernelINS0_14default_configENS1_25partition_config_selectorILNS1_17partition_subalgoE5ElNS0_10empty_typeEbEEZZNS1_14partition_implILS5_5ELb0ES3_mN6hipcub16HIPCUB_304000_NS21CountingInputIteratorIllEEPS6_NSA_22TransformInputIteratorIbN2at6native12_GLOBAL__N_19NonZeroOpIfEEPKflEENS0_5tupleIJPlS6_EEENSN_IJSD_SD_EEES6_PiJS6_EEE10hipError_tPvRmT3_T4_T5_T6_T7_T9_mT8_P12ihipStream_tbDpT10_ENKUlT_T0_E_clISt17integral_constantIbLb1EES1A_IbLb0EEEEDaS16_S17_EUlS16_E_NS1_11comp_targetILNS1_3genE10ELNS1_11target_archE1200ELNS1_3gpuE4ELNS1_3repE0EEENS1_30default_config_static_selectorELNS0_4arch9wavefront6targetE0EEEvT1_,"axG",@progbits,_ZN7rocprim17ROCPRIM_400000_NS6detail17trampoline_kernelINS0_14default_configENS1_25partition_config_selectorILNS1_17partition_subalgoE5ElNS0_10empty_typeEbEEZZNS1_14partition_implILS5_5ELb0ES3_mN6hipcub16HIPCUB_304000_NS21CountingInputIteratorIllEEPS6_NSA_22TransformInputIteratorIbN2at6native12_GLOBAL__N_19NonZeroOpIfEEPKflEENS0_5tupleIJPlS6_EEENSN_IJSD_SD_EEES6_PiJS6_EEE10hipError_tPvRmT3_T4_T5_T6_T7_T9_mT8_P12ihipStream_tbDpT10_ENKUlT_T0_E_clISt17integral_constantIbLb1EES1A_IbLb0EEEEDaS16_S17_EUlS16_E_NS1_11comp_targetILNS1_3genE10ELNS1_11target_archE1200ELNS1_3gpuE4ELNS1_3repE0EEENS1_30default_config_static_selectorELNS0_4arch9wavefront6targetE0EEEvT1_,comdat
	.globl	_ZN7rocprim17ROCPRIM_400000_NS6detail17trampoline_kernelINS0_14default_configENS1_25partition_config_selectorILNS1_17partition_subalgoE5ElNS0_10empty_typeEbEEZZNS1_14partition_implILS5_5ELb0ES3_mN6hipcub16HIPCUB_304000_NS21CountingInputIteratorIllEEPS6_NSA_22TransformInputIteratorIbN2at6native12_GLOBAL__N_19NonZeroOpIfEEPKflEENS0_5tupleIJPlS6_EEENSN_IJSD_SD_EEES6_PiJS6_EEE10hipError_tPvRmT3_T4_T5_T6_T7_T9_mT8_P12ihipStream_tbDpT10_ENKUlT_T0_E_clISt17integral_constantIbLb1EES1A_IbLb0EEEEDaS16_S17_EUlS16_E_NS1_11comp_targetILNS1_3genE10ELNS1_11target_archE1200ELNS1_3gpuE4ELNS1_3repE0EEENS1_30default_config_static_selectorELNS0_4arch9wavefront6targetE0EEEvT1_ ; -- Begin function _ZN7rocprim17ROCPRIM_400000_NS6detail17trampoline_kernelINS0_14default_configENS1_25partition_config_selectorILNS1_17partition_subalgoE5ElNS0_10empty_typeEbEEZZNS1_14partition_implILS5_5ELb0ES3_mN6hipcub16HIPCUB_304000_NS21CountingInputIteratorIllEEPS6_NSA_22TransformInputIteratorIbN2at6native12_GLOBAL__N_19NonZeroOpIfEEPKflEENS0_5tupleIJPlS6_EEENSN_IJSD_SD_EEES6_PiJS6_EEE10hipError_tPvRmT3_T4_T5_T6_T7_T9_mT8_P12ihipStream_tbDpT10_ENKUlT_T0_E_clISt17integral_constantIbLb1EES1A_IbLb0EEEEDaS16_S17_EUlS16_E_NS1_11comp_targetILNS1_3genE10ELNS1_11target_archE1200ELNS1_3gpuE4ELNS1_3repE0EEENS1_30default_config_static_selectorELNS0_4arch9wavefront6targetE0EEEvT1_
	.p2align	8
	.type	_ZN7rocprim17ROCPRIM_400000_NS6detail17trampoline_kernelINS0_14default_configENS1_25partition_config_selectorILNS1_17partition_subalgoE5ElNS0_10empty_typeEbEEZZNS1_14partition_implILS5_5ELb0ES3_mN6hipcub16HIPCUB_304000_NS21CountingInputIteratorIllEEPS6_NSA_22TransformInputIteratorIbN2at6native12_GLOBAL__N_19NonZeroOpIfEEPKflEENS0_5tupleIJPlS6_EEENSN_IJSD_SD_EEES6_PiJS6_EEE10hipError_tPvRmT3_T4_T5_T6_T7_T9_mT8_P12ihipStream_tbDpT10_ENKUlT_T0_E_clISt17integral_constantIbLb1EES1A_IbLb0EEEEDaS16_S17_EUlS16_E_NS1_11comp_targetILNS1_3genE10ELNS1_11target_archE1200ELNS1_3gpuE4ELNS1_3repE0EEENS1_30default_config_static_selectorELNS0_4arch9wavefront6targetE0EEEvT1_,@function
_ZN7rocprim17ROCPRIM_400000_NS6detail17trampoline_kernelINS0_14default_configENS1_25partition_config_selectorILNS1_17partition_subalgoE5ElNS0_10empty_typeEbEEZZNS1_14partition_implILS5_5ELb0ES3_mN6hipcub16HIPCUB_304000_NS21CountingInputIteratorIllEEPS6_NSA_22TransformInputIteratorIbN2at6native12_GLOBAL__N_19NonZeroOpIfEEPKflEENS0_5tupleIJPlS6_EEENSN_IJSD_SD_EEES6_PiJS6_EEE10hipError_tPvRmT3_T4_T5_T6_T7_T9_mT8_P12ihipStream_tbDpT10_ENKUlT_T0_E_clISt17integral_constantIbLb1EES1A_IbLb0EEEEDaS16_S17_EUlS16_E_NS1_11comp_targetILNS1_3genE10ELNS1_11target_archE1200ELNS1_3gpuE4ELNS1_3repE0EEENS1_30default_config_static_selectorELNS0_4arch9wavefront6targetE0EEEvT1_: ; @_ZN7rocprim17ROCPRIM_400000_NS6detail17trampoline_kernelINS0_14default_configENS1_25partition_config_selectorILNS1_17partition_subalgoE5ElNS0_10empty_typeEbEEZZNS1_14partition_implILS5_5ELb0ES3_mN6hipcub16HIPCUB_304000_NS21CountingInputIteratorIllEEPS6_NSA_22TransformInputIteratorIbN2at6native12_GLOBAL__N_19NonZeroOpIfEEPKflEENS0_5tupleIJPlS6_EEENSN_IJSD_SD_EEES6_PiJS6_EEE10hipError_tPvRmT3_T4_T5_T6_T7_T9_mT8_P12ihipStream_tbDpT10_ENKUlT_T0_E_clISt17integral_constantIbLb1EES1A_IbLb0EEEEDaS16_S17_EUlS16_E_NS1_11comp_targetILNS1_3genE10ELNS1_11target_archE1200ELNS1_3gpuE4ELNS1_3repE0EEENS1_30default_config_static_selectorELNS0_4arch9wavefront6targetE0EEEvT1_
; %bb.0:
	.section	.rodata,"a",@progbits
	.p2align	6, 0x0
	.amdhsa_kernel _ZN7rocprim17ROCPRIM_400000_NS6detail17trampoline_kernelINS0_14default_configENS1_25partition_config_selectorILNS1_17partition_subalgoE5ElNS0_10empty_typeEbEEZZNS1_14partition_implILS5_5ELb0ES3_mN6hipcub16HIPCUB_304000_NS21CountingInputIteratorIllEEPS6_NSA_22TransformInputIteratorIbN2at6native12_GLOBAL__N_19NonZeroOpIfEEPKflEENS0_5tupleIJPlS6_EEENSN_IJSD_SD_EEES6_PiJS6_EEE10hipError_tPvRmT3_T4_T5_T6_T7_T9_mT8_P12ihipStream_tbDpT10_ENKUlT_T0_E_clISt17integral_constantIbLb1EES1A_IbLb0EEEEDaS16_S17_EUlS16_E_NS1_11comp_targetILNS1_3genE10ELNS1_11target_archE1200ELNS1_3gpuE4ELNS1_3repE0EEENS1_30default_config_static_selectorELNS0_4arch9wavefront6targetE0EEEvT1_
		.amdhsa_group_segment_fixed_size 0
		.amdhsa_private_segment_fixed_size 0
		.amdhsa_kernarg_size 120
		.amdhsa_user_sgpr_count 15
		.amdhsa_user_sgpr_dispatch_ptr 0
		.amdhsa_user_sgpr_queue_ptr 0
		.amdhsa_user_sgpr_kernarg_segment_ptr 1
		.amdhsa_user_sgpr_dispatch_id 0
		.amdhsa_user_sgpr_private_segment_size 0
		.amdhsa_wavefront_size32 1
		.amdhsa_uses_dynamic_stack 0
		.amdhsa_enable_private_segment 0
		.amdhsa_system_sgpr_workgroup_id_x 1
		.amdhsa_system_sgpr_workgroup_id_y 0
		.amdhsa_system_sgpr_workgroup_id_z 0
		.amdhsa_system_sgpr_workgroup_info 0
		.amdhsa_system_vgpr_workitem_id 0
		.amdhsa_next_free_vgpr 1
		.amdhsa_next_free_sgpr 1
		.amdhsa_reserve_vcc 0
		.amdhsa_float_round_mode_32 0
		.amdhsa_float_round_mode_16_64 0
		.amdhsa_float_denorm_mode_32 3
		.amdhsa_float_denorm_mode_16_64 3
		.amdhsa_dx10_clamp 1
		.amdhsa_ieee_mode 1
		.amdhsa_fp16_overflow 0
		.amdhsa_workgroup_processor_mode 1
		.amdhsa_memory_ordered 1
		.amdhsa_forward_progress 0
		.amdhsa_shared_vgpr_count 0
		.amdhsa_exception_fp_ieee_invalid_op 0
		.amdhsa_exception_fp_denorm_src 0
		.amdhsa_exception_fp_ieee_div_zero 0
		.amdhsa_exception_fp_ieee_overflow 0
		.amdhsa_exception_fp_ieee_underflow 0
		.amdhsa_exception_fp_ieee_inexact 0
		.amdhsa_exception_int_div_zero 0
	.end_amdhsa_kernel
	.section	.text._ZN7rocprim17ROCPRIM_400000_NS6detail17trampoline_kernelINS0_14default_configENS1_25partition_config_selectorILNS1_17partition_subalgoE5ElNS0_10empty_typeEbEEZZNS1_14partition_implILS5_5ELb0ES3_mN6hipcub16HIPCUB_304000_NS21CountingInputIteratorIllEEPS6_NSA_22TransformInputIteratorIbN2at6native12_GLOBAL__N_19NonZeroOpIfEEPKflEENS0_5tupleIJPlS6_EEENSN_IJSD_SD_EEES6_PiJS6_EEE10hipError_tPvRmT3_T4_T5_T6_T7_T9_mT8_P12ihipStream_tbDpT10_ENKUlT_T0_E_clISt17integral_constantIbLb1EES1A_IbLb0EEEEDaS16_S17_EUlS16_E_NS1_11comp_targetILNS1_3genE10ELNS1_11target_archE1200ELNS1_3gpuE4ELNS1_3repE0EEENS1_30default_config_static_selectorELNS0_4arch9wavefront6targetE0EEEvT1_,"axG",@progbits,_ZN7rocprim17ROCPRIM_400000_NS6detail17trampoline_kernelINS0_14default_configENS1_25partition_config_selectorILNS1_17partition_subalgoE5ElNS0_10empty_typeEbEEZZNS1_14partition_implILS5_5ELb0ES3_mN6hipcub16HIPCUB_304000_NS21CountingInputIteratorIllEEPS6_NSA_22TransformInputIteratorIbN2at6native12_GLOBAL__N_19NonZeroOpIfEEPKflEENS0_5tupleIJPlS6_EEENSN_IJSD_SD_EEES6_PiJS6_EEE10hipError_tPvRmT3_T4_T5_T6_T7_T9_mT8_P12ihipStream_tbDpT10_ENKUlT_T0_E_clISt17integral_constantIbLb1EES1A_IbLb0EEEEDaS16_S17_EUlS16_E_NS1_11comp_targetILNS1_3genE10ELNS1_11target_archE1200ELNS1_3gpuE4ELNS1_3repE0EEENS1_30default_config_static_selectorELNS0_4arch9wavefront6targetE0EEEvT1_,comdat
.Lfunc_end479:
	.size	_ZN7rocprim17ROCPRIM_400000_NS6detail17trampoline_kernelINS0_14default_configENS1_25partition_config_selectorILNS1_17partition_subalgoE5ElNS0_10empty_typeEbEEZZNS1_14partition_implILS5_5ELb0ES3_mN6hipcub16HIPCUB_304000_NS21CountingInputIteratorIllEEPS6_NSA_22TransformInputIteratorIbN2at6native12_GLOBAL__N_19NonZeroOpIfEEPKflEENS0_5tupleIJPlS6_EEENSN_IJSD_SD_EEES6_PiJS6_EEE10hipError_tPvRmT3_T4_T5_T6_T7_T9_mT8_P12ihipStream_tbDpT10_ENKUlT_T0_E_clISt17integral_constantIbLb1EES1A_IbLb0EEEEDaS16_S17_EUlS16_E_NS1_11comp_targetILNS1_3genE10ELNS1_11target_archE1200ELNS1_3gpuE4ELNS1_3repE0EEENS1_30default_config_static_selectorELNS0_4arch9wavefront6targetE0EEEvT1_, .Lfunc_end479-_ZN7rocprim17ROCPRIM_400000_NS6detail17trampoline_kernelINS0_14default_configENS1_25partition_config_selectorILNS1_17partition_subalgoE5ElNS0_10empty_typeEbEEZZNS1_14partition_implILS5_5ELb0ES3_mN6hipcub16HIPCUB_304000_NS21CountingInputIteratorIllEEPS6_NSA_22TransformInputIteratorIbN2at6native12_GLOBAL__N_19NonZeroOpIfEEPKflEENS0_5tupleIJPlS6_EEENSN_IJSD_SD_EEES6_PiJS6_EEE10hipError_tPvRmT3_T4_T5_T6_T7_T9_mT8_P12ihipStream_tbDpT10_ENKUlT_T0_E_clISt17integral_constantIbLb1EES1A_IbLb0EEEEDaS16_S17_EUlS16_E_NS1_11comp_targetILNS1_3genE10ELNS1_11target_archE1200ELNS1_3gpuE4ELNS1_3repE0EEENS1_30default_config_static_selectorELNS0_4arch9wavefront6targetE0EEEvT1_
                                        ; -- End function
	.section	.AMDGPU.csdata,"",@progbits
; Kernel info:
; codeLenInByte = 0
; NumSgprs: 0
; NumVgprs: 0
; ScratchSize: 0
; MemoryBound: 0
; FloatMode: 240
; IeeeMode: 1
; LDSByteSize: 0 bytes/workgroup (compile time only)
; SGPRBlocks: 0
; VGPRBlocks: 0
; NumSGPRsForWavesPerEU: 1
; NumVGPRsForWavesPerEU: 1
; Occupancy: 16
; WaveLimiterHint : 0
; COMPUTE_PGM_RSRC2:SCRATCH_EN: 0
; COMPUTE_PGM_RSRC2:USER_SGPR: 15
; COMPUTE_PGM_RSRC2:TRAP_HANDLER: 0
; COMPUTE_PGM_RSRC2:TGID_X_EN: 1
; COMPUTE_PGM_RSRC2:TGID_Y_EN: 0
; COMPUTE_PGM_RSRC2:TGID_Z_EN: 0
; COMPUTE_PGM_RSRC2:TIDIG_COMP_CNT: 0
	.section	.text._ZN7rocprim17ROCPRIM_400000_NS6detail17trampoline_kernelINS0_14default_configENS1_25partition_config_selectorILNS1_17partition_subalgoE5ElNS0_10empty_typeEbEEZZNS1_14partition_implILS5_5ELb0ES3_mN6hipcub16HIPCUB_304000_NS21CountingInputIteratorIllEEPS6_NSA_22TransformInputIteratorIbN2at6native12_GLOBAL__N_19NonZeroOpIfEEPKflEENS0_5tupleIJPlS6_EEENSN_IJSD_SD_EEES6_PiJS6_EEE10hipError_tPvRmT3_T4_T5_T6_T7_T9_mT8_P12ihipStream_tbDpT10_ENKUlT_T0_E_clISt17integral_constantIbLb1EES1A_IbLb0EEEEDaS16_S17_EUlS16_E_NS1_11comp_targetILNS1_3genE9ELNS1_11target_archE1100ELNS1_3gpuE3ELNS1_3repE0EEENS1_30default_config_static_selectorELNS0_4arch9wavefront6targetE0EEEvT1_,"axG",@progbits,_ZN7rocprim17ROCPRIM_400000_NS6detail17trampoline_kernelINS0_14default_configENS1_25partition_config_selectorILNS1_17partition_subalgoE5ElNS0_10empty_typeEbEEZZNS1_14partition_implILS5_5ELb0ES3_mN6hipcub16HIPCUB_304000_NS21CountingInputIteratorIllEEPS6_NSA_22TransformInputIteratorIbN2at6native12_GLOBAL__N_19NonZeroOpIfEEPKflEENS0_5tupleIJPlS6_EEENSN_IJSD_SD_EEES6_PiJS6_EEE10hipError_tPvRmT3_T4_T5_T6_T7_T9_mT8_P12ihipStream_tbDpT10_ENKUlT_T0_E_clISt17integral_constantIbLb1EES1A_IbLb0EEEEDaS16_S17_EUlS16_E_NS1_11comp_targetILNS1_3genE9ELNS1_11target_archE1100ELNS1_3gpuE3ELNS1_3repE0EEENS1_30default_config_static_selectorELNS0_4arch9wavefront6targetE0EEEvT1_,comdat
	.globl	_ZN7rocprim17ROCPRIM_400000_NS6detail17trampoline_kernelINS0_14default_configENS1_25partition_config_selectorILNS1_17partition_subalgoE5ElNS0_10empty_typeEbEEZZNS1_14partition_implILS5_5ELb0ES3_mN6hipcub16HIPCUB_304000_NS21CountingInputIteratorIllEEPS6_NSA_22TransformInputIteratorIbN2at6native12_GLOBAL__N_19NonZeroOpIfEEPKflEENS0_5tupleIJPlS6_EEENSN_IJSD_SD_EEES6_PiJS6_EEE10hipError_tPvRmT3_T4_T5_T6_T7_T9_mT8_P12ihipStream_tbDpT10_ENKUlT_T0_E_clISt17integral_constantIbLb1EES1A_IbLb0EEEEDaS16_S17_EUlS16_E_NS1_11comp_targetILNS1_3genE9ELNS1_11target_archE1100ELNS1_3gpuE3ELNS1_3repE0EEENS1_30default_config_static_selectorELNS0_4arch9wavefront6targetE0EEEvT1_ ; -- Begin function _ZN7rocprim17ROCPRIM_400000_NS6detail17trampoline_kernelINS0_14default_configENS1_25partition_config_selectorILNS1_17partition_subalgoE5ElNS0_10empty_typeEbEEZZNS1_14partition_implILS5_5ELb0ES3_mN6hipcub16HIPCUB_304000_NS21CountingInputIteratorIllEEPS6_NSA_22TransformInputIteratorIbN2at6native12_GLOBAL__N_19NonZeroOpIfEEPKflEENS0_5tupleIJPlS6_EEENSN_IJSD_SD_EEES6_PiJS6_EEE10hipError_tPvRmT3_T4_T5_T6_T7_T9_mT8_P12ihipStream_tbDpT10_ENKUlT_T0_E_clISt17integral_constantIbLb1EES1A_IbLb0EEEEDaS16_S17_EUlS16_E_NS1_11comp_targetILNS1_3genE9ELNS1_11target_archE1100ELNS1_3gpuE3ELNS1_3repE0EEENS1_30default_config_static_selectorELNS0_4arch9wavefront6targetE0EEEvT1_
	.p2align	8
	.type	_ZN7rocprim17ROCPRIM_400000_NS6detail17trampoline_kernelINS0_14default_configENS1_25partition_config_selectorILNS1_17partition_subalgoE5ElNS0_10empty_typeEbEEZZNS1_14partition_implILS5_5ELb0ES3_mN6hipcub16HIPCUB_304000_NS21CountingInputIteratorIllEEPS6_NSA_22TransformInputIteratorIbN2at6native12_GLOBAL__N_19NonZeroOpIfEEPKflEENS0_5tupleIJPlS6_EEENSN_IJSD_SD_EEES6_PiJS6_EEE10hipError_tPvRmT3_T4_T5_T6_T7_T9_mT8_P12ihipStream_tbDpT10_ENKUlT_T0_E_clISt17integral_constantIbLb1EES1A_IbLb0EEEEDaS16_S17_EUlS16_E_NS1_11comp_targetILNS1_3genE9ELNS1_11target_archE1100ELNS1_3gpuE3ELNS1_3repE0EEENS1_30default_config_static_selectorELNS0_4arch9wavefront6targetE0EEEvT1_,@function
_ZN7rocprim17ROCPRIM_400000_NS6detail17trampoline_kernelINS0_14default_configENS1_25partition_config_selectorILNS1_17partition_subalgoE5ElNS0_10empty_typeEbEEZZNS1_14partition_implILS5_5ELb0ES3_mN6hipcub16HIPCUB_304000_NS21CountingInputIteratorIllEEPS6_NSA_22TransformInputIteratorIbN2at6native12_GLOBAL__N_19NonZeroOpIfEEPKflEENS0_5tupleIJPlS6_EEENSN_IJSD_SD_EEES6_PiJS6_EEE10hipError_tPvRmT3_T4_T5_T6_T7_T9_mT8_P12ihipStream_tbDpT10_ENKUlT_T0_E_clISt17integral_constantIbLb1EES1A_IbLb0EEEEDaS16_S17_EUlS16_E_NS1_11comp_targetILNS1_3genE9ELNS1_11target_archE1100ELNS1_3gpuE3ELNS1_3repE0EEENS1_30default_config_static_selectorELNS0_4arch9wavefront6targetE0EEEvT1_: ; @_ZN7rocprim17ROCPRIM_400000_NS6detail17trampoline_kernelINS0_14default_configENS1_25partition_config_selectorILNS1_17partition_subalgoE5ElNS0_10empty_typeEbEEZZNS1_14partition_implILS5_5ELb0ES3_mN6hipcub16HIPCUB_304000_NS21CountingInputIteratorIllEEPS6_NSA_22TransformInputIteratorIbN2at6native12_GLOBAL__N_19NonZeroOpIfEEPKflEENS0_5tupleIJPlS6_EEENSN_IJSD_SD_EEES6_PiJS6_EEE10hipError_tPvRmT3_T4_T5_T6_T7_T9_mT8_P12ihipStream_tbDpT10_ENKUlT_T0_E_clISt17integral_constantIbLb1EES1A_IbLb0EEEEDaS16_S17_EUlS16_E_NS1_11comp_targetILNS1_3genE9ELNS1_11target_archE1100ELNS1_3gpuE3ELNS1_3repE0EEENS1_30default_config_static_selectorELNS0_4arch9wavefront6targetE0EEEvT1_
; %bb.0:
	s_clause 0x4
	s_load_b128 s[8:11], s[0:1], 0x8
	s_load_b128 s[4:7], s[0:1], 0x48
	s_load_b32 s14, s[0:1], 0x70
	s_load_b64 s[2:3], s[0:1], 0x58
	s_load_b64 s[12:13], s[0:1], 0x20
	s_waitcnt lgkmcnt(0)
	s_add_u32 s18, s10, s8
	s_load_b64 s[6:7], s[6:7], 0x0
	s_mul_i32 s17, s14, 0x300
	s_addc_u32 s19, s11, s9
	s_add_i32 s14, s14, -1
	s_add_u32 s8, s10, s17
	s_addc_u32 s9, s11, 0
	s_cmp_eq_u32 s15, s14
	v_cmp_ge_u64_e64 s3, s[8:9], s[2:3]
	s_cselect_b32 s14, -1, 0
	s_mul_i32 s8, s15, 0x300
	s_mov_b32 s9, 0
	s_delay_alu instid0(VALU_DEP_1) | instskip(NEXT) | instid1(SALU_CYCLE_1)
	s_and_b32 s3, s14, s3
	s_xor_b32 s16, s3, -1
	s_mov_b32 s3, -1
	s_and_b32 vcc_lo, exec_lo, s16
	s_cbranch_vccz .LBB480_2
; %bb.1:
	s_add_u32 s3, s18, s8
	s_addc_u32 s20, s19, 0
	v_add_co_u32 v1, s3, s3, v0
	s_delay_alu instid0(VALU_DEP_1) | instskip(SKIP_1) | instid1(VALU_DEP_3)
	v_add_co_ci_u32_e64 v2, null, s20, 0, s3
	v_lshlrev_b32_e32 v13, 3, v0
	v_add_co_u32 v3, vcc_lo, 0x80, v1
	s_delay_alu instid0(VALU_DEP_3)
	v_add_co_ci_u32_e32 v4, vcc_lo, 0, v2, vcc_lo
	v_add_co_u32 v5, vcc_lo, 0x100, v1
	v_add_co_ci_u32_e32 v6, vcc_lo, 0, v2, vcc_lo
	v_add_co_u32 v7, vcc_lo, 0x180, v1
	;; [unrolled: 2-line block ×4, first 2 shown]
	v_add_co_ci_u32_e32 v12, vcc_lo, 0, v2, vcc_lo
	ds_store_2addr_stride64_b64 v13, v[1:2], v[3:4] offset1:2
	ds_store_2addr_stride64_b64 v13, v[5:6], v[7:8] offset0:4 offset1:6
	ds_store_2addr_stride64_b64 v13, v[9:10], v[11:12] offset0:8 offset1:10
	s_waitcnt lgkmcnt(0)
	s_mov_b32 s3, s9
	s_barrier
.LBB480_2:
	v_or_b32_e32 v17, 0x100, v0
	v_or_b32_e32 v16, 0x180, v0
	;; [unrolled: 1-line block ×4, first 2 shown]
	s_and_not1_b32 vcc_lo, exec_lo, s3
	s_cbranch_vccnz .LBB480_4
; %bb.3:
	v_or_b32_e32 v3, 0x80, v0
	s_add_u32 s3, s18, s8
	s_addc_u32 s18, s19, 0
	v_add_co_u32 v1, s19, s3, v0
	s_delay_alu instid0(VALU_DEP_1) | instskip(SKIP_1) | instid1(VALU_DEP_1)
	v_add_co_ci_u32_e64 v2, null, s18, 0, s19
	v_add_co_u32 v3, s19, s3, v3
	v_add_co_ci_u32_e64 v4, null, s18, 0, s19
	v_add_co_u32 v5, s19, s3, v17
	s_delay_alu instid0(VALU_DEP_1) | instskip(SKIP_1) | instid1(VALU_DEP_1)
	v_add_co_ci_u32_e64 v6, null, s18, 0, s19
	v_add_co_u32 v7, s19, s3, v16
	v_add_co_ci_u32_e64 v8, null, s18, 0, s19
	v_add_co_u32 v9, s19, s3, v14
	v_lshlrev_b32_e32 v15, 3, v0
	v_add_co_u32 v11, s3, s3, v13
	v_add_co_ci_u32_e64 v10, null, s18, 0, s19
	v_add_co_ci_u32_e64 v12, null, s18, 0, s3
	ds_store_2addr_stride64_b64 v15, v[1:2], v[3:4] offset1:2
	ds_store_2addr_stride64_b64 v15, v[5:6], v[7:8] offset0:4 offset1:6
	ds_store_2addr_stride64_b64 v15, v[9:10], v[11:12] offset0:8 offset1:10
	s_waitcnt lgkmcnt(0)
	s_barrier
.LBB480_4:
	v_mul_u32_u24_e32 v1, 6, v0
	s_waitcnt lgkmcnt(0)
	buffer_gl0_inv
	s_lshl_b64 s[18:19], s[10:11], 2
	s_delay_alu instid0(SALU_CYCLE_1)
	s_add_u32 s3, s12, s18
	v_lshlrev_b32_e32 v15, 3, v1
	s_addc_u32 s11, s13, s19
	s_lshl_b64 s[8:9], s[8:9], 2
	ds_load_b128 v[9:12], v15
	ds_load_b128 v[5:8], v15 offset:16
	ds_load_b128 v[1:4], v15 offset:32
	s_add_u32 s12, s3, s8
	s_addc_u32 s13, s11, s9
	s_and_b32 vcc_lo, exec_lo, s16
	s_mov_b32 s3, -1
	s_waitcnt lgkmcnt(0)
	s_barrier
	buffer_gl0_inv
	s_cbranch_vccz .LBB480_6
; %bb.5:
	v_lshlrev_b32_e32 v18, 2, v0
	s_mov_b32 s3, 0
	s_clause 0x5
	global_load_b32 v19, v18, s[12:13]
	global_load_b32 v20, v18, s[12:13] offset:512
	global_load_b32 v21, v18, s[12:13] offset:1024
	;; [unrolled: 1-line block ×5, first 2 shown]
	s_waitcnt vmcnt(5)
	v_cmp_neq_f32_e32 vcc_lo, 0, v19
	v_cndmask_b32_e64 v19, 0, 1, vcc_lo
	s_waitcnt vmcnt(4)
	v_cmp_neq_f32_e32 vcc_lo, 0, v20
	v_cndmask_b32_e64 v20, 0, 1, vcc_lo
	;; [unrolled: 3-line block ×6, first 2 shown]
	ds_store_b8 v0, v19
	ds_store_b8 v0, v20 offset:128
	ds_store_b8 v0, v21 offset:256
	;; [unrolled: 1-line block ×5, first 2 shown]
	s_waitcnt lgkmcnt(0)
	s_barrier
.LBB480_6:
	s_load_b64 s[8:9], s[0:1], 0x68
	s_and_not1_b32 vcc_lo, exec_lo, s3
	s_cbranch_vccnz .LBB480_20
; %bb.7:
	s_add_i32 s17, s17, s10
	v_dual_mov_b32 v18, 0 :: v_dual_mov_b32 v19, 0
	s_sub_i32 s2, s2, s17
	s_mov_b32 s3, exec_lo
	s_addk_i32 s2, 0x300
	s_delay_alu instid0(SALU_CYCLE_1)
	v_cmpx_gt_u32_e64 s2, v0
	s_cbranch_execz .LBB480_9
; %bb.8:
	v_lshlrev_b32_e32 v19, 2, v0
	global_load_b32 v19, v19, s[12:13]
	s_waitcnt vmcnt(0)
	v_cmp_neq_f32_e32 vcc_lo, 0, v19
	v_cndmask_b32_e64 v19, 0, 1, vcc_lo
.LBB480_9:
	s_or_b32 exec_lo, exec_lo, s3
	v_or_b32_e32 v20, 0x80, v0
	s_mov_b32 s3, exec_lo
	s_delay_alu instid0(VALU_DEP_1)
	v_cmpx_gt_u32_e64 s2, v20
	s_cbranch_execz .LBB480_11
; %bb.10:
	v_lshlrev_b32_e32 v18, 2, v0
	global_load_b32 v18, v18, s[12:13] offset:512
	s_waitcnt vmcnt(0)
	v_cmp_neq_f32_e32 vcc_lo, 0, v18
	v_cndmask_b32_e64 v18, 0, 1, vcc_lo
.LBB480_11:
	s_or_b32 exec_lo, exec_lo, s3
	v_cmp_gt_u32_e32 vcc_lo, s2, v17
	v_dual_mov_b32 v17, 0 :: v_dual_mov_b32 v20, 0
	s_and_saveexec_b32 s3, vcc_lo
	s_cbranch_execz .LBB480_13
; %bb.12:
	v_lshlrev_b32_e32 v20, 2, v0
	global_load_b32 v20, v20, s[12:13] offset:1024
	s_waitcnt vmcnt(0)
	v_cmp_neq_f32_e32 vcc_lo, 0, v20
	v_cndmask_b32_e64 v20, 0, 1, vcc_lo
.LBB480_13:
	s_or_b32 exec_lo, exec_lo, s3
	s_delay_alu instid0(SALU_CYCLE_1)
	s_mov_b32 s3, exec_lo
	v_cmpx_gt_u32_e64 s2, v16
	s_cbranch_execz .LBB480_15
; %bb.14:
	v_lshlrev_b32_e32 v16, 2, v0
	global_load_b32 v16, v16, s[12:13] offset:1536
	s_waitcnt vmcnt(0)
	v_cmp_neq_f32_e32 vcc_lo, 0, v16
	v_cndmask_b32_e64 v17, 0, 1, vcc_lo
.LBB480_15:
	s_or_b32 exec_lo, exec_lo, s3
	v_cmp_gt_u32_e32 vcc_lo, s2, v14
	v_mov_b32_e32 v14, 0
	v_mov_b32_e32 v16, 0
	s_and_saveexec_b32 s3, vcc_lo
	s_cbranch_execz .LBB480_17
; %bb.16:
	v_lshlrev_b32_e32 v16, 2, v0
	global_load_b32 v16, v16, s[12:13] offset:2048
	s_waitcnt vmcnt(0)
	v_cmp_neq_f32_e32 vcc_lo, 0, v16
	v_cndmask_b32_e64 v16, 0, 1, vcc_lo
.LBB480_17:
	s_or_b32 exec_lo, exec_lo, s3
	v_cmp_gt_u32_e32 vcc_lo, s2, v13
	s_and_saveexec_b32 s2, vcc_lo
	s_cbranch_execz .LBB480_19
; %bb.18:
	v_lshlrev_b32_e32 v13, 2, v0
	global_load_b32 v13, v13, s[12:13] offset:2560
	s_waitcnt vmcnt(0)
	v_cmp_neq_f32_e32 vcc_lo, 0, v13
	v_cndmask_b32_e64 v14, 0, 1, vcc_lo
.LBB480_19:
	s_or_b32 exec_lo, exec_lo, s2
	ds_store_b8 v0, v19
	ds_store_b8 v0, v18 offset:128
	ds_store_b8 v0, v20 offset:256
	;; [unrolled: 1-line block ×5, first 2 shown]
	s_waitcnt lgkmcnt(0)
	s_barrier
.LBB480_20:
	v_mad_i32_i24 v43, 0xffffffd6, v0, v15
	s_waitcnt lgkmcnt(0)
	buffer_gl0_inv
	v_mbcnt_lo_u32_b32 v42, -1, 0
	s_cmp_lg_u32 s15, 0
	s_mov_b32 s3, -1
	ds_load_u16 v36, v43
	ds_load_u16 v33, v43 offset:2
	ds_load_u16 v31, v43 offset:4
	v_mov_b32_e32 v14, 0
	v_and_b32_e32 v44, 15, v42
	s_waitcnt lgkmcnt(0)
	s_barrier
	buffer_gl0_inv
	v_and_b32_e32 v41, 0xff, v36
	v_lshrrev_b16 v34, 8, v36
	v_lshrrev_b16 v35, 8, v33
	v_and_b32_e32 v39, 0xff, v33
	v_lshrrev_b16 v32, 8, v31
	v_and_b32_e32 v37, 0xff, v31
	v_and_b32_e32 v40, 0xffff, v34
	;; [unrolled: 1-line block ×3, first 2 shown]
	s_delay_alu instid0(VALU_DEP_4) | instskip(NEXT) | instid1(VALU_DEP_3)
	v_and_b32_e32 v16, 0xffff, v32
	v_add_co_u32 v13, s2, v40, v41
	s_delay_alu instid0(VALU_DEP_1) | instskip(SKIP_1) | instid1(VALU_DEP_3)
	v_add_co_ci_u32_e64 v15, null, 0, 0, s2
	v_cmp_ne_u32_e64 s2, 0, v44
	v_add_co_u32 v13, vcc_lo, v13, v39
	s_delay_alu instid0(VALU_DEP_3) | instskip(NEXT) | instid1(VALU_DEP_2)
	v_add_co_ci_u32_e32 v15, vcc_lo, 0, v15, vcc_lo
	v_add_co_u32 v13, vcc_lo, v13, v38
	s_delay_alu instid0(VALU_DEP_2) | instskip(NEXT) | instid1(VALU_DEP_2)
	v_add_co_ci_u32_e32 v15, vcc_lo, 0, v15, vcc_lo
	v_add_co_u32 v13, vcc_lo, v13, v37
	s_delay_alu instid0(VALU_DEP_2) | instskip(NEXT) | instid1(VALU_DEP_2)
	v_add_co_ci_u32_e32 v15, vcc_lo, 0, v15, vcc_lo
	v_add_co_u32 v21, vcc_lo, v13, v16
	s_delay_alu instid0(VALU_DEP_2)
	v_add_co_ci_u32_e32 v22, vcc_lo, 0, v15, vcc_lo
	s_cbranch_scc0 .LBB480_89
; %bb.21:
	s_delay_alu instid0(VALU_DEP_2)
	v_mov_b32_e32 v15, v21
	v_mov_b32_dpp v13, v21 row_shr:1 row_mask:0xf bank_mask:0xf
	v_mov_b32_dpp v18, v14 row_shr:1 row_mask:0xf bank_mask:0xf
	v_dual_mov_b32 v17, v21 :: v_dual_mov_b32 v16, v22
	s_and_saveexec_b32 s3, s2
; %bb.22:
	s_delay_alu instid0(VALU_DEP_3) | instskip(SKIP_1) | instid1(VALU_DEP_2)
	v_add_co_u32 v17, vcc_lo, v21, v13
	v_add_co_ci_u32_e32 v14, vcc_lo, 0, v22, vcc_lo
	v_add_co_u32 v13, vcc_lo, 0, v17
	s_delay_alu instid0(VALU_DEP_2) | instskip(NEXT) | instid1(VALU_DEP_1)
	v_add_co_ci_u32_e32 v14, vcc_lo, v18, v14, vcc_lo
	v_dual_mov_b32 v16, v14 :: v_dual_mov_b32 v15, v13
; %bb.23:
	s_or_b32 exec_lo, exec_lo, s3
	v_mov_b32_dpp v13, v17 row_shr:2 row_mask:0xf bank_mask:0xf
	v_mov_b32_dpp v18, v14 row_shr:2 row_mask:0xf bank_mask:0xf
	s_mov_b32 s3, exec_lo
	v_cmpx_lt_u32_e32 1, v44
; %bb.24:
	s_delay_alu instid0(VALU_DEP_3) | instskip(SKIP_1) | instid1(VALU_DEP_2)
	v_add_co_u32 v17, vcc_lo, v15, v13
	v_add_co_ci_u32_e32 v14, vcc_lo, 0, v16, vcc_lo
	v_add_co_u32 v13, vcc_lo, 0, v17
	s_delay_alu instid0(VALU_DEP_2) | instskip(NEXT) | instid1(VALU_DEP_1)
	v_add_co_ci_u32_e32 v14, vcc_lo, v18, v14, vcc_lo
	v_dual_mov_b32 v16, v14 :: v_dual_mov_b32 v15, v13
; %bb.25:
	s_or_b32 exec_lo, exec_lo, s3
	v_mov_b32_dpp v13, v17 row_shr:4 row_mask:0xf bank_mask:0xf
	v_mov_b32_dpp v18, v14 row_shr:4 row_mask:0xf bank_mask:0xf
	s_mov_b32 s3, exec_lo
	v_cmpx_lt_u32_e32 3, v44
	;; [unrolled: 14-line block ×3, first 2 shown]
; %bb.28:
	s_delay_alu instid0(VALU_DEP_3) | instskip(SKIP_1) | instid1(VALU_DEP_2)
	v_add_co_u32 v17, vcc_lo, v15, v18
	v_add_co_ci_u32_e32 v14, vcc_lo, 0, v16, vcc_lo
	v_add_co_u32 v15, vcc_lo, 0, v17
	s_delay_alu instid0(VALU_DEP_2) | instskip(NEXT) | instid1(VALU_DEP_1)
	v_add_co_ci_u32_e32 v16, vcc_lo, v13, v14, vcc_lo
	v_mov_b32_e32 v14, v16
; %bb.29:
	s_or_b32 exec_lo, exec_lo, s3
	ds_swizzle_b32 v13, v17 offset:swizzle(BROADCAST,32,15)
	ds_swizzle_b32 v18, v14 offset:swizzle(BROADCAST,32,15)
	v_and_b32_e32 v19, 16, v42
	s_mov_b32 s3, exec_lo
	s_delay_alu instid0(VALU_DEP_1)
	v_cmpx_ne_u32_e32 0, v19
	s_cbranch_execz .LBB480_31
; %bb.30:
	s_waitcnt lgkmcnt(1)
	v_add_co_u32 v17, vcc_lo, v15, v13
	v_add_co_ci_u32_e32 v14, vcc_lo, 0, v16, vcc_lo
	s_delay_alu instid0(VALU_DEP_2) | instskip(SKIP_1) | instid1(VALU_DEP_2)
	v_add_co_u32 v13, vcc_lo, 0, v17
	s_waitcnt lgkmcnt(0)
	v_add_co_ci_u32_e32 v14, vcc_lo, v18, v14, vcc_lo
	s_delay_alu instid0(VALU_DEP_1)
	v_dual_mov_b32 v16, v14 :: v_dual_mov_b32 v15, v13
.LBB480_31:
	s_or_b32 exec_lo, exec_lo, s3
	s_waitcnt lgkmcnt(0)
	v_or_b32_e32 v18, 31, v0
	v_lshrrev_b32_e32 v13, 5, v0
	s_mov_b32 s3, exec_lo
	s_delay_alu instid0(VALU_DEP_2)
	v_cmpx_eq_u32_e64 v18, v0
	s_cbranch_execz .LBB480_33
; %bb.32:
	s_delay_alu instid0(VALU_DEP_2)
	v_lshlrev_b32_e32 v18, 3, v13
	ds_store_b64 v18, v[15:16]
.LBB480_33:
	s_or_b32 exec_lo, exec_lo, s3
	s_delay_alu instid0(SALU_CYCLE_1)
	s_mov_b32 s3, exec_lo
	s_waitcnt lgkmcnt(0)
	s_barrier
	buffer_gl0_inv
	v_cmpx_gt_u32_e32 4, v0
	s_cbranch_execz .LBB480_39
; %bb.34:
	v_lshlrev_b32_e32 v18, 3, v0
	s_mov_b32 s10, exec_lo
	ds_load_b64 v[15:16], v18
	s_waitcnt lgkmcnt(0)
	v_dual_mov_b32 v20, v15 :: v_dual_and_b32 v19, 3, v42
	v_mov_b32_dpp v24, v15 row_shr:1 row_mask:0xf bank_mask:0xf
	v_mov_b32_dpp v23, v16 row_shr:1 row_mask:0xf bank_mask:0xf
	s_delay_alu instid0(VALU_DEP_3)
	v_cmpx_ne_u32_e32 0, v19
; %bb.35:
	s_delay_alu instid0(VALU_DEP_3) | instskip(SKIP_1) | instid1(VALU_DEP_2)
	v_add_co_u32 v20, vcc_lo, v15, v24
	v_add_co_ci_u32_e32 v16, vcc_lo, 0, v16, vcc_lo
	v_add_co_u32 v15, vcc_lo, 0, v20
	s_delay_alu instid0(VALU_DEP_2)
	v_add_co_ci_u32_e32 v16, vcc_lo, v23, v16, vcc_lo
; %bb.36:
	s_or_b32 exec_lo, exec_lo, s10
	v_mov_b32_dpp v23, v20 row_shr:2 row_mask:0xf bank_mask:0xf
	s_delay_alu instid0(VALU_DEP_2)
	v_mov_b32_dpp v20, v16 row_shr:2 row_mask:0xf bank_mask:0xf
	s_mov_b32 s10, exec_lo
	v_cmpx_lt_u32_e32 1, v19
; %bb.37:
	s_delay_alu instid0(VALU_DEP_3) | instskip(SKIP_1) | instid1(VALU_DEP_2)
	v_add_co_u32 v15, vcc_lo, v15, v23
	v_add_co_ci_u32_e32 v16, vcc_lo, 0, v16, vcc_lo
	v_add_co_u32 v15, vcc_lo, v15, 0
	s_delay_alu instid0(VALU_DEP_2)
	v_add_co_ci_u32_e32 v16, vcc_lo, v16, v20, vcc_lo
; %bb.38:
	s_or_b32 exec_lo, exec_lo, s10
	ds_store_b64 v18, v[15:16]
.LBB480_39:
	s_or_b32 exec_lo, exec_lo, s3
	v_cmp_gt_u32_e32 vcc_lo, 32, v0
	s_mov_b32 s10, exec_lo
	s_waitcnt lgkmcnt(0)
	s_barrier
	buffer_gl0_inv
                                        ; implicit-def: $vgpr23_vgpr24
	v_cmpx_lt_u32_e32 31, v0
	s_cbranch_execz .LBB480_41
; %bb.40:
	v_lshl_add_u32 v13, v13, 3, -8
	ds_load_b64 v[23:24], v13
	s_waitcnt lgkmcnt(0)
	v_add_co_u32 v17, s3, v17, v23
	s_delay_alu instid0(VALU_DEP_1)
	v_add_co_ci_u32_e64 v14, s3, v14, v24, s3
.LBB480_41:
	s_or_b32 exec_lo, exec_lo, s10
	v_add_nc_u32_e32 v13, -1, v42
	s_delay_alu instid0(VALU_DEP_1) | instskip(NEXT) | instid1(VALU_DEP_1)
	v_cmp_gt_i32_e64 s3, 0, v13
	v_cndmask_b32_e64 v13, v13, v42, s3
	v_cmp_eq_u32_e64 s3, 0, v42
	s_delay_alu instid0(VALU_DEP_2)
	v_lshlrev_b32_e32 v13, 2, v13
	ds_bpermute_b32 v29, v13, v17
	ds_bpermute_b32 v30, v13, v14
	s_and_saveexec_b32 s10, vcc_lo
	s_cbranch_execz .LBB480_84
; %bb.42:
	v_mov_b32_e32 v16, 0
	ds_load_b64 v[13:14], v16 offset:24
	s_and_saveexec_b32 s11, s3
	s_cbranch_execz .LBB480_44
; %bb.43:
	s_add_i32 s12, s15, 32
	s_mov_b32 s13, 0
	s_delay_alu instid0(SALU_CYCLE_1) | instskip(NEXT) | instid1(SALU_CYCLE_1)
	s_lshl_b64 s[12:13], s[12:13], 4
	s_add_u32 s12, s8, s12
	s_addc_u32 s13, s9, s13
	s_delay_alu instid0(SALU_CYCLE_1)
	v_dual_mov_b32 v15, 1 :: v_dual_mov_b32 v18, s13
	v_mov_b32_e32 v17, s12
	s_waitcnt lgkmcnt(0)
	;;#ASMSTART
	global_store_dwordx4 v[17:18], v[13:16] off	
s_waitcnt vmcnt(0)
	;;#ASMEND
.LBB480_44:
	s_or_b32 exec_lo, exec_lo, s11
	v_xad_u32 v25, v42, -1, s15
	s_mov_b32 s12, 0
	s_mov_b32 s11, exec_lo
	s_delay_alu instid0(VALU_DEP_1) | instskip(NEXT) | instid1(VALU_DEP_1)
	v_add_nc_u32_e32 v15, 32, v25
	v_lshlrev_b64 v[15:16], 4, v[15:16]
	s_delay_alu instid0(VALU_DEP_1) | instskip(NEXT) | instid1(VALU_DEP_2)
	v_add_co_u32 v15, vcc_lo, s8, v15
	v_add_co_ci_u32_e32 v16, vcc_lo, s9, v16, vcc_lo
	;;#ASMSTART
	global_load_dwordx4 v[17:20], v[15:16] off glc	
s_waitcnt vmcnt(0)
	;;#ASMEND
	v_and_b32_e32 v20, 0xff, v18
	v_and_b32_e32 v26, 0xff00, v18
	v_or3_b32 v17, v17, 0, 0
	v_and_b32_e32 v27, 0xff000000, v18
	v_and_b32_e32 v18, 0xff0000, v18
	s_delay_alu instid0(VALU_DEP_4) | instskip(SKIP_2) | instid1(VALU_DEP_3)
	v_or3_b32 v20, 0, v20, v26
	v_and_b32_e32 v26, 0xff, v19
	v_or3_b32 v17, v17, 0, 0
	v_or3_b32 v18, v20, v18, v27
	s_delay_alu instid0(VALU_DEP_3)
	v_cmpx_eq_u16_e32 0, v26
	s_cbranch_execz .LBB480_50
; %bb.45:
	s_mov_b32 s13, 1
	.p2align	6
.LBB480_46:                             ; =>This Loop Header: Depth=1
                                        ;     Child Loop BB480_47 Depth 2
	s_delay_alu instid0(SALU_CYCLE_1)
	s_max_u32 s17, s13, 1
.LBB480_47:                             ;   Parent Loop BB480_46 Depth=1
                                        ; =>  This Inner Loop Header: Depth=2
	s_delay_alu instid0(SALU_CYCLE_1)
	s_add_i32 s17, s17, -1
	s_sleep 1
	s_cmp_eq_u32 s17, 0
	s_cbranch_scc0 .LBB480_47
; %bb.48:                               ;   in Loop: Header=BB480_46 Depth=1
	;;#ASMSTART
	global_load_dwordx4 v[17:20], v[15:16] off glc	
s_waitcnt vmcnt(0)
	;;#ASMEND
	v_and_b32_e32 v20, 0xff, v19
	s_cmp_lt_u32 s13, 32
	s_cselect_b32 s17, -1, 0
	s_delay_alu instid0(SALU_CYCLE_1) | instskip(NEXT) | instid1(VALU_DEP_1)
	s_cmp_lg_u32 s17, 0
	v_cmp_ne_u16_e32 vcc_lo, 0, v20
	s_addc_u32 s13, s13, 0
	s_or_b32 s12, vcc_lo, s12
	s_delay_alu instid0(SALU_CYCLE_1)
	s_and_not1_b32 exec_lo, exec_lo, s12
	s_cbranch_execnz .LBB480_46
; %bb.49:
	s_or_b32 exec_lo, exec_lo, s12
.LBB480_50:
	s_delay_alu instid0(SALU_CYCLE_1)
	s_or_b32 exec_lo, exec_lo, s11
	v_cmp_ne_u32_e32 vcc_lo, 31, v42
	v_and_b32_e32 v16, 0xff, v19
	v_lshlrev_b32_e64 v46, v42, -1
	s_mov_b32 s11, exec_lo
	v_add_co_ci_u32_e32 v15, vcc_lo, 0, v42, vcc_lo
	s_delay_alu instid0(VALU_DEP_3) | instskip(NEXT) | instid1(VALU_DEP_2)
	v_cmp_eq_u16_e32 vcc_lo, 2, v16
	v_dual_mov_b32 v16, v17 :: v_dual_lshlrev_b32 v45, 2, v15
	v_and_or_b32 v15, vcc_lo, v46, 0x80000000
	ds_bpermute_b32 v26, v45, v17
	ds_bpermute_b32 v20, v45, v18
	v_ctz_i32_b32_e32 v15, v15
	s_delay_alu instid0(VALU_DEP_1)
	v_cmpx_lt_u32_e64 v42, v15
	s_cbranch_execz .LBB480_52
; %bb.51:
	s_waitcnt lgkmcnt(1)
	v_add_co_u32 v16, vcc_lo, v17, v26
	v_add_co_ci_u32_e32 v18, vcc_lo, 0, v18, vcc_lo
	s_delay_alu instid0(VALU_DEP_2) | instskip(SKIP_1) | instid1(VALU_DEP_2)
	v_add_co_u32 v17, vcc_lo, 0, v16
	s_waitcnt lgkmcnt(0)
	v_add_co_ci_u32_e32 v18, vcc_lo, v20, v18, vcc_lo
.LBB480_52:
	s_or_b32 exec_lo, exec_lo, s11
	v_cmp_gt_u32_e32 vcc_lo, 30, v42
	v_add_nc_u32_e32 v48, 2, v42
	s_mov_b32 s11, exec_lo
	s_waitcnt lgkmcnt(0)
	v_cndmask_b32_e64 v20, 0, 1, vcc_lo
	s_delay_alu instid0(VALU_DEP_1) | instskip(NEXT) | instid1(VALU_DEP_1)
	v_lshlrev_b32_e32 v20, 1, v20
	v_add_lshl_u32 v47, v20, v42, 2
	ds_bpermute_b32 v26, v47, v16
	ds_bpermute_b32 v20, v47, v18
	v_cmpx_le_u32_e64 v48, v15
	s_cbranch_execz .LBB480_54
; %bb.53:
	s_waitcnt lgkmcnt(1)
	v_add_co_u32 v16, vcc_lo, v17, v26
	v_add_co_ci_u32_e32 v18, vcc_lo, 0, v18, vcc_lo
	s_delay_alu instid0(VALU_DEP_2) | instskip(SKIP_1) | instid1(VALU_DEP_2)
	v_add_co_u32 v17, vcc_lo, 0, v16
	s_waitcnt lgkmcnt(0)
	v_add_co_ci_u32_e32 v18, vcc_lo, v20, v18, vcc_lo
.LBB480_54:
	s_or_b32 exec_lo, exec_lo, s11
	v_cmp_gt_u32_e32 vcc_lo, 28, v42
	v_add_nc_u32_e32 v50, 4, v42
	s_mov_b32 s11, exec_lo
	s_waitcnt lgkmcnt(0)
	v_cndmask_b32_e64 v20, 0, 1, vcc_lo
	s_delay_alu instid0(VALU_DEP_1) | instskip(NEXT) | instid1(VALU_DEP_1)
	v_lshlrev_b32_e32 v20, 2, v20
	v_add_lshl_u32 v49, v20, v42, 2
	ds_bpermute_b32 v26, v49, v16
	ds_bpermute_b32 v20, v49, v18
	v_cmpx_le_u32_e64 v50, v15
	;; [unrolled: 22-line block ×4, first 2 shown]
	s_cbranch_execz .LBB480_60
; %bb.59:
	s_waitcnt lgkmcnt(1)
	v_add_co_u32 v15, vcc_lo, v17, v20
	v_add_co_ci_u32_e32 v18, vcc_lo, 0, v18, vcc_lo
	s_delay_alu instid0(VALU_DEP_2) | instskip(SKIP_1) | instid1(VALU_DEP_2)
	v_add_co_u32 v17, vcc_lo, v15, 0
	s_waitcnt lgkmcnt(0)
	v_add_co_ci_u32_e32 v18, vcc_lo, v18, v16, vcc_lo
.LBB480_60:
	s_or_b32 exec_lo, exec_lo, s11
	v_mov_b32_e32 v26, 0
	s_branch .LBB480_62
.LBB480_61:                             ;   in Loop: Header=BB480_62 Depth=1
	s_or_b32 exec_lo, exec_lo, s11
	v_add_co_u32 v17, vcc_lo, v17, v15
	v_subrev_nc_u32_e32 v25, 32, v25
	v_add_co_ci_u32_e32 v18, vcc_lo, v18, v16, vcc_lo
.LBB480_62:                             ; =>This Loop Header: Depth=1
                                        ;     Child Loop BB480_65 Depth 2
                                        ;       Child Loop BB480_66 Depth 3
	v_and_b32_e32 v15, 0xff, v19
	s_delay_alu instid0(VALU_DEP_1) | instskip(SKIP_2) | instid1(VALU_DEP_1)
	v_cmp_ne_u16_e32 vcc_lo, 2, v15
	v_cndmask_b32_e64 v15, 0, 1, vcc_lo
	;;#ASMSTART
	;;#ASMEND
	v_cmp_ne_u32_e32 vcc_lo, 0, v15
	s_waitcnt lgkmcnt(0)
	v_dual_mov_b32 v15, v17 :: v_dual_mov_b32 v16, v18
	s_cmp_lg_u32 vcc_lo, exec_lo
	s_cbranch_scc1 .LBB480_79
; %bb.63:                               ;   in Loop: Header=BB480_62 Depth=1
	v_lshlrev_b64 v[17:18], 4, v[25:26]
	s_mov_b32 s11, exec_lo
	s_delay_alu instid0(VALU_DEP_1) | instskip(NEXT) | instid1(VALU_DEP_2)
	v_add_co_u32 v27, vcc_lo, s8, v17
	v_add_co_ci_u32_e32 v28, vcc_lo, s9, v18, vcc_lo
	;;#ASMSTART
	global_load_dwordx4 v[17:20], v[27:28] off glc	
s_waitcnt vmcnt(0)
	;;#ASMEND
	v_and_b32_e32 v20, 0xff, v18
	v_and_b32_e32 v55, 0xff00, v18
	v_or3_b32 v17, v17, 0, 0
	v_and_b32_e32 v56, 0xff000000, v18
	v_and_b32_e32 v18, 0xff0000, v18
	s_delay_alu instid0(VALU_DEP_4) | instskip(SKIP_2) | instid1(VALU_DEP_3)
	v_or3_b32 v20, 0, v20, v55
	v_and_b32_e32 v55, 0xff, v19
	v_or3_b32 v17, v17, 0, 0
	v_or3_b32 v18, v20, v18, v56
	s_delay_alu instid0(VALU_DEP_3)
	v_cmpx_eq_u16_e32 0, v55
	s_cbranch_execz .LBB480_69
; %bb.64:                               ;   in Loop: Header=BB480_62 Depth=1
	s_mov_b32 s13, 1
	s_mov_b32 s12, 0
	.p2align	6
.LBB480_65:                             ;   Parent Loop BB480_62 Depth=1
                                        ; =>  This Loop Header: Depth=2
                                        ;       Child Loop BB480_66 Depth 3
	s_max_u32 s17, s13, 1
.LBB480_66:                             ;   Parent Loop BB480_62 Depth=1
                                        ;     Parent Loop BB480_65 Depth=2
                                        ; =>    This Inner Loop Header: Depth=3
	s_delay_alu instid0(SALU_CYCLE_1)
	s_add_i32 s17, s17, -1
	s_sleep 1
	s_cmp_eq_u32 s17, 0
	s_cbranch_scc0 .LBB480_66
; %bb.67:                               ;   in Loop: Header=BB480_65 Depth=2
	;;#ASMSTART
	global_load_dwordx4 v[17:20], v[27:28] off glc	
s_waitcnt vmcnt(0)
	;;#ASMEND
	v_and_b32_e32 v20, 0xff, v19
	s_cmp_lt_u32 s13, 32
	s_cselect_b32 s17, -1, 0
	s_delay_alu instid0(SALU_CYCLE_1) | instskip(NEXT) | instid1(VALU_DEP_1)
	s_cmp_lg_u32 s17, 0
	v_cmp_ne_u16_e32 vcc_lo, 0, v20
	s_addc_u32 s13, s13, 0
	s_or_b32 s12, vcc_lo, s12
	s_delay_alu instid0(SALU_CYCLE_1)
	s_and_not1_b32 exec_lo, exec_lo, s12
	s_cbranch_execnz .LBB480_65
; %bb.68:                               ;   in Loop: Header=BB480_62 Depth=1
	s_or_b32 exec_lo, exec_lo, s12
.LBB480_69:                             ;   in Loop: Header=BB480_62 Depth=1
	s_delay_alu instid0(SALU_CYCLE_1)
	s_or_b32 exec_lo, exec_lo, s11
	v_dual_mov_b32 v27, v17 :: v_dual_and_b32 v20, 0xff, v19
	ds_bpermute_b32 v55, v45, v17
	ds_bpermute_b32 v28, v45, v18
	s_mov_b32 s11, exec_lo
	v_cmp_eq_u16_e32 vcc_lo, 2, v20
	v_and_or_b32 v20, vcc_lo, v46, 0x80000000
	s_delay_alu instid0(VALU_DEP_1) | instskip(NEXT) | instid1(VALU_DEP_1)
	v_ctz_i32_b32_e32 v20, v20
	v_cmpx_lt_u32_e64 v42, v20
	s_cbranch_execz .LBB480_71
; %bb.70:                               ;   in Loop: Header=BB480_62 Depth=1
	s_waitcnt lgkmcnt(1)
	v_add_co_u32 v27, vcc_lo, v17, v55
	v_add_co_ci_u32_e32 v18, vcc_lo, 0, v18, vcc_lo
	s_delay_alu instid0(VALU_DEP_2) | instskip(SKIP_1) | instid1(VALU_DEP_2)
	v_add_co_u32 v17, vcc_lo, 0, v27
	s_waitcnt lgkmcnt(0)
	v_add_co_ci_u32_e32 v18, vcc_lo, v28, v18, vcc_lo
.LBB480_71:                             ;   in Loop: Header=BB480_62 Depth=1
	s_or_b32 exec_lo, exec_lo, s11
	s_waitcnt lgkmcnt(1)
	ds_bpermute_b32 v55, v47, v27
	s_waitcnt lgkmcnt(1)
	ds_bpermute_b32 v28, v47, v18
	s_mov_b32 s11, exec_lo
	v_cmpx_le_u32_e64 v48, v20
	s_cbranch_execz .LBB480_73
; %bb.72:                               ;   in Loop: Header=BB480_62 Depth=1
	s_waitcnt lgkmcnt(1)
	v_add_co_u32 v27, vcc_lo, v17, v55
	v_add_co_ci_u32_e32 v18, vcc_lo, 0, v18, vcc_lo
	s_delay_alu instid0(VALU_DEP_2) | instskip(SKIP_1) | instid1(VALU_DEP_2)
	v_add_co_u32 v17, vcc_lo, 0, v27
	s_waitcnt lgkmcnt(0)
	v_add_co_ci_u32_e32 v18, vcc_lo, v28, v18, vcc_lo
.LBB480_73:                             ;   in Loop: Header=BB480_62 Depth=1
	s_or_b32 exec_lo, exec_lo, s11
	s_waitcnt lgkmcnt(1)
	ds_bpermute_b32 v55, v49, v27
	s_waitcnt lgkmcnt(1)
	ds_bpermute_b32 v28, v49, v18
	s_mov_b32 s11, exec_lo
	v_cmpx_le_u32_e64 v50, v20
	;; [unrolled: 17-line block ×3, first 2 shown]
	s_cbranch_execz .LBB480_77
; %bb.76:                               ;   in Loop: Header=BB480_62 Depth=1
	s_waitcnt lgkmcnt(1)
	v_add_co_u32 v27, vcc_lo, v17, v55
	v_add_co_ci_u32_e32 v18, vcc_lo, 0, v18, vcc_lo
	s_delay_alu instid0(VALU_DEP_2) | instskip(SKIP_1) | instid1(VALU_DEP_2)
	v_add_co_u32 v17, vcc_lo, 0, v27
	s_waitcnt lgkmcnt(0)
	v_add_co_ci_u32_e32 v18, vcc_lo, v28, v18, vcc_lo
.LBB480_77:                             ;   in Loop: Header=BB480_62 Depth=1
	s_or_b32 exec_lo, exec_lo, s11
	s_waitcnt lgkmcnt(0)
	ds_bpermute_b32 v28, v53, v27
	ds_bpermute_b32 v27, v53, v18
	s_mov_b32 s11, exec_lo
	v_cmpx_le_u32_e64 v54, v20
	s_cbranch_execz .LBB480_61
; %bb.78:                               ;   in Loop: Header=BB480_62 Depth=1
	s_waitcnt lgkmcnt(1)
	v_add_co_u32 v17, vcc_lo, v17, v28
	v_add_co_ci_u32_e32 v18, vcc_lo, 0, v18, vcc_lo
	s_delay_alu instid0(VALU_DEP_2) | instskip(SKIP_1) | instid1(VALU_DEP_2)
	v_add_co_u32 v17, vcc_lo, v17, 0
	s_waitcnt lgkmcnt(0)
	v_add_co_ci_u32_e32 v18, vcc_lo, v18, v27, vcc_lo
	s_branch .LBB480_61
.LBB480_79:                             ;   in Loop: Header=BB480_62 Depth=1
                                        ; implicit-def: $vgpr17_vgpr18
	s_cbranch_execz .LBB480_62
; %bb.80:
	s_and_saveexec_b32 s11, s3
	s_cbranch_execz .LBB480_82
; %bb.81:
	s_add_i32 s12, s15, 32
	s_mov_b32 s13, 0
	v_add_co_u32 v17, vcc_lo, v15, v13
	s_lshl_b64 s[12:13], s[12:13], 4
	v_dual_mov_b32 v19, 2 :: v_dual_mov_b32 v20, 0
	s_add_u32 s12, s8, s12
	s_addc_u32 s13, s9, s13
	v_add_co_ci_u32_e32 v18, vcc_lo, v16, v14, vcc_lo
	v_dual_mov_b32 v26, s13 :: v_dual_mov_b32 v25, s12
	;;#ASMSTART
	global_store_dwordx4 v[25:26], v[17:20] off	
s_waitcnt vmcnt(0)
	;;#ASMEND
	ds_store_b128 v20, v[13:16] offset:6144
.LBB480_82:
	s_or_b32 exec_lo, exec_lo, s11
	v_cmp_eq_u32_e32 vcc_lo, 0, v0
	s_and_b32 exec_lo, exec_lo, vcc_lo
	s_cbranch_execz .LBB480_84
; %bb.83:
	v_mov_b32_e32 v13, 0
	ds_store_b64 v13, v[15:16] offset:24
.LBB480_84:
	s_or_b32 exec_lo, exec_lo, s10
	s_waitcnt lgkmcnt(1)
	v_cndmask_b32_e64 v16, v29, v23, s3
	v_cmp_ne_u32_e32 vcc_lo, 0, v0
	v_mov_b32_e32 v15, 0
	s_waitcnt lgkmcnt(0)
	s_barrier
	buffer_gl0_inv
	v_cndmask_b32_e32 v16, 0, v16, vcc_lo
	ds_load_b64 v[13:14], v15 offset:24
	v_cndmask_b32_e64 v17, v30, v24, s3
	s_waitcnt lgkmcnt(0)
	s_barrier
	buffer_gl0_inv
	v_cndmask_b32_e32 v17, 0, v17, vcc_lo
	v_add_co_u32 v29, vcc_lo, v13, v16
	s_delay_alu instid0(VALU_DEP_2) | instskip(SKIP_3) | instid1(VALU_DEP_2)
	v_add_co_ci_u32_e32 v30, vcc_lo, v14, v17, vcc_lo
	ds_load_b128 v[13:16], v15 offset:6144
	v_add_co_u32 v27, vcc_lo, v29, v41
	v_add_co_ci_u32_e32 v28, vcc_lo, 0, v30, vcc_lo
	v_add_co_u32 v25, vcc_lo, v27, v40
	s_delay_alu instid0(VALU_DEP_2) | instskip(NEXT) | instid1(VALU_DEP_2)
	v_add_co_ci_u32_e32 v26, vcc_lo, 0, v28, vcc_lo
	v_add_co_u32 v23, vcc_lo, v25, v39
	s_delay_alu instid0(VALU_DEP_2) | instskip(NEXT) | instid1(VALU_DEP_2)
	;; [unrolled: 3-line block ×3, first 2 shown]
	v_add_co_ci_u32_e32 v20, vcc_lo, 0, v24, vcc_lo
	v_add_co_u32 v17, vcc_lo, v19, v37
	s_delay_alu instid0(VALU_DEP_2)
	v_add_co_ci_u32_e32 v18, vcc_lo, 0, v20, vcc_lo
	s_load_b64 s[10:11], s[0:1], 0x30
.LBB480_85:
	s_waitcnt lgkmcnt(0)
	v_cmp_gt_u64_e32 vcc_lo, 0x81, v[13:14]
	s_mov_b32 s0, -1
	s_cbranch_vccnz .LBB480_113
.LBB480_86:
	s_and_b32 vcc_lo, exec_lo, s0
	s_cbranch_vccnz .LBB480_132
.LBB480_87:
	v_cmp_eq_u32_e32 vcc_lo, 0, v0
	s_and_b32 s0, vcc_lo, s14
	s_delay_alu instid0(SALU_CYCLE_1)
	s_and_saveexec_b32 s1, s0
	s_cbranch_execnz .LBB480_148
.LBB480_88:
	s_nop 0
	s_sendmsg sendmsg(MSG_DEALLOC_VGPRS)
	s_endpgm
.LBB480_89:
                                        ; kill: def $vgpr13_vgpr14 killed $sgpr0_sgpr1 killed $exec
                                        ; implicit-def: $vgpr17_vgpr18
                                        ; implicit-def: $vgpr19_vgpr20
                                        ; implicit-def: $vgpr23_vgpr24
                                        ; implicit-def: $vgpr25_vgpr26
                                        ; implicit-def: $vgpr27_vgpr28
                                        ; implicit-def: $vgpr29_vgpr30
                                        ; implicit-def: $vgpr15_vgpr16
	s_load_b64 s[10:11], s[0:1], 0x30
	s_and_b32 vcc_lo, exec_lo, s3
	s_cbranch_vccz .LBB480_85
; %bb.90:
	s_waitcnt lgkmcnt(0)
	v_dual_mov_b32 v14, 0 :: v_dual_mov_b32 v15, v21
	v_mov_b32_dpp v16, v21 row_shr:1 row_mask:0xf bank_mask:0xf
	s_delay_alu instid0(VALU_DEP_2)
	v_mov_b32_dpp v13, v14 row_shr:1 row_mask:0xf bank_mask:0xf
	s_and_saveexec_b32 s0, s2
; %bb.91:
	s_delay_alu instid0(VALU_DEP_2) | instskip(SKIP_1) | instid1(VALU_DEP_2)
	v_add_co_u32 v15, vcc_lo, v21, v16
	v_add_co_ci_u32_e32 v14, vcc_lo, 0, v22, vcc_lo
	v_add_co_u32 v21, vcc_lo, 0, v15
	s_delay_alu instid0(VALU_DEP_2) | instskip(NEXT) | instid1(VALU_DEP_1)
	v_add_co_ci_u32_e32 v22, vcc_lo, v13, v14, vcc_lo
	v_mov_b32_e32 v14, v22
; %bb.92:
	s_or_b32 exec_lo, exec_lo, s0
	v_mov_b32_dpp v13, v15 row_shr:2 row_mask:0xf bank_mask:0xf
	s_delay_alu instid0(VALU_DEP_2)
	v_mov_b32_dpp v16, v14 row_shr:2 row_mask:0xf bank_mask:0xf
	s_mov_b32 s0, exec_lo
	v_cmpx_lt_u32_e32 1, v44
; %bb.93:
	s_delay_alu instid0(VALU_DEP_3) | instskip(SKIP_1) | instid1(VALU_DEP_2)
	v_add_co_u32 v15, vcc_lo, v21, v13
	v_add_co_ci_u32_e32 v14, vcc_lo, 0, v22, vcc_lo
	v_add_co_u32 v13, vcc_lo, 0, v15
	s_delay_alu instid0(VALU_DEP_2) | instskip(NEXT) | instid1(VALU_DEP_1)
	v_add_co_ci_u32_e32 v14, vcc_lo, v16, v14, vcc_lo
	v_dual_mov_b32 v22, v14 :: v_dual_mov_b32 v21, v13
; %bb.94:
	s_or_b32 exec_lo, exec_lo, s0
	v_mov_b32_dpp v13, v15 row_shr:4 row_mask:0xf bank_mask:0xf
	v_mov_b32_dpp v16, v14 row_shr:4 row_mask:0xf bank_mask:0xf
	s_mov_b32 s0, exec_lo
	v_cmpx_lt_u32_e32 3, v44
; %bb.95:
	s_delay_alu instid0(VALU_DEP_3) | instskip(SKIP_1) | instid1(VALU_DEP_2)
	v_add_co_u32 v15, vcc_lo, v21, v13
	v_add_co_ci_u32_e32 v14, vcc_lo, 0, v22, vcc_lo
	v_add_co_u32 v13, vcc_lo, 0, v15
	s_delay_alu instid0(VALU_DEP_2) | instskip(NEXT) | instid1(VALU_DEP_1)
	v_add_co_ci_u32_e32 v14, vcc_lo, v16, v14, vcc_lo
	v_dual_mov_b32 v22, v14 :: v_dual_mov_b32 v21, v13
; %bb.96:
	s_or_b32 exec_lo, exec_lo, s0
	v_mov_b32_dpp v16, v15 row_shr:8 row_mask:0xf bank_mask:0xf
	v_mov_b32_dpp v13, v14 row_shr:8 row_mask:0xf bank_mask:0xf
	s_mov_b32 s0, exec_lo
	v_cmpx_lt_u32_e32 7, v44
; %bb.97:
	s_delay_alu instid0(VALU_DEP_3) | instskip(SKIP_1) | instid1(VALU_DEP_2)
	v_add_co_u32 v15, vcc_lo, v21, v16
	v_add_co_ci_u32_e32 v14, vcc_lo, 0, v22, vcc_lo
	v_add_co_u32 v21, vcc_lo, 0, v15
	s_delay_alu instid0(VALU_DEP_2) | instskip(NEXT) | instid1(VALU_DEP_1)
	v_add_co_ci_u32_e32 v22, vcc_lo, v13, v14, vcc_lo
	v_mov_b32_e32 v14, v22
; %bb.98:
	s_or_b32 exec_lo, exec_lo, s0
	ds_swizzle_b32 v15, v15 offset:swizzle(BROADCAST,32,15)
	ds_swizzle_b32 v13, v14 offset:swizzle(BROADCAST,32,15)
	v_and_b32_e32 v14, 16, v42
	s_mov_b32 s0, exec_lo
	s_delay_alu instid0(VALU_DEP_1)
	v_cmpx_ne_u32_e32 0, v14
	s_cbranch_execz .LBB480_100
; %bb.99:
	s_waitcnt lgkmcnt(1)
	v_add_co_u32 v14, vcc_lo, v21, v15
	v_add_co_ci_u32_e32 v15, vcc_lo, 0, v22, vcc_lo
	s_delay_alu instid0(VALU_DEP_2) | instskip(SKIP_1) | instid1(VALU_DEP_2)
	v_add_co_u32 v21, vcc_lo, v14, 0
	s_waitcnt lgkmcnt(0)
	v_add_co_ci_u32_e32 v22, vcc_lo, v15, v13, vcc_lo
.LBB480_100:
	s_or_b32 exec_lo, exec_lo, s0
	s_waitcnt lgkmcnt(0)
	v_or_b32_e32 v13, 31, v0
	v_lshrrev_b32_e32 v15, 5, v0
	s_mov_b32 s0, exec_lo
	s_delay_alu instid0(VALU_DEP_2)
	v_cmpx_eq_u32_e64 v13, v0
	s_cbranch_execz .LBB480_102
; %bb.101:
	s_delay_alu instid0(VALU_DEP_2)
	v_lshlrev_b32_e32 v13, 3, v15
	ds_store_b64 v13, v[21:22]
.LBB480_102:
	s_or_b32 exec_lo, exec_lo, s0
	s_delay_alu instid0(SALU_CYCLE_1)
	s_mov_b32 s0, exec_lo
	s_waitcnt lgkmcnt(0)
	s_barrier
	buffer_gl0_inv
	v_cmpx_gt_u32_e32 4, v0
	s_cbranch_execz .LBB480_108
; %bb.103:
	v_lshlrev_b32_e32 v13, 1, v0
	s_mov_b32 s1, exec_lo
	s_delay_alu instid0(VALU_DEP_1)
	v_add_nc_u32_e32 v16, v43, v13
	ds_load_b64 v[13:14], v16
	s_waitcnt lgkmcnt(0)
	v_dual_mov_b32 v18, v13 :: v_dual_and_b32 v17, 3, v42
	v_mov_b32_dpp v20, v13 row_shr:1 row_mask:0xf bank_mask:0xf
	v_mov_b32_dpp v19, v14 row_shr:1 row_mask:0xf bank_mask:0xf
	s_delay_alu instid0(VALU_DEP_3)
	v_cmpx_ne_u32_e32 0, v17
; %bb.104:
	s_delay_alu instid0(VALU_DEP_3) | instskip(SKIP_1) | instid1(VALU_DEP_2)
	v_add_co_u32 v18, vcc_lo, v13, v20
	v_add_co_ci_u32_e32 v14, vcc_lo, 0, v14, vcc_lo
	v_add_co_u32 v13, vcc_lo, 0, v18
	s_delay_alu instid0(VALU_DEP_2)
	v_add_co_ci_u32_e32 v14, vcc_lo, v19, v14, vcc_lo
; %bb.105:
	s_or_b32 exec_lo, exec_lo, s1
	v_mov_b32_dpp v19, v18 row_shr:2 row_mask:0xf bank_mask:0xf
	s_delay_alu instid0(VALU_DEP_2)
	v_mov_b32_dpp v18, v14 row_shr:2 row_mask:0xf bank_mask:0xf
	s_mov_b32 s1, exec_lo
	v_cmpx_lt_u32_e32 1, v17
; %bb.106:
	s_delay_alu instid0(VALU_DEP_3) | instskip(SKIP_1) | instid1(VALU_DEP_2)
	v_add_co_u32 v13, vcc_lo, v13, v19
	v_add_co_ci_u32_e32 v14, vcc_lo, 0, v14, vcc_lo
	v_add_co_u32 v13, vcc_lo, v13, 0
	s_delay_alu instid0(VALU_DEP_2)
	v_add_co_ci_u32_e32 v14, vcc_lo, v14, v18, vcc_lo
; %bb.107:
	s_or_b32 exec_lo, exec_lo, s1
	ds_store_b64 v16, v[13:14]
.LBB480_108:
	s_or_b32 exec_lo, exec_lo, s0
	v_mov_b32_e32 v17, 0
	v_mov_b32_e32 v18, 0
	s_mov_b32 s0, exec_lo
	s_waitcnt lgkmcnt(0)
	s_barrier
	buffer_gl0_inv
	v_cmpx_lt_u32_e32 31, v0
	s_cbranch_execz .LBB480_110
; %bb.109:
	v_lshl_add_u32 v13, v15, 3, -8
	ds_load_b64 v[17:18], v13
.LBB480_110:
	s_or_b32 exec_lo, exec_lo, s0
	v_dual_mov_b32 v16, 0 :: v_dual_add_nc_u32 v13, -1, v42
	s_delay_alu instid0(VALU_DEP_1) | instskip(SKIP_4) | instid1(VALU_DEP_3)
	v_cmp_gt_i32_e32 vcc_lo, 0, v13
	v_cndmask_b32_e32 v13, v13, v42, vcc_lo
	s_waitcnt lgkmcnt(0)
	v_add_co_u32 v14, vcc_lo, v17, v21
	v_add_co_ci_u32_e32 v15, vcc_lo, v18, v22, vcc_lo
	v_lshlrev_b32_e32 v13, 2, v13
	v_cmp_eq_u32_e32 vcc_lo, 0, v0
	ds_bpermute_b32 v19, v13, v14
	ds_bpermute_b32 v20, v13, v15
	ds_load_b64 v[13:14], v16 offset:24
	s_and_saveexec_b32 s0, vcc_lo
	s_cbranch_execz .LBB480_112
; %bb.111:
	s_add_u32 s2, s8, 0x200
	s_addc_u32 s3, s9, 0
	s_delay_alu instid0(SALU_CYCLE_1)
	v_dual_mov_b32 v15, 2 :: v_dual_mov_b32 v22, s3
	v_mov_b32_e32 v21, s2
	s_waitcnt lgkmcnt(0)
	;;#ASMSTART
	global_store_dwordx4 v[21:22], v[13:16] off	
s_waitcnt vmcnt(0)
	;;#ASMEND
.LBB480_112:
	s_or_b32 exec_lo, exec_lo, s0
	v_cmp_eq_u32_e64 s0, 0, v42
	s_waitcnt lgkmcnt(0)
	s_barrier
	buffer_gl0_inv
	v_cndmask_b32_e64 v15, v19, v17, s0
	v_cndmask_b32_e64 v16, v20, v18, s0
	s_delay_alu instid0(VALU_DEP_2) | instskip(NEXT) | instid1(VALU_DEP_2)
	v_cndmask_b32_e64 v29, v15, 0, vcc_lo
	v_cndmask_b32_e64 v30, v16, 0, vcc_lo
	v_mov_b32_e32 v15, 0
	v_mov_b32_e32 v16, 0
	s_delay_alu instid0(VALU_DEP_4) | instskip(NEXT) | instid1(VALU_DEP_4)
	v_add_co_u32 v27, vcc_lo, v29, v41
	v_add_co_ci_u32_e32 v28, vcc_lo, 0, v30, vcc_lo
	s_delay_alu instid0(VALU_DEP_2) | instskip(NEXT) | instid1(VALU_DEP_2)
	v_add_co_u32 v25, vcc_lo, v27, v40
	v_add_co_ci_u32_e32 v26, vcc_lo, 0, v28, vcc_lo
	s_delay_alu instid0(VALU_DEP_2) | instskip(NEXT) | instid1(VALU_DEP_2)
	;; [unrolled: 3-line block ×4, first 2 shown]
	v_add_co_u32 v17, vcc_lo, v19, v37
	v_add_co_ci_u32_e32 v18, vcc_lo, 0, v20, vcc_lo
	v_cmp_gt_u64_e32 vcc_lo, 0x81, v[13:14]
	s_mov_b32 s0, -1
	s_cbranch_vccz .LBB480_86
.LBB480_113:
	v_add_co_u32 v21, vcc_lo, v15, v13
	v_add_co_ci_u32_e32 v22, vcc_lo, v16, v14, vcc_lo
	s_delay_alu instid0(VALU_DEP_1) | instskip(SKIP_1) | instid1(SALU_CYCLE_1)
	v_cmp_lt_u64_e32 vcc_lo, v[29:30], v[21:22]
	s_or_b32 s1, s16, vcc_lo
	s_and_saveexec_b32 s0, s1
	s_cbranch_execz .LBB480_116
; %bb.114:
	v_and_b32_e32 v37, 1, v36
	s_delay_alu instid0(VALU_DEP_1)
	v_cmp_eq_u32_e32 vcc_lo, 1, v37
	s_and_b32 exec_lo, exec_lo, vcc_lo
	s_cbranch_execz .LBB480_116
; %bb.115:
	v_lshlrev_b64 v[37:38], 3, v[29:30]
	s_lshl_b64 s[2:3], s[6:7], 3
	s_delay_alu instid0(SALU_CYCLE_1) | instskip(SKIP_1) | instid1(VALU_DEP_1)
	s_add_u32 s1, s10, s2
	s_addc_u32 s2, s11, s3
	v_add_co_u32 v37, vcc_lo, s1, v37
	s_delay_alu instid0(VALU_DEP_2)
	v_add_co_ci_u32_e32 v38, vcc_lo, s2, v38, vcc_lo
	global_store_b64 v[37:38], v[9:10], off
.LBB480_116:
	s_or_b32 exec_lo, exec_lo, s0
	v_cmp_lt_u64_e32 vcc_lo, v[27:28], v[21:22]
	s_or_b32 s1, s16, vcc_lo
	s_delay_alu instid0(SALU_CYCLE_1)
	s_and_saveexec_b32 s0, s1
	s_cbranch_execz .LBB480_119
; %bb.117:
	v_and_b32_e32 v30, 1, v34
	s_delay_alu instid0(VALU_DEP_1)
	v_cmp_eq_u32_e32 vcc_lo, 1, v30
	s_and_b32 exec_lo, exec_lo, vcc_lo
	s_cbranch_execz .LBB480_119
; %bb.118:
	v_lshlrev_b64 v[37:38], 3, v[27:28]
	s_lshl_b64 s[2:3], s[6:7], 3
	s_delay_alu instid0(SALU_CYCLE_1) | instskip(SKIP_1) | instid1(VALU_DEP_1)
	s_add_u32 s1, s10, s2
	s_addc_u32 s2, s11, s3
	v_add_co_u32 v37, vcc_lo, s1, v37
	s_delay_alu instid0(VALU_DEP_2)
	v_add_co_ci_u32_e32 v38, vcc_lo, s2, v38, vcc_lo
	global_store_b64 v[37:38], v[11:12], off
.LBB480_119:
	s_or_b32 exec_lo, exec_lo, s0
	v_cmp_lt_u64_e32 vcc_lo, v[25:26], v[21:22]
	s_or_b32 s1, s16, vcc_lo
	s_delay_alu instid0(SALU_CYCLE_1)
	;; [unrolled: 23-line block ×5, first 2 shown]
	s_and_saveexec_b32 s0, s1
	s_cbranch_execz .LBB480_131
; %bb.129:
	v_and_b32_e32 v20, 1, v32
	s_delay_alu instid0(VALU_DEP_1)
	v_cmp_eq_u32_e32 vcc_lo, 1, v20
	s_and_b32 exec_lo, exec_lo, vcc_lo
	s_cbranch_execz .LBB480_131
; %bb.130:
	v_lshlrev_b64 v[20:21], 3, v[17:18]
	s_lshl_b64 s[2:3], s[6:7], 3
	s_delay_alu instid0(SALU_CYCLE_1) | instskip(SKIP_1) | instid1(VALU_DEP_1)
	s_add_u32 s1, s10, s2
	s_addc_u32 s2, s11, s3
	v_add_co_u32 v20, vcc_lo, s1, v20
	s_delay_alu instid0(VALU_DEP_2)
	v_add_co_ci_u32_e32 v21, vcc_lo, s2, v21, vcc_lo
	global_store_b64 v[20:21], v[3:4], off
.LBB480_131:
	s_or_b32 exec_lo, exec_lo, s0
	s_branch .LBB480_87
.LBB480_132:
	v_and_b32_e32 v18, 1, v36
	s_mov_b32 s0, exec_lo
	s_delay_alu instid0(VALU_DEP_1)
	v_cmpx_eq_u32_e32 1, v18
	s_cbranch_execz .LBB480_134
; %bb.133:
	v_sub_nc_u32_e32 v18, v29, v15
	s_delay_alu instid0(VALU_DEP_1)
	v_lshlrev_b32_e32 v18, 3, v18
	ds_store_b64 v18, v[9:10]
.LBB480_134:
	s_or_b32 exec_lo, exec_lo, s0
	v_and_b32_e32 v9, 1, v34
	s_mov_b32 s0, exec_lo
	s_delay_alu instid0(VALU_DEP_1)
	v_cmpx_eq_u32_e32 1, v9
	s_cbranch_execz .LBB480_136
; %bb.135:
	v_sub_nc_u32_e32 v9, v27, v15
	s_delay_alu instid0(VALU_DEP_1)
	v_lshlrev_b32_e32 v9, 3, v9
	ds_store_b64 v9, v[11:12]
.LBB480_136:
	s_or_b32 exec_lo, exec_lo, s0
	;; [unrolled: 12-line block ×6, first 2 shown]
	v_mov_b32_e32 v3, 0
	s_mov_b32 s1, exec_lo
	s_waitcnt lgkmcnt(0)
	s_waitcnt_vscnt null, 0x0
	s_barrier
	buffer_gl0_inv
	v_mov_b32_e32 v1, v3
	s_delay_alu instid0(VALU_DEP_1)
	v_cmpx_gt_u64_e64 v[13:14], v[0:1]
	s_cbranch_execz .LBB480_147
; %bb.145:
	v_lshlrev_b64 v[4:5], 3, v[15:16]
	s_lshl_b64 s[2:3], s[6:7], 3
	v_or_b32_e32 v2, 0x80, v0
	s_delay_alu instid0(VALU_DEP_2) | instskip(NEXT) | instid1(VALU_DEP_3)
	v_add_co_u32 v4, vcc_lo, s10, v4
	v_add_co_ci_u32_e32 v5, vcc_lo, s11, v5, vcc_lo
	s_delay_alu instid0(VALU_DEP_2) | instskip(NEXT) | instid1(VALU_DEP_2)
	v_add_co_u32 v6, vcc_lo, v4, s2
	v_add_co_ci_u32_e32 v7, vcc_lo, s3, v5, vcc_lo
	v_dual_mov_b32 v5, v1 :: v_dual_mov_b32 v4, v0
	s_mov_b32 s2, 0
	.p2align	6
.LBB480_146:                            ; =>This Inner Loop Header: Depth=1
	s_delay_alu instid0(VALU_DEP_1) | instskip(NEXT) | instid1(VALU_DEP_2)
	v_lshlrev_b32_e32 v1, 3, v4
	v_lshlrev_b64 v[10:11], 3, v[4:5]
	v_dual_mov_b32 v5, v3 :: v_dual_mov_b32 v4, v2
	v_cmp_le_u64_e32 vcc_lo, v[13:14], v[2:3]
	v_add_nc_u32_e32 v2, 0x80, v2
	ds_load_b64 v[8:9], v1
	v_add_co_u32 v10, s0, v6, v10
	s_delay_alu instid0(VALU_DEP_1)
	v_add_co_ci_u32_e64 v11, s0, v7, v11, s0
	s_or_b32 s2, vcc_lo, s2
	s_waitcnt lgkmcnt(0)
	global_store_b64 v[10:11], v[8:9], off
	s_and_not1_b32 exec_lo, exec_lo, s2
	s_cbranch_execnz .LBB480_146
.LBB480_147:
	s_or_b32 exec_lo, exec_lo, s1
	v_cmp_eq_u32_e32 vcc_lo, 0, v0
	s_and_b32 s0, vcc_lo, s14
	s_delay_alu instid0(SALU_CYCLE_1)
	s_and_saveexec_b32 s1, s0
	s_cbranch_execz .LBB480_88
.LBB480_148:
	v_add_co_u32 v0, vcc_lo, v15, v13
	v_add_co_ci_u32_e32 v1, vcc_lo, v16, v14, vcc_lo
	v_mov_b32_e32 v2, 0
	s_delay_alu instid0(VALU_DEP_3) | instskip(NEXT) | instid1(VALU_DEP_3)
	v_add_co_u32 v0, vcc_lo, v0, s6
	v_add_co_ci_u32_e32 v1, vcc_lo, s7, v1, vcc_lo
	global_store_b64 v2, v[0:1], s[4:5]
	s_nop 0
	s_sendmsg sendmsg(MSG_DEALLOC_VGPRS)
	s_endpgm
	.section	.rodata,"a",@progbits
	.p2align	6, 0x0
	.amdhsa_kernel _ZN7rocprim17ROCPRIM_400000_NS6detail17trampoline_kernelINS0_14default_configENS1_25partition_config_selectorILNS1_17partition_subalgoE5ElNS0_10empty_typeEbEEZZNS1_14partition_implILS5_5ELb0ES3_mN6hipcub16HIPCUB_304000_NS21CountingInputIteratorIllEEPS6_NSA_22TransformInputIteratorIbN2at6native12_GLOBAL__N_19NonZeroOpIfEEPKflEENS0_5tupleIJPlS6_EEENSN_IJSD_SD_EEES6_PiJS6_EEE10hipError_tPvRmT3_T4_T5_T6_T7_T9_mT8_P12ihipStream_tbDpT10_ENKUlT_T0_E_clISt17integral_constantIbLb1EES1A_IbLb0EEEEDaS16_S17_EUlS16_E_NS1_11comp_targetILNS1_3genE9ELNS1_11target_archE1100ELNS1_3gpuE3ELNS1_3repE0EEENS1_30default_config_static_selectorELNS0_4arch9wavefront6targetE0EEEvT1_
		.amdhsa_group_segment_fixed_size 6160
		.amdhsa_private_segment_fixed_size 0
		.amdhsa_kernarg_size 120
		.amdhsa_user_sgpr_count 15
		.amdhsa_user_sgpr_dispatch_ptr 0
		.amdhsa_user_sgpr_queue_ptr 0
		.amdhsa_user_sgpr_kernarg_segment_ptr 1
		.amdhsa_user_sgpr_dispatch_id 0
		.amdhsa_user_sgpr_private_segment_size 0
		.amdhsa_wavefront_size32 1
		.amdhsa_uses_dynamic_stack 0
		.amdhsa_enable_private_segment 0
		.amdhsa_system_sgpr_workgroup_id_x 1
		.amdhsa_system_sgpr_workgroup_id_y 0
		.amdhsa_system_sgpr_workgroup_id_z 0
		.amdhsa_system_sgpr_workgroup_info 0
		.amdhsa_system_vgpr_workitem_id 0
		.amdhsa_next_free_vgpr 57
		.amdhsa_next_free_sgpr 21
		.amdhsa_reserve_vcc 1
		.amdhsa_float_round_mode_32 0
		.amdhsa_float_round_mode_16_64 0
		.amdhsa_float_denorm_mode_32 3
		.amdhsa_float_denorm_mode_16_64 3
		.amdhsa_dx10_clamp 1
		.amdhsa_ieee_mode 1
		.amdhsa_fp16_overflow 0
		.amdhsa_workgroup_processor_mode 1
		.amdhsa_memory_ordered 1
		.amdhsa_forward_progress 0
		.amdhsa_shared_vgpr_count 0
		.amdhsa_exception_fp_ieee_invalid_op 0
		.amdhsa_exception_fp_denorm_src 0
		.amdhsa_exception_fp_ieee_div_zero 0
		.amdhsa_exception_fp_ieee_overflow 0
		.amdhsa_exception_fp_ieee_underflow 0
		.amdhsa_exception_fp_ieee_inexact 0
		.amdhsa_exception_int_div_zero 0
	.end_amdhsa_kernel
	.section	.text._ZN7rocprim17ROCPRIM_400000_NS6detail17trampoline_kernelINS0_14default_configENS1_25partition_config_selectorILNS1_17partition_subalgoE5ElNS0_10empty_typeEbEEZZNS1_14partition_implILS5_5ELb0ES3_mN6hipcub16HIPCUB_304000_NS21CountingInputIteratorIllEEPS6_NSA_22TransformInputIteratorIbN2at6native12_GLOBAL__N_19NonZeroOpIfEEPKflEENS0_5tupleIJPlS6_EEENSN_IJSD_SD_EEES6_PiJS6_EEE10hipError_tPvRmT3_T4_T5_T6_T7_T9_mT8_P12ihipStream_tbDpT10_ENKUlT_T0_E_clISt17integral_constantIbLb1EES1A_IbLb0EEEEDaS16_S17_EUlS16_E_NS1_11comp_targetILNS1_3genE9ELNS1_11target_archE1100ELNS1_3gpuE3ELNS1_3repE0EEENS1_30default_config_static_selectorELNS0_4arch9wavefront6targetE0EEEvT1_,"axG",@progbits,_ZN7rocprim17ROCPRIM_400000_NS6detail17trampoline_kernelINS0_14default_configENS1_25partition_config_selectorILNS1_17partition_subalgoE5ElNS0_10empty_typeEbEEZZNS1_14partition_implILS5_5ELb0ES3_mN6hipcub16HIPCUB_304000_NS21CountingInputIteratorIllEEPS6_NSA_22TransformInputIteratorIbN2at6native12_GLOBAL__N_19NonZeroOpIfEEPKflEENS0_5tupleIJPlS6_EEENSN_IJSD_SD_EEES6_PiJS6_EEE10hipError_tPvRmT3_T4_T5_T6_T7_T9_mT8_P12ihipStream_tbDpT10_ENKUlT_T0_E_clISt17integral_constantIbLb1EES1A_IbLb0EEEEDaS16_S17_EUlS16_E_NS1_11comp_targetILNS1_3genE9ELNS1_11target_archE1100ELNS1_3gpuE3ELNS1_3repE0EEENS1_30default_config_static_selectorELNS0_4arch9wavefront6targetE0EEEvT1_,comdat
.Lfunc_end480:
	.size	_ZN7rocprim17ROCPRIM_400000_NS6detail17trampoline_kernelINS0_14default_configENS1_25partition_config_selectorILNS1_17partition_subalgoE5ElNS0_10empty_typeEbEEZZNS1_14partition_implILS5_5ELb0ES3_mN6hipcub16HIPCUB_304000_NS21CountingInputIteratorIllEEPS6_NSA_22TransformInputIteratorIbN2at6native12_GLOBAL__N_19NonZeroOpIfEEPKflEENS0_5tupleIJPlS6_EEENSN_IJSD_SD_EEES6_PiJS6_EEE10hipError_tPvRmT3_T4_T5_T6_T7_T9_mT8_P12ihipStream_tbDpT10_ENKUlT_T0_E_clISt17integral_constantIbLb1EES1A_IbLb0EEEEDaS16_S17_EUlS16_E_NS1_11comp_targetILNS1_3genE9ELNS1_11target_archE1100ELNS1_3gpuE3ELNS1_3repE0EEENS1_30default_config_static_selectorELNS0_4arch9wavefront6targetE0EEEvT1_, .Lfunc_end480-_ZN7rocprim17ROCPRIM_400000_NS6detail17trampoline_kernelINS0_14default_configENS1_25partition_config_selectorILNS1_17partition_subalgoE5ElNS0_10empty_typeEbEEZZNS1_14partition_implILS5_5ELb0ES3_mN6hipcub16HIPCUB_304000_NS21CountingInputIteratorIllEEPS6_NSA_22TransformInputIteratorIbN2at6native12_GLOBAL__N_19NonZeroOpIfEEPKflEENS0_5tupleIJPlS6_EEENSN_IJSD_SD_EEES6_PiJS6_EEE10hipError_tPvRmT3_T4_T5_T6_T7_T9_mT8_P12ihipStream_tbDpT10_ENKUlT_T0_E_clISt17integral_constantIbLb1EES1A_IbLb0EEEEDaS16_S17_EUlS16_E_NS1_11comp_targetILNS1_3genE9ELNS1_11target_archE1100ELNS1_3gpuE3ELNS1_3repE0EEENS1_30default_config_static_selectorELNS0_4arch9wavefront6targetE0EEEvT1_
                                        ; -- End function
	.section	.AMDGPU.csdata,"",@progbits
; Kernel info:
; codeLenInByte = 6476
; NumSgprs: 23
; NumVgprs: 57
; ScratchSize: 0
; MemoryBound: 0
; FloatMode: 240
; IeeeMode: 1
; LDSByteSize: 6160 bytes/workgroup (compile time only)
; SGPRBlocks: 2
; VGPRBlocks: 7
; NumSGPRsForWavesPerEU: 23
; NumVGPRsForWavesPerEU: 57
; Occupancy: 16
; WaveLimiterHint : 1
; COMPUTE_PGM_RSRC2:SCRATCH_EN: 0
; COMPUTE_PGM_RSRC2:USER_SGPR: 15
; COMPUTE_PGM_RSRC2:TRAP_HANDLER: 0
; COMPUTE_PGM_RSRC2:TGID_X_EN: 1
; COMPUTE_PGM_RSRC2:TGID_Y_EN: 0
; COMPUTE_PGM_RSRC2:TGID_Z_EN: 0
; COMPUTE_PGM_RSRC2:TIDIG_COMP_CNT: 0
	.section	.text._ZN7rocprim17ROCPRIM_400000_NS6detail17trampoline_kernelINS0_14default_configENS1_25partition_config_selectorILNS1_17partition_subalgoE5ElNS0_10empty_typeEbEEZZNS1_14partition_implILS5_5ELb0ES3_mN6hipcub16HIPCUB_304000_NS21CountingInputIteratorIllEEPS6_NSA_22TransformInputIteratorIbN2at6native12_GLOBAL__N_19NonZeroOpIfEEPKflEENS0_5tupleIJPlS6_EEENSN_IJSD_SD_EEES6_PiJS6_EEE10hipError_tPvRmT3_T4_T5_T6_T7_T9_mT8_P12ihipStream_tbDpT10_ENKUlT_T0_E_clISt17integral_constantIbLb1EES1A_IbLb0EEEEDaS16_S17_EUlS16_E_NS1_11comp_targetILNS1_3genE8ELNS1_11target_archE1030ELNS1_3gpuE2ELNS1_3repE0EEENS1_30default_config_static_selectorELNS0_4arch9wavefront6targetE0EEEvT1_,"axG",@progbits,_ZN7rocprim17ROCPRIM_400000_NS6detail17trampoline_kernelINS0_14default_configENS1_25partition_config_selectorILNS1_17partition_subalgoE5ElNS0_10empty_typeEbEEZZNS1_14partition_implILS5_5ELb0ES3_mN6hipcub16HIPCUB_304000_NS21CountingInputIteratorIllEEPS6_NSA_22TransformInputIteratorIbN2at6native12_GLOBAL__N_19NonZeroOpIfEEPKflEENS0_5tupleIJPlS6_EEENSN_IJSD_SD_EEES6_PiJS6_EEE10hipError_tPvRmT3_T4_T5_T6_T7_T9_mT8_P12ihipStream_tbDpT10_ENKUlT_T0_E_clISt17integral_constantIbLb1EES1A_IbLb0EEEEDaS16_S17_EUlS16_E_NS1_11comp_targetILNS1_3genE8ELNS1_11target_archE1030ELNS1_3gpuE2ELNS1_3repE0EEENS1_30default_config_static_selectorELNS0_4arch9wavefront6targetE0EEEvT1_,comdat
	.globl	_ZN7rocprim17ROCPRIM_400000_NS6detail17trampoline_kernelINS0_14default_configENS1_25partition_config_selectorILNS1_17partition_subalgoE5ElNS0_10empty_typeEbEEZZNS1_14partition_implILS5_5ELb0ES3_mN6hipcub16HIPCUB_304000_NS21CountingInputIteratorIllEEPS6_NSA_22TransformInputIteratorIbN2at6native12_GLOBAL__N_19NonZeroOpIfEEPKflEENS0_5tupleIJPlS6_EEENSN_IJSD_SD_EEES6_PiJS6_EEE10hipError_tPvRmT3_T4_T5_T6_T7_T9_mT8_P12ihipStream_tbDpT10_ENKUlT_T0_E_clISt17integral_constantIbLb1EES1A_IbLb0EEEEDaS16_S17_EUlS16_E_NS1_11comp_targetILNS1_3genE8ELNS1_11target_archE1030ELNS1_3gpuE2ELNS1_3repE0EEENS1_30default_config_static_selectorELNS0_4arch9wavefront6targetE0EEEvT1_ ; -- Begin function _ZN7rocprim17ROCPRIM_400000_NS6detail17trampoline_kernelINS0_14default_configENS1_25partition_config_selectorILNS1_17partition_subalgoE5ElNS0_10empty_typeEbEEZZNS1_14partition_implILS5_5ELb0ES3_mN6hipcub16HIPCUB_304000_NS21CountingInputIteratorIllEEPS6_NSA_22TransformInputIteratorIbN2at6native12_GLOBAL__N_19NonZeroOpIfEEPKflEENS0_5tupleIJPlS6_EEENSN_IJSD_SD_EEES6_PiJS6_EEE10hipError_tPvRmT3_T4_T5_T6_T7_T9_mT8_P12ihipStream_tbDpT10_ENKUlT_T0_E_clISt17integral_constantIbLb1EES1A_IbLb0EEEEDaS16_S17_EUlS16_E_NS1_11comp_targetILNS1_3genE8ELNS1_11target_archE1030ELNS1_3gpuE2ELNS1_3repE0EEENS1_30default_config_static_selectorELNS0_4arch9wavefront6targetE0EEEvT1_
	.p2align	8
	.type	_ZN7rocprim17ROCPRIM_400000_NS6detail17trampoline_kernelINS0_14default_configENS1_25partition_config_selectorILNS1_17partition_subalgoE5ElNS0_10empty_typeEbEEZZNS1_14partition_implILS5_5ELb0ES3_mN6hipcub16HIPCUB_304000_NS21CountingInputIteratorIllEEPS6_NSA_22TransformInputIteratorIbN2at6native12_GLOBAL__N_19NonZeroOpIfEEPKflEENS0_5tupleIJPlS6_EEENSN_IJSD_SD_EEES6_PiJS6_EEE10hipError_tPvRmT3_T4_T5_T6_T7_T9_mT8_P12ihipStream_tbDpT10_ENKUlT_T0_E_clISt17integral_constantIbLb1EES1A_IbLb0EEEEDaS16_S17_EUlS16_E_NS1_11comp_targetILNS1_3genE8ELNS1_11target_archE1030ELNS1_3gpuE2ELNS1_3repE0EEENS1_30default_config_static_selectorELNS0_4arch9wavefront6targetE0EEEvT1_,@function
_ZN7rocprim17ROCPRIM_400000_NS6detail17trampoline_kernelINS0_14default_configENS1_25partition_config_selectorILNS1_17partition_subalgoE5ElNS0_10empty_typeEbEEZZNS1_14partition_implILS5_5ELb0ES3_mN6hipcub16HIPCUB_304000_NS21CountingInputIteratorIllEEPS6_NSA_22TransformInputIteratorIbN2at6native12_GLOBAL__N_19NonZeroOpIfEEPKflEENS0_5tupleIJPlS6_EEENSN_IJSD_SD_EEES6_PiJS6_EEE10hipError_tPvRmT3_T4_T5_T6_T7_T9_mT8_P12ihipStream_tbDpT10_ENKUlT_T0_E_clISt17integral_constantIbLb1EES1A_IbLb0EEEEDaS16_S17_EUlS16_E_NS1_11comp_targetILNS1_3genE8ELNS1_11target_archE1030ELNS1_3gpuE2ELNS1_3repE0EEENS1_30default_config_static_selectorELNS0_4arch9wavefront6targetE0EEEvT1_: ; @_ZN7rocprim17ROCPRIM_400000_NS6detail17trampoline_kernelINS0_14default_configENS1_25partition_config_selectorILNS1_17partition_subalgoE5ElNS0_10empty_typeEbEEZZNS1_14partition_implILS5_5ELb0ES3_mN6hipcub16HIPCUB_304000_NS21CountingInputIteratorIllEEPS6_NSA_22TransformInputIteratorIbN2at6native12_GLOBAL__N_19NonZeroOpIfEEPKflEENS0_5tupleIJPlS6_EEENSN_IJSD_SD_EEES6_PiJS6_EEE10hipError_tPvRmT3_T4_T5_T6_T7_T9_mT8_P12ihipStream_tbDpT10_ENKUlT_T0_E_clISt17integral_constantIbLb1EES1A_IbLb0EEEEDaS16_S17_EUlS16_E_NS1_11comp_targetILNS1_3genE8ELNS1_11target_archE1030ELNS1_3gpuE2ELNS1_3repE0EEENS1_30default_config_static_selectorELNS0_4arch9wavefront6targetE0EEEvT1_
; %bb.0:
	.section	.rodata,"a",@progbits
	.p2align	6, 0x0
	.amdhsa_kernel _ZN7rocprim17ROCPRIM_400000_NS6detail17trampoline_kernelINS0_14default_configENS1_25partition_config_selectorILNS1_17partition_subalgoE5ElNS0_10empty_typeEbEEZZNS1_14partition_implILS5_5ELb0ES3_mN6hipcub16HIPCUB_304000_NS21CountingInputIteratorIllEEPS6_NSA_22TransformInputIteratorIbN2at6native12_GLOBAL__N_19NonZeroOpIfEEPKflEENS0_5tupleIJPlS6_EEENSN_IJSD_SD_EEES6_PiJS6_EEE10hipError_tPvRmT3_T4_T5_T6_T7_T9_mT8_P12ihipStream_tbDpT10_ENKUlT_T0_E_clISt17integral_constantIbLb1EES1A_IbLb0EEEEDaS16_S17_EUlS16_E_NS1_11comp_targetILNS1_3genE8ELNS1_11target_archE1030ELNS1_3gpuE2ELNS1_3repE0EEENS1_30default_config_static_selectorELNS0_4arch9wavefront6targetE0EEEvT1_
		.amdhsa_group_segment_fixed_size 0
		.amdhsa_private_segment_fixed_size 0
		.amdhsa_kernarg_size 120
		.amdhsa_user_sgpr_count 15
		.amdhsa_user_sgpr_dispatch_ptr 0
		.amdhsa_user_sgpr_queue_ptr 0
		.amdhsa_user_sgpr_kernarg_segment_ptr 1
		.amdhsa_user_sgpr_dispatch_id 0
		.amdhsa_user_sgpr_private_segment_size 0
		.amdhsa_wavefront_size32 1
		.amdhsa_uses_dynamic_stack 0
		.amdhsa_enable_private_segment 0
		.amdhsa_system_sgpr_workgroup_id_x 1
		.amdhsa_system_sgpr_workgroup_id_y 0
		.amdhsa_system_sgpr_workgroup_id_z 0
		.amdhsa_system_sgpr_workgroup_info 0
		.amdhsa_system_vgpr_workitem_id 0
		.amdhsa_next_free_vgpr 1
		.amdhsa_next_free_sgpr 1
		.amdhsa_reserve_vcc 0
		.amdhsa_float_round_mode_32 0
		.amdhsa_float_round_mode_16_64 0
		.amdhsa_float_denorm_mode_32 3
		.amdhsa_float_denorm_mode_16_64 3
		.amdhsa_dx10_clamp 1
		.amdhsa_ieee_mode 1
		.amdhsa_fp16_overflow 0
		.amdhsa_workgroup_processor_mode 1
		.amdhsa_memory_ordered 1
		.amdhsa_forward_progress 0
		.amdhsa_shared_vgpr_count 0
		.amdhsa_exception_fp_ieee_invalid_op 0
		.amdhsa_exception_fp_denorm_src 0
		.amdhsa_exception_fp_ieee_div_zero 0
		.amdhsa_exception_fp_ieee_overflow 0
		.amdhsa_exception_fp_ieee_underflow 0
		.amdhsa_exception_fp_ieee_inexact 0
		.amdhsa_exception_int_div_zero 0
	.end_amdhsa_kernel
	.section	.text._ZN7rocprim17ROCPRIM_400000_NS6detail17trampoline_kernelINS0_14default_configENS1_25partition_config_selectorILNS1_17partition_subalgoE5ElNS0_10empty_typeEbEEZZNS1_14partition_implILS5_5ELb0ES3_mN6hipcub16HIPCUB_304000_NS21CountingInputIteratorIllEEPS6_NSA_22TransformInputIteratorIbN2at6native12_GLOBAL__N_19NonZeroOpIfEEPKflEENS0_5tupleIJPlS6_EEENSN_IJSD_SD_EEES6_PiJS6_EEE10hipError_tPvRmT3_T4_T5_T6_T7_T9_mT8_P12ihipStream_tbDpT10_ENKUlT_T0_E_clISt17integral_constantIbLb1EES1A_IbLb0EEEEDaS16_S17_EUlS16_E_NS1_11comp_targetILNS1_3genE8ELNS1_11target_archE1030ELNS1_3gpuE2ELNS1_3repE0EEENS1_30default_config_static_selectorELNS0_4arch9wavefront6targetE0EEEvT1_,"axG",@progbits,_ZN7rocprim17ROCPRIM_400000_NS6detail17trampoline_kernelINS0_14default_configENS1_25partition_config_selectorILNS1_17partition_subalgoE5ElNS0_10empty_typeEbEEZZNS1_14partition_implILS5_5ELb0ES3_mN6hipcub16HIPCUB_304000_NS21CountingInputIteratorIllEEPS6_NSA_22TransformInputIteratorIbN2at6native12_GLOBAL__N_19NonZeroOpIfEEPKflEENS0_5tupleIJPlS6_EEENSN_IJSD_SD_EEES6_PiJS6_EEE10hipError_tPvRmT3_T4_T5_T6_T7_T9_mT8_P12ihipStream_tbDpT10_ENKUlT_T0_E_clISt17integral_constantIbLb1EES1A_IbLb0EEEEDaS16_S17_EUlS16_E_NS1_11comp_targetILNS1_3genE8ELNS1_11target_archE1030ELNS1_3gpuE2ELNS1_3repE0EEENS1_30default_config_static_selectorELNS0_4arch9wavefront6targetE0EEEvT1_,comdat
.Lfunc_end481:
	.size	_ZN7rocprim17ROCPRIM_400000_NS6detail17trampoline_kernelINS0_14default_configENS1_25partition_config_selectorILNS1_17partition_subalgoE5ElNS0_10empty_typeEbEEZZNS1_14partition_implILS5_5ELb0ES3_mN6hipcub16HIPCUB_304000_NS21CountingInputIteratorIllEEPS6_NSA_22TransformInputIteratorIbN2at6native12_GLOBAL__N_19NonZeroOpIfEEPKflEENS0_5tupleIJPlS6_EEENSN_IJSD_SD_EEES6_PiJS6_EEE10hipError_tPvRmT3_T4_T5_T6_T7_T9_mT8_P12ihipStream_tbDpT10_ENKUlT_T0_E_clISt17integral_constantIbLb1EES1A_IbLb0EEEEDaS16_S17_EUlS16_E_NS1_11comp_targetILNS1_3genE8ELNS1_11target_archE1030ELNS1_3gpuE2ELNS1_3repE0EEENS1_30default_config_static_selectorELNS0_4arch9wavefront6targetE0EEEvT1_, .Lfunc_end481-_ZN7rocprim17ROCPRIM_400000_NS6detail17trampoline_kernelINS0_14default_configENS1_25partition_config_selectorILNS1_17partition_subalgoE5ElNS0_10empty_typeEbEEZZNS1_14partition_implILS5_5ELb0ES3_mN6hipcub16HIPCUB_304000_NS21CountingInputIteratorIllEEPS6_NSA_22TransformInputIteratorIbN2at6native12_GLOBAL__N_19NonZeroOpIfEEPKflEENS0_5tupleIJPlS6_EEENSN_IJSD_SD_EEES6_PiJS6_EEE10hipError_tPvRmT3_T4_T5_T6_T7_T9_mT8_P12ihipStream_tbDpT10_ENKUlT_T0_E_clISt17integral_constantIbLb1EES1A_IbLb0EEEEDaS16_S17_EUlS16_E_NS1_11comp_targetILNS1_3genE8ELNS1_11target_archE1030ELNS1_3gpuE2ELNS1_3repE0EEENS1_30default_config_static_selectorELNS0_4arch9wavefront6targetE0EEEvT1_
                                        ; -- End function
	.section	.AMDGPU.csdata,"",@progbits
; Kernel info:
; codeLenInByte = 0
; NumSgprs: 0
; NumVgprs: 0
; ScratchSize: 0
; MemoryBound: 0
; FloatMode: 240
; IeeeMode: 1
; LDSByteSize: 0 bytes/workgroup (compile time only)
; SGPRBlocks: 0
; VGPRBlocks: 0
; NumSGPRsForWavesPerEU: 1
; NumVGPRsForWavesPerEU: 1
; Occupancy: 16
; WaveLimiterHint : 0
; COMPUTE_PGM_RSRC2:SCRATCH_EN: 0
; COMPUTE_PGM_RSRC2:USER_SGPR: 15
; COMPUTE_PGM_RSRC2:TRAP_HANDLER: 0
; COMPUTE_PGM_RSRC2:TGID_X_EN: 1
; COMPUTE_PGM_RSRC2:TGID_Y_EN: 0
; COMPUTE_PGM_RSRC2:TGID_Z_EN: 0
; COMPUTE_PGM_RSRC2:TIDIG_COMP_CNT: 0
	.section	.text._ZN7rocprim17ROCPRIM_400000_NS6detail17trampoline_kernelINS0_14default_configENS1_25partition_config_selectorILNS1_17partition_subalgoE5ElNS0_10empty_typeEbEEZZNS1_14partition_implILS5_5ELb0ES3_mN6hipcub16HIPCUB_304000_NS21CountingInputIteratorIllEEPS6_NSA_22TransformInputIteratorIbN2at6native12_GLOBAL__N_19NonZeroOpIfEEPKflEENS0_5tupleIJPlS6_EEENSN_IJSD_SD_EEES6_PiJS6_EEE10hipError_tPvRmT3_T4_T5_T6_T7_T9_mT8_P12ihipStream_tbDpT10_ENKUlT_T0_E_clISt17integral_constantIbLb0EES1A_IbLb1EEEEDaS16_S17_EUlS16_E_NS1_11comp_targetILNS1_3genE0ELNS1_11target_archE4294967295ELNS1_3gpuE0ELNS1_3repE0EEENS1_30default_config_static_selectorELNS0_4arch9wavefront6targetE0EEEvT1_,"axG",@progbits,_ZN7rocprim17ROCPRIM_400000_NS6detail17trampoline_kernelINS0_14default_configENS1_25partition_config_selectorILNS1_17partition_subalgoE5ElNS0_10empty_typeEbEEZZNS1_14partition_implILS5_5ELb0ES3_mN6hipcub16HIPCUB_304000_NS21CountingInputIteratorIllEEPS6_NSA_22TransformInputIteratorIbN2at6native12_GLOBAL__N_19NonZeroOpIfEEPKflEENS0_5tupleIJPlS6_EEENSN_IJSD_SD_EEES6_PiJS6_EEE10hipError_tPvRmT3_T4_T5_T6_T7_T9_mT8_P12ihipStream_tbDpT10_ENKUlT_T0_E_clISt17integral_constantIbLb0EES1A_IbLb1EEEEDaS16_S17_EUlS16_E_NS1_11comp_targetILNS1_3genE0ELNS1_11target_archE4294967295ELNS1_3gpuE0ELNS1_3repE0EEENS1_30default_config_static_selectorELNS0_4arch9wavefront6targetE0EEEvT1_,comdat
	.globl	_ZN7rocprim17ROCPRIM_400000_NS6detail17trampoline_kernelINS0_14default_configENS1_25partition_config_selectorILNS1_17partition_subalgoE5ElNS0_10empty_typeEbEEZZNS1_14partition_implILS5_5ELb0ES3_mN6hipcub16HIPCUB_304000_NS21CountingInputIteratorIllEEPS6_NSA_22TransformInputIteratorIbN2at6native12_GLOBAL__N_19NonZeroOpIfEEPKflEENS0_5tupleIJPlS6_EEENSN_IJSD_SD_EEES6_PiJS6_EEE10hipError_tPvRmT3_T4_T5_T6_T7_T9_mT8_P12ihipStream_tbDpT10_ENKUlT_T0_E_clISt17integral_constantIbLb0EES1A_IbLb1EEEEDaS16_S17_EUlS16_E_NS1_11comp_targetILNS1_3genE0ELNS1_11target_archE4294967295ELNS1_3gpuE0ELNS1_3repE0EEENS1_30default_config_static_selectorELNS0_4arch9wavefront6targetE0EEEvT1_ ; -- Begin function _ZN7rocprim17ROCPRIM_400000_NS6detail17trampoline_kernelINS0_14default_configENS1_25partition_config_selectorILNS1_17partition_subalgoE5ElNS0_10empty_typeEbEEZZNS1_14partition_implILS5_5ELb0ES3_mN6hipcub16HIPCUB_304000_NS21CountingInputIteratorIllEEPS6_NSA_22TransformInputIteratorIbN2at6native12_GLOBAL__N_19NonZeroOpIfEEPKflEENS0_5tupleIJPlS6_EEENSN_IJSD_SD_EEES6_PiJS6_EEE10hipError_tPvRmT3_T4_T5_T6_T7_T9_mT8_P12ihipStream_tbDpT10_ENKUlT_T0_E_clISt17integral_constantIbLb0EES1A_IbLb1EEEEDaS16_S17_EUlS16_E_NS1_11comp_targetILNS1_3genE0ELNS1_11target_archE4294967295ELNS1_3gpuE0ELNS1_3repE0EEENS1_30default_config_static_selectorELNS0_4arch9wavefront6targetE0EEEvT1_
	.p2align	8
	.type	_ZN7rocprim17ROCPRIM_400000_NS6detail17trampoline_kernelINS0_14default_configENS1_25partition_config_selectorILNS1_17partition_subalgoE5ElNS0_10empty_typeEbEEZZNS1_14partition_implILS5_5ELb0ES3_mN6hipcub16HIPCUB_304000_NS21CountingInputIteratorIllEEPS6_NSA_22TransformInputIteratorIbN2at6native12_GLOBAL__N_19NonZeroOpIfEEPKflEENS0_5tupleIJPlS6_EEENSN_IJSD_SD_EEES6_PiJS6_EEE10hipError_tPvRmT3_T4_T5_T6_T7_T9_mT8_P12ihipStream_tbDpT10_ENKUlT_T0_E_clISt17integral_constantIbLb0EES1A_IbLb1EEEEDaS16_S17_EUlS16_E_NS1_11comp_targetILNS1_3genE0ELNS1_11target_archE4294967295ELNS1_3gpuE0ELNS1_3repE0EEENS1_30default_config_static_selectorELNS0_4arch9wavefront6targetE0EEEvT1_,@function
_ZN7rocprim17ROCPRIM_400000_NS6detail17trampoline_kernelINS0_14default_configENS1_25partition_config_selectorILNS1_17partition_subalgoE5ElNS0_10empty_typeEbEEZZNS1_14partition_implILS5_5ELb0ES3_mN6hipcub16HIPCUB_304000_NS21CountingInputIteratorIllEEPS6_NSA_22TransformInputIteratorIbN2at6native12_GLOBAL__N_19NonZeroOpIfEEPKflEENS0_5tupleIJPlS6_EEENSN_IJSD_SD_EEES6_PiJS6_EEE10hipError_tPvRmT3_T4_T5_T6_T7_T9_mT8_P12ihipStream_tbDpT10_ENKUlT_T0_E_clISt17integral_constantIbLb0EES1A_IbLb1EEEEDaS16_S17_EUlS16_E_NS1_11comp_targetILNS1_3genE0ELNS1_11target_archE4294967295ELNS1_3gpuE0ELNS1_3repE0EEENS1_30default_config_static_selectorELNS0_4arch9wavefront6targetE0EEEvT1_: ; @_ZN7rocprim17ROCPRIM_400000_NS6detail17trampoline_kernelINS0_14default_configENS1_25partition_config_selectorILNS1_17partition_subalgoE5ElNS0_10empty_typeEbEEZZNS1_14partition_implILS5_5ELb0ES3_mN6hipcub16HIPCUB_304000_NS21CountingInputIteratorIllEEPS6_NSA_22TransformInputIteratorIbN2at6native12_GLOBAL__N_19NonZeroOpIfEEPKflEENS0_5tupleIJPlS6_EEENSN_IJSD_SD_EEES6_PiJS6_EEE10hipError_tPvRmT3_T4_T5_T6_T7_T9_mT8_P12ihipStream_tbDpT10_ENKUlT_T0_E_clISt17integral_constantIbLb0EES1A_IbLb1EEEEDaS16_S17_EUlS16_E_NS1_11comp_targetILNS1_3genE0ELNS1_11target_archE4294967295ELNS1_3gpuE0ELNS1_3repE0EEENS1_30default_config_static_selectorELNS0_4arch9wavefront6targetE0EEEvT1_
; %bb.0:
	.section	.rodata,"a",@progbits
	.p2align	6, 0x0
	.amdhsa_kernel _ZN7rocprim17ROCPRIM_400000_NS6detail17trampoline_kernelINS0_14default_configENS1_25partition_config_selectorILNS1_17partition_subalgoE5ElNS0_10empty_typeEbEEZZNS1_14partition_implILS5_5ELb0ES3_mN6hipcub16HIPCUB_304000_NS21CountingInputIteratorIllEEPS6_NSA_22TransformInputIteratorIbN2at6native12_GLOBAL__N_19NonZeroOpIfEEPKflEENS0_5tupleIJPlS6_EEENSN_IJSD_SD_EEES6_PiJS6_EEE10hipError_tPvRmT3_T4_T5_T6_T7_T9_mT8_P12ihipStream_tbDpT10_ENKUlT_T0_E_clISt17integral_constantIbLb0EES1A_IbLb1EEEEDaS16_S17_EUlS16_E_NS1_11comp_targetILNS1_3genE0ELNS1_11target_archE4294967295ELNS1_3gpuE0ELNS1_3repE0EEENS1_30default_config_static_selectorELNS0_4arch9wavefront6targetE0EEEvT1_
		.amdhsa_group_segment_fixed_size 0
		.amdhsa_private_segment_fixed_size 0
		.amdhsa_kernarg_size 136
		.amdhsa_user_sgpr_count 15
		.amdhsa_user_sgpr_dispatch_ptr 0
		.amdhsa_user_sgpr_queue_ptr 0
		.amdhsa_user_sgpr_kernarg_segment_ptr 1
		.amdhsa_user_sgpr_dispatch_id 0
		.amdhsa_user_sgpr_private_segment_size 0
		.amdhsa_wavefront_size32 1
		.amdhsa_uses_dynamic_stack 0
		.amdhsa_enable_private_segment 0
		.amdhsa_system_sgpr_workgroup_id_x 1
		.amdhsa_system_sgpr_workgroup_id_y 0
		.amdhsa_system_sgpr_workgroup_id_z 0
		.amdhsa_system_sgpr_workgroup_info 0
		.amdhsa_system_vgpr_workitem_id 0
		.amdhsa_next_free_vgpr 1
		.amdhsa_next_free_sgpr 1
		.amdhsa_reserve_vcc 0
		.amdhsa_float_round_mode_32 0
		.amdhsa_float_round_mode_16_64 0
		.amdhsa_float_denorm_mode_32 3
		.amdhsa_float_denorm_mode_16_64 3
		.amdhsa_dx10_clamp 1
		.amdhsa_ieee_mode 1
		.amdhsa_fp16_overflow 0
		.amdhsa_workgroup_processor_mode 1
		.amdhsa_memory_ordered 1
		.amdhsa_forward_progress 0
		.amdhsa_shared_vgpr_count 0
		.amdhsa_exception_fp_ieee_invalid_op 0
		.amdhsa_exception_fp_denorm_src 0
		.amdhsa_exception_fp_ieee_div_zero 0
		.amdhsa_exception_fp_ieee_overflow 0
		.amdhsa_exception_fp_ieee_underflow 0
		.amdhsa_exception_fp_ieee_inexact 0
		.amdhsa_exception_int_div_zero 0
	.end_amdhsa_kernel
	.section	.text._ZN7rocprim17ROCPRIM_400000_NS6detail17trampoline_kernelINS0_14default_configENS1_25partition_config_selectorILNS1_17partition_subalgoE5ElNS0_10empty_typeEbEEZZNS1_14partition_implILS5_5ELb0ES3_mN6hipcub16HIPCUB_304000_NS21CountingInputIteratorIllEEPS6_NSA_22TransformInputIteratorIbN2at6native12_GLOBAL__N_19NonZeroOpIfEEPKflEENS0_5tupleIJPlS6_EEENSN_IJSD_SD_EEES6_PiJS6_EEE10hipError_tPvRmT3_T4_T5_T6_T7_T9_mT8_P12ihipStream_tbDpT10_ENKUlT_T0_E_clISt17integral_constantIbLb0EES1A_IbLb1EEEEDaS16_S17_EUlS16_E_NS1_11comp_targetILNS1_3genE0ELNS1_11target_archE4294967295ELNS1_3gpuE0ELNS1_3repE0EEENS1_30default_config_static_selectorELNS0_4arch9wavefront6targetE0EEEvT1_,"axG",@progbits,_ZN7rocprim17ROCPRIM_400000_NS6detail17trampoline_kernelINS0_14default_configENS1_25partition_config_selectorILNS1_17partition_subalgoE5ElNS0_10empty_typeEbEEZZNS1_14partition_implILS5_5ELb0ES3_mN6hipcub16HIPCUB_304000_NS21CountingInputIteratorIllEEPS6_NSA_22TransformInputIteratorIbN2at6native12_GLOBAL__N_19NonZeroOpIfEEPKflEENS0_5tupleIJPlS6_EEENSN_IJSD_SD_EEES6_PiJS6_EEE10hipError_tPvRmT3_T4_T5_T6_T7_T9_mT8_P12ihipStream_tbDpT10_ENKUlT_T0_E_clISt17integral_constantIbLb0EES1A_IbLb1EEEEDaS16_S17_EUlS16_E_NS1_11comp_targetILNS1_3genE0ELNS1_11target_archE4294967295ELNS1_3gpuE0ELNS1_3repE0EEENS1_30default_config_static_selectorELNS0_4arch9wavefront6targetE0EEEvT1_,comdat
.Lfunc_end482:
	.size	_ZN7rocprim17ROCPRIM_400000_NS6detail17trampoline_kernelINS0_14default_configENS1_25partition_config_selectorILNS1_17partition_subalgoE5ElNS0_10empty_typeEbEEZZNS1_14partition_implILS5_5ELb0ES3_mN6hipcub16HIPCUB_304000_NS21CountingInputIteratorIllEEPS6_NSA_22TransformInputIteratorIbN2at6native12_GLOBAL__N_19NonZeroOpIfEEPKflEENS0_5tupleIJPlS6_EEENSN_IJSD_SD_EEES6_PiJS6_EEE10hipError_tPvRmT3_T4_T5_T6_T7_T9_mT8_P12ihipStream_tbDpT10_ENKUlT_T0_E_clISt17integral_constantIbLb0EES1A_IbLb1EEEEDaS16_S17_EUlS16_E_NS1_11comp_targetILNS1_3genE0ELNS1_11target_archE4294967295ELNS1_3gpuE0ELNS1_3repE0EEENS1_30default_config_static_selectorELNS0_4arch9wavefront6targetE0EEEvT1_, .Lfunc_end482-_ZN7rocprim17ROCPRIM_400000_NS6detail17trampoline_kernelINS0_14default_configENS1_25partition_config_selectorILNS1_17partition_subalgoE5ElNS0_10empty_typeEbEEZZNS1_14partition_implILS5_5ELb0ES3_mN6hipcub16HIPCUB_304000_NS21CountingInputIteratorIllEEPS6_NSA_22TransformInputIteratorIbN2at6native12_GLOBAL__N_19NonZeroOpIfEEPKflEENS0_5tupleIJPlS6_EEENSN_IJSD_SD_EEES6_PiJS6_EEE10hipError_tPvRmT3_T4_T5_T6_T7_T9_mT8_P12ihipStream_tbDpT10_ENKUlT_T0_E_clISt17integral_constantIbLb0EES1A_IbLb1EEEEDaS16_S17_EUlS16_E_NS1_11comp_targetILNS1_3genE0ELNS1_11target_archE4294967295ELNS1_3gpuE0ELNS1_3repE0EEENS1_30default_config_static_selectorELNS0_4arch9wavefront6targetE0EEEvT1_
                                        ; -- End function
	.section	.AMDGPU.csdata,"",@progbits
; Kernel info:
; codeLenInByte = 0
; NumSgprs: 0
; NumVgprs: 0
; ScratchSize: 0
; MemoryBound: 0
; FloatMode: 240
; IeeeMode: 1
; LDSByteSize: 0 bytes/workgroup (compile time only)
; SGPRBlocks: 0
; VGPRBlocks: 0
; NumSGPRsForWavesPerEU: 1
; NumVGPRsForWavesPerEU: 1
; Occupancy: 16
; WaveLimiterHint : 0
; COMPUTE_PGM_RSRC2:SCRATCH_EN: 0
; COMPUTE_PGM_RSRC2:USER_SGPR: 15
; COMPUTE_PGM_RSRC2:TRAP_HANDLER: 0
; COMPUTE_PGM_RSRC2:TGID_X_EN: 1
; COMPUTE_PGM_RSRC2:TGID_Y_EN: 0
; COMPUTE_PGM_RSRC2:TGID_Z_EN: 0
; COMPUTE_PGM_RSRC2:TIDIG_COMP_CNT: 0
	.section	.text._ZN7rocprim17ROCPRIM_400000_NS6detail17trampoline_kernelINS0_14default_configENS1_25partition_config_selectorILNS1_17partition_subalgoE5ElNS0_10empty_typeEbEEZZNS1_14partition_implILS5_5ELb0ES3_mN6hipcub16HIPCUB_304000_NS21CountingInputIteratorIllEEPS6_NSA_22TransformInputIteratorIbN2at6native12_GLOBAL__N_19NonZeroOpIfEEPKflEENS0_5tupleIJPlS6_EEENSN_IJSD_SD_EEES6_PiJS6_EEE10hipError_tPvRmT3_T4_T5_T6_T7_T9_mT8_P12ihipStream_tbDpT10_ENKUlT_T0_E_clISt17integral_constantIbLb0EES1A_IbLb1EEEEDaS16_S17_EUlS16_E_NS1_11comp_targetILNS1_3genE5ELNS1_11target_archE942ELNS1_3gpuE9ELNS1_3repE0EEENS1_30default_config_static_selectorELNS0_4arch9wavefront6targetE0EEEvT1_,"axG",@progbits,_ZN7rocprim17ROCPRIM_400000_NS6detail17trampoline_kernelINS0_14default_configENS1_25partition_config_selectorILNS1_17partition_subalgoE5ElNS0_10empty_typeEbEEZZNS1_14partition_implILS5_5ELb0ES3_mN6hipcub16HIPCUB_304000_NS21CountingInputIteratorIllEEPS6_NSA_22TransformInputIteratorIbN2at6native12_GLOBAL__N_19NonZeroOpIfEEPKflEENS0_5tupleIJPlS6_EEENSN_IJSD_SD_EEES6_PiJS6_EEE10hipError_tPvRmT3_T4_T5_T6_T7_T9_mT8_P12ihipStream_tbDpT10_ENKUlT_T0_E_clISt17integral_constantIbLb0EES1A_IbLb1EEEEDaS16_S17_EUlS16_E_NS1_11comp_targetILNS1_3genE5ELNS1_11target_archE942ELNS1_3gpuE9ELNS1_3repE0EEENS1_30default_config_static_selectorELNS0_4arch9wavefront6targetE0EEEvT1_,comdat
	.globl	_ZN7rocprim17ROCPRIM_400000_NS6detail17trampoline_kernelINS0_14default_configENS1_25partition_config_selectorILNS1_17partition_subalgoE5ElNS0_10empty_typeEbEEZZNS1_14partition_implILS5_5ELb0ES3_mN6hipcub16HIPCUB_304000_NS21CountingInputIteratorIllEEPS6_NSA_22TransformInputIteratorIbN2at6native12_GLOBAL__N_19NonZeroOpIfEEPKflEENS0_5tupleIJPlS6_EEENSN_IJSD_SD_EEES6_PiJS6_EEE10hipError_tPvRmT3_T4_T5_T6_T7_T9_mT8_P12ihipStream_tbDpT10_ENKUlT_T0_E_clISt17integral_constantIbLb0EES1A_IbLb1EEEEDaS16_S17_EUlS16_E_NS1_11comp_targetILNS1_3genE5ELNS1_11target_archE942ELNS1_3gpuE9ELNS1_3repE0EEENS1_30default_config_static_selectorELNS0_4arch9wavefront6targetE0EEEvT1_ ; -- Begin function _ZN7rocprim17ROCPRIM_400000_NS6detail17trampoline_kernelINS0_14default_configENS1_25partition_config_selectorILNS1_17partition_subalgoE5ElNS0_10empty_typeEbEEZZNS1_14partition_implILS5_5ELb0ES3_mN6hipcub16HIPCUB_304000_NS21CountingInputIteratorIllEEPS6_NSA_22TransformInputIteratorIbN2at6native12_GLOBAL__N_19NonZeroOpIfEEPKflEENS0_5tupleIJPlS6_EEENSN_IJSD_SD_EEES6_PiJS6_EEE10hipError_tPvRmT3_T4_T5_T6_T7_T9_mT8_P12ihipStream_tbDpT10_ENKUlT_T0_E_clISt17integral_constantIbLb0EES1A_IbLb1EEEEDaS16_S17_EUlS16_E_NS1_11comp_targetILNS1_3genE5ELNS1_11target_archE942ELNS1_3gpuE9ELNS1_3repE0EEENS1_30default_config_static_selectorELNS0_4arch9wavefront6targetE0EEEvT1_
	.p2align	8
	.type	_ZN7rocprim17ROCPRIM_400000_NS6detail17trampoline_kernelINS0_14default_configENS1_25partition_config_selectorILNS1_17partition_subalgoE5ElNS0_10empty_typeEbEEZZNS1_14partition_implILS5_5ELb0ES3_mN6hipcub16HIPCUB_304000_NS21CountingInputIteratorIllEEPS6_NSA_22TransformInputIteratorIbN2at6native12_GLOBAL__N_19NonZeroOpIfEEPKflEENS0_5tupleIJPlS6_EEENSN_IJSD_SD_EEES6_PiJS6_EEE10hipError_tPvRmT3_T4_T5_T6_T7_T9_mT8_P12ihipStream_tbDpT10_ENKUlT_T0_E_clISt17integral_constantIbLb0EES1A_IbLb1EEEEDaS16_S17_EUlS16_E_NS1_11comp_targetILNS1_3genE5ELNS1_11target_archE942ELNS1_3gpuE9ELNS1_3repE0EEENS1_30default_config_static_selectorELNS0_4arch9wavefront6targetE0EEEvT1_,@function
_ZN7rocprim17ROCPRIM_400000_NS6detail17trampoline_kernelINS0_14default_configENS1_25partition_config_selectorILNS1_17partition_subalgoE5ElNS0_10empty_typeEbEEZZNS1_14partition_implILS5_5ELb0ES3_mN6hipcub16HIPCUB_304000_NS21CountingInputIteratorIllEEPS6_NSA_22TransformInputIteratorIbN2at6native12_GLOBAL__N_19NonZeroOpIfEEPKflEENS0_5tupleIJPlS6_EEENSN_IJSD_SD_EEES6_PiJS6_EEE10hipError_tPvRmT3_T4_T5_T6_T7_T9_mT8_P12ihipStream_tbDpT10_ENKUlT_T0_E_clISt17integral_constantIbLb0EES1A_IbLb1EEEEDaS16_S17_EUlS16_E_NS1_11comp_targetILNS1_3genE5ELNS1_11target_archE942ELNS1_3gpuE9ELNS1_3repE0EEENS1_30default_config_static_selectorELNS0_4arch9wavefront6targetE0EEEvT1_: ; @_ZN7rocprim17ROCPRIM_400000_NS6detail17trampoline_kernelINS0_14default_configENS1_25partition_config_selectorILNS1_17partition_subalgoE5ElNS0_10empty_typeEbEEZZNS1_14partition_implILS5_5ELb0ES3_mN6hipcub16HIPCUB_304000_NS21CountingInputIteratorIllEEPS6_NSA_22TransformInputIteratorIbN2at6native12_GLOBAL__N_19NonZeroOpIfEEPKflEENS0_5tupleIJPlS6_EEENSN_IJSD_SD_EEES6_PiJS6_EEE10hipError_tPvRmT3_T4_T5_T6_T7_T9_mT8_P12ihipStream_tbDpT10_ENKUlT_T0_E_clISt17integral_constantIbLb0EES1A_IbLb1EEEEDaS16_S17_EUlS16_E_NS1_11comp_targetILNS1_3genE5ELNS1_11target_archE942ELNS1_3gpuE9ELNS1_3repE0EEENS1_30default_config_static_selectorELNS0_4arch9wavefront6targetE0EEEvT1_
; %bb.0:
	.section	.rodata,"a",@progbits
	.p2align	6, 0x0
	.amdhsa_kernel _ZN7rocprim17ROCPRIM_400000_NS6detail17trampoline_kernelINS0_14default_configENS1_25partition_config_selectorILNS1_17partition_subalgoE5ElNS0_10empty_typeEbEEZZNS1_14partition_implILS5_5ELb0ES3_mN6hipcub16HIPCUB_304000_NS21CountingInputIteratorIllEEPS6_NSA_22TransformInputIteratorIbN2at6native12_GLOBAL__N_19NonZeroOpIfEEPKflEENS0_5tupleIJPlS6_EEENSN_IJSD_SD_EEES6_PiJS6_EEE10hipError_tPvRmT3_T4_T5_T6_T7_T9_mT8_P12ihipStream_tbDpT10_ENKUlT_T0_E_clISt17integral_constantIbLb0EES1A_IbLb1EEEEDaS16_S17_EUlS16_E_NS1_11comp_targetILNS1_3genE5ELNS1_11target_archE942ELNS1_3gpuE9ELNS1_3repE0EEENS1_30default_config_static_selectorELNS0_4arch9wavefront6targetE0EEEvT1_
		.amdhsa_group_segment_fixed_size 0
		.amdhsa_private_segment_fixed_size 0
		.amdhsa_kernarg_size 136
		.amdhsa_user_sgpr_count 15
		.amdhsa_user_sgpr_dispatch_ptr 0
		.amdhsa_user_sgpr_queue_ptr 0
		.amdhsa_user_sgpr_kernarg_segment_ptr 1
		.amdhsa_user_sgpr_dispatch_id 0
		.amdhsa_user_sgpr_private_segment_size 0
		.amdhsa_wavefront_size32 1
		.amdhsa_uses_dynamic_stack 0
		.amdhsa_enable_private_segment 0
		.amdhsa_system_sgpr_workgroup_id_x 1
		.amdhsa_system_sgpr_workgroup_id_y 0
		.amdhsa_system_sgpr_workgroup_id_z 0
		.amdhsa_system_sgpr_workgroup_info 0
		.amdhsa_system_vgpr_workitem_id 0
		.amdhsa_next_free_vgpr 1
		.amdhsa_next_free_sgpr 1
		.amdhsa_reserve_vcc 0
		.amdhsa_float_round_mode_32 0
		.amdhsa_float_round_mode_16_64 0
		.amdhsa_float_denorm_mode_32 3
		.amdhsa_float_denorm_mode_16_64 3
		.amdhsa_dx10_clamp 1
		.amdhsa_ieee_mode 1
		.amdhsa_fp16_overflow 0
		.amdhsa_workgroup_processor_mode 1
		.amdhsa_memory_ordered 1
		.amdhsa_forward_progress 0
		.amdhsa_shared_vgpr_count 0
		.amdhsa_exception_fp_ieee_invalid_op 0
		.amdhsa_exception_fp_denorm_src 0
		.amdhsa_exception_fp_ieee_div_zero 0
		.amdhsa_exception_fp_ieee_overflow 0
		.amdhsa_exception_fp_ieee_underflow 0
		.amdhsa_exception_fp_ieee_inexact 0
		.amdhsa_exception_int_div_zero 0
	.end_amdhsa_kernel
	.section	.text._ZN7rocprim17ROCPRIM_400000_NS6detail17trampoline_kernelINS0_14default_configENS1_25partition_config_selectorILNS1_17partition_subalgoE5ElNS0_10empty_typeEbEEZZNS1_14partition_implILS5_5ELb0ES3_mN6hipcub16HIPCUB_304000_NS21CountingInputIteratorIllEEPS6_NSA_22TransformInputIteratorIbN2at6native12_GLOBAL__N_19NonZeroOpIfEEPKflEENS0_5tupleIJPlS6_EEENSN_IJSD_SD_EEES6_PiJS6_EEE10hipError_tPvRmT3_T4_T5_T6_T7_T9_mT8_P12ihipStream_tbDpT10_ENKUlT_T0_E_clISt17integral_constantIbLb0EES1A_IbLb1EEEEDaS16_S17_EUlS16_E_NS1_11comp_targetILNS1_3genE5ELNS1_11target_archE942ELNS1_3gpuE9ELNS1_3repE0EEENS1_30default_config_static_selectorELNS0_4arch9wavefront6targetE0EEEvT1_,"axG",@progbits,_ZN7rocprim17ROCPRIM_400000_NS6detail17trampoline_kernelINS0_14default_configENS1_25partition_config_selectorILNS1_17partition_subalgoE5ElNS0_10empty_typeEbEEZZNS1_14partition_implILS5_5ELb0ES3_mN6hipcub16HIPCUB_304000_NS21CountingInputIteratorIllEEPS6_NSA_22TransformInputIteratorIbN2at6native12_GLOBAL__N_19NonZeroOpIfEEPKflEENS0_5tupleIJPlS6_EEENSN_IJSD_SD_EEES6_PiJS6_EEE10hipError_tPvRmT3_T4_T5_T6_T7_T9_mT8_P12ihipStream_tbDpT10_ENKUlT_T0_E_clISt17integral_constantIbLb0EES1A_IbLb1EEEEDaS16_S17_EUlS16_E_NS1_11comp_targetILNS1_3genE5ELNS1_11target_archE942ELNS1_3gpuE9ELNS1_3repE0EEENS1_30default_config_static_selectorELNS0_4arch9wavefront6targetE0EEEvT1_,comdat
.Lfunc_end483:
	.size	_ZN7rocprim17ROCPRIM_400000_NS6detail17trampoline_kernelINS0_14default_configENS1_25partition_config_selectorILNS1_17partition_subalgoE5ElNS0_10empty_typeEbEEZZNS1_14partition_implILS5_5ELb0ES3_mN6hipcub16HIPCUB_304000_NS21CountingInputIteratorIllEEPS6_NSA_22TransformInputIteratorIbN2at6native12_GLOBAL__N_19NonZeroOpIfEEPKflEENS0_5tupleIJPlS6_EEENSN_IJSD_SD_EEES6_PiJS6_EEE10hipError_tPvRmT3_T4_T5_T6_T7_T9_mT8_P12ihipStream_tbDpT10_ENKUlT_T0_E_clISt17integral_constantIbLb0EES1A_IbLb1EEEEDaS16_S17_EUlS16_E_NS1_11comp_targetILNS1_3genE5ELNS1_11target_archE942ELNS1_3gpuE9ELNS1_3repE0EEENS1_30default_config_static_selectorELNS0_4arch9wavefront6targetE0EEEvT1_, .Lfunc_end483-_ZN7rocprim17ROCPRIM_400000_NS6detail17trampoline_kernelINS0_14default_configENS1_25partition_config_selectorILNS1_17partition_subalgoE5ElNS0_10empty_typeEbEEZZNS1_14partition_implILS5_5ELb0ES3_mN6hipcub16HIPCUB_304000_NS21CountingInputIteratorIllEEPS6_NSA_22TransformInputIteratorIbN2at6native12_GLOBAL__N_19NonZeroOpIfEEPKflEENS0_5tupleIJPlS6_EEENSN_IJSD_SD_EEES6_PiJS6_EEE10hipError_tPvRmT3_T4_T5_T6_T7_T9_mT8_P12ihipStream_tbDpT10_ENKUlT_T0_E_clISt17integral_constantIbLb0EES1A_IbLb1EEEEDaS16_S17_EUlS16_E_NS1_11comp_targetILNS1_3genE5ELNS1_11target_archE942ELNS1_3gpuE9ELNS1_3repE0EEENS1_30default_config_static_selectorELNS0_4arch9wavefront6targetE0EEEvT1_
                                        ; -- End function
	.section	.AMDGPU.csdata,"",@progbits
; Kernel info:
; codeLenInByte = 0
; NumSgprs: 0
; NumVgprs: 0
; ScratchSize: 0
; MemoryBound: 0
; FloatMode: 240
; IeeeMode: 1
; LDSByteSize: 0 bytes/workgroup (compile time only)
; SGPRBlocks: 0
; VGPRBlocks: 0
; NumSGPRsForWavesPerEU: 1
; NumVGPRsForWavesPerEU: 1
; Occupancy: 16
; WaveLimiterHint : 0
; COMPUTE_PGM_RSRC2:SCRATCH_EN: 0
; COMPUTE_PGM_RSRC2:USER_SGPR: 15
; COMPUTE_PGM_RSRC2:TRAP_HANDLER: 0
; COMPUTE_PGM_RSRC2:TGID_X_EN: 1
; COMPUTE_PGM_RSRC2:TGID_Y_EN: 0
; COMPUTE_PGM_RSRC2:TGID_Z_EN: 0
; COMPUTE_PGM_RSRC2:TIDIG_COMP_CNT: 0
	.section	.text._ZN7rocprim17ROCPRIM_400000_NS6detail17trampoline_kernelINS0_14default_configENS1_25partition_config_selectorILNS1_17partition_subalgoE5ElNS0_10empty_typeEbEEZZNS1_14partition_implILS5_5ELb0ES3_mN6hipcub16HIPCUB_304000_NS21CountingInputIteratorIllEEPS6_NSA_22TransformInputIteratorIbN2at6native12_GLOBAL__N_19NonZeroOpIfEEPKflEENS0_5tupleIJPlS6_EEENSN_IJSD_SD_EEES6_PiJS6_EEE10hipError_tPvRmT3_T4_T5_T6_T7_T9_mT8_P12ihipStream_tbDpT10_ENKUlT_T0_E_clISt17integral_constantIbLb0EES1A_IbLb1EEEEDaS16_S17_EUlS16_E_NS1_11comp_targetILNS1_3genE4ELNS1_11target_archE910ELNS1_3gpuE8ELNS1_3repE0EEENS1_30default_config_static_selectorELNS0_4arch9wavefront6targetE0EEEvT1_,"axG",@progbits,_ZN7rocprim17ROCPRIM_400000_NS6detail17trampoline_kernelINS0_14default_configENS1_25partition_config_selectorILNS1_17partition_subalgoE5ElNS0_10empty_typeEbEEZZNS1_14partition_implILS5_5ELb0ES3_mN6hipcub16HIPCUB_304000_NS21CountingInputIteratorIllEEPS6_NSA_22TransformInputIteratorIbN2at6native12_GLOBAL__N_19NonZeroOpIfEEPKflEENS0_5tupleIJPlS6_EEENSN_IJSD_SD_EEES6_PiJS6_EEE10hipError_tPvRmT3_T4_T5_T6_T7_T9_mT8_P12ihipStream_tbDpT10_ENKUlT_T0_E_clISt17integral_constantIbLb0EES1A_IbLb1EEEEDaS16_S17_EUlS16_E_NS1_11comp_targetILNS1_3genE4ELNS1_11target_archE910ELNS1_3gpuE8ELNS1_3repE0EEENS1_30default_config_static_selectorELNS0_4arch9wavefront6targetE0EEEvT1_,comdat
	.globl	_ZN7rocprim17ROCPRIM_400000_NS6detail17trampoline_kernelINS0_14default_configENS1_25partition_config_selectorILNS1_17partition_subalgoE5ElNS0_10empty_typeEbEEZZNS1_14partition_implILS5_5ELb0ES3_mN6hipcub16HIPCUB_304000_NS21CountingInputIteratorIllEEPS6_NSA_22TransformInputIteratorIbN2at6native12_GLOBAL__N_19NonZeroOpIfEEPKflEENS0_5tupleIJPlS6_EEENSN_IJSD_SD_EEES6_PiJS6_EEE10hipError_tPvRmT3_T4_T5_T6_T7_T9_mT8_P12ihipStream_tbDpT10_ENKUlT_T0_E_clISt17integral_constantIbLb0EES1A_IbLb1EEEEDaS16_S17_EUlS16_E_NS1_11comp_targetILNS1_3genE4ELNS1_11target_archE910ELNS1_3gpuE8ELNS1_3repE0EEENS1_30default_config_static_selectorELNS0_4arch9wavefront6targetE0EEEvT1_ ; -- Begin function _ZN7rocprim17ROCPRIM_400000_NS6detail17trampoline_kernelINS0_14default_configENS1_25partition_config_selectorILNS1_17partition_subalgoE5ElNS0_10empty_typeEbEEZZNS1_14partition_implILS5_5ELb0ES3_mN6hipcub16HIPCUB_304000_NS21CountingInputIteratorIllEEPS6_NSA_22TransformInputIteratorIbN2at6native12_GLOBAL__N_19NonZeroOpIfEEPKflEENS0_5tupleIJPlS6_EEENSN_IJSD_SD_EEES6_PiJS6_EEE10hipError_tPvRmT3_T4_T5_T6_T7_T9_mT8_P12ihipStream_tbDpT10_ENKUlT_T0_E_clISt17integral_constantIbLb0EES1A_IbLb1EEEEDaS16_S17_EUlS16_E_NS1_11comp_targetILNS1_3genE4ELNS1_11target_archE910ELNS1_3gpuE8ELNS1_3repE0EEENS1_30default_config_static_selectorELNS0_4arch9wavefront6targetE0EEEvT1_
	.p2align	8
	.type	_ZN7rocprim17ROCPRIM_400000_NS6detail17trampoline_kernelINS0_14default_configENS1_25partition_config_selectorILNS1_17partition_subalgoE5ElNS0_10empty_typeEbEEZZNS1_14partition_implILS5_5ELb0ES3_mN6hipcub16HIPCUB_304000_NS21CountingInputIteratorIllEEPS6_NSA_22TransformInputIteratorIbN2at6native12_GLOBAL__N_19NonZeroOpIfEEPKflEENS0_5tupleIJPlS6_EEENSN_IJSD_SD_EEES6_PiJS6_EEE10hipError_tPvRmT3_T4_T5_T6_T7_T9_mT8_P12ihipStream_tbDpT10_ENKUlT_T0_E_clISt17integral_constantIbLb0EES1A_IbLb1EEEEDaS16_S17_EUlS16_E_NS1_11comp_targetILNS1_3genE4ELNS1_11target_archE910ELNS1_3gpuE8ELNS1_3repE0EEENS1_30default_config_static_selectorELNS0_4arch9wavefront6targetE0EEEvT1_,@function
_ZN7rocprim17ROCPRIM_400000_NS6detail17trampoline_kernelINS0_14default_configENS1_25partition_config_selectorILNS1_17partition_subalgoE5ElNS0_10empty_typeEbEEZZNS1_14partition_implILS5_5ELb0ES3_mN6hipcub16HIPCUB_304000_NS21CountingInputIteratorIllEEPS6_NSA_22TransformInputIteratorIbN2at6native12_GLOBAL__N_19NonZeroOpIfEEPKflEENS0_5tupleIJPlS6_EEENSN_IJSD_SD_EEES6_PiJS6_EEE10hipError_tPvRmT3_T4_T5_T6_T7_T9_mT8_P12ihipStream_tbDpT10_ENKUlT_T0_E_clISt17integral_constantIbLb0EES1A_IbLb1EEEEDaS16_S17_EUlS16_E_NS1_11comp_targetILNS1_3genE4ELNS1_11target_archE910ELNS1_3gpuE8ELNS1_3repE0EEENS1_30default_config_static_selectorELNS0_4arch9wavefront6targetE0EEEvT1_: ; @_ZN7rocprim17ROCPRIM_400000_NS6detail17trampoline_kernelINS0_14default_configENS1_25partition_config_selectorILNS1_17partition_subalgoE5ElNS0_10empty_typeEbEEZZNS1_14partition_implILS5_5ELb0ES3_mN6hipcub16HIPCUB_304000_NS21CountingInputIteratorIllEEPS6_NSA_22TransformInputIteratorIbN2at6native12_GLOBAL__N_19NonZeroOpIfEEPKflEENS0_5tupleIJPlS6_EEENSN_IJSD_SD_EEES6_PiJS6_EEE10hipError_tPvRmT3_T4_T5_T6_T7_T9_mT8_P12ihipStream_tbDpT10_ENKUlT_T0_E_clISt17integral_constantIbLb0EES1A_IbLb1EEEEDaS16_S17_EUlS16_E_NS1_11comp_targetILNS1_3genE4ELNS1_11target_archE910ELNS1_3gpuE8ELNS1_3repE0EEENS1_30default_config_static_selectorELNS0_4arch9wavefront6targetE0EEEvT1_
; %bb.0:
	.section	.rodata,"a",@progbits
	.p2align	6, 0x0
	.amdhsa_kernel _ZN7rocprim17ROCPRIM_400000_NS6detail17trampoline_kernelINS0_14default_configENS1_25partition_config_selectorILNS1_17partition_subalgoE5ElNS0_10empty_typeEbEEZZNS1_14partition_implILS5_5ELb0ES3_mN6hipcub16HIPCUB_304000_NS21CountingInputIteratorIllEEPS6_NSA_22TransformInputIteratorIbN2at6native12_GLOBAL__N_19NonZeroOpIfEEPKflEENS0_5tupleIJPlS6_EEENSN_IJSD_SD_EEES6_PiJS6_EEE10hipError_tPvRmT3_T4_T5_T6_T7_T9_mT8_P12ihipStream_tbDpT10_ENKUlT_T0_E_clISt17integral_constantIbLb0EES1A_IbLb1EEEEDaS16_S17_EUlS16_E_NS1_11comp_targetILNS1_3genE4ELNS1_11target_archE910ELNS1_3gpuE8ELNS1_3repE0EEENS1_30default_config_static_selectorELNS0_4arch9wavefront6targetE0EEEvT1_
		.amdhsa_group_segment_fixed_size 0
		.amdhsa_private_segment_fixed_size 0
		.amdhsa_kernarg_size 136
		.amdhsa_user_sgpr_count 15
		.amdhsa_user_sgpr_dispatch_ptr 0
		.amdhsa_user_sgpr_queue_ptr 0
		.amdhsa_user_sgpr_kernarg_segment_ptr 1
		.amdhsa_user_sgpr_dispatch_id 0
		.amdhsa_user_sgpr_private_segment_size 0
		.amdhsa_wavefront_size32 1
		.amdhsa_uses_dynamic_stack 0
		.amdhsa_enable_private_segment 0
		.amdhsa_system_sgpr_workgroup_id_x 1
		.amdhsa_system_sgpr_workgroup_id_y 0
		.amdhsa_system_sgpr_workgroup_id_z 0
		.amdhsa_system_sgpr_workgroup_info 0
		.amdhsa_system_vgpr_workitem_id 0
		.amdhsa_next_free_vgpr 1
		.amdhsa_next_free_sgpr 1
		.amdhsa_reserve_vcc 0
		.amdhsa_float_round_mode_32 0
		.amdhsa_float_round_mode_16_64 0
		.amdhsa_float_denorm_mode_32 3
		.amdhsa_float_denorm_mode_16_64 3
		.amdhsa_dx10_clamp 1
		.amdhsa_ieee_mode 1
		.amdhsa_fp16_overflow 0
		.amdhsa_workgroup_processor_mode 1
		.amdhsa_memory_ordered 1
		.amdhsa_forward_progress 0
		.amdhsa_shared_vgpr_count 0
		.amdhsa_exception_fp_ieee_invalid_op 0
		.amdhsa_exception_fp_denorm_src 0
		.amdhsa_exception_fp_ieee_div_zero 0
		.amdhsa_exception_fp_ieee_overflow 0
		.amdhsa_exception_fp_ieee_underflow 0
		.amdhsa_exception_fp_ieee_inexact 0
		.amdhsa_exception_int_div_zero 0
	.end_amdhsa_kernel
	.section	.text._ZN7rocprim17ROCPRIM_400000_NS6detail17trampoline_kernelINS0_14default_configENS1_25partition_config_selectorILNS1_17partition_subalgoE5ElNS0_10empty_typeEbEEZZNS1_14partition_implILS5_5ELb0ES3_mN6hipcub16HIPCUB_304000_NS21CountingInputIteratorIllEEPS6_NSA_22TransformInputIteratorIbN2at6native12_GLOBAL__N_19NonZeroOpIfEEPKflEENS0_5tupleIJPlS6_EEENSN_IJSD_SD_EEES6_PiJS6_EEE10hipError_tPvRmT3_T4_T5_T6_T7_T9_mT8_P12ihipStream_tbDpT10_ENKUlT_T0_E_clISt17integral_constantIbLb0EES1A_IbLb1EEEEDaS16_S17_EUlS16_E_NS1_11comp_targetILNS1_3genE4ELNS1_11target_archE910ELNS1_3gpuE8ELNS1_3repE0EEENS1_30default_config_static_selectorELNS0_4arch9wavefront6targetE0EEEvT1_,"axG",@progbits,_ZN7rocprim17ROCPRIM_400000_NS6detail17trampoline_kernelINS0_14default_configENS1_25partition_config_selectorILNS1_17partition_subalgoE5ElNS0_10empty_typeEbEEZZNS1_14partition_implILS5_5ELb0ES3_mN6hipcub16HIPCUB_304000_NS21CountingInputIteratorIllEEPS6_NSA_22TransformInputIteratorIbN2at6native12_GLOBAL__N_19NonZeroOpIfEEPKflEENS0_5tupleIJPlS6_EEENSN_IJSD_SD_EEES6_PiJS6_EEE10hipError_tPvRmT3_T4_T5_T6_T7_T9_mT8_P12ihipStream_tbDpT10_ENKUlT_T0_E_clISt17integral_constantIbLb0EES1A_IbLb1EEEEDaS16_S17_EUlS16_E_NS1_11comp_targetILNS1_3genE4ELNS1_11target_archE910ELNS1_3gpuE8ELNS1_3repE0EEENS1_30default_config_static_selectorELNS0_4arch9wavefront6targetE0EEEvT1_,comdat
.Lfunc_end484:
	.size	_ZN7rocprim17ROCPRIM_400000_NS6detail17trampoline_kernelINS0_14default_configENS1_25partition_config_selectorILNS1_17partition_subalgoE5ElNS0_10empty_typeEbEEZZNS1_14partition_implILS5_5ELb0ES3_mN6hipcub16HIPCUB_304000_NS21CountingInputIteratorIllEEPS6_NSA_22TransformInputIteratorIbN2at6native12_GLOBAL__N_19NonZeroOpIfEEPKflEENS0_5tupleIJPlS6_EEENSN_IJSD_SD_EEES6_PiJS6_EEE10hipError_tPvRmT3_T4_T5_T6_T7_T9_mT8_P12ihipStream_tbDpT10_ENKUlT_T0_E_clISt17integral_constantIbLb0EES1A_IbLb1EEEEDaS16_S17_EUlS16_E_NS1_11comp_targetILNS1_3genE4ELNS1_11target_archE910ELNS1_3gpuE8ELNS1_3repE0EEENS1_30default_config_static_selectorELNS0_4arch9wavefront6targetE0EEEvT1_, .Lfunc_end484-_ZN7rocprim17ROCPRIM_400000_NS6detail17trampoline_kernelINS0_14default_configENS1_25partition_config_selectorILNS1_17partition_subalgoE5ElNS0_10empty_typeEbEEZZNS1_14partition_implILS5_5ELb0ES3_mN6hipcub16HIPCUB_304000_NS21CountingInputIteratorIllEEPS6_NSA_22TransformInputIteratorIbN2at6native12_GLOBAL__N_19NonZeroOpIfEEPKflEENS0_5tupleIJPlS6_EEENSN_IJSD_SD_EEES6_PiJS6_EEE10hipError_tPvRmT3_T4_T5_T6_T7_T9_mT8_P12ihipStream_tbDpT10_ENKUlT_T0_E_clISt17integral_constantIbLb0EES1A_IbLb1EEEEDaS16_S17_EUlS16_E_NS1_11comp_targetILNS1_3genE4ELNS1_11target_archE910ELNS1_3gpuE8ELNS1_3repE0EEENS1_30default_config_static_selectorELNS0_4arch9wavefront6targetE0EEEvT1_
                                        ; -- End function
	.section	.AMDGPU.csdata,"",@progbits
; Kernel info:
; codeLenInByte = 0
; NumSgprs: 0
; NumVgprs: 0
; ScratchSize: 0
; MemoryBound: 0
; FloatMode: 240
; IeeeMode: 1
; LDSByteSize: 0 bytes/workgroup (compile time only)
; SGPRBlocks: 0
; VGPRBlocks: 0
; NumSGPRsForWavesPerEU: 1
; NumVGPRsForWavesPerEU: 1
; Occupancy: 15
; WaveLimiterHint : 0
; COMPUTE_PGM_RSRC2:SCRATCH_EN: 0
; COMPUTE_PGM_RSRC2:USER_SGPR: 15
; COMPUTE_PGM_RSRC2:TRAP_HANDLER: 0
; COMPUTE_PGM_RSRC2:TGID_X_EN: 1
; COMPUTE_PGM_RSRC2:TGID_Y_EN: 0
; COMPUTE_PGM_RSRC2:TGID_Z_EN: 0
; COMPUTE_PGM_RSRC2:TIDIG_COMP_CNT: 0
	.section	.text._ZN7rocprim17ROCPRIM_400000_NS6detail17trampoline_kernelINS0_14default_configENS1_25partition_config_selectorILNS1_17partition_subalgoE5ElNS0_10empty_typeEbEEZZNS1_14partition_implILS5_5ELb0ES3_mN6hipcub16HIPCUB_304000_NS21CountingInputIteratorIllEEPS6_NSA_22TransformInputIteratorIbN2at6native12_GLOBAL__N_19NonZeroOpIfEEPKflEENS0_5tupleIJPlS6_EEENSN_IJSD_SD_EEES6_PiJS6_EEE10hipError_tPvRmT3_T4_T5_T6_T7_T9_mT8_P12ihipStream_tbDpT10_ENKUlT_T0_E_clISt17integral_constantIbLb0EES1A_IbLb1EEEEDaS16_S17_EUlS16_E_NS1_11comp_targetILNS1_3genE3ELNS1_11target_archE908ELNS1_3gpuE7ELNS1_3repE0EEENS1_30default_config_static_selectorELNS0_4arch9wavefront6targetE0EEEvT1_,"axG",@progbits,_ZN7rocprim17ROCPRIM_400000_NS6detail17trampoline_kernelINS0_14default_configENS1_25partition_config_selectorILNS1_17partition_subalgoE5ElNS0_10empty_typeEbEEZZNS1_14partition_implILS5_5ELb0ES3_mN6hipcub16HIPCUB_304000_NS21CountingInputIteratorIllEEPS6_NSA_22TransformInputIteratorIbN2at6native12_GLOBAL__N_19NonZeroOpIfEEPKflEENS0_5tupleIJPlS6_EEENSN_IJSD_SD_EEES6_PiJS6_EEE10hipError_tPvRmT3_T4_T5_T6_T7_T9_mT8_P12ihipStream_tbDpT10_ENKUlT_T0_E_clISt17integral_constantIbLb0EES1A_IbLb1EEEEDaS16_S17_EUlS16_E_NS1_11comp_targetILNS1_3genE3ELNS1_11target_archE908ELNS1_3gpuE7ELNS1_3repE0EEENS1_30default_config_static_selectorELNS0_4arch9wavefront6targetE0EEEvT1_,comdat
	.globl	_ZN7rocprim17ROCPRIM_400000_NS6detail17trampoline_kernelINS0_14default_configENS1_25partition_config_selectorILNS1_17partition_subalgoE5ElNS0_10empty_typeEbEEZZNS1_14partition_implILS5_5ELb0ES3_mN6hipcub16HIPCUB_304000_NS21CountingInputIteratorIllEEPS6_NSA_22TransformInputIteratorIbN2at6native12_GLOBAL__N_19NonZeroOpIfEEPKflEENS0_5tupleIJPlS6_EEENSN_IJSD_SD_EEES6_PiJS6_EEE10hipError_tPvRmT3_T4_T5_T6_T7_T9_mT8_P12ihipStream_tbDpT10_ENKUlT_T0_E_clISt17integral_constantIbLb0EES1A_IbLb1EEEEDaS16_S17_EUlS16_E_NS1_11comp_targetILNS1_3genE3ELNS1_11target_archE908ELNS1_3gpuE7ELNS1_3repE0EEENS1_30default_config_static_selectorELNS0_4arch9wavefront6targetE0EEEvT1_ ; -- Begin function _ZN7rocprim17ROCPRIM_400000_NS6detail17trampoline_kernelINS0_14default_configENS1_25partition_config_selectorILNS1_17partition_subalgoE5ElNS0_10empty_typeEbEEZZNS1_14partition_implILS5_5ELb0ES3_mN6hipcub16HIPCUB_304000_NS21CountingInputIteratorIllEEPS6_NSA_22TransformInputIteratorIbN2at6native12_GLOBAL__N_19NonZeroOpIfEEPKflEENS0_5tupleIJPlS6_EEENSN_IJSD_SD_EEES6_PiJS6_EEE10hipError_tPvRmT3_T4_T5_T6_T7_T9_mT8_P12ihipStream_tbDpT10_ENKUlT_T0_E_clISt17integral_constantIbLb0EES1A_IbLb1EEEEDaS16_S17_EUlS16_E_NS1_11comp_targetILNS1_3genE3ELNS1_11target_archE908ELNS1_3gpuE7ELNS1_3repE0EEENS1_30default_config_static_selectorELNS0_4arch9wavefront6targetE0EEEvT1_
	.p2align	8
	.type	_ZN7rocprim17ROCPRIM_400000_NS6detail17trampoline_kernelINS0_14default_configENS1_25partition_config_selectorILNS1_17partition_subalgoE5ElNS0_10empty_typeEbEEZZNS1_14partition_implILS5_5ELb0ES3_mN6hipcub16HIPCUB_304000_NS21CountingInputIteratorIllEEPS6_NSA_22TransformInputIteratorIbN2at6native12_GLOBAL__N_19NonZeroOpIfEEPKflEENS0_5tupleIJPlS6_EEENSN_IJSD_SD_EEES6_PiJS6_EEE10hipError_tPvRmT3_T4_T5_T6_T7_T9_mT8_P12ihipStream_tbDpT10_ENKUlT_T0_E_clISt17integral_constantIbLb0EES1A_IbLb1EEEEDaS16_S17_EUlS16_E_NS1_11comp_targetILNS1_3genE3ELNS1_11target_archE908ELNS1_3gpuE7ELNS1_3repE0EEENS1_30default_config_static_selectorELNS0_4arch9wavefront6targetE0EEEvT1_,@function
_ZN7rocprim17ROCPRIM_400000_NS6detail17trampoline_kernelINS0_14default_configENS1_25partition_config_selectorILNS1_17partition_subalgoE5ElNS0_10empty_typeEbEEZZNS1_14partition_implILS5_5ELb0ES3_mN6hipcub16HIPCUB_304000_NS21CountingInputIteratorIllEEPS6_NSA_22TransformInputIteratorIbN2at6native12_GLOBAL__N_19NonZeroOpIfEEPKflEENS0_5tupleIJPlS6_EEENSN_IJSD_SD_EEES6_PiJS6_EEE10hipError_tPvRmT3_T4_T5_T6_T7_T9_mT8_P12ihipStream_tbDpT10_ENKUlT_T0_E_clISt17integral_constantIbLb0EES1A_IbLb1EEEEDaS16_S17_EUlS16_E_NS1_11comp_targetILNS1_3genE3ELNS1_11target_archE908ELNS1_3gpuE7ELNS1_3repE0EEENS1_30default_config_static_selectorELNS0_4arch9wavefront6targetE0EEEvT1_: ; @_ZN7rocprim17ROCPRIM_400000_NS6detail17trampoline_kernelINS0_14default_configENS1_25partition_config_selectorILNS1_17partition_subalgoE5ElNS0_10empty_typeEbEEZZNS1_14partition_implILS5_5ELb0ES3_mN6hipcub16HIPCUB_304000_NS21CountingInputIteratorIllEEPS6_NSA_22TransformInputIteratorIbN2at6native12_GLOBAL__N_19NonZeroOpIfEEPKflEENS0_5tupleIJPlS6_EEENSN_IJSD_SD_EEES6_PiJS6_EEE10hipError_tPvRmT3_T4_T5_T6_T7_T9_mT8_P12ihipStream_tbDpT10_ENKUlT_T0_E_clISt17integral_constantIbLb0EES1A_IbLb1EEEEDaS16_S17_EUlS16_E_NS1_11comp_targetILNS1_3genE3ELNS1_11target_archE908ELNS1_3gpuE7ELNS1_3repE0EEENS1_30default_config_static_selectorELNS0_4arch9wavefront6targetE0EEEvT1_
; %bb.0:
	.section	.rodata,"a",@progbits
	.p2align	6, 0x0
	.amdhsa_kernel _ZN7rocprim17ROCPRIM_400000_NS6detail17trampoline_kernelINS0_14default_configENS1_25partition_config_selectorILNS1_17partition_subalgoE5ElNS0_10empty_typeEbEEZZNS1_14partition_implILS5_5ELb0ES3_mN6hipcub16HIPCUB_304000_NS21CountingInputIteratorIllEEPS6_NSA_22TransformInputIteratorIbN2at6native12_GLOBAL__N_19NonZeroOpIfEEPKflEENS0_5tupleIJPlS6_EEENSN_IJSD_SD_EEES6_PiJS6_EEE10hipError_tPvRmT3_T4_T5_T6_T7_T9_mT8_P12ihipStream_tbDpT10_ENKUlT_T0_E_clISt17integral_constantIbLb0EES1A_IbLb1EEEEDaS16_S17_EUlS16_E_NS1_11comp_targetILNS1_3genE3ELNS1_11target_archE908ELNS1_3gpuE7ELNS1_3repE0EEENS1_30default_config_static_selectorELNS0_4arch9wavefront6targetE0EEEvT1_
		.amdhsa_group_segment_fixed_size 0
		.amdhsa_private_segment_fixed_size 0
		.amdhsa_kernarg_size 136
		.amdhsa_user_sgpr_count 15
		.amdhsa_user_sgpr_dispatch_ptr 0
		.amdhsa_user_sgpr_queue_ptr 0
		.amdhsa_user_sgpr_kernarg_segment_ptr 1
		.amdhsa_user_sgpr_dispatch_id 0
		.amdhsa_user_sgpr_private_segment_size 0
		.amdhsa_wavefront_size32 1
		.amdhsa_uses_dynamic_stack 0
		.amdhsa_enable_private_segment 0
		.amdhsa_system_sgpr_workgroup_id_x 1
		.amdhsa_system_sgpr_workgroup_id_y 0
		.amdhsa_system_sgpr_workgroup_id_z 0
		.amdhsa_system_sgpr_workgroup_info 0
		.amdhsa_system_vgpr_workitem_id 0
		.amdhsa_next_free_vgpr 1
		.amdhsa_next_free_sgpr 1
		.amdhsa_reserve_vcc 0
		.amdhsa_float_round_mode_32 0
		.amdhsa_float_round_mode_16_64 0
		.amdhsa_float_denorm_mode_32 3
		.amdhsa_float_denorm_mode_16_64 3
		.amdhsa_dx10_clamp 1
		.amdhsa_ieee_mode 1
		.amdhsa_fp16_overflow 0
		.amdhsa_workgroup_processor_mode 1
		.amdhsa_memory_ordered 1
		.amdhsa_forward_progress 0
		.amdhsa_shared_vgpr_count 0
		.amdhsa_exception_fp_ieee_invalid_op 0
		.amdhsa_exception_fp_denorm_src 0
		.amdhsa_exception_fp_ieee_div_zero 0
		.amdhsa_exception_fp_ieee_overflow 0
		.amdhsa_exception_fp_ieee_underflow 0
		.amdhsa_exception_fp_ieee_inexact 0
		.amdhsa_exception_int_div_zero 0
	.end_amdhsa_kernel
	.section	.text._ZN7rocprim17ROCPRIM_400000_NS6detail17trampoline_kernelINS0_14default_configENS1_25partition_config_selectorILNS1_17partition_subalgoE5ElNS0_10empty_typeEbEEZZNS1_14partition_implILS5_5ELb0ES3_mN6hipcub16HIPCUB_304000_NS21CountingInputIteratorIllEEPS6_NSA_22TransformInputIteratorIbN2at6native12_GLOBAL__N_19NonZeroOpIfEEPKflEENS0_5tupleIJPlS6_EEENSN_IJSD_SD_EEES6_PiJS6_EEE10hipError_tPvRmT3_T4_T5_T6_T7_T9_mT8_P12ihipStream_tbDpT10_ENKUlT_T0_E_clISt17integral_constantIbLb0EES1A_IbLb1EEEEDaS16_S17_EUlS16_E_NS1_11comp_targetILNS1_3genE3ELNS1_11target_archE908ELNS1_3gpuE7ELNS1_3repE0EEENS1_30default_config_static_selectorELNS0_4arch9wavefront6targetE0EEEvT1_,"axG",@progbits,_ZN7rocprim17ROCPRIM_400000_NS6detail17trampoline_kernelINS0_14default_configENS1_25partition_config_selectorILNS1_17partition_subalgoE5ElNS0_10empty_typeEbEEZZNS1_14partition_implILS5_5ELb0ES3_mN6hipcub16HIPCUB_304000_NS21CountingInputIteratorIllEEPS6_NSA_22TransformInputIteratorIbN2at6native12_GLOBAL__N_19NonZeroOpIfEEPKflEENS0_5tupleIJPlS6_EEENSN_IJSD_SD_EEES6_PiJS6_EEE10hipError_tPvRmT3_T4_T5_T6_T7_T9_mT8_P12ihipStream_tbDpT10_ENKUlT_T0_E_clISt17integral_constantIbLb0EES1A_IbLb1EEEEDaS16_S17_EUlS16_E_NS1_11comp_targetILNS1_3genE3ELNS1_11target_archE908ELNS1_3gpuE7ELNS1_3repE0EEENS1_30default_config_static_selectorELNS0_4arch9wavefront6targetE0EEEvT1_,comdat
.Lfunc_end485:
	.size	_ZN7rocprim17ROCPRIM_400000_NS6detail17trampoline_kernelINS0_14default_configENS1_25partition_config_selectorILNS1_17partition_subalgoE5ElNS0_10empty_typeEbEEZZNS1_14partition_implILS5_5ELb0ES3_mN6hipcub16HIPCUB_304000_NS21CountingInputIteratorIllEEPS6_NSA_22TransformInputIteratorIbN2at6native12_GLOBAL__N_19NonZeroOpIfEEPKflEENS0_5tupleIJPlS6_EEENSN_IJSD_SD_EEES6_PiJS6_EEE10hipError_tPvRmT3_T4_T5_T6_T7_T9_mT8_P12ihipStream_tbDpT10_ENKUlT_T0_E_clISt17integral_constantIbLb0EES1A_IbLb1EEEEDaS16_S17_EUlS16_E_NS1_11comp_targetILNS1_3genE3ELNS1_11target_archE908ELNS1_3gpuE7ELNS1_3repE0EEENS1_30default_config_static_selectorELNS0_4arch9wavefront6targetE0EEEvT1_, .Lfunc_end485-_ZN7rocprim17ROCPRIM_400000_NS6detail17trampoline_kernelINS0_14default_configENS1_25partition_config_selectorILNS1_17partition_subalgoE5ElNS0_10empty_typeEbEEZZNS1_14partition_implILS5_5ELb0ES3_mN6hipcub16HIPCUB_304000_NS21CountingInputIteratorIllEEPS6_NSA_22TransformInputIteratorIbN2at6native12_GLOBAL__N_19NonZeroOpIfEEPKflEENS0_5tupleIJPlS6_EEENSN_IJSD_SD_EEES6_PiJS6_EEE10hipError_tPvRmT3_T4_T5_T6_T7_T9_mT8_P12ihipStream_tbDpT10_ENKUlT_T0_E_clISt17integral_constantIbLb0EES1A_IbLb1EEEEDaS16_S17_EUlS16_E_NS1_11comp_targetILNS1_3genE3ELNS1_11target_archE908ELNS1_3gpuE7ELNS1_3repE0EEENS1_30default_config_static_selectorELNS0_4arch9wavefront6targetE0EEEvT1_
                                        ; -- End function
	.section	.AMDGPU.csdata,"",@progbits
; Kernel info:
; codeLenInByte = 0
; NumSgprs: 0
; NumVgprs: 0
; ScratchSize: 0
; MemoryBound: 0
; FloatMode: 240
; IeeeMode: 1
; LDSByteSize: 0 bytes/workgroup (compile time only)
; SGPRBlocks: 0
; VGPRBlocks: 0
; NumSGPRsForWavesPerEU: 1
; NumVGPRsForWavesPerEU: 1
; Occupancy: 16
; WaveLimiterHint : 0
; COMPUTE_PGM_RSRC2:SCRATCH_EN: 0
; COMPUTE_PGM_RSRC2:USER_SGPR: 15
; COMPUTE_PGM_RSRC2:TRAP_HANDLER: 0
; COMPUTE_PGM_RSRC2:TGID_X_EN: 1
; COMPUTE_PGM_RSRC2:TGID_Y_EN: 0
; COMPUTE_PGM_RSRC2:TGID_Z_EN: 0
; COMPUTE_PGM_RSRC2:TIDIG_COMP_CNT: 0
	.section	.text._ZN7rocprim17ROCPRIM_400000_NS6detail17trampoline_kernelINS0_14default_configENS1_25partition_config_selectorILNS1_17partition_subalgoE5ElNS0_10empty_typeEbEEZZNS1_14partition_implILS5_5ELb0ES3_mN6hipcub16HIPCUB_304000_NS21CountingInputIteratorIllEEPS6_NSA_22TransformInputIteratorIbN2at6native12_GLOBAL__N_19NonZeroOpIfEEPKflEENS0_5tupleIJPlS6_EEENSN_IJSD_SD_EEES6_PiJS6_EEE10hipError_tPvRmT3_T4_T5_T6_T7_T9_mT8_P12ihipStream_tbDpT10_ENKUlT_T0_E_clISt17integral_constantIbLb0EES1A_IbLb1EEEEDaS16_S17_EUlS16_E_NS1_11comp_targetILNS1_3genE2ELNS1_11target_archE906ELNS1_3gpuE6ELNS1_3repE0EEENS1_30default_config_static_selectorELNS0_4arch9wavefront6targetE0EEEvT1_,"axG",@progbits,_ZN7rocprim17ROCPRIM_400000_NS6detail17trampoline_kernelINS0_14default_configENS1_25partition_config_selectorILNS1_17partition_subalgoE5ElNS0_10empty_typeEbEEZZNS1_14partition_implILS5_5ELb0ES3_mN6hipcub16HIPCUB_304000_NS21CountingInputIteratorIllEEPS6_NSA_22TransformInputIteratorIbN2at6native12_GLOBAL__N_19NonZeroOpIfEEPKflEENS0_5tupleIJPlS6_EEENSN_IJSD_SD_EEES6_PiJS6_EEE10hipError_tPvRmT3_T4_T5_T6_T7_T9_mT8_P12ihipStream_tbDpT10_ENKUlT_T0_E_clISt17integral_constantIbLb0EES1A_IbLb1EEEEDaS16_S17_EUlS16_E_NS1_11comp_targetILNS1_3genE2ELNS1_11target_archE906ELNS1_3gpuE6ELNS1_3repE0EEENS1_30default_config_static_selectorELNS0_4arch9wavefront6targetE0EEEvT1_,comdat
	.globl	_ZN7rocprim17ROCPRIM_400000_NS6detail17trampoline_kernelINS0_14default_configENS1_25partition_config_selectorILNS1_17partition_subalgoE5ElNS0_10empty_typeEbEEZZNS1_14partition_implILS5_5ELb0ES3_mN6hipcub16HIPCUB_304000_NS21CountingInputIteratorIllEEPS6_NSA_22TransformInputIteratorIbN2at6native12_GLOBAL__N_19NonZeroOpIfEEPKflEENS0_5tupleIJPlS6_EEENSN_IJSD_SD_EEES6_PiJS6_EEE10hipError_tPvRmT3_T4_T5_T6_T7_T9_mT8_P12ihipStream_tbDpT10_ENKUlT_T0_E_clISt17integral_constantIbLb0EES1A_IbLb1EEEEDaS16_S17_EUlS16_E_NS1_11comp_targetILNS1_3genE2ELNS1_11target_archE906ELNS1_3gpuE6ELNS1_3repE0EEENS1_30default_config_static_selectorELNS0_4arch9wavefront6targetE0EEEvT1_ ; -- Begin function _ZN7rocprim17ROCPRIM_400000_NS6detail17trampoline_kernelINS0_14default_configENS1_25partition_config_selectorILNS1_17partition_subalgoE5ElNS0_10empty_typeEbEEZZNS1_14partition_implILS5_5ELb0ES3_mN6hipcub16HIPCUB_304000_NS21CountingInputIteratorIllEEPS6_NSA_22TransformInputIteratorIbN2at6native12_GLOBAL__N_19NonZeroOpIfEEPKflEENS0_5tupleIJPlS6_EEENSN_IJSD_SD_EEES6_PiJS6_EEE10hipError_tPvRmT3_T4_T5_T6_T7_T9_mT8_P12ihipStream_tbDpT10_ENKUlT_T0_E_clISt17integral_constantIbLb0EES1A_IbLb1EEEEDaS16_S17_EUlS16_E_NS1_11comp_targetILNS1_3genE2ELNS1_11target_archE906ELNS1_3gpuE6ELNS1_3repE0EEENS1_30default_config_static_selectorELNS0_4arch9wavefront6targetE0EEEvT1_
	.p2align	8
	.type	_ZN7rocprim17ROCPRIM_400000_NS6detail17trampoline_kernelINS0_14default_configENS1_25partition_config_selectorILNS1_17partition_subalgoE5ElNS0_10empty_typeEbEEZZNS1_14partition_implILS5_5ELb0ES3_mN6hipcub16HIPCUB_304000_NS21CountingInputIteratorIllEEPS6_NSA_22TransformInputIteratorIbN2at6native12_GLOBAL__N_19NonZeroOpIfEEPKflEENS0_5tupleIJPlS6_EEENSN_IJSD_SD_EEES6_PiJS6_EEE10hipError_tPvRmT3_T4_T5_T6_T7_T9_mT8_P12ihipStream_tbDpT10_ENKUlT_T0_E_clISt17integral_constantIbLb0EES1A_IbLb1EEEEDaS16_S17_EUlS16_E_NS1_11comp_targetILNS1_3genE2ELNS1_11target_archE906ELNS1_3gpuE6ELNS1_3repE0EEENS1_30default_config_static_selectorELNS0_4arch9wavefront6targetE0EEEvT1_,@function
_ZN7rocprim17ROCPRIM_400000_NS6detail17trampoline_kernelINS0_14default_configENS1_25partition_config_selectorILNS1_17partition_subalgoE5ElNS0_10empty_typeEbEEZZNS1_14partition_implILS5_5ELb0ES3_mN6hipcub16HIPCUB_304000_NS21CountingInputIteratorIllEEPS6_NSA_22TransformInputIteratorIbN2at6native12_GLOBAL__N_19NonZeroOpIfEEPKflEENS0_5tupleIJPlS6_EEENSN_IJSD_SD_EEES6_PiJS6_EEE10hipError_tPvRmT3_T4_T5_T6_T7_T9_mT8_P12ihipStream_tbDpT10_ENKUlT_T0_E_clISt17integral_constantIbLb0EES1A_IbLb1EEEEDaS16_S17_EUlS16_E_NS1_11comp_targetILNS1_3genE2ELNS1_11target_archE906ELNS1_3gpuE6ELNS1_3repE0EEENS1_30default_config_static_selectorELNS0_4arch9wavefront6targetE0EEEvT1_: ; @_ZN7rocprim17ROCPRIM_400000_NS6detail17trampoline_kernelINS0_14default_configENS1_25partition_config_selectorILNS1_17partition_subalgoE5ElNS0_10empty_typeEbEEZZNS1_14partition_implILS5_5ELb0ES3_mN6hipcub16HIPCUB_304000_NS21CountingInputIteratorIllEEPS6_NSA_22TransformInputIteratorIbN2at6native12_GLOBAL__N_19NonZeroOpIfEEPKflEENS0_5tupleIJPlS6_EEENSN_IJSD_SD_EEES6_PiJS6_EEE10hipError_tPvRmT3_T4_T5_T6_T7_T9_mT8_P12ihipStream_tbDpT10_ENKUlT_T0_E_clISt17integral_constantIbLb0EES1A_IbLb1EEEEDaS16_S17_EUlS16_E_NS1_11comp_targetILNS1_3genE2ELNS1_11target_archE906ELNS1_3gpuE6ELNS1_3repE0EEENS1_30default_config_static_selectorELNS0_4arch9wavefront6targetE0EEEvT1_
; %bb.0:
	.section	.rodata,"a",@progbits
	.p2align	6, 0x0
	.amdhsa_kernel _ZN7rocprim17ROCPRIM_400000_NS6detail17trampoline_kernelINS0_14default_configENS1_25partition_config_selectorILNS1_17partition_subalgoE5ElNS0_10empty_typeEbEEZZNS1_14partition_implILS5_5ELb0ES3_mN6hipcub16HIPCUB_304000_NS21CountingInputIteratorIllEEPS6_NSA_22TransformInputIteratorIbN2at6native12_GLOBAL__N_19NonZeroOpIfEEPKflEENS0_5tupleIJPlS6_EEENSN_IJSD_SD_EEES6_PiJS6_EEE10hipError_tPvRmT3_T4_T5_T6_T7_T9_mT8_P12ihipStream_tbDpT10_ENKUlT_T0_E_clISt17integral_constantIbLb0EES1A_IbLb1EEEEDaS16_S17_EUlS16_E_NS1_11comp_targetILNS1_3genE2ELNS1_11target_archE906ELNS1_3gpuE6ELNS1_3repE0EEENS1_30default_config_static_selectorELNS0_4arch9wavefront6targetE0EEEvT1_
		.amdhsa_group_segment_fixed_size 0
		.amdhsa_private_segment_fixed_size 0
		.amdhsa_kernarg_size 136
		.amdhsa_user_sgpr_count 15
		.amdhsa_user_sgpr_dispatch_ptr 0
		.amdhsa_user_sgpr_queue_ptr 0
		.amdhsa_user_sgpr_kernarg_segment_ptr 1
		.amdhsa_user_sgpr_dispatch_id 0
		.amdhsa_user_sgpr_private_segment_size 0
		.amdhsa_wavefront_size32 1
		.amdhsa_uses_dynamic_stack 0
		.amdhsa_enable_private_segment 0
		.amdhsa_system_sgpr_workgroup_id_x 1
		.amdhsa_system_sgpr_workgroup_id_y 0
		.amdhsa_system_sgpr_workgroup_id_z 0
		.amdhsa_system_sgpr_workgroup_info 0
		.amdhsa_system_vgpr_workitem_id 0
		.amdhsa_next_free_vgpr 1
		.amdhsa_next_free_sgpr 1
		.amdhsa_reserve_vcc 0
		.amdhsa_float_round_mode_32 0
		.amdhsa_float_round_mode_16_64 0
		.amdhsa_float_denorm_mode_32 3
		.amdhsa_float_denorm_mode_16_64 3
		.amdhsa_dx10_clamp 1
		.amdhsa_ieee_mode 1
		.amdhsa_fp16_overflow 0
		.amdhsa_workgroup_processor_mode 1
		.amdhsa_memory_ordered 1
		.amdhsa_forward_progress 0
		.amdhsa_shared_vgpr_count 0
		.amdhsa_exception_fp_ieee_invalid_op 0
		.amdhsa_exception_fp_denorm_src 0
		.amdhsa_exception_fp_ieee_div_zero 0
		.amdhsa_exception_fp_ieee_overflow 0
		.amdhsa_exception_fp_ieee_underflow 0
		.amdhsa_exception_fp_ieee_inexact 0
		.amdhsa_exception_int_div_zero 0
	.end_amdhsa_kernel
	.section	.text._ZN7rocprim17ROCPRIM_400000_NS6detail17trampoline_kernelINS0_14default_configENS1_25partition_config_selectorILNS1_17partition_subalgoE5ElNS0_10empty_typeEbEEZZNS1_14partition_implILS5_5ELb0ES3_mN6hipcub16HIPCUB_304000_NS21CountingInputIteratorIllEEPS6_NSA_22TransformInputIteratorIbN2at6native12_GLOBAL__N_19NonZeroOpIfEEPKflEENS0_5tupleIJPlS6_EEENSN_IJSD_SD_EEES6_PiJS6_EEE10hipError_tPvRmT3_T4_T5_T6_T7_T9_mT8_P12ihipStream_tbDpT10_ENKUlT_T0_E_clISt17integral_constantIbLb0EES1A_IbLb1EEEEDaS16_S17_EUlS16_E_NS1_11comp_targetILNS1_3genE2ELNS1_11target_archE906ELNS1_3gpuE6ELNS1_3repE0EEENS1_30default_config_static_selectorELNS0_4arch9wavefront6targetE0EEEvT1_,"axG",@progbits,_ZN7rocprim17ROCPRIM_400000_NS6detail17trampoline_kernelINS0_14default_configENS1_25partition_config_selectorILNS1_17partition_subalgoE5ElNS0_10empty_typeEbEEZZNS1_14partition_implILS5_5ELb0ES3_mN6hipcub16HIPCUB_304000_NS21CountingInputIteratorIllEEPS6_NSA_22TransformInputIteratorIbN2at6native12_GLOBAL__N_19NonZeroOpIfEEPKflEENS0_5tupleIJPlS6_EEENSN_IJSD_SD_EEES6_PiJS6_EEE10hipError_tPvRmT3_T4_T5_T6_T7_T9_mT8_P12ihipStream_tbDpT10_ENKUlT_T0_E_clISt17integral_constantIbLb0EES1A_IbLb1EEEEDaS16_S17_EUlS16_E_NS1_11comp_targetILNS1_3genE2ELNS1_11target_archE906ELNS1_3gpuE6ELNS1_3repE0EEENS1_30default_config_static_selectorELNS0_4arch9wavefront6targetE0EEEvT1_,comdat
.Lfunc_end486:
	.size	_ZN7rocprim17ROCPRIM_400000_NS6detail17trampoline_kernelINS0_14default_configENS1_25partition_config_selectorILNS1_17partition_subalgoE5ElNS0_10empty_typeEbEEZZNS1_14partition_implILS5_5ELb0ES3_mN6hipcub16HIPCUB_304000_NS21CountingInputIteratorIllEEPS6_NSA_22TransformInputIteratorIbN2at6native12_GLOBAL__N_19NonZeroOpIfEEPKflEENS0_5tupleIJPlS6_EEENSN_IJSD_SD_EEES6_PiJS6_EEE10hipError_tPvRmT3_T4_T5_T6_T7_T9_mT8_P12ihipStream_tbDpT10_ENKUlT_T0_E_clISt17integral_constantIbLb0EES1A_IbLb1EEEEDaS16_S17_EUlS16_E_NS1_11comp_targetILNS1_3genE2ELNS1_11target_archE906ELNS1_3gpuE6ELNS1_3repE0EEENS1_30default_config_static_selectorELNS0_4arch9wavefront6targetE0EEEvT1_, .Lfunc_end486-_ZN7rocprim17ROCPRIM_400000_NS6detail17trampoline_kernelINS0_14default_configENS1_25partition_config_selectorILNS1_17partition_subalgoE5ElNS0_10empty_typeEbEEZZNS1_14partition_implILS5_5ELb0ES3_mN6hipcub16HIPCUB_304000_NS21CountingInputIteratorIllEEPS6_NSA_22TransformInputIteratorIbN2at6native12_GLOBAL__N_19NonZeroOpIfEEPKflEENS0_5tupleIJPlS6_EEENSN_IJSD_SD_EEES6_PiJS6_EEE10hipError_tPvRmT3_T4_T5_T6_T7_T9_mT8_P12ihipStream_tbDpT10_ENKUlT_T0_E_clISt17integral_constantIbLb0EES1A_IbLb1EEEEDaS16_S17_EUlS16_E_NS1_11comp_targetILNS1_3genE2ELNS1_11target_archE906ELNS1_3gpuE6ELNS1_3repE0EEENS1_30default_config_static_selectorELNS0_4arch9wavefront6targetE0EEEvT1_
                                        ; -- End function
	.section	.AMDGPU.csdata,"",@progbits
; Kernel info:
; codeLenInByte = 0
; NumSgprs: 0
; NumVgprs: 0
; ScratchSize: 0
; MemoryBound: 0
; FloatMode: 240
; IeeeMode: 1
; LDSByteSize: 0 bytes/workgroup (compile time only)
; SGPRBlocks: 0
; VGPRBlocks: 0
; NumSGPRsForWavesPerEU: 1
; NumVGPRsForWavesPerEU: 1
; Occupancy: 16
; WaveLimiterHint : 0
; COMPUTE_PGM_RSRC2:SCRATCH_EN: 0
; COMPUTE_PGM_RSRC2:USER_SGPR: 15
; COMPUTE_PGM_RSRC2:TRAP_HANDLER: 0
; COMPUTE_PGM_RSRC2:TGID_X_EN: 1
; COMPUTE_PGM_RSRC2:TGID_Y_EN: 0
; COMPUTE_PGM_RSRC2:TGID_Z_EN: 0
; COMPUTE_PGM_RSRC2:TIDIG_COMP_CNT: 0
	.section	.text._ZN7rocprim17ROCPRIM_400000_NS6detail17trampoline_kernelINS0_14default_configENS1_25partition_config_selectorILNS1_17partition_subalgoE5ElNS0_10empty_typeEbEEZZNS1_14partition_implILS5_5ELb0ES3_mN6hipcub16HIPCUB_304000_NS21CountingInputIteratorIllEEPS6_NSA_22TransformInputIteratorIbN2at6native12_GLOBAL__N_19NonZeroOpIfEEPKflEENS0_5tupleIJPlS6_EEENSN_IJSD_SD_EEES6_PiJS6_EEE10hipError_tPvRmT3_T4_T5_T6_T7_T9_mT8_P12ihipStream_tbDpT10_ENKUlT_T0_E_clISt17integral_constantIbLb0EES1A_IbLb1EEEEDaS16_S17_EUlS16_E_NS1_11comp_targetILNS1_3genE10ELNS1_11target_archE1200ELNS1_3gpuE4ELNS1_3repE0EEENS1_30default_config_static_selectorELNS0_4arch9wavefront6targetE0EEEvT1_,"axG",@progbits,_ZN7rocprim17ROCPRIM_400000_NS6detail17trampoline_kernelINS0_14default_configENS1_25partition_config_selectorILNS1_17partition_subalgoE5ElNS0_10empty_typeEbEEZZNS1_14partition_implILS5_5ELb0ES3_mN6hipcub16HIPCUB_304000_NS21CountingInputIteratorIllEEPS6_NSA_22TransformInputIteratorIbN2at6native12_GLOBAL__N_19NonZeroOpIfEEPKflEENS0_5tupleIJPlS6_EEENSN_IJSD_SD_EEES6_PiJS6_EEE10hipError_tPvRmT3_T4_T5_T6_T7_T9_mT8_P12ihipStream_tbDpT10_ENKUlT_T0_E_clISt17integral_constantIbLb0EES1A_IbLb1EEEEDaS16_S17_EUlS16_E_NS1_11comp_targetILNS1_3genE10ELNS1_11target_archE1200ELNS1_3gpuE4ELNS1_3repE0EEENS1_30default_config_static_selectorELNS0_4arch9wavefront6targetE0EEEvT1_,comdat
	.globl	_ZN7rocprim17ROCPRIM_400000_NS6detail17trampoline_kernelINS0_14default_configENS1_25partition_config_selectorILNS1_17partition_subalgoE5ElNS0_10empty_typeEbEEZZNS1_14partition_implILS5_5ELb0ES3_mN6hipcub16HIPCUB_304000_NS21CountingInputIteratorIllEEPS6_NSA_22TransformInputIteratorIbN2at6native12_GLOBAL__N_19NonZeroOpIfEEPKflEENS0_5tupleIJPlS6_EEENSN_IJSD_SD_EEES6_PiJS6_EEE10hipError_tPvRmT3_T4_T5_T6_T7_T9_mT8_P12ihipStream_tbDpT10_ENKUlT_T0_E_clISt17integral_constantIbLb0EES1A_IbLb1EEEEDaS16_S17_EUlS16_E_NS1_11comp_targetILNS1_3genE10ELNS1_11target_archE1200ELNS1_3gpuE4ELNS1_3repE0EEENS1_30default_config_static_selectorELNS0_4arch9wavefront6targetE0EEEvT1_ ; -- Begin function _ZN7rocprim17ROCPRIM_400000_NS6detail17trampoline_kernelINS0_14default_configENS1_25partition_config_selectorILNS1_17partition_subalgoE5ElNS0_10empty_typeEbEEZZNS1_14partition_implILS5_5ELb0ES3_mN6hipcub16HIPCUB_304000_NS21CountingInputIteratorIllEEPS6_NSA_22TransformInputIteratorIbN2at6native12_GLOBAL__N_19NonZeroOpIfEEPKflEENS0_5tupleIJPlS6_EEENSN_IJSD_SD_EEES6_PiJS6_EEE10hipError_tPvRmT3_T4_T5_T6_T7_T9_mT8_P12ihipStream_tbDpT10_ENKUlT_T0_E_clISt17integral_constantIbLb0EES1A_IbLb1EEEEDaS16_S17_EUlS16_E_NS1_11comp_targetILNS1_3genE10ELNS1_11target_archE1200ELNS1_3gpuE4ELNS1_3repE0EEENS1_30default_config_static_selectorELNS0_4arch9wavefront6targetE0EEEvT1_
	.p2align	8
	.type	_ZN7rocprim17ROCPRIM_400000_NS6detail17trampoline_kernelINS0_14default_configENS1_25partition_config_selectorILNS1_17partition_subalgoE5ElNS0_10empty_typeEbEEZZNS1_14partition_implILS5_5ELb0ES3_mN6hipcub16HIPCUB_304000_NS21CountingInputIteratorIllEEPS6_NSA_22TransformInputIteratorIbN2at6native12_GLOBAL__N_19NonZeroOpIfEEPKflEENS0_5tupleIJPlS6_EEENSN_IJSD_SD_EEES6_PiJS6_EEE10hipError_tPvRmT3_T4_T5_T6_T7_T9_mT8_P12ihipStream_tbDpT10_ENKUlT_T0_E_clISt17integral_constantIbLb0EES1A_IbLb1EEEEDaS16_S17_EUlS16_E_NS1_11comp_targetILNS1_3genE10ELNS1_11target_archE1200ELNS1_3gpuE4ELNS1_3repE0EEENS1_30default_config_static_selectorELNS0_4arch9wavefront6targetE0EEEvT1_,@function
_ZN7rocprim17ROCPRIM_400000_NS6detail17trampoline_kernelINS0_14default_configENS1_25partition_config_selectorILNS1_17partition_subalgoE5ElNS0_10empty_typeEbEEZZNS1_14partition_implILS5_5ELb0ES3_mN6hipcub16HIPCUB_304000_NS21CountingInputIteratorIllEEPS6_NSA_22TransformInputIteratorIbN2at6native12_GLOBAL__N_19NonZeroOpIfEEPKflEENS0_5tupleIJPlS6_EEENSN_IJSD_SD_EEES6_PiJS6_EEE10hipError_tPvRmT3_T4_T5_T6_T7_T9_mT8_P12ihipStream_tbDpT10_ENKUlT_T0_E_clISt17integral_constantIbLb0EES1A_IbLb1EEEEDaS16_S17_EUlS16_E_NS1_11comp_targetILNS1_3genE10ELNS1_11target_archE1200ELNS1_3gpuE4ELNS1_3repE0EEENS1_30default_config_static_selectorELNS0_4arch9wavefront6targetE0EEEvT1_: ; @_ZN7rocprim17ROCPRIM_400000_NS6detail17trampoline_kernelINS0_14default_configENS1_25partition_config_selectorILNS1_17partition_subalgoE5ElNS0_10empty_typeEbEEZZNS1_14partition_implILS5_5ELb0ES3_mN6hipcub16HIPCUB_304000_NS21CountingInputIteratorIllEEPS6_NSA_22TransformInputIteratorIbN2at6native12_GLOBAL__N_19NonZeroOpIfEEPKflEENS0_5tupleIJPlS6_EEENSN_IJSD_SD_EEES6_PiJS6_EEE10hipError_tPvRmT3_T4_T5_T6_T7_T9_mT8_P12ihipStream_tbDpT10_ENKUlT_T0_E_clISt17integral_constantIbLb0EES1A_IbLb1EEEEDaS16_S17_EUlS16_E_NS1_11comp_targetILNS1_3genE10ELNS1_11target_archE1200ELNS1_3gpuE4ELNS1_3repE0EEENS1_30default_config_static_selectorELNS0_4arch9wavefront6targetE0EEEvT1_
; %bb.0:
	.section	.rodata,"a",@progbits
	.p2align	6, 0x0
	.amdhsa_kernel _ZN7rocprim17ROCPRIM_400000_NS6detail17trampoline_kernelINS0_14default_configENS1_25partition_config_selectorILNS1_17partition_subalgoE5ElNS0_10empty_typeEbEEZZNS1_14partition_implILS5_5ELb0ES3_mN6hipcub16HIPCUB_304000_NS21CountingInputIteratorIllEEPS6_NSA_22TransformInputIteratorIbN2at6native12_GLOBAL__N_19NonZeroOpIfEEPKflEENS0_5tupleIJPlS6_EEENSN_IJSD_SD_EEES6_PiJS6_EEE10hipError_tPvRmT3_T4_T5_T6_T7_T9_mT8_P12ihipStream_tbDpT10_ENKUlT_T0_E_clISt17integral_constantIbLb0EES1A_IbLb1EEEEDaS16_S17_EUlS16_E_NS1_11comp_targetILNS1_3genE10ELNS1_11target_archE1200ELNS1_3gpuE4ELNS1_3repE0EEENS1_30default_config_static_selectorELNS0_4arch9wavefront6targetE0EEEvT1_
		.amdhsa_group_segment_fixed_size 0
		.amdhsa_private_segment_fixed_size 0
		.amdhsa_kernarg_size 136
		.amdhsa_user_sgpr_count 15
		.amdhsa_user_sgpr_dispatch_ptr 0
		.amdhsa_user_sgpr_queue_ptr 0
		.amdhsa_user_sgpr_kernarg_segment_ptr 1
		.amdhsa_user_sgpr_dispatch_id 0
		.amdhsa_user_sgpr_private_segment_size 0
		.amdhsa_wavefront_size32 1
		.amdhsa_uses_dynamic_stack 0
		.amdhsa_enable_private_segment 0
		.amdhsa_system_sgpr_workgroup_id_x 1
		.amdhsa_system_sgpr_workgroup_id_y 0
		.amdhsa_system_sgpr_workgroup_id_z 0
		.amdhsa_system_sgpr_workgroup_info 0
		.amdhsa_system_vgpr_workitem_id 0
		.amdhsa_next_free_vgpr 1
		.amdhsa_next_free_sgpr 1
		.amdhsa_reserve_vcc 0
		.amdhsa_float_round_mode_32 0
		.amdhsa_float_round_mode_16_64 0
		.amdhsa_float_denorm_mode_32 3
		.amdhsa_float_denorm_mode_16_64 3
		.amdhsa_dx10_clamp 1
		.amdhsa_ieee_mode 1
		.amdhsa_fp16_overflow 0
		.amdhsa_workgroup_processor_mode 1
		.amdhsa_memory_ordered 1
		.amdhsa_forward_progress 0
		.amdhsa_shared_vgpr_count 0
		.amdhsa_exception_fp_ieee_invalid_op 0
		.amdhsa_exception_fp_denorm_src 0
		.amdhsa_exception_fp_ieee_div_zero 0
		.amdhsa_exception_fp_ieee_overflow 0
		.amdhsa_exception_fp_ieee_underflow 0
		.amdhsa_exception_fp_ieee_inexact 0
		.amdhsa_exception_int_div_zero 0
	.end_amdhsa_kernel
	.section	.text._ZN7rocprim17ROCPRIM_400000_NS6detail17trampoline_kernelINS0_14default_configENS1_25partition_config_selectorILNS1_17partition_subalgoE5ElNS0_10empty_typeEbEEZZNS1_14partition_implILS5_5ELb0ES3_mN6hipcub16HIPCUB_304000_NS21CountingInputIteratorIllEEPS6_NSA_22TransformInputIteratorIbN2at6native12_GLOBAL__N_19NonZeroOpIfEEPKflEENS0_5tupleIJPlS6_EEENSN_IJSD_SD_EEES6_PiJS6_EEE10hipError_tPvRmT3_T4_T5_T6_T7_T9_mT8_P12ihipStream_tbDpT10_ENKUlT_T0_E_clISt17integral_constantIbLb0EES1A_IbLb1EEEEDaS16_S17_EUlS16_E_NS1_11comp_targetILNS1_3genE10ELNS1_11target_archE1200ELNS1_3gpuE4ELNS1_3repE0EEENS1_30default_config_static_selectorELNS0_4arch9wavefront6targetE0EEEvT1_,"axG",@progbits,_ZN7rocprim17ROCPRIM_400000_NS6detail17trampoline_kernelINS0_14default_configENS1_25partition_config_selectorILNS1_17partition_subalgoE5ElNS0_10empty_typeEbEEZZNS1_14partition_implILS5_5ELb0ES3_mN6hipcub16HIPCUB_304000_NS21CountingInputIteratorIllEEPS6_NSA_22TransformInputIteratorIbN2at6native12_GLOBAL__N_19NonZeroOpIfEEPKflEENS0_5tupleIJPlS6_EEENSN_IJSD_SD_EEES6_PiJS6_EEE10hipError_tPvRmT3_T4_T5_T6_T7_T9_mT8_P12ihipStream_tbDpT10_ENKUlT_T0_E_clISt17integral_constantIbLb0EES1A_IbLb1EEEEDaS16_S17_EUlS16_E_NS1_11comp_targetILNS1_3genE10ELNS1_11target_archE1200ELNS1_3gpuE4ELNS1_3repE0EEENS1_30default_config_static_selectorELNS0_4arch9wavefront6targetE0EEEvT1_,comdat
.Lfunc_end487:
	.size	_ZN7rocprim17ROCPRIM_400000_NS6detail17trampoline_kernelINS0_14default_configENS1_25partition_config_selectorILNS1_17partition_subalgoE5ElNS0_10empty_typeEbEEZZNS1_14partition_implILS5_5ELb0ES3_mN6hipcub16HIPCUB_304000_NS21CountingInputIteratorIllEEPS6_NSA_22TransformInputIteratorIbN2at6native12_GLOBAL__N_19NonZeroOpIfEEPKflEENS0_5tupleIJPlS6_EEENSN_IJSD_SD_EEES6_PiJS6_EEE10hipError_tPvRmT3_T4_T5_T6_T7_T9_mT8_P12ihipStream_tbDpT10_ENKUlT_T0_E_clISt17integral_constantIbLb0EES1A_IbLb1EEEEDaS16_S17_EUlS16_E_NS1_11comp_targetILNS1_3genE10ELNS1_11target_archE1200ELNS1_3gpuE4ELNS1_3repE0EEENS1_30default_config_static_selectorELNS0_4arch9wavefront6targetE0EEEvT1_, .Lfunc_end487-_ZN7rocprim17ROCPRIM_400000_NS6detail17trampoline_kernelINS0_14default_configENS1_25partition_config_selectorILNS1_17partition_subalgoE5ElNS0_10empty_typeEbEEZZNS1_14partition_implILS5_5ELb0ES3_mN6hipcub16HIPCUB_304000_NS21CountingInputIteratorIllEEPS6_NSA_22TransformInputIteratorIbN2at6native12_GLOBAL__N_19NonZeroOpIfEEPKflEENS0_5tupleIJPlS6_EEENSN_IJSD_SD_EEES6_PiJS6_EEE10hipError_tPvRmT3_T4_T5_T6_T7_T9_mT8_P12ihipStream_tbDpT10_ENKUlT_T0_E_clISt17integral_constantIbLb0EES1A_IbLb1EEEEDaS16_S17_EUlS16_E_NS1_11comp_targetILNS1_3genE10ELNS1_11target_archE1200ELNS1_3gpuE4ELNS1_3repE0EEENS1_30default_config_static_selectorELNS0_4arch9wavefront6targetE0EEEvT1_
                                        ; -- End function
	.section	.AMDGPU.csdata,"",@progbits
; Kernel info:
; codeLenInByte = 0
; NumSgprs: 0
; NumVgprs: 0
; ScratchSize: 0
; MemoryBound: 0
; FloatMode: 240
; IeeeMode: 1
; LDSByteSize: 0 bytes/workgroup (compile time only)
; SGPRBlocks: 0
; VGPRBlocks: 0
; NumSGPRsForWavesPerEU: 1
; NumVGPRsForWavesPerEU: 1
; Occupancy: 16
; WaveLimiterHint : 0
; COMPUTE_PGM_RSRC2:SCRATCH_EN: 0
; COMPUTE_PGM_RSRC2:USER_SGPR: 15
; COMPUTE_PGM_RSRC2:TRAP_HANDLER: 0
; COMPUTE_PGM_RSRC2:TGID_X_EN: 1
; COMPUTE_PGM_RSRC2:TGID_Y_EN: 0
; COMPUTE_PGM_RSRC2:TGID_Z_EN: 0
; COMPUTE_PGM_RSRC2:TIDIG_COMP_CNT: 0
	.section	.text._ZN7rocprim17ROCPRIM_400000_NS6detail17trampoline_kernelINS0_14default_configENS1_25partition_config_selectorILNS1_17partition_subalgoE5ElNS0_10empty_typeEbEEZZNS1_14partition_implILS5_5ELb0ES3_mN6hipcub16HIPCUB_304000_NS21CountingInputIteratorIllEEPS6_NSA_22TransformInputIteratorIbN2at6native12_GLOBAL__N_19NonZeroOpIfEEPKflEENS0_5tupleIJPlS6_EEENSN_IJSD_SD_EEES6_PiJS6_EEE10hipError_tPvRmT3_T4_T5_T6_T7_T9_mT8_P12ihipStream_tbDpT10_ENKUlT_T0_E_clISt17integral_constantIbLb0EES1A_IbLb1EEEEDaS16_S17_EUlS16_E_NS1_11comp_targetILNS1_3genE9ELNS1_11target_archE1100ELNS1_3gpuE3ELNS1_3repE0EEENS1_30default_config_static_selectorELNS0_4arch9wavefront6targetE0EEEvT1_,"axG",@progbits,_ZN7rocprim17ROCPRIM_400000_NS6detail17trampoline_kernelINS0_14default_configENS1_25partition_config_selectorILNS1_17partition_subalgoE5ElNS0_10empty_typeEbEEZZNS1_14partition_implILS5_5ELb0ES3_mN6hipcub16HIPCUB_304000_NS21CountingInputIteratorIllEEPS6_NSA_22TransformInputIteratorIbN2at6native12_GLOBAL__N_19NonZeroOpIfEEPKflEENS0_5tupleIJPlS6_EEENSN_IJSD_SD_EEES6_PiJS6_EEE10hipError_tPvRmT3_T4_T5_T6_T7_T9_mT8_P12ihipStream_tbDpT10_ENKUlT_T0_E_clISt17integral_constantIbLb0EES1A_IbLb1EEEEDaS16_S17_EUlS16_E_NS1_11comp_targetILNS1_3genE9ELNS1_11target_archE1100ELNS1_3gpuE3ELNS1_3repE0EEENS1_30default_config_static_selectorELNS0_4arch9wavefront6targetE0EEEvT1_,comdat
	.globl	_ZN7rocprim17ROCPRIM_400000_NS6detail17trampoline_kernelINS0_14default_configENS1_25partition_config_selectorILNS1_17partition_subalgoE5ElNS0_10empty_typeEbEEZZNS1_14partition_implILS5_5ELb0ES3_mN6hipcub16HIPCUB_304000_NS21CountingInputIteratorIllEEPS6_NSA_22TransformInputIteratorIbN2at6native12_GLOBAL__N_19NonZeroOpIfEEPKflEENS0_5tupleIJPlS6_EEENSN_IJSD_SD_EEES6_PiJS6_EEE10hipError_tPvRmT3_T4_T5_T6_T7_T9_mT8_P12ihipStream_tbDpT10_ENKUlT_T0_E_clISt17integral_constantIbLb0EES1A_IbLb1EEEEDaS16_S17_EUlS16_E_NS1_11comp_targetILNS1_3genE9ELNS1_11target_archE1100ELNS1_3gpuE3ELNS1_3repE0EEENS1_30default_config_static_selectorELNS0_4arch9wavefront6targetE0EEEvT1_ ; -- Begin function _ZN7rocprim17ROCPRIM_400000_NS6detail17trampoline_kernelINS0_14default_configENS1_25partition_config_selectorILNS1_17partition_subalgoE5ElNS0_10empty_typeEbEEZZNS1_14partition_implILS5_5ELb0ES3_mN6hipcub16HIPCUB_304000_NS21CountingInputIteratorIllEEPS6_NSA_22TransformInputIteratorIbN2at6native12_GLOBAL__N_19NonZeroOpIfEEPKflEENS0_5tupleIJPlS6_EEENSN_IJSD_SD_EEES6_PiJS6_EEE10hipError_tPvRmT3_T4_T5_T6_T7_T9_mT8_P12ihipStream_tbDpT10_ENKUlT_T0_E_clISt17integral_constantIbLb0EES1A_IbLb1EEEEDaS16_S17_EUlS16_E_NS1_11comp_targetILNS1_3genE9ELNS1_11target_archE1100ELNS1_3gpuE3ELNS1_3repE0EEENS1_30default_config_static_selectorELNS0_4arch9wavefront6targetE0EEEvT1_
	.p2align	8
	.type	_ZN7rocprim17ROCPRIM_400000_NS6detail17trampoline_kernelINS0_14default_configENS1_25partition_config_selectorILNS1_17partition_subalgoE5ElNS0_10empty_typeEbEEZZNS1_14partition_implILS5_5ELb0ES3_mN6hipcub16HIPCUB_304000_NS21CountingInputIteratorIllEEPS6_NSA_22TransformInputIteratorIbN2at6native12_GLOBAL__N_19NonZeroOpIfEEPKflEENS0_5tupleIJPlS6_EEENSN_IJSD_SD_EEES6_PiJS6_EEE10hipError_tPvRmT3_T4_T5_T6_T7_T9_mT8_P12ihipStream_tbDpT10_ENKUlT_T0_E_clISt17integral_constantIbLb0EES1A_IbLb1EEEEDaS16_S17_EUlS16_E_NS1_11comp_targetILNS1_3genE9ELNS1_11target_archE1100ELNS1_3gpuE3ELNS1_3repE0EEENS1_30default_config_static_selectorELNS0_4arch9wavefront6targetE0EEEvT1_,@function
_ZN7rocprim17ROCPRIM_400000_NS6detail17trampoline_kernelINS0_14default_configENS1_25partition_config_selectorILNS1_17partition_subalgoE5ElNS0_10empty_typeEbEEZZNS1_14partition_implILS5_5ELb0ES3_mN6hipcub16HIPCUB_304000_NS21CountingInputIteratorIllEEPS6_NSA_22TransformInputIteratorIbN2at6native12_GLOBAL__N_19NonZeroOpIfEEPKflEENS0_5tupleIJPlS6_EEENSN_IJSD_SD_EEES6_PiJS6_EEE10hipError_tPvRmT3_T4_T5_T6_T7_T9_mT8_P12ihipStream_tbDpT10_ENKUlT_T0_E_clISt17integral_constantIbLb0EES1A_IbLb1EEEEDaS16_S17_EUlS16_E_NS1_11comp_targetILNS1_3genE9ELNS1_11target_archE1100ELNS1_3gpuE3ELNS1_3repE0EEENS1_30default_config_static_selectorELNS0_4arch9wavefront6targetE0EEEvT1_: ; @_ZN7rocprim17ROCPRIM_400000_NS6detail17trampoline_kernelINS0_14default_configENS1_25partition_config_selectorILNS1_17partition_subalgoE5ElNS0_10empty_typeEbEEZZNS1_14partition_implILS5_5ELb0ES3_mN6hipcub16HIPCUB_304000_NS21CountingInputIteratorIllEEPS6_NSA_22TransformInputIteratorIbN2at6native12_GLOBAL__N_19NonZeroOpIfEEPKflEENS0_5tupleIJPlS6_EEENSN_IJSD_SD_EEES6_PiJS6_EEE10hipError_tPvRmT3_T4_T5_T6_T7_T9_mT8_P12ihipStream_tbDpT10_ENKUlT_T0_E_clISt17integral_constantIbLb0EES1A_IbLb1EEEEDaS16_S17_EUlS16_E_NS1_11comp_targetILNS1_3genE9ELNS1_11target_archE1100ELNS1_3gpuE3ELNS1_3repE0EEENS1_30default_config_static_selectorELNS0_4arch9wavefront6targetE0EEEvT1_
; %bb.0:
	s_clause 0x4
	s_load_b64 s[18:19], s[0:1], 0x20
	s_load_b64 s[12:13], s[0:1], 0x30
	;; [unrolled: 1-line block ×3, first 2 shown]
	s_load_b128 s[4:7], s[0:1], 0x48
	s_load_b64 s[14:15], s[0:1], 0x68
	v_cmp_eq_u32_e64 s2, 0, v0
	s_delay_alu instid0(VALU_DEP_1)
	s_and_saveexec_b32 s3, s2
	s_cbranch_execz .LBB488_4
; %bb.1:
	s_mov_b32 s9, exec_lo
	s_mov_b32 s8, exec_lo
	v_mbcnt_lo_u32_b32 v1, s9, 0
                                        ; implicit-def: $vgpr2
	s_delay_alu instid0(VALU_DEP_1)
	v_cmpx_eq_u32_e32 0, v1
	s_cbranch_execz .LBB488_3
; %bb.2:
	s_load_b64 s[10:11], s[0:1], 0x78
	s_bcnt1_i32_b32 s9, s9
	s_delay_alu instid0(SALU_CYCLE_1)
	v_dual_mov_b32 v2, 0 :: v_dual_mov_b32 v3, s9
	s_waitcnt lgkmcnt(0)
	global_atomic_add_u32 v2, v2, v3, s[10:11] glc
.LBB488_3:
	s_or_b32 exec_lo, exec_lo, s8
	s_waitcnt vmcnt(0)
	v_readfirstlane_b32 s8, v2
	s_delay_alu instid0(VALU_DEP_1)
	v_dual_mov_b32 v2, 0 :: v_dual_add_nc_u32 v1, s8, v1
	ds_store_b32 v2, v1
.LBB488_4:
	s_or_b32 exec_lo, exec_lo, s3
	v_mov_b32_e32 v1, 0
	s_clause 0x1
	s_load_b128 s[8:11], s[0:1], 0x8
	s_load_b32 s0, s[0:1], 0x70
	s_waitcnt lgkmcnt(0)
	s_barrier
	buffer_gl0_inv
	ds_load_b32 v3, v1
	s_waitcnt lgkmcnt(0)
	s_barrier
	buffer_gl0_inv
	global_load_b64 v[1:2], v1, s[6:7]
	s_add_u32 s21, s10, s8
	s_mul_i32 s20, s0, 0x300
	s_addc_u32 s22, s11, s9
	s_add_i32 s3, s0, -1
	s_add_u32 s0, s10, s20
	v_readfirstlane_b32 s9, v3
	s_addc_u32 s1, s11, 0
	s_delay_alu instid0(SALU_CYCLE_1) | instskip(SKIP_1) | instid1(VALU_DEP_2)
	v_cmp_ge_u64_e64 s0, s[0:1], s[16:17]
	s_mov_b32 s17, -1
	s_cmp_eq_u32 s9, s3
	s_cselect_b32 s3, -1, 0
	s_delay_alu instid0(VALU_DEP_1) | instid1(SALU_CYCLE_1)
	s_and_b32 s1, s0, s3
	s_mul_i32 s0, s9, 0x300
	s_xor_b32 s8, s1, -1
	s_mov_b32 s1, 0
	s_and_b32 vcc_lo, exec_lo, s8
	s_waitcnt vmcnt(0)
	v_readfirstlane_b32 s6, v1
	v_readfirstlane_b32 s7, v2
	s_cbranch_vccz .LBB488_6
; %bb.5:
	s_add_u32 s17, s0, s21
	s_addc_u32 s23, 0, s22
	v_add_co_u32 v1, s17, s17, v0
	s_delay_alu instid0(VALU_DEP_1) | instskip(SKIP_1) | instid1(VALU_DEP_3)
	v_add_co_ci_u32_e64 v2, null, s23, 0, s17
	v_lshlrev_b32_e32 v13, 3, v0
	v_add_co_u32 v3, vcc_lo, 0x80, v1
	s_delay_alu instid0(VALU_DEP_3)
	v_add_co_ci_u32_e32 v4, vcc_lo, 0, v2, vcc_lo
	v_add_co_u32 v5, vcc_lo, 0x100, v1
	v_add_co_ci_u32_e32 v6, vcc_lo, 0, v2, vcc_lo
	v_add_co_u32 v7, vcc_lo, 0x180, v1
	;; [unrolled: 2-line block ×4, first 2 shown]
	v_add_co_ci_u32_e32 v12, vcc_lo, 0, v2, vcc_lo
	ds_store_2addr_stride64_b64 v13, v[1:2], v[3:4] offset1:2
	ds_store_2addr_stride64_b64 v13, v[5:6], v[7:8] offset0:4 offset1:6
	ds_store_2addr_stride64_b64 v13, v[9:10], v[11:12] offset0:8 offset1:10
	s_waitcnt lgkmcnt(0)
	s_mov_b32 s17, s1
	s_barrier
.LBB488_6:
	v_or_b32_e32 v17, 0x100, v0
	v_or_b32_e32 v16, 0x180, v0
	;; [unrolled: 1-line block ×4, first 2 shown]
	s_and_not1_b32 vcc_lo, exec_lo, s17
	s_cbranch_vccnz .LBB488_8
; %bb.7:
	v_or_b32_e32 v3, 0x80, v0
	s_add_u32 s17, s21, s0
	s_addc_u32 s21, s22, 0
	v_add_co_u32 v1, s22, s17, v0
	s_delay_alu instid0(VALU_DEP_1) | instskip(SKIP_1) | instid1(VALU_DEP_1)
	v_add_co_ci_u32_e64 v2, null, s21, 0, s22
	v_add_co_u32 v3, s22, s17, v3
	v_add_co_ci_u32_e64 v4, null, s21, 0, s22
	v_add_co_u32 v5, s22, s17, v17
	s_delay_alu instid0(VALU_DEP_1) | instskip(SKIP_1) | instid1(VALU_DEP_1)
	v_add_co_ci_u32_e64 v6, null, s21, 0, s22
	v_add_co_u32 v7, s22, s17, v16
	v_add_co_ci_u32_e64 v8, null, s21, 0, s22
	v_add_co_u32 v9, s22, s17, v14
	v_lshlrev_b32_e32 v15, 3, v0
	v_add_co_u32 v11, s17, s17, v13
	v_add_co_ci_u32_e64 v10, null, s21, 0, s22
	v_add_co_ci_u32_e64 v12, null, s21, 0, s17
	ds_store_2addr_stride64_b64 v15, v[1:2], v[3:4] offset1:2
	ds_store_2addr_stride64_b64 v15, v[5:6], v[7:8] offset0:4 offset1:6
	ds_store_2addr_stride64_b64 v15, v[9:10], v[11:12] offset0:8 offset1:10
	s_waitcnt lgkmcnt(0)
	s_barrier
.LBB488_8:
	v_mul_u32_u24_e32 v1, 6, v0
	buffer_gl0_inv
	s_lshl_b64 s[22:23], s[10:11], 2
	v_lshlrev_b32_e32 v18, 2, v0
	s_add_u32 s11, s18, s22
	v_lshlrev_b32_e32 v15, 3, v1
	s_addc_u32 s17, s19, s23
	s_lshl_b64 s[0:1], s[0:1], 2
	ds_load_b128 v[9:12], v15
	ds_load_b128 v[5:8], v15 offset:16
	ds_load_b128 v[1:4], v15 offset:32
	s_add_u32 s0, s11, s0
	s_addc_u32 s1, s17, s1
	s_and_b32 vcc_lo, exec_lo, s8
	s_mov_b32 s11, -1
	s_waitcnt lgkmcnt(0)
	s_barrier
	buffer_gl0_inv
	s_cbranch_vccz .LBB488_10
; %bb.9:
	s_clause 0x5
	global_load_b32 v19, v18, s[0:1]
	global_load_b32 v20, v18, s[0:1] offset:512
	global_load_b32 v21, v18, s[0:1] offset:1024
	;; [unrolled: 1-line block ×5, first 2 shown]
	s_mov_b32 s11, 0
	s_waitcnt vmcnt(5)
	v_cmp_neq_f32_e32 vcc_lo, 0, v19
	v_cndmask_b32_e64 v19, 0, 1, vcc_lo
	s_waitcnt vmcnt(4)
	v_cmp_neq_f32_e32 vcc_lo, 0, v20
	v_cndmask_b32_e64 v20, 0, 1, vcc_lo
	s_waitcnt vmcnt(3)
	v_cmp_neq_f32_e32 vcc_lo, 0, v21
	v_cndmask_b32_e64 v21, 0, 1, vcc_lo
	s_waitcnt vmcnt(2)
	v_cmp_neq_f32_e32 vcc_lo, 0, v22
	v_cndmask_b32_e64 v22, 0, 1, vcc_lo
	s_waitcnt vmcnt(1)
	v_cmp_neq_f32_e32 vcc_lo, 0, v23
	v_cndmask_b32_e64 v23, 0, 1, vcc_lo
	s_waitcnt vmcnt(0)
	v_cmp_neq_f32_e32 vcc_lo, 0, v24
	v_cndmask_b32_e64 v24, 0, 1, vcc_lo
	ds_store_b8 v0, v19
	ds_store_b8 v0, v20 offset:128
	ds_store_b8 v0, v21 offset:256
	;; [unrolled: 1-line block ×5, first 2 shown]
	s_waitcnt lgkmcnt(0)
	s_barrier
.LBB488_10:
	s_and_not1_b32 vcc_lo, exec_lo, s11
	s_cbranch_vccnz .LBB488_24
; %bb.11:
	s_add_i32 s20, s20, s10
	v_dual_mov_b32 v19, 0 :: v_dual_mov_b32 v20, 0
	s_sub_i32 s10, s16, s20
	s_mov_b32 s11, exec_lo
	s_addk_i32 s10, 0x300
	s_delay_alu instid0(SALU_CYCLE_1)
	v_cmpx_gt_u32_e64 s10, v0
	s_cbranch_execz .LBB488_13
; %bb.12:
	global_load_b32 v20, v18, s[0:1]
	s_waitcnt vmcnt(0)
	v_cmp_neq_f32_e32 vcc_lo, 0, v20
	v_cndmask_b32_e64 v20, 0, 1, vcc_lo
.LBB488_13:
	s_or_b32 exec_lo, exec_lo, s11
	v_or_b32_e32 v21, 0x80, v0
	s_mov_b32 s11, exec_lo
	s_delay_alu instid0(VALU_DEP_1)
	v_cmpx_gt_u32_e64 s10, v21
	s_cbranch_execz .LBB488_15
; %bb.14:
	global_load_b32 v19, v18, s[0:1] offset:512
	s_waitcnt vmcnt(0)
	v_cmp_neq_f32_e32 vcc_lo, 0, v19
	v_cndmask_b32_e64 v19, 0, 1, vcc_lo
.LBB488_15:
	s_or_b32 exec_lo, exec_lo, s11
	v_cmp_gt_u32_e32 vcc_lo, s10, v17
	v_mov_b32_e32 v17, 0
	v_mov_b32_e32 v21, 0
	s_and_saveexec_b32 s11, vcc_lo
	s_cbranch_execz .LBB488_17
; %bb.16:
	global_load_b32 v21, v18, s[0:1] offset:1024
	s_waitcnt vmcnt(0)
	v_cmp_neq_f32_e32 vcc_lo, 0, v21
	v_cndmask_b32_e64 v21, 0, 1, vcc_lo
.LBB488_17:
	s_or_b32 exec_lo, exec_lo, s11
	s_delay_alu instid0(SALU_CYCLE_1)
	s_mov_b32 s11, exec_lo
	v_cmpx_gt_u32_e64 s10, v16
	s_cbranch_execz .LBB488_19
; %bb.18:
	global_load_b32 v16, v18, s[0:1] offset:1536
	s_waitcnt vmcnt(0)
	v_cmp_neq_f32_e32 vcc_lo, 0, v16
	v_cndmask_b32_e64 v17, 0, 1, vcc_lo
.LBB488_19:
	s_or_b32 exec_lo, exec_lo, s11
	v_cmp_gt_u32_e32 vcc_lo, s10, v14
	v_mov_b32_e32 v14, 0
	v_mov_b32_e32 v16, 0
	s_and_saveexec_b32 s11, vcc_lo
	s_cbranch_execz .LBB488_21
; %bb.20:
	global_load_b32 v16, v18, s[0:1] offset:2048
	s_waitcnt vmcnt(0)
	v_cmp_neq_f32_e32 vcc_lo, 0, v16
	v_cndmask_b32_e64 v16, 0, 1, vcc_lo
.LBB488_21:
	s_or_b32 exec_lo, exec_lo, s11
	v_cmp_gt_u32_e32 vcc_lo, s10, v13
	s_and_saveexec_b32 s10, vcc_lo
	s_cbranch_execz .LBB488_23
; %bb.22:
	global_load_b32 v13, v18, s[0:1] offset:2560
	s_waitcnt vmcnt(0)
	v_cmp_neq_f32_e32 vcc_lo, 0, v13
	v_cndmask_b32_e64 v14, 0, 1, vcc_lo
.LBB488_23:
	s_or_b32 exec_lo, exec_lo, s10
	ds_store_b8 v0, v20
	ds_store_b8 v0, v19 offset:128
	ds_store_b8 v0, v21 offset:256
	;; [unrolled: 1-line block ×5, first 2 shown]
	s_waitcnt lgkmcnt(0)
	s_barrier
.LBB488_24:
	v_mad_i32_i24 v43, 0xffffffd6, v0, v15
	buffer_gl0_inv
	v_mbcnt_lo_u32_b32 v42, -1, 0
	s_cmp_lg_u32 s9, 0
	s_mov_b32 s1, -1
	ds_load_u16 v36, v43
	ds_load_u16 v33, v43 offset:2
	ds_load_u16 v31, v43 offset:4
	v_mov_b32_e32 v14, 0
	v_and_b32_e32 v44, 15, v42
	s_waitcnt lgkmcnt(0)
	s_barrier
	buffer_gl0_inv
	v_and_b32_e32 v41, 0xff, v36
	v_lshrrev_b16 v34, 8, v36
	v_lshrrev_b16 v35, 8, v33
	v_and_b32_e32 v39, 0xff, v33
	v_lshrrev_b16 v32, 8, v31
	v_and_b32_e32 v37, 0xff, v31
	v_and_b32_e32 v40, 0xffff, v34
	;; [unrolled: 1-line block ×3, first 2 shown]
	s_delay_alu instid0(VALU_DEP_4) | instskip(NEXT) | instid1(VALU_DEP_3)
	v_and_b32_e32 v16, 0xffff, v32
	v_add_co_u32 v13, s0, v40, v41
	s_delay_alu instid0(VALU_DEP_1) | instskip(SKIP_1) | instid1(VALU_DEP_3)
	v_add_co_ci_u32_e64 v15, null, 0, 0, s0
	v_cmp_ne_u32_e64 s0, 0, v44
	v_add_co_u32 v13, vcc_lo, v13, v39
	s_delay_alu instid0(VALU_DEP_3) | instskip(NEXT) | instid1(VALU_DEP_2)
	v_add_co_ci_u32_e32 v15, vcc_lo, 0, v15, vcc_lo
	v_add_co_u32 v13, vcc_lo, v13, v38
	s_delay_alu instid0(VALU_DEP_2) | instskip(NEXT) | instid1(VALU_DEP_2)
	v_add_co_ci_u32_e32 v15, vcc_lo, 0, v15, vcc_lo
	v_add_co_u32 v13, vcc_lo, v13, v37
	s_delay_alu instid0(VALU_DEP_2) | instskip(NEXT) | instid1(VALU_DEP_2)
	v_add_co_ci_u32_e32 v15, vcc_lo, 0, v15, vcc_lo
	v_add_co_u32 v21, vcc_lo, v13, v16
	s_delay_alu instid0(VALU_DEP_2)
	v_add_co_ci_u32_e32 v22, vcc_lo, 0, v15, vcc_lo
	s_cbranch_scc0 .LBB488_88
; %bb.25:
	s_delay_alu instid0(VALU_DEP_2)
	v_mov_b32_e32 v15, v21
	v_mov_b32_dpp v13, v21 row_shr:1 row_mask:0xf bank_mask:0xf
	v_mov_b32_dpp v18, v14 row_shr:1 row_mask:0xf bank_mask:0xf
	v_dual_mov_b32 v17, v21 :: v_dual_mov_b32 v16, v22
	s_and_saveexec_b32 s1, s0
; %bb.26:
	s_delay_alu instid0(VALU_DEP_3) | instskip(SKIP_1) | instid1(VALU_DEP_2)
	v_add_co_u32 v17, vcc_lo, v21, v13
	v_add_co_ci_u32_e32 v14, vcc_lo, 0, v22, vcc_lo
	v_add_co_u32 v13, vcc_lo, 0, v17
	s_delay_alu instid0(VALU_DEP_2) | instskip(NEXT) | instid1(VALU_DEP_1)
	v_add_co_ci_u32_e32 v14, vcc_lo, v18, v14, vcc_lo
	v_dual_mov_b32 v16, v14 :: v_dual_mov_b32 v15, v13
; %bb.27:
	s_or_b32 exec_lo, exec_lo, s1
	v_mov_b32_dpp v13, v17 row_shr:2 row_mask:0xf bank_mask:0xf
	v_mov_b32_dpp v18, v14 row_shr:2 row_mask:0xf bank_mask:0xf
	s_mov_b32 s1, exec_lo
	v_cmpx_lt_u32_e32 1, v44
; %bb.28:
	s_delay_alu instid0(VALU_DEP_3) | instskip(SKIP_1) | instid1(VALU_DEP_2)
	v_add_co_u32 v17, vcc_lo, v15, v13
	v_add_co_ci_u32_e32 v14, vcc_lo, 0, v16, vcc_lo
	v_add_co_u32 v13, vcc_lo, 0, v17
	s_delay_alu instid0(VALU_DEP_2) | instskip(NEXT) | instid1(VALU_DEP_1)
	v_add_co_ci_u32_e32 v14, vcc_lo, v18, v14, vcc_lo
	v_dual_mov_b32 v16, v14 :: v_dual_mov_b32 v15, v13
; %bb.29:
	s_or_b32 exec_lo, exec_lo, s1
	v_mov_b32_dpp v13, v17 row_shr:4 row_mask:0xf bank_mask:0xf
	v_mov_b32_dpp v18, v14 row_shr:4 row_mask:0xf bank_mask:0xf
	s_mov_b32 s1, exec_lo
	v_cmpx_lt_u32_e32 3, v44
	;; [unrolled: 14-line block ×3, first 2 shown]
; %bb.32:
	s_delay_alu instid0(VALU_DEP_3) | instskip(SKIP_1) | instid1(VALU_DEP_2)
	v_add_co_u32 v17, vcc_lo, v15, v18
	v_add_co_ci_u32_e32 v14, vcc_lo, 0, v16, vcc_lo
	v_add_co_u32 v15, vcc_lo, 0, v17
	s_delay_alu instid0(VALU_DEP_2) | instskip(NEXT) | instid1(VALU_DEP_1)
	v_add_co_ci_u32_e32 v16, vcc_lo, v13, v14, vcc_lo
	v_mov_b32_e32 v14, v16
; %bb.33:
	s_or_b32 exec_lo, exec_lo, s1
	ds_swizzle_b32 v13, v17 offset:swizzle(BROADCAST,32,15)
	ds_swizzle_b32 v18, v14 offset:swizzle(BROADCAST,32,15)
	v_and_b32_e32 v19, 16, v42
	s_mov_b32 s1, exec_lo
	s_delay_alu instid0(VALU_DEP_1)
	v_cmpx_ne_u32_e32 0, v19
	s_cbranch_execz .LBB488_35
; %bb.34:
	s_waitcnt lgkmcnt(1)
	v_add_co_u32 v17, vcc_lo, v15, v13
	v_add_co_ci_u32_e32 v14, vcc_lo, 0, v16, vcc_lo
	s_delay_alu instid0(VALU_DEP_2) | instskip(SKIP_1) | instid1(VALU_DEP_2)
	v_add_co_u32 v13, vcc_lo, 0, v17
	s_waitcnt lgkmcnt(0)
	v_add_co_ci_u32_e32 v14, vcc_lo, v18, v14, vcc_lo
	s_delay_alu instid0(VALU_DEP_1)
	v_dual_mov_b32 v16, v14 :: v_dual_mov_b32 v15, v13
.LBB488_35:
	s_or_b32 exec_lo, exec_lo, s1
	s_waitcnt lgkmcnt(0)
	v_or_b32_e32 v18, 31, v0
	v_lshrrev_b32_e32 v13, 5, v0
	s_mov_b32 s1, exec_lo
	s_delay_alu instid0(VALU_DEP_2)
	v_cmpx_eq_u32_e64 v18, v0
	s_cbranch_execz .LBB488_37
; %bb.36:
	s_delay_alu instid0(VALU_DEP_2)
	v_lshlrev_b32_e32 v18, 3, v13
	ds_store_b64 v18, v[15:16]
.LBB488_37:
	s_or_b32 exec_lo, exec_lo, s1
	s_delay_alu instid0(SALU_CYCLE_1)
	s_mov_b32 s1, exec_lo
	s_waitcnt lgkmcnt(0)
	s_barrier
	buffer_gl0_inv
	v_cmpx_gt_u32_e32 4, v0
	s_cbranch_execz .LBB488_43
; %bb.38:
	v_lshlrev_b32_e32 v18, 3, v0
	s_mov_b32 s10, exec_lo
	ds_load_b64 v[15:16], v18
	s_waitcnt lgkmcnt(0)
	v_dual_mov_b32 v20, v15 :: v_dual_and_b32 v19, 3, v42
	v_mov_b32_dpp v24, v15 row_shr:1 row_mask:0xf bank_mask:0xf
	v_mov_b32_dpp v23, v16 row_shr:1 row_mask:0xf bank_mask:0xf
	s_delay_alu instid0(VALU_DEP_3)
	v_cmpx_ne_u32_e32 0, v19
; %bb.39:
	s_delay_alu instid0(VALU_DEP_3) | instskip(SKIP_1) | instid1(VALU_DEP_2)
	v_add_co_u32 v20, vcc_lo, v15, v24
	v_add_co_ci_u32_e32 v16, vcc_lo, 0, v16, vcc_lo
	v_add_co_u32 v15, vcc_lo, 0, v20
	s_delay_alu instid0(VALU_DEP_2)
	v_add_co_ci_u32_e32 v16, vcc_lo, v23, v16, vcc_lo
; %bb.40:
	s_or_b32 exec_lo, exec_lo, s10
	v_mov_b32_dpp v23, v20 row_shr:2 row_mask:0xf bank_mask:0xf
	s_delay_alu instid0(VALU_DEP_2)
	v_mov_b32_dpp v20, v16 row_shr:2 row_mask:0xf bank_mask:0xf
	s_mov_b32 s10, exec_lo
	v_cmpx_lt_u32_e32 1, v19
; %bb.41:
	s_delay_alu instid0(VALU_DEP_3) | instskip(SKIP_1) | instid1(VALU_DEP_2)
	v_add_co_u32 v15, vcc_lo, v15, v23
	v_add_co_ci_u32_e32 v16, vcc_lo, 0, v16, vcc_lo
	v_add_co_u32 v15, vcc_lo, v15, 0
	s_delay_alu instid0(VALU_DEP_2)
	v_add_co_ci_u32_e32 v16, vcc_lo, v16, v20, vcc_lo
; %bb.42:
	s_or_b32 exec_lo, exec_lo, s10
	ds_store_b64 v18, v[15:16]
.LBB488_43:
	s_or_b32 exec_lo, exec_lo, s1
	v_cmp_gt_u32_e32 vcc_lo, 32, v0
	s_mov_b32 s10, exec_lo
	s_waitcnt lgkmcnt(0)
	s_barrier
	buffer_gl0_inv
                                        ; implicit-def: $vgpr23_vgpr24
	v_cmpx_lt_u32_e32 31, v0
	s_cbranch_execz .LBB488_45
; %bb.44:
	v_lshl_add_u32 v13, v13, 3, -8
	ds_load_b64 v[23:24], v13
	s_waitcnt lgkmcnt(0)
	v_add_co_u32 v17, s1, v17, v23
	s_delay_alu instid0(VALU_DEP_1)
	v_add_co_ci_u32_e64 v14, s1, v14, v24, s1
.LBB488_45:
	s_or_b32 exec_lo, exec_lo, s10
	v_add_nc_u32_e32 v13, -1, v42
	s_delay_alu instid0(VALU_DEP_1) | instskip(NEXT) | instid1(VALU_DEP_1)
	v_cmp_gt_i32_e64 s1, 0, v13
	v_cndmask_b32_e64 v13, v13, v42, s1
	v_cmp_eq_u32_e64 s1, 0, v42
	s_delay_alu instid0(VALU_DEP_2)
	v_lshlrev_b32_e32 v13, 2, v13
	ds_bpermute_b32 v29, v13, v17
	ds_bpermute_b32 v30, v13, v14
	s_and_saveexec_b32 s10, vcc_lo
	s_cbranch_execz .LBB488_83
; %bb.46:
	v_mov_b32_e32 v16, 0
	ds_load_b64 v[13:14], v16 offset:24
	s_and_saveexec_b32 s11, s1
	s_cbranch_execz .LBB488_48
; %bb.47:
	s_add_i32 s16, s9, 32
	s_mov_b32 s17, 0
	s_delay_alu instid0(SALU_CYCLE_1) | instskip(NEXT) | instid1(SALU_CYCLE_1)
	s_lshl_b64 s[16:17], s[16:17], 4
	s_add_u32 s16, s14, s16
	s_addc_u32 s17, s15, s17
	s_delay_alu instid0(SALU_CYCLE_1)
	v_dual_mov_b32 v15, 1 :: v_dual_mov_b32 v18, s17
	v_mov_b32_e32 v17, s16
	s_waitcnt lgkmcnt(0)
	;;#ASMSTART
	global_store_dwordx4 v[17:18], v[13:16] off	
s_waitcnt vmcnt(0)
	;;#ASMEND
.LBB488_48:
	s_or_b32 exec_lo, exec_lo, s11
	v_xad_u32 v25, v42, -1, s9
	s_mov_b32 s16, 0
	s_mov_b32 s11, exec_lo
	s_delay_alu instid0(VALU_DEP_1) | instskip(NEXT) | instid1(VALU_DEP_1)
	v_add_nc_u32_e32 v15, 32, v25
	v_lshlrev_b64 v[15:16], 4, v[15:16]
	s_delay_alu instid0(VALU_DEP_1) | instskip(NEXT) | instid1(VALU_DEP_2)
	v_add_co_u32 v15, vcc_lo, s14, v15
	v_add_co_ci_u32_e32 v16, vcc_lo, s15, v16, vcc_lo
	;;#ASMSTART
	global_load_dwordx4 v[17:20], v[15:16] off glc	
s_waitcnt vmcnt(0)
	;;#ASMEND
	v_and_b32_e32 v20, 0xff, v18
	v_and_b32_e32 v26, 0xff00, v18
	v_or3_b32 v17, v17, 0, 0
	v_and_b32_e32 v27, 0xff000000, v18
	v_and_b32_e32 v18, 0xff0000, v18
	s_delay_alu instid0(VALU_DEP_4) | instskip(SKIP_2) | instid1(VALU_DEP_3)
	v_or3_b32 v20, 0, v20, v26
	v_and_b32_e32 v26, 0xff, v19
	v_or3_b32 v17, v17, 0, 0
	v_or3_b32 v18, v20, v18, v27
	s_delay_alu instid0(VALU_DEP_3)
	v_cmpx_eq_u16_e32 0, v26
	s_cbranch_execz .LBB488_51
.LBB488_49:                             ; =>This Inner Loop Header: Depth=1
	;;#ASMSTART
	global_load_dwordx4 v[17:20], v[15:16] off glc	
s_waitcnt vmcnt(0)
	;;#ASMEND
	v_and_b32_e32 v20, 0xff, v19
	s_delay_alu instid0(VALU_DEP_1) | instskip(SKIP_1) | instid1(SALU_CYCLE_1)
	v_cmp_ne_u16_e32 vcc_lo, 0, v20
	s_or_b32 s16, vcc_lo, s16
	s_and_not1_b32 exec_lo, exec_lo, s16
	s_cbranch_execnz .LBB488_49
; %bb.50:
	s_or_b32 exec_lo, exec_lo, s16
.LBB488_51:
	s_delay_alu instid0(SALU_CYCLE_1)
	s_or_b32 exec_lo, exec_lo, s11
	v_cmp_ne_u32_e32 vcc_lo, 31, v42
	v_and_b32_e32 v16, 0xff, v19
	v_lshlrev_b32_e64 v46, v42, -1
	s_mov_b32 s11, exec_lo
	v_add_co_ci_u32_e32 v15, vcc_lo, 0, v42, vcc_lo
	s_delay_alu instid0(VALU_DEP_3) | instskip(NEXT) | instid1(VALU_DEP_2)
	v_cmp_eq_u16_e32 vcc_lo, 2, v16
	v_dual_mov_b32 v16, v17 :: v_dual_lshlrev_b32 v45, 2, v15
	v_and_or_b32 v15, vcc_lo, v46, 0x80000000
	ds_bpermute_b32 v26, v45, v17
	ds_bpermute_b32 v20, v45, v18
	v_ctz_i32_b32_e32 v15, v15
	s_delay_alu instid0(VALU_DEP_1)
	v_cmpx_lt_u32_e64 v42, v15
	s_cbranch_execz .LBB488_53
; %bb.52:
	s_waitcnt lgkmcnt(1)
	v_add_co_u32 v16, vcc_lo, v17, v26
	v_add_co_ci_u32_e32 v18, vcc_lo, 0, v18, vcc_lo
	s_delay_alu instid0(VALU_DEP_2) | instskip(SKIP_1) | instid1(VALU_DEP_2)
	v_add_co_u32 v17, vcc_lo, 0, v16
	s_waitcnt lgkmcnt(0)
	v_add_co_ci_u32_e32 v18, vcc_lo, v20, v18, vcc_lo
.LBB488_53:
	s_or_b32 exec_lo, exec_lo, s11
	v_cmp_gt_u32_e32 vcc_lo, 30, v42
	v_add_nc_u32_e32 v48, 2, v42
	s_mov_b32 s11, exec_lo
	s_waitcnt lgkmcnt(0)
	v_cndmask_b32_e64 v20, 0, 1, vcc_lo
	s_delay_alu instid0(VALU_DEP_1) | instskip(NEXT) | instid1(VALU_DEP_1)
	v_lshlrev_b32_e32 v20, 1, v20
	v_add_lshl_u32 v47, v20, v42, 2
	ds_bpermute_b32 v26, v47, v16
	ds_bpermute_b32 v20, v47, v18
	v_cmpx_le_u32_e64 v48, v15
	s_cbranch_execz .LBB488_55
; %bb.54:
	s_waitcnt lgkmcnt(1)
	v_add_co_u32 v16, vcc_lo, v17, v26
	v_add_co_ci_u32_e32 v18, vcc_lo, 0, v18, vcc_lo
	s_delay_alu instid0(VALU_DEP_2) | instskip(SKIP_1) | instid1(VALU_DEP_2)
	v_add_co_u32 v17, vcc_lo, 0, v16
	s_waitcnt lgkmcnt(0)
	v_add_co_ci_u32_e32 v18, vcc_lo, v20, v18, vcc_lo
.LBB488_55:
	s_or_b32 exec_lo, exec_lo, s11
	v_cmp_gt_u32_e32 vcc_lo, 28, v42
	v_add_nc_u32_e32 v50, 4, v42
	s_mov_b32 s11, exec_lo
	s_waitcnt lgkmcnt(0)
	v_cndmask_b32_e64 v20, 0, 1, vcc_lo
	s_delay_alu instid0(VALU_DEP_1) | instskip(NEXT) | instid1(VALU_DEP_1)
	v_lshlrev_b32_e32 v20, 2, v20
	v_add_lshl_u32 v49, v20, v42, 2
	ds_bpermute_b32 v26, v49, v16
	ds_bpermute_b32 v20, v49, v18
	v_cmpx_le_u32_e64 v50, v15
	;; [unrolled: 22-line block ×4, first 2 shown]
	s_cbranch_execz .LBB488_61
; %bb.60:
	s_waitcnt lgkmcnt(1)
	v_add_co_u32 v15, vcc_lo, v17, v20
	v_add_co_ci_u32_e32 v18, vcc_lo, 0, v18, vcc_lo
	s_delay_alu instid0(VALU_DEP_2) | instskip(SKIP_1) | instid1(VALU_DEP_2)
	v_add_co_u32 v17, vcc_lo, v15, 0
	s_waitcnt lgkmcnt(0)
	v_add_co_ci_u32_e32 v18, vcc_lo, v18, v16, vcc_lo
.LBB488_61:
	s_or_b32 exec_lo, exec_lo, s11
	v_mov_b32_e32 v26, 0
	s_branch .LBB488_63
.LBB488_62:                             ;   in Loop: Header=BB488_63 Depth=1
	s_or_b32 exec_lo, exec_lo, s11
	v_add_co_u32 v17, vcc_lo, v17, v15
	v_subrev_nc_u32_e32 v25, 32, v25
	v_add_co_ci_u32_e32 v18, vcc_lo, v18, v16, vcc_lo
.LBB488_63:                             ; =>This Loop Header: Depth=1
                                        ;     Child Loop BB488_66 Depth 2
	v_and_b32_e32 v15, 0xff, v19
	s_delay_alu instid0(VALU_DEP_1) | instskip(SKIP_2) | instid1(VALU_DEP_1)
	v_cmp_ne_u16_e32 vcc_lo, 2, v15
	v_cndmask_b32_e64 v15, 0, 1, vcc_lo
	;;#ASMSTART
	;;#ASMEND
	v_cmp_ne_u32_e32 vcc_lo, 0, v15
	s_waitcnt lgkmcnt(0)
	v_dual_mov_b32 v15, v17 :: v_dual_mov_b32 v16, v18
	s_cmp_lg_u32 vcc_lo, exec_lo
	s_cbranch_scc1 .LBB488_78
; %bb.64:                               ;   in Loop: Header=BB488_63 Depth=1
	v_lshlrev_b64 v[17:18], 4, v[25:26]
	s_mov_b32 s11, exec_lo
	s_delay_alu instid0(VALU_DEP_1) | instskip(NEXT) | instid1(VALU_DEP_2)
	v_add_co_u32 v27, vcc_lo, s14, v17
	v_add_co_ci_u32_e32 v28, vcc_lo, s15, v18, vcc_lo
	;;#ASMSTART
	global_load_dwordx4 v[17:20], v[27:28] off glc	
s_waitcnt vmcnt(0)
	;;#ASMEND
	v_and_b32_e32 v20, 0xff, v18
	v_and_b32_e32 v55, 0xff00, v18
	v_or3_b32 v17, v17, 0, 0
	v_and_b32_e32 v56, 0xff000000, v18
	v_and_b32_e32 v18, 0xff0000, v18
	s_delay_alu instid0(VALU_DEP_4) | instskip(SKIP_2) | instid1(VALU_DEP_3)
	v_or3_b32 v20, 0, v20, v55
	v_and_b32_e32 v55, 0xff, v19
	v_or3_b32 v17, v17, 0, 0
	v_or3_b32 v18, v20, v18, v56
	s_delay_alu instid0(VALU_DEP_3)
	v_cmpx_eq_u16_e32 0, v55
	s_cbranch_execz .LBB488_68
; %bb.65:                               ;   in Loop: Header=BB488_63 Depth=1
	s_mov_b32 s16, 0
.LBB488_66:                             ;   Parent Loop BB488_63 Depth=1
                                        ; =>  This Inner Loop Header: Depth=2
	;;#ASMSTART
	global_load_dwordx4 v[17:20], v[27:28] off glc	
s_waitcnt vmcnt(0)
	;;#ASMEND
	v_and_b32_e32 v20, 0xff, v19
	s_delay_alu instid0(VALU_DEP_1) | instskip(SKIP_1) | instid1(SALU_CYCLE_1)
	v_cmp_ne_u16_e32 vcc_lo, 0, v20
	s_or_b32 s16, vcc_lo, s16
	s_and_not1_b32 exec_lo, exec_lo, s16
	s_cbranch_execnz .LBB488_66
; %bb.67:                               ;   in Loop: Header=BB488_63 Depth=1
	s_or_b32 exec_lo, exec_lo, s16
.LBB488_68:                             ;   in Loop: Header=BB488_63 Depth=1
	s_delay_alu instid0(SALU_CYCLE_1)
	s_or_b32 exec_lo, exec_lo, s11
	v_dual_mov_b32 v27, v17 :: v_dual_and_b32 v20, 0xff, v19
	ds_bpermute_b32 v55, v45, v17
	ds_bpermute_b32 v28, v45, v18
	s_mov_b32 s11, exec_lo
	v_cmp_eq_u16_e32 vcc_lo, 2, v20
	v_and_or_b32 v20, vcc_lo, v46, 0x80000000
	s_delay_alu instid0(VALU_DEP_1) | instskip(NEXT) | instid1(VALU_DEP_1)
	v_ctz_i32_b32_e32 v20, v20
	v_cmpx_lt_u32_e64 v42, v20
	s_cbranch_execz .LBB488_70
; %bb.69:                               ;   in Loop: Header=BB488_63 Depth=1
	s_waitcnt lgkmcnt(1)
	v_add_co_u32 v27, vcc_lo, v17, v55
	v_add_co_ci_u32_e32 v18, vcc_lo, 0, v18, vcc_lo
	s_delay_alu instid0(VALU_DEP_2) | instskip(SKIP_1) | instid1(VALU_DEP_2)
	v_add_co_u32 v17, vcc_lo, 0, v27
	s_waitcnt lgkmcnt(0)
	v_add_co_ci_u32_e32 v18, vcc_lo, v28, v18, vcc_lo
.LBB488_70:                             ;   in Loop: Header=BB488_63 Depth=1
	s_or_b32 exec_lo, exec_lo, s11
	s_waitcnt lgkmcnt(1)
	ds_bpermute_b32 v55, v47, v27
	s_waitcnt lgkmcnt(1)
	ds_bpermute_b32 v28, v47, v18
	s_mov_b32 s11, exec_lo
	v_cmpx_le_u32_e64 v48, v20
	s_cbranch_execz .LBB488_72
; %bb.71:                               ;   in Loop: Header=BB488_63 Depth=1
	s_waitcnt lgkmcnt(1)
	v_add_co_u32 v27, vcc_lo, v17, v55
	v_add_co_ci_u32_e32 v18, vcc_lo, 0, v18, vcc_lo
	s_delay_alu instid0(VALU_DEP_2) | instskip(SKIP_1) | instid1(VALU_DEP_2)
	v_add_co_u32 v17, vcc_lo, 0, v27
	s_waitcnt lgkmcnt(0)
	v_add_co_ci_u32_e32 v18, vcc_lo, v28, v18, vcc_lo
.LBB488_72:                             ;   in Loop: Header=BB488_63 Depth=1
	s_or_b32 exec_lo, exec_lo, s11
	s_waitcnt lgkmcnt(1)
	ds_bpermute_b32 v55, v49, v27
	s_waitcnt lgkmcnt(1)
	ds_bpermute_b32 v28, v49, v18
	s_mov_b32 s11, exec_lo
	v_cmpx_le_u32_e64 v50, v20
	;; [unrolled: 17-line block ×3, first 2 shown]
	s_cbranch_execz .LBB488_76
; %bb.75:                               ;   in Loop: Header=BB488_63 Depth=1
	s_waitcnt lgkmcnt(1)
	v_add_co_u32 v27, vcc_lo, v17, v55
	v_add_co_ci_u32_e32 v18, vcc_lo, 0, v18, vcc_lo
	s_delay_alu instid0(VALU_DEP_2) | instskip(SKIP_1) | instid1(VALU_DEP_2)
	v_add_co_u32 v17, vcc_lo, 0, v27
	s_waitcnt lgkmcnt(0)
	v_add_co_ci_u32_e32 v18, vcc_lo, v28, v18, vcc_lo
.LBB488_76:                             ;   in Loop: Header=BB488_63 Depth=1
	s_or_b32 exec_lo, exec_lo, s11
	s_waitcnt lgkmcnt(0)
	ds_bpermute_b32 v28, v53, v27
	ds_bpermute_b32 v27, v53, v18
	s_mov_b32 s11, exec_lo
	v_cmpx_le_u32_e64 v54, v20
	s_cbranch_execz .LBB488_62
; %bb.77:                               ;   in Loop: Header=BB488_63 Depth=1
	s_waitcnt lgkmcnt(1)
	v_add_co_u32 v17, vcc_lo, v17, v28
	v_add_co_ci_u32_e32 v18, vcc_lo, 0, v18, vcc_lo
	s_delay_alu instid0(VALU_DEP_2) | instskip(SKIP_1) | instid1(VALU_DEP_2)
	v_add_co_u32 v17, vcc_lo, v17, 0
	s_waitcnt lgkmcnt(0)
	v_add_co_ci_u32_e32 v18, vcc_lo, v18, v27, vcc_lo
	s_branch .LBB488_62
.LBB488_78:                             ;   in Loop: Header=BB488_63 Depth=1
                                        ; implicit-def: $vgpr17_vgpr18
	s_cbranch_execz .LBB488_63
; %bb.79:
	s_and_saveexec_b32 s11, s1
	s_cbranch_execz .LBB488_81
; %bb.80:
	s_add_i32 s16, s9, 32
	s_mov_b32 s17, 0
	v_add_co_u32 v17, vcc_lo, v15, v13
	s_lshl_b64 s[16:17], s[16:17], 4
	v_dual_mov_b32 v19, 2 :: v_dual_mov_b32 v20, 0
	s_add_u32 s16, s14, s16
	s_addc_u32 s17, s15, s17
	v_add_co_ci_u32_e32 v18, vcc_lo, v16, v14, vcc_lo
	v_dual_mov_b32 v26, s17 :: v_dual_mov_b32 v25, s16
	;;#ASMSTART
	global_store_dwordx4 v[25:26], v[17:20] off	
s_waitcnt vmcnt(0)
	;;#ASMEND
	ds_store_b128 v20, v[13:16] offset:6144
.LBB488_81:
	s_or_b32 exec_lo, exec_lo, s11
	s_delay_alu instid0(SALU_CYCLE_1)
	s_and_b32 exec_lo, exec_lo, s2
	s_cbranch_execz .LBB488_83
; %bb.82:
	v_mov_b32_e32 v13, 0
	ds_store_b64 v13, v[15:16] offset:24
.LBB488_83:
	s_or_b32 exec_lo, exec_lo, s10
	v_mov_b32_e32 v15, 0
	s_waitcnt lgkmcnt(0)
	s_barrier
	buffer_gl0_inv
	v_cndmask_b32_e64 v16, v29, v23, s1
	ds_load_b64 v[13:14], v15 offset:24
	v_cndmask_b32_e64 v17, v30, v24, s1
	s_waitcnt lgkmcnt(0)
	s_barrier
	v_cndmask_b32_e64 v16, v16, 0, s2
	buffer_gl0_inv
	v_cndmask_b32_e64 v17, v17, 0, s2
	v_add_co_u32 v29, vcc_lo, v13, v16
	s_delay_alu instid0(VALU_DEP_2) | instskip(SKIP_3) | instid1(VALU_DEP_2)
	v_add_co_ci_u32_e32 v30, vcc_lo, v14, v17, vcc_lo
	ds_load_b128 v[13:16], v15 offset:6144
	v_add_co_u32 v27, vcc_lo, v29, v41
	v_add_co_ci_u32_e32 v28, vcc_lo, 0, v30, vcc_lo
	v_add_co_u32 v25, vcc_lo, v27, v40
	s_delay_alu instid0(VALU_DEP_2) | instskip(NEXT) | instid1(VALU_DEP_2)
	v_add_co_ci_u32_e32 v26, vcc_lo, 0, v28, vcc_lo
	v_add_co_u32 v23, vcc_lo, v25, v39
	s_delay_alu instid0(VALU_DEP_2) | instskip(NEXT) | instid1(VALU_DEP_2)
	;; [unrolled: 3-line block ×3, first 2 shown]
	v_add_co_ci_u32_e32 v20, vcc_lo, 0, v24, vcc_lo
	v_add_co_u32 v17, vcc_lo, v19, v37
	s_delay_alu instid0(VALU_DEP_2)
	v_add_co_ci_u32_e32 v18, vcc_lo, 0, v20, vcc_lo
.LBB488_84:
	s_waitcnt lgkmcnt(0)
	v_cmp_gt_u64_e32 vcc_lo, 0x81, v[13:14]
	s_mov_b32 s0, -1
	s_cbranch_vccnz .LBB488_112
.LBB488_85:
	s_and_b32 vcc_lo, exec_lo, s0
	s_cbranch_vccnz .LBB488_131
.LBB488_86:
	s_and_b32 s0, s2, s3
	s_delay_alu instid0(SALU_CYCLE_1)
	s_and_saveexec_b32 s1, s0
	s_cbranch_execnz .LBB488_147
.LBB488_87:
	s_nop 0
	s_sendmsg sendmsg(MSG_DEALLOC_VGPRS)
	s_endpgm
.LBB488_88:
                                        ; kill: def $vgpr13_vgpr14 killed $sgpr0_sgpr1 killed $exec
                                        ; implicit-def: $vgpr17_vgpr18
                                        ; implicit-def: $vgpr19_vgpr20
                                        ; implicit-def: $vgpr23_vgpr24
                                        ; implicit-def: $vgpr25_vgpr26
                                        ; implicit-def: $vgpr27_vgpr28
                                        ; implicit-def: $vgpr29_vgpr30
                                        ; implicit-def: $vgpr15_vgpr16
	s_and_b32 vcc_lo, exec_lo, s1
	s_cbranch_vccz .LBB488_84
; %bb.89:
	s_waitcnt lgkmcnt(0)
	v_dual_mov_b32 v14, 0 :: v_dual_mov_b32 v15, v21
	v_mov_b32_dpp v16, v21 row_shr:1 row_mask:0xf bank_mask:0xf
	s_delay_alu instid0(VALU_DEP_2)
	v_mov_b32_dpp v13, v14 row_shr:1 row_mask:0xf bank_mask:0xf
	s_and_saveexec_b32 s1, s0
; %bb.90:
	s_delay_alu instid0(VALU_DEP_2) | instskip(SKIP_1) | instid1(VALU_DEP_2)
	v_add_co_u32 v15, vcc_lo, v21, v16
	v_add_co_ci_u32_e32 v14, vcc_lo, 0, v22, vcc_lo
	v_add_co_u32 v21, vcc_lo, 0, v15
	s_delay_alu instid0(VALU_DEP_2) | instskip(NEXT) | instid1(VALU_DEP_1)
	v_add_co_ci_u32_e32 v22, vcc_lo, v13, v14, vcc_lo
	v_mov_b32_e32 v14, v22
; %bb.91:
	s_or_b32 exec_lo, exec_lo, s1
	v_mov_b32_dpp v13, v15 row_shr:2 row_mask:0xf bank_mask:0xf
	s_delay_alu instid0(VALU_DEP_2)
	v_mov_b32_dpp v16, v14 row_shr:2 row_mask:0xf bank_mask:0xf
	s_mov_b32 s0, exec_lo
	v_cmpx_lt_u32_e32 1, v44
; %bb.92:
	s_delay_alu instid0(VALU_DEP_3) | instskip(SKIP_1) | instid1(VALU_DEP_2)
	v_add_co_u32 v15, vcc_lo, v21, v13
	v_add_co_ci_u32_e32 v14, vcc_lo, 0, v22, vcc_lo
	v_add_co_u32 v13, vcc_lo, 0, v15
	s_delay_alu instid0(VALU_DEP_2) | instskip(NEXT) | instid1(VALU_DEP_1)
	v_add_co_ci_u32_e32 v14, vcc_lo, v16, v14, vcc_lo
	v_dual_mov_b32 v22, v14 :: v_dual_mov_b32 v21, v13
; %bb.93:
	s_or_b32 exec_lo, exec_lo, s0
	v_mov_b32_dpp v13, v15 row_shr:4 row_mask:0xf bank_mask:0xf
	v_mov_b32_dpp v16, v14 row_shr:4 row_mask:0xf bank_mask:0xf
	s_mov_b32 s0, exec_lo
	v_cmpx_lt_u32_e32 3, v44
; %bb.94:
	s_delay_alu instid0(VALU_DEP_3) | instskip(SKIP_1) | instid1(VALU_DEP_2)
	v_add_co_u32 v15, vcc_lo, v21, v13
	v_add_co_ci_u32_e32 v14, vcc_lo, 0, v22, vcc_lo
	v_add_co_u32 v13, vcc_lo, 0, v15
	s_delay_alu instid0(VALU_DEP_2) | instskip(NEXT) | instid1(VALU_DEP_1)
	v_add_co_ci_u32_e32 v14, vcc_lo, v16, v14, vcc_lo
	v_dual_mov_b32 v22, v14 :: v_dual_mov_b32 v21, v13
; %bb.95:
	s_or_b32 exec_lo, exec_lo, s0
	v_mov_b32_dpp v16, v15 row_shr:8 row_mask:0xf bank_mask:0xf
	v_mov_b32_dpp v13, v14 row_shr:8 row_mask:0xf bank_mask:0xf
	s_mov_b32 s0, exec_lo
	v_cmpx_lt_u32_e32 7, v44
; %bb.96:
	s_delay_alu instid0(VALU_DEP_3) | instskip(SKIP_1) | instid1(VALU_DEP_2)
	v_add_co_u32 v15, vcc_lo, v21, v16
	v_add_co_ci_u32_e32 v14, vcc_lo, 0, v22, vcc_lo
	v_add_co_u32 v21, vcc_lo, 0, v15
	s_delay_alu instid0(VALU_DEP_2) | instskip(NEXT) | instid1(VALU_DEP_1)
	v_add_co_ci_u32_e32 v22, vcc_lo, v13, v14, vcc_lo
	v_mov_b32_e32 v14, v22
; %bb.97:
	s_or_b32 exec_lo, exec_lo, s0
	ds_swizzle_b32 v15, v15 offset:swizzle(BROADCAST,32,15)
	ds_swizzle_b32 v13, v14 offset:swizzle(BROADCAST,32,15)
	v_and_b32_e32 v14, 16, v42
	s_mov_b32 s0, exec_lo
	s_delay_alu instid0(VALU_DEP_1)
	v_cmpx_ne_u32_e32 0, v14
	s_cbranch_execz .LBB488_99
; %bb.98:
	s_waitcnt lgkmcnt(1)
	v_add_co_u32 v14, vcc_lo, v21, v15
	v_add_co_ci_u32_e32 v15, vcc_lo, 0, v22, vcc_lo
	s_delay_alu instid0(VALU_DEP_2) | instskip(SKIP_1) | instid1(VALU_DEP_2)
	v_add_co_u32 v21, vcc_lo, v14, 0
	s_waitcnt lgkmcnt(0)
	v_add_co_ci_u32_e32 v22, vcc_lo, v15, v13, vcc_lo
.LBB488_99:
	s_or_b32 exec_lo, exec_lo, s0
	s_waitcnt lgkmcnt(0)
	v_or_b32_e32 v13, 31, v0
	v_lshrrev_b32_e32 v15, 5, v0
	s_mov_b32 s0, exec_lo
	s_delay_alu instid0(VALU_DEP_2)
	v_cmpx_eq_u32_e64 v13, v0
	s_cbranch_execz .LBB488_101
; %bb.100:
	s_delay_alu instid0(VALU_DEP_2)
	v_lshlrev_b32_e32 v13, 3, v15
	ds_store_b64 v13, v[21:22]
.LBB488_101:
	s_or_b32 exec_lo, exec_lo, s0
	s_delay_alu instid0(SALU_CYCLE_1)
	s_mov_b32 s0, exec_lo
	s_waitcnt lgkmcnt(0)
	s_barrier
	buffer_gl0_inv
	v_cmpx_gt_u32_e32 4, v0
	s_cbranch_execz .LBB488_107
; %bb.102:
	v_lshlrev_b32_e32 v13, 1, v0
	s_mov_b32 s1, exec_lo
	s_delay_alu instid0(VALU_DEP_1)
	v_add_nc_u32_e32 v16, v43, v13
	ds_load_b64 v[13:14], v16
	s_waitcnt lgkmcnt(0)
	v_dual_mov_b32 v18, v13 :: v_dual_and_b32 v17, 3, v42
	v_mov_b32_dpp v20, v13 row_shr:1 row_mask:0xf bank_mask:0xf
	v_mov_b32_dpp v19, v14 row_shr:1 row_mask:0xf bank_mask:0xf
	s_delay_alu instid0(VALU_DEP_3)
	v_cmpx_ne_u32_e32 0, v17
; %bb.103:
	s_delay_alu instid0(VALU_DEP_3) | instskip(SKIP_1) | instid1(VALU_DEP_2)
	v_add_co_u32 v18, vcc_lo, v13, v20
	v_add_co_ci_u32_e32 v14, vcc_lo, 0, v14, vcc_lo
	v_add_co_u32 v13, vcc_lo, 0, v18
	s_delay_alu instid0(VALU_DEP_2)
	v_add_co_ci_u32_e32 v14, vcc_lo, v19, v14, vcc_lo
; %bb.104:
	s_or_b32 exec_lo, exec_lo, s1
	v_mov_b32_dpp v19, v18 row_shr:2 row_mask:0xf bank_mask:0xf
	s_delay_alu instid0(VALU_DEP_2)
	v_mov_b32_dpp v18, v14 row_shr:2 row_mask:0xf bank_mask:0xf
	s_mov_b32 s1, exec_lo
	v_cmpx_lt_u32_e32 1, v17
; %bb.105:
	s_delay_alu instid0(VALU_DEP_3) | instskip(SKIP_1) | instid1(VALU_DEP_2)
	v_add_co_u32 v13, vcc_lo, v13, v19
	v_add_co_ci_u32_e32 v14, vcc_lo, 0, v14, vcc_lo
	v_add_co_u32 v13, vcc_lo, v13, 0
	s_delay_alu instid0(VALU_DEP_2)
	v_add_co_ci_u32_e32 v14, vcc_lo, v14, v18, vcc_lo
; %bb.106:
	s_or_b32 exec_lo, exec_lo, s1
	ds_store_b64 v16, v[13:14]
.LBB488_107:
	s_or_b32 exec_lo, exec_lo, s0
	v_mov_b32_e32 v17, 0
	v_mov_b32_e32 v18, 0
	s_mov_b32 s0, exec_lo
	s_waitcnt lgkmcnt(0)
	s_barrier
	buffer_gl0_inv
	v_cmpx_lt_u32_e32 31, v0
	s_cbranch_execz .LBB488_109
; %bb.108:
	v_lshl_add_u32 v13, v15, 3, -8
	ds_load_b64 v[17:18], v13
.LBB488_109:
	s_or_b32 exec_lo, exec_lo, s0
	v_dual_mov_b32 v16, 0 :: v_dual_add_nc_u32 v13, -1, v42
	s_delay_alu instid0(VALU_DEP_1) | instskip(SKIP_4) | instid1(VALU_DEP_3)
	v_cmp_gt_i32_e32 vcc_lo, 0, v13
	v_cndmask_b32_e32 v13, v13, v42, vcc_lo
	s_waitcnt lgkmcnt(0)
	v_add_co_u32 v14, vcc_lo, v17, v21
	v_add_co_ci_u32_e32 v15, vcc_lo, v18, v22, vcc_lo
	v_lshlrev_b32_e32 v13, 2, v13
	ds_bpermute_b32 v19, v13, v14
	ds_bpermute_b32 v20, v13, v15
	ds_load_b64 v[13:14], v16 offset:24
	s_and_saveexec_b32 s0, s2
	s_cbranch_execz .LBB488_111
; %bb.110:
	s_add_u32 s10, s14, 0x200
	s_addc_u32 s11, s15, 0
	s_delay_alu instid0(SALU_CYCLE_1)
	v_dual_mov_b32 v15, 2 :: v_dual_mov_b32 v22, s11
	v_mov_b32_e32 v21, s10
	s_waitcnt lgkmcnt(0)
	;;#ASMSTART
	global_store_dwordx4 v[21:22], v[13:16] off	
s_waitcnt vmcnt(0)
	;;#ASMEND
.LBB488_111:
	s_or_b32 exec_lo, exec_lo, s0
	v_cmp_eq_u32_e32 vcc_lo, 0, v42
	s_waitcnt lgkmcnt(0)
	s_barrier
	buffer_gl0_inv
	v_dual_cndmask_b32 v15, v19, v17 :: v_dual_cndmask_b32 v16, v20, v18
	s_delay_alu instid0(VALU_DEP_1) | instskip(NEXT) | instid1(VALU_DEP_2)
	v_cndmask_b32_e64 v29, v15, 0, s2
	v_cndmask_b32_e64 v30, v16, 0, s2
	v_mov_b32_e32 v15, 0
	v_mov_b32_e32 v16, 0
	s_delay_alu instid0(VALU_DEP_4) | instskip(NEXT) | instid1(VALU_DEP_4)
	v_add_co_u32 v27, vcc_lo, v29, v41
	v_add_co_ci_u32_e32 v28, vcc_lo, 0, v30, vcc_lo
	s_delay_alu instid0(VALU_DEP_2) | instskip(NEXT) | instid1(VALU_DEP_2)
	v_add_co_u32 v25, vcc_lo, v27, v40
	v_add_co_ci_u32_e32 v26, vcc_lo, 0, v28, vcc_lo
	s_delay_alu instid0(VALU_DEP_2) | instskip(NEXT) | instid1(VALU_DEP_2)
	;; [unrolled: 3-line block ×4, first 2 shown]
	v_add_co_u32 v17, vcc_lo, v19, v37
	v_add_co_ci_u32_e32 v18, vcc_lo, 0, v20, vcc_lo
	v_cmp_gt_u64_e32 vcc_lo, 0x81, v[13:14]
	s_mov_b32 s0, -1
	s_cbranch_vccz .LBB488_85
.LBB488_112:
	v_add_co_u32 v21, vcc_lo, v15, v13
	v_add_co_ci_u32_e32 v22, vcc_lo, v16, v14, vcc_lo
	s_delay_alu instid0(VALU_DEP_1) | instskip(SKIP_1) | instid1(SALU_CYCLE_1)
	v_cmp_lt_u64_e32 vcc_lo, v[29:30], v[21:22]
	s_or_b32 s1, s8, vcc_lo
	s_and_saveexec_b32 s0, s1
	s_cbranch_execz .LBB488_115
; %bb.113:
	v_and_b32_e32 v37, 1, v36
	s_delay_alu instid0(VALU_DEP_1)
	v_cmp_eq_u32_e32 vcc_lo, 1, v37
	s_and_b32 exec_lo, exec_lo, vcc_lo
	s_cbranch_execz .LBB488_115
; %bb.114:
	v_lshlrev_b64 v[37:38], 3, v[29:30]
	s_lshl_b64 s[10:11], s[6:7], 3
	s_delay_alu instid0(SALU_CYCLE_1) | instskip(SKIP_1) | instid1(VALU_DEP_1)
	s_add_u32 s1, s12, s10
	s_addc_u32 s9, s13, s11
	v_add_co_u32 v37, vcc_lo, s1, v37
	s_delay_alu instid0(VALU_DEP_2)
	v_add_co_ci_u32_e32 v38, vcc_lo, s9, v38, vcc_lo
	global_store_b64 v[37:38], v[9:10], off
.LBB488_115:
	s_or_b32 exec_lo, exec_lo, s0
	v_cmp_lt_u64_e32 vcc_lo, v[27:28], v[21:22]
	s_or_b32 s1, s8, vcc_lo
	s_delay_alu instid0(SALU_CYCLE_1)
	s_and_saveexec_b32 s0, s1
	s_cbranch_execz .LBB488_118
; %bb.116:
	v_and_b32_e32 v30, 1, v34
	s_delay_alu instid0(VALU_DEP_1)
	v_cmp_eq_u32_e32 vcc_lo, 1, v30
	s_and_b32 exec_lo, exec_lo, vcc_lo
	s_cbranch_execz .LBB488_118
; %bb.117:
	v_lshlrev_b64 v[37:38], 3, v[27:28]
	s_lshl_b64 s[10:11], s[6:7], 3
	s_delay_alu instid0(SALU_CYCLE_1) | instskip(SKIP_1) | instid1(VALU_DEP_1)
	s_add_u32 s1, s12, s10
	s_addc_u32 s9, s13, s11
	v_add_co_u32 v37, vcc_lo, s1, v37
	s_delay_alu instid0(VALU_DEP_2)
	v_add_co_ci_u32_e32 v38, vcc_lo, s9, v38, vcc_lo
	global_store_b64 v[37:38], v[11:12], off
.LBB488_118:
	s_or_b32 exec_lo, exec_lo, s0
	v_cmp_lt_u64_e32 vcc_lo, v[25:26], v[21:22]
	s_or_b32 s1, s8, vcc_lo
	s_delay_alu instid0(SALU_CYCLE_1)
	;; [unrolled: 23-line block ×5, first 2 shown]
	s_and_saveexec_b32 s0, s1
	s_cbranch_execz .LBB488_130
; %bb.128:
	v_and_b32_e32 v20, 1, v32
	s_delay_alu instid0(VALU_DEP_1)
	v_cmp_eq_u32_e32 vcc_lo, 1, v20
	s_and_b32 exec_lo, exec_lo, vcc_lo
	s_cbranch_execz .LBB488_130
; %bb.129:
	v_lshlrev_b64 v[20:21], 3, v[17:18]
	s_lshl_b64 s[8:9], s[6:7], 3
	s_delay_alu instid0(SALU_CYCLE_1) | instskip(SKIP_1) | instid1(VALU_DEP_1)
	s_add_u32 s1, s12, s8
	s_addc_u32 s8, s13, s9
	v_add_co_u32 v20, vcc_lo, s1, v20
	s_delay_alu instid0(VALU_DEP_2)
	v_add_co_ci_u32_e32 v21, vcc_lo, s8, v21, vcc_lo
	global_store_b64 v[20:21], v[3:4], off
.LBB488_130:
	s_or_b32 exec_lo, exec_lo, s0
	s_branch .LBB488_86
.LBB488_131:
	v_and_b32_e32 v18, 1, v36
	s_mov_b32 s0, exec_lo
	s_delay_alu instid0(VALU_DEP_1)
	v_cmpx_eq_u32_e32 1, v18
	s_cbranch_execz .LBB488_133
; %bb.132:
	v_sub_nc_u32_e32 v18, v29, v15
	s_delay_alu instid0(VALU_DEP_1)
	v_lshlrev_b32_e32 v18, 3, v18
	ds_store_b64 v18, v[9:10]
.LBB488_133:
	s_or_b32 exec_lo, exec_lo, s0
	v_and_b32_e32 v9, 1, v34
	s_mov_b32 s0, exec_lo
	s_delay_alu instid0(VALU_DEP_1)
	v_cmpx_eq_u32_e32 1, v9
	s_cbranch_execz .LBB488_135
; %bb.134:
	v_sub_nc_u32_e32 v9, v27, v15
	s_delay_alu instid0(VALU_DEP_1)
	v_lshlrev_b32_e32 v9, 3, v9
	ds_store_b64 v9, v[11:12]
.LBB488_135:
	s_or_b32 exec_lo, exec_lo, s0
	v_and_b32_e32 v9, 1, v33
	s_mov_b32 s0, exec_lo
	s_delay_alu instid0(VALU_DEP_1)
	v_cmpx_eq_u32_e32 1, v9
	s_cbranch_execz .LBB488_137
; %bb.136:
	v_sub_nc_u32_e32 v9, v25, v15
	s_delay_alu instid0(VALU_DEP_1)
	v_lshlrev_b32_e32 v9, 3, v9
	ds_store_b64 v9, v[5:6]
.LBB488_137:
	s_or_b32 exec_lo, exec_lo, s0
	v_and_b32_e32 v5, 1, v35
	s_mov_b32 s0, exec_lo
	s_delay_alu instid0(VALU_DEP_1)
	v_cmpx_eq_u32_e32 1, v5
	s_cbranch_execz .LBB488_139
; %bb.138:
	v_sub_nc_u32_e32 v5, v23, v15
	s_delay_alu instid0(VALU_DEP_1)
	v_lshlrev_b32_e32 v5, 3, v5
	ds_store_b64 v5, v[7:8]
.LBB488_139:
	s_or_b32 exec_lo, exec_lo, s0
	v_and_b32_e32 v5, 1, v31
	s_mov_b32 s0, exec_lo
	s_delay_alu instid0(VALU_DEP_1)
	v_cmpx_eq_u32_e32 1, v5
	s_cbranch_execz .LBB488_141
; %bb.140:
	v_sub_nc_u32_e32 v5, v19, v15
	s_delay_alu instid0(VALU_DEP_1)
	v_lshlrev_b32_e32 v5, 3, v5
	ds_store_b64 v5, v[1:2]
.LBB488_141:
	s_or_b32 exec_lo, exec_lo, s0
	v_and_b32_e32 v1, 1, v32
	s_mov_b32 s0, exec_lo
	s_delay_alu instid0(VALU_DEP_1)
	v_cmpx_eq_u32_e32 1, v1
	s_cbranch_execz .LBB488_143
; %bb.142:
	v_sub_nc_u32_e32 v1, v17, v15
	s_delay_alu instid0(VALU_DEP_1)
	v_lshlrev_b32_e32 v1, 3, v1
	ds_store_b64 v1, v[3:4]
.LBB488_143:
	s_or_b32 exec_lo, exec_lo, s0
	v_mov_b32_e32 v1, 0
	s_mov_b32 s1, exec_lo
	s_waitcnt lgkmcnt(0)
	s_waitcnt_vscnt null, 0x0
	s_barrier
	buffer_gl0_inv
	v_cmpx_gt_u64_e64 v[13:14], v[0:1]
	s_cbranch_execz .LBB488_146
; %bb.144:
	v_lshlrev_b64 v[4:5], 3, v[15:16]
	s_lshl_b64 s[8:9], s[6:7], 3
	v_dual_mov_b32 v3, v1 :: v_dual_mov_b32 v2, v0
	v_or_b32_e32 v0, 0x80, v0
	s_delay_alu instid0(VALU_DEP_3) | instskip(NEXT) | instid1(VALU_DEP_4)
	v_add_co_u32 v4, vcc_lo, s12, v4
	v_add_co_ci_u32_e32 v5, vcc_lo, s13, v5, vcc_lo
	s_delay_alu instid0(VALU_DEP_2) | instskip(NEXT) | instid1(VALU_DEP_2)
	v_add_co_u32 v4, vcc_lo, v4, s8
	v_add_co_ci_u32_e32 v5, vcc_lo, s9, v5, vcc_lo
	s_mov_b32 s8, 0
	.p2align	6
.LBB488_145:                            ; =>This Inner Loop Header: Depth=1
	v_lshlrev_b32_e32 v6, 3, v2
	v_lshlrev_b64 v[8:9], 3, v[2:3]
	v_mov_b32_e32 v3, v1
	v_cmp_le_u64_e32 vcc_lo, v[13:14], v[0:1]
	v_mov_b32_e32 v2, v0
	ds_load_b64 v[6:7], v6
	v_add_nc_u32_e32 v0, 0x80, v0
	v_add_co_u32 v8, s0, v4, v8
	s_delay_alu instid0(VALU_DEP_1)
	v_add_co_ci_u32_e64 v9, s0, v5, v9, s0
	s_or_b32 s8, vcc_lo, s8
	s_waitcnt lgkmcnt(0)
	global_store_b64 v[8:9], v[6:7], off
	s_and_not1_b32 exec_lo, exec_lo, s8
	s_cbranch_execnz .LBB488_145
.LBB488_146:
	s_or_b32 exec_lo, exec_lo, s1
	s_and_b32 s0, s2, s3
	s_delay_alu instid0(SALU_CYCLE_1)
	s_and_saveexec_b32 s1, s0
	s_cbranch_execz .LBB488_87
.LBB488_147:
	v_add_co_u32 v0, vcc_lo, v15, v13
	v_add_co_ci_u32_e32 v1, vcc_lo, v16, v14, vcc_lo
	v_mov_b32_e32 v2, 0
	s_delay_alu instid0(VALU_DEP_3) | instskip(NEXT) | instid1(VALU_DEP_3)
	v_add_co_u32 v0, vcc_lo, v0, s6
	v_add_co_ci_u32_e32 v1, vcc_lo, s7, v1, vcc_lo
	global_store_b64 v2, v[0:1], s[4:5]
	s_nop 0
	s_sendmsg sendmsg(MSG_DEALLOC_VGPRS)
	s_endpgm
	.section	.rodata,"a",@progbits
	.p2align	6, 0x0
	.amdhsa_kernel _ZN7rocprim17ROCPRIM_400000_NS6detail17trampoline_kernelINS0_14default_configENS1_25partition_config_selectorILNS1_17partition_subalgoE5ElNS0_10empty_typeEbEEZZNS1_14partition_implILS5_5ELb0ES3_mN6hipcub16HIPCUB_304000_NS21CountingInputIteratorIllEEPS6_NSA_22TransformInputIteratorIbN2at6native12_GLOBAL__N_19NonZeroOpIfEEPKflEENS0_5tupleIJPlS6_EEENSN_IJSD_SD_EEES6_PiJS6_EEE10hipError_tPvRmT3_T4_T5_T6_T7_T9_mT8_P12ihipStream_tbDpT10_ENKUlT_T0_E_clISt17integral_constantIbLb0EES1A_IbLb1EEEEDaS16_S17_EUlS16_E_NS1_11comp_targetILNS1_3genE9ELNS1_11target_archE1100ELNS1_3gpuE3ELNS1_3repE0EEENS1_30default_config_static_selectorELNS0_4arch9wavefront6targetE0EEEvT1_
		.amdhsa_group_segment_fixed_size 6160
		.amdhsa_private_segment_fixed_size 0
		.amdhsa_kernarg_size 136
		.amdhsa_user_sgpr_count 15
		.amdhsa_user_sgpr_dispatch_ptr 0
		.amdhsa_user_sgpr_queue_ptr 0
		.amdhsa_user_sgpr_kernarg_segment_ptr 1
		.amdhsa_user_sgpr_dispatch_id 0
		.amdhsa_user_sgpr_private_segment_size 0
		.amdhsa_wavefront_size32 1
		.amdhsa_uses_dynamic_stack 0
		.amdhsa_enable_private_segment 0
		.amdhsa_system_sgpr_workgroup_id_x 1
		.amdhsa_system_sgpr_workgroup_id_y 0
		.amdhsa_system_sgpr_workgroup_id_z 0
		.amdhsa_system_sgpr_workgroup_info 0
		.amdhsa_system_vgpr_workitem_id 0
		.amdhsa_next_free_vgpr 57
		.amdhsa_next_free_sgpr 24
		.amdhsa_reserve_vcc 1
		.amdhsa_float_round_mode_32 0
		.amdhsa_float_round_mode_16_64 0
		.amdhsa_float_denorm_mode_32 3
		.amdhsa_float_denorm_mode_16_64 3
		.amdhsa_dx10_clamp 1
		.amdhsa_ieee_mode 1
		.amdhsa_fp16_overflow 0
		.amdhsa_workgroup_processor_mode 1
		.amdhsa_memory_ordered 1
		.amdhsa_forward_progress 0
		.amdhsa_shared_vgpr_count 0
		.amdhsa_exception_fp_ieee_invalid_op 0
		.amdhsa_exception_fp_denorm_src 0
		.amdhsa_exception_fp_ieee_div_zero 0
		.amdhsa_exception_fp_ieee_overflow 0
		.amdhsa_exception_fp_ieee_underflow 0
		.amdhsa_exception_fp_ieee_inexact 0
		.amdhsa_exception_int_div_zero 0
	.end_amdhsa_kernel
	.section	.text._ZN7rocprim17ROCPRIM_400000_NS6detail17trampoline_kernelINS0_14default_configENS1_25partition_config_selectorILNS1_17partition_subalgoE5ElNS0_10empty_typeEbEEZZNS1_14partition_implILS5_5ELb0ES3_mN6hipcub16HIPCUB_304000_NS21CountingInputIteratorIllEEPS6_NSA_22TransformInputIteratorIbN2at6native12_GLOBAL__N_19NonZeroOpIfEEPKflEENS0_5tupleIJPlS6_EEENSN_IJSD_SD_EEES6_PiJS6_EEE10hipError_tPvRmT3_T4_T5_T6_T7_T9_mT8_P12ihipStream_tbDpT10_ENKUlT_T0_E_clISt17integral_constantIbLb0EES1A_IbLb1EEEEDaS16_S17_EUlS16_E_NS1_11comp_targetILNS1_3genE9ELNS1_11target_archE1100ELNS1_3gpuE3ELNS1_3repE0EEENS1_30default_config_static_selectorELNS0_4arch9wavefront6targetE0EEEvT1_,"axG",@progbits,_ZN7rocprim17ROCPRIM_400000_NS6detail17trampoline_kernelINS0_14default_configENS1_25partition_config_selectorILNS1_17partition_subalgoE5ElNS0_10empty_typeEbEEZZNS1_14partition_implILS5_5ELb0ES3_mN6hipcub16HIPCUB_304000_NS21CountingInputIteratorIllEEPS6_NSA_22TransformInputIteratorIbN2at6native12_GLOBAL__N_19NonZeroOpIfEEPKflEENS0_5tupleIJPlS6_EEENSN_IJSD_SD_EEES6_PiJS6_EEE10hipError_tPvRmT3_T4_T5_T6_T7_T9_mT8_P12ihipStream_tbDpT10_ENKUlT_T0_E_clISt17integral_constantIbLb0EES1A_IbLb1EEEEDaS16_S17_EUlS16_E_NS1_11comp_targetILNS1_3genE9ELNS1_11target_archE1100ELNS1_3gpuE3ELNS1_3repE0EEENS1_30default_config_static_selectorELNS0_4arch9wavefront6targetE0EEEvT1_,comdat
.Lfunc_end488:
	.size	_ZN7rocprim17ROCPRIM_400000_NS6detail17trampoline_kernelINS0_14default_configENS1_25partition_config_selectorILNS1_17partition_subalgoE5ElNS0_10empty_typeEbEEZZNS1_14partition_implILS5_5ELb0ES3_mN6hipcub16HIPCUB_304000_NS21CountingInputIteratorIllEEPS6_NSA_22TransformInputIteratorIbN2at6native12_GLOBAL__N_19NonZeroOpIfEEPKflEENS0_5tupleIJPlS6_EEENSN_IJSD_SD_EEES6_PiJS6_EEE10hipError_tPvRmT3_T4_T5_T6_T7_T9_mT8_P12ihipStream_tbDpT10_ENKUlT_T0_E_clISt17integral_constantIbLb0EES1A_IbLb1EEEEDaS16_S17_EUlS16_E_NS1_11comp_targetILNS1_3genE9ELNS1_11target_archE1100ELNS1_3gpuE3ELNS1_3repE0EEENS1_30default_config_static_selectorELNS0_4arch9wavefront6targetE0EEEvT1_, .Lfunc_end488-_ZN7rocprim17ROCPRIM_400000_NS6detail17trampoline_kernelINS0_14default_configENS1_25partition_config_selectorILNS1_17partition_subalgoE5ElNS0_10empty_typeEbEEZZNS1_14partition_implILS5_5ELb0ES3_mN6hipcub16HIPCUB_304000_NS21CountingInputIteratorIllEEPS6_NSA_22TransformInputIteratorIbN2at6native12_GLOBAL__N_19NonZeroOpIfEEPKflEENS0_5tupleIJPlS6_EEENSN_IJSD_SD_EEES6_PiJS6_EEE10hipError_tPvRmT3_T4_T5_T6_T7_T9_mT8_P12ihipStream_tbDpT10_ENKUlT_T0_E_clISt17integral_constantIbLb0EES1A_IbLb1EEEEDaS16_S17_EUlS16_E_NS1_11comp_targetILNS1_3genE9ELNS1_11target_archE1100ELNS1_3gpuE3ELNS1_3repE0EEENS1_30default_config_static_selectorELNS0_4arch9wavefront6targetE0EEEvT1_
                                        ; -- End function
	.section	.AMDGPU.csdata,"",@progbits
; Kernel info:
; codeLenInByte = 6480
; NumSgprs: 26
; NumVgprs: 57
; ScratchSize: 0
; MemoryBound: 0
; FloatMode: 240
; IeeeMode: 1
; LDSByteSize: 6160 bytes/workgroup (compile time only)
; SGPRBlocks: 3
; VGPRBlocks: 7
; NumSGPRsForWavesPerEU: 26
; NumVGPRsForWavesPerEU: 57
; Occupancy: 16
; WaveLimiterHint : 1
; COMPUTE_PGM_RSRC2:SCRATCH_EN: 0
; COMPUTE_PGM_RSRC2:USER_SGPR: 15
; COMPUTE_PGM_RSRC2:TRAP_HANDLER: 0
; COMPUTE_PGM_RSRC2:TGID_X_EN: 1
; COMPUTE_PGM_RSRC2:TGID_Y_EN: 0
; COMPUTE_PGM_RSRC2:TGID_Z_EN: 0
; COMPUTE_PGM_RSRC2:TIDIG_COMP_CNT: 0
	.section	.text._ZN7rocprim17ROCPRIM_400000_NS6detail17trampoline_kernelINS0_14default_configENS1_25partition_config_selectorILNS1_17partition_subalgoE5ElNS0_10empty_typeEbEEZZNS1_14partition_implILS5_5ELb0ES3_mN6hipcub16HIPCUB_304000_NS21CountingInputIteratorIllEEPS6_NSA_22TransformInputIteratorIbN2at6native12_GLOBAL__N_19NonZeroOpIfEEPKflEENS0_5tupleIJPlS6_EEENSN_IJSD_SD_EEES6_PiJS6_EEE10hipError_tPvRmT3_T4_T5_T6_T7_T9_mT8_P12ihipStream_tbDpT10_ENKUlT_T0_E_clISt17integral_constantIbLb0EES1A_IbLb1EEEEDaS16_S17_EUlS16_E_NS1_11comp_targetILNS1_3genE8ELNS1_11target_archE1030ELNS1_3gpuE2ELNS1_3repE0EEENS1_30default_config_static_selectorELNS0_4arch9wavefront6targetE0EEEvT1_,"axG",@progbits,_ZN7rocprim17ROCPRIM_400000_NS6detail17trampoline_kernelINS0_14default_configENS1_25partition_config_selectorILNS1_17partition_subalgoE5ElNS0_10empty_typeEbEEZZNS1_14partition_implILS5_5ELb0ES3_mN6hipcub16HIPCUB_304000_NS21CountingInputIteratorIllEEPS6_NSA_22TransformInputIteratorIbN2at6native12_GLOBAL__N_19NonZeroOpIfEEPKflEENS0_5tupleIJPlS6_EEENSN_IJSD_SD_EEES6_PiJS6_EEE10hipError_tPvRmT3_T4_T5_T6_T7_T9_mT8_P12ihipStream_tbDpT10_ENKUlT_T0_E_clISt17integral_constantIbLb0EES1A_IbLb1EEEEDaS16_S17_EUlS16_E_NS1_11comp_targetILNS1_3genE8ELNS1_11target_archE1030ELNS1_3gpuE2ELNS1_3repE0EEENS1_30default_config_static_selectorELNS0_4arch9wavefront6targetE0EEEvT1_,comdat
	.globl	_ZN7rocprim17ROCPRIM_400000_NS6detail17trampoline_kernelINS0_14default_configENS1_25partition_config_selectorILNS1_17partition_subalgoE5ElNS0_10empty_typeEbEEZZNS1_14partition_implILS5_5ELb0ES3_mN6hipcub16HIPCUB_304000_NS21CountingInputIteratorIllEEPS6_NSA_22TransformInputIteratorIbN2at6native12_GLOBAL__N_19NonZeroOpIfEEPKflEENS0_5tupleIJPlS6_EEENSN_IJSD_SD_EEES6_PiJS6_EEE10hipError_tPvRmT3_T4_T5_T6_T7_T9_mT8_P12ihipStream_tbDpT10_ENKUlT_T0_E_clISt17integral_constantIbLb0EES1A_IbLb1EEEEDaS16_S17_EUlS16_E_NS1_11comp_targetILNS1_3genE8ELNS1_11target_archE1030ELNS1_3gpuE2ELNS1_3repE0EEENS1_30default_config_static_selectorELNS0_4arch9wavefront6targetE0EEEvT1_ ; -- Begin function _ZN7rocprim17ROCPRIM_400000_NS6detail17trampoline_kernelINS0_14default_configENS1_25partition_config_selectorILNS1_17partition_subalgoE5ElNS0_10empty_typeEbEEZZNS1_14partition_implILS5_5ELb0ES3_mN6hipcub16HIPCUB_304000_NS21CountingInputIteratorIllEEPS6_NSA_22TransformInputIteratorIbN2at6native12_GLOBAL__N_19NonZeroOpIfEEPKflEENS0_5tupleIJPlS6_EEENSN_IJSD_SD_EEES6_PiJS6_EEE10hipError_tPvRmT3_T4_T5_T6_T7_T9_mT8_P12ihipStream_tbDpT10_ENKUlT_T0_E_clISt17integral_constantIbLb0EES1A_IbLb1EEEEDaS16_S17_EUlS16_E_NS1_11comp_targetILNS1_3genE8ELNS1_11target_archE1030ELNS1_3gpuE2ELNS1_3repE0EEENS1_30default_config_static_selectorELNS0_4arch9wavefront6targetE0EEEvT1_
	.p2align	8
	.type	_ZN7rocprim17ROCPRIM_400000_NS6detail17trampoline_kernelINS0_14default_configENS1_25partition_config_selectorILNS1_17partition_subalgoE5ElNS0_10empty_typeEbEEZZNS1_14partition_implILS5_5ELb0ES3_mN6hipcub16HIPCUB_304000_NS21CountingInputIteratorIllEEPS6_NSA_22TransformInputIteratorIbN2at6native12_GLOBAL__N_19NonZeroOpIfEEPKflEENS0_5tupleIJPlS6_EEENSN_IJSD_SD_EEES6_PiJS6_EEE10hipError_tPvRmT3_T4_T5_T6_T7_T9_mT8_P12ihipStream_tbDpT10_ENKUlT_T0_E_clISt17integral_constantIbLb0EES1A_IbLb1EEEEDaS16_S17_EUlS16_E_NS1_11comp_targetILNS1_3genE8ELNS1_11target_archE1030ELNS1_3gpuE2ELNS1_3repE0EEENS1_30default_config_static_selectorELNS0_4arch9wavefront6targetE0EEEvT1_,@function
_ZN7rocprim17ROCPRIM_400000_NS6detail17trampoline_kernelINS0_14default_configENS1_25partition_config_selectorILNS1_17partition_subalgoE5ElNS0_10empty_typeEbEEZZNS1_14partition_implILS5_5ELb0ES3_mN6hipcub16HIPCUB_304000_NS21CountingInputIteratorIllEEPS6_NSA_22TransformInputIteratorIbN2at6native12_GLOBAL__N_19NonZeroOpIfEEPKflEENS0_5tupleIJPlS6_EEENSN_IJSD_SD_EEES6_PiJS6_EEE10hipError_tPvRmT3_T4_T5_T6_T7_T9_mT8_P12ihipStream_tbDpT10_ENKUlT_T0_E_clISt17integral_constantIbLb0EES1A_IbLb1EEEEDaS16_S17_EUlS16_E_NS1_11comp_targetILNS1_3genE8ELNS1_11target_archE1030ELNS1_3gpuE2ELNS1_3repE0EEENS1_30default_config_static_selectorELNS0_4arch9wavefront6targetE0EEEvT1_: ; @_ZN7rocprim17ROCPRIM_400000_NS6detail17trampoline_kernelINS0_14default_configENS1_25partition_config_selectorILNS1_17partition_subalgoE5ElNS0_10empty_typeEbEEZZNS1_14partition_implILS5_5ELb0ES3_mN6hipcub16HIPCUB_304000_NS21CountingInputIteratorIllEEPS6_NSA_22TransformInputIteratorIbN2at6native12_GLOBAL__N_19NonZeroOpIfEEPKflEENS0_5tupleIJPlS6_EEENSN_IJSD_SD_EEES6_PiJS6_EEE10hipError_tPvRmT3_T4_T5_T6_T7_T9_mT8_P12ihipStream_tbDpT10_ENKUlT_T0_E_clISt17integral_constantIbLb0EES1A_IbLb1EEEEDaS16_S17_EUlS16_E_NS1_11comp_targetILNS1_3genE8ELNS1_11target_archE1030ELNS1_3gpuE2ELNS1_3repE0EEENS1_30default_config_static_selectorELNS0_4arch9wavefront6targetE0EEEvT1_
; %bb.0:
	.section	.rodata,"a",@progbits
	.p2align	6, 0x0
	.amdhsa_kernel _ZN7rocprim17ROCPRIM_400000_NS6detail17trampoline_kernelINS0_14default_configENS1_25partition_config_selectorILNS1_17partition_subalgoE5ElNS0_10empty_typeEbEEZZNS1_14partition_implILS5_5ELb0ES3_mN6hipcub16HIPCUB_304000_NS21CountingInputIteratorIllEEPS6_NSA_22TransformInputIteratorIbN2at6native12_GLOBAL__N_19NonZeroOpIfEEPKflEENS0_5tupleIJPlS6_EEENSN_IJSD_SD_EEES6_PiJS6_EEE10hipError_tPvRmT3_T4_T5_T6_T7_T9_mT8_P12ihipStream_tbDpT10_ENKUlT_T0_E_clISt17integral_constantIbLb0EES1A_IbLb1EEEEDaS16_S17_EUlS16_E_NS1_11comp_targetILNS1_3genE8ELNS1_11target_archE1030ELNS1_3gpuE2ELNS1_3repE0EEENS1_30default_config_static_selectorELNS0_4arch9wavefront6targetE0EEEvT1_
		.amdhsa_group_segment_fixed_size 0
		.amdhsa_private_segment_fixed_size 0
		.amdhsa_kernarg_size 136
		.amdhsa_user_sgpr_count 15
		.amdhsa_user_sgpr_dispatch_ptr 0
		.amdhsa_user_sgpr_queue_ptr 0
		.amdhsa_user_sgpr_kernarg_segment_ptr 1
		.amdhsa_user_sgpr_dispatch_id 0
		.amdhsa_user_sgpr_private_segment_size 0
		.amdhsa_wavefront_size32 1
		.amdhsa_uses_dynamic_stack 0
		.amdhsa_enable_private_segment 0
		.amdhsa_system_sgpr_workgroup_id_x 1
		.amdhsa_system_sgpr_workgroup_id_y 0
		.amdhsa_system_sgpr_workgroup_id_z 0
		.amdhsa_system_sgpr_workgroup_info 0
		.amdhsa_system_vgpr_workitem_id 0
		.amdhsa_next_free_vgpr 1
		.amdhsa_next_free_sgpr 1
		.amdhsa_reserve_vcc 0
		.amdhsa_float_round_mode_32 0
		.amdhsa_float_round_mode_16_64 0
		.amdhsa_float_denorm_mode_32 3
		.amdhsa_float_denorm_mode_16_64 3
		.amdhsa_dx10_clamp 1
		.amdhsa_ieee_mode 1
		.amdhsa_fp16_overflow 0
		.amdhsa_workgroup_processor_mode 1
		.amdhsa_memory_ordered 1
		.amdhsa_forward_progress 0
		.amdhsa_shared_vgpr_count 0
		.amdhsa_exception_fp_ieee_invalid_op 0
		.amdhsa_exception_fp_denorm_src 0
		.amdhsa_exception_fp_ieee_div_zero 0
		.amdhsa_exception_fp_ieee_overflow 0
		.amdhsa_exception_fp_ieee_underflow 0
		.amdhsa_exception_fp_ieee_inexact 0
		.amdhsa_exception_int_div_zero 0
	.end_amdhsa_kernel
	.section	.text._ZN7rocprim17ROCPRIM_400000_NS6detail17trampoline_kernelINS0_14default_configENS1_25partition_config_selectorILNS1_17partition_subalgoE5ElNS0_10empty_typeEbEEZZNS1_14partition_implILS5_5ELb0ES3_mN6hipcub16HIPCUB_304000_NS21CountingInputIteratorIllEEPS6_NSA_22TransformInputIteratorIbN2at6native12_GLOBAL__N_19NonZeroOpIfEEPKflEENS0_5tupleIJPlS6_EEENSN_IJSD_SD_EEES6_PiJS6_EEE10hipError_tPvRmT3_T4_T5_T6_T7_T9_mT8_P12ihipStream_tbDpT10_ENKUlT_T0_E_clISt17integral_constantIbLb0EES1A_IbLb1EEEEDaS16_S17_EUlS16_E_NS1_11comp_targetILNS1_3genE8ELNS1_11target_archE1030ELNS1_3gpuE2ELNS1_3repE0EEENS1_30default_config_static_selectorELNS0_4arch9wavefront6targetE0EEEvT1_,"axG",@progbits,_ZN7rocprim17ROCPRIM_400000_NS6detail17trampoline_kernelINS0_14default_configENS1_25partition_config_selectorILNS1_17partition_subalgoE5ElNS0_10empty_typeEbEEZZNS1_14partition_implILS5_5ELb0ES3_mN6hipcub16HIPCUB_304000_NS21CountingInputIteratorIllEEPS6_NSA_22TransformInputIteratorIbN2at6native12_GLOBAL__N_19NonZeroOpIfEEPKflEENS0_5tupleIJPlS6_EEENSN_IJSD_SD_EEES6_PiJS6_EEE10hipError_tPvRmT3_T4_T5_T6_T7_T9_mT8_P12ihipStream_tbDpT10_ENKUlT_T0_E_clISt17integral_constantIbLb0EES1A_IbLb1EEEEDaS16_S17_EUlS16_E_NS1_11comp_targetILNS1_3genE8ELNS1_11target_archE1030ELNS1_3gpuE2ELNS1_3repE0EEENS1_30default_config_static_selectorELNS0_4arch9wavefront6targetE0EEEvT1_,comdat
.Lfunc_end489:
	.size	_ZN7rocprim17ROCPRIM_400000_NS6detail17trampoline_kernelINS0_14default_configENS1_25partition_config_selectorILNS1_17partition_subalgoE5ElNS0_10empty_typeEbEEZZNS1_14partition_implILS5_5ELb0ES3_mN6hipcub16HIPCUB_304000_NS21CountingInputIteratorIllEEPS6_NSA_22TransformInputIteratorIbN2at6native12_GLOBAL__N_19NonZeroOpIfEEPKflEENS0_5tupleIJPlS6_EEENSN_IJSD_SD_EEES6_PiJS6_EEE10hipError_tPvRmT3_T4_T5_T6_T7_T9_mT8_P12ihipStream_tbDpT10_ENKUlT_T0_E_clISt17integral_constantIbLb0EES1A_IbLb1EEEEDaS16_S17_EUlS16_E_NS1_11comp_targetILNS1_3genE8ELNS1_11target_archE1030ELNS1_3gpuE2ELNS1_3repE0EEENS1_30default_config_static_selectorELNS0_4arch9wavefront6targetE0EEEvT1_, .Lfunc_end489-_ZN7rocprim17ROCPRIM_400000_NS6detail17trampoline_kernelINS0_14default_configENS1_25partition_config_selectorILNS1_17partition_subalgoE5ElNS0_10empty_typeEbEEZZNS1_14partition_implILS5_5ELb0ES3_mN6hipcub16HIPCUB_304000_NS21CountingInputIteratorIllEEPS6_NSA_22TransformInputIteratorIbN2at6native12_GLOBAL__N_19NonZeroOpIfEEPKflEENS0_5tupleIJPlS6_EEENSN_IJSD_SD_EEES6_PiJS6_EEE10hipError_tPvRmT3_T4_T5_T6_T7_T9_mT8_P12ihipStream_tbDpT10_ENKUlT_T0_E_clISt17integral_constantIbLb0EES1A_IbLb1EEEEDaS16_S17_EUlS16_E_NS1_11comp_targetILNS1_3genE8ELNS1_11target_archE1030ELNS1_3gpuE2ELNS1_3repE0EEENS1_30default_config_static_selectorELNS0_4arch9wavefront6targetE0EEEvT1_
                                        ; -- End function
	.section	.AMDGPU.csdata,"",@progbits
; Kernel info:
; codeLenInByte = 0
; NumSgprs: 0
; NumVgprs: 0
; ScratchSize: 0
; MemoryBound: 0
; FloatMode: 240
; IeeeMode: 1
; LDSByteSize: 0 bytes/workgroup (compile time only)
; SGPRBlocks: 0
; VGPRBlocks: 0
; NumSGPRsForWavesPerEU: 1
; NumVGPRsForWavesPerEU: 1
; Occupancy: 16
; WaveLimiterHint : 0
; COMPUTE_PGM_RSRC2:SCRATCH_EN: 0
; COMPUTE_PGM_RSRC2:USER_SGPR: 15
; COMPUTE_PGM_RSRC2:TRAP_HANDLER: 0
; COMPUTE_PGM_RSRC2:TGID_X_EN: 1
; COMPUTE_PGM_RSRC2:TGID_Y_EN: 0
; COMPUTE_PGM_RSRC2:TGID_Z_EN: 0
; COMPUTE_PGM_RSRC2:TIDIG_COMP_CNT: 0
	.section	.text._ZN7rocprim17ROCPRIM_400000_NS6detail17trampoline_kernelINS0_14default_configENS1_22reduce_config_selectorIiEEZNS1_11reduce_implILb1ES3_PiS7_iN6hipcub16HIPCUB_304000_NS6detail34convert_binary_result_type_wrapperINS9_3SumENS9_22TransformInputIteratorIbN2at6native12_GLOBAL__N_19NonZeroOpIN3c107complexIdEEEEPKSK_lEEiEEEE10hipError_tPvRmT1_T2_T3_mT4_P12ihipStream_tbEUlT_E0_NS1_11comp_targetILNS1_3genE0ELNS1_11target_archE4294967295ELNS1_3gpuE0ELNS1_3repE0EEENS1_30default_config_static_selectorELNS0_4arch9wavefront6targetE0EEEvST_,"axG",@progbits,_ZN7rocprim17ROCPRIM_400000_NS6detail17trampoline_kernelINS0_14default_configENS1_22reduce_config_selectorIiEEZNS1_11reduce_implILb1ES3_PiS7_iN6hipcub16HIPCUB_304000_NS6detail34convert_binary_result_type_wrapperINS9_3SumENS9_22TransformInputIteratorIbN2at6native12_GLOBAL__N_19NonZeroOpIN3c107complexIdEEEEPKSK_lEEiEEEE10hipError_tPvRmT1_T2_T3_mT4_P12ihipStream_tbEUlT_E0_NS1_11comp_targetILNS1_3genE0ELNS1_11target_archE4294967295ELNS1_3gpuE0ELNS1_3repE0EEENS1_30default_config_static_selectorELNS0_4arch9wavefront6targetE0EEEvST_,comdat
	.globl	_ZN7rocprim17ROCPRIM_400000_NS6detail17trampoline_kernelINS0_14default_configENS1_22reduce_config_selectorIiEEZNS1_11reduce_implILb1ES3_PiS7_iN6hipcub16HIPCUB_304000_NS6detail34convert_binary_result_type_wrapperINS9_3SumENS9_22TransformInputIteratorIbN2at6native12_GLOBAL__N_19NonZeroOpIN3c107complexIdEEEEPKSK_lEEiEEEE10hipError_tPvRmT1_T2_T3_mT4_P12ihipStream_tbEUlT_E0_NS1_11comp_targetILNS1_3genE0ELNS1_11target_archE4294967295ELNS1_3gpuE0ELNS1_3repE0EEENS1_30default_config_static_selectorELNS0_4arch9wavefront6targetE0EEEvST_ ; -- Begin function _ZN7rocprim17ROCPRIM_400000_NS6detail17trampoline_kernelINS0_14default_configENS1_22reduce_config_selectorIiEEZNS1_11reduce_implILb1ES3_PiS7_iN6hipcub16HIPCUB_304000_NS6detail34convert_binary_result_type_wrapperINS9_3SumENS9_22TransformInputIteratorIbN2at6native12_GLOBAL__N_19NonZeroOpIN3c107complexIdEEEEPKSK_lEEiEEEE10hipError_tPvRmT1_T2_T3_mT4_P12ihipStream_tbEUlT_E0_NS1_11comp_targetILNS1_3genE0ELNS1_11target_archE4294967295ELNS1_3gpuE0ELNS1_3repE0EEENS1_30default_config_static_selectorELNS0_4arch9wavefront6targetE0EEEvST_
	.p2align	8
	.type	_ZN7rocprim17ROCPRIM_400000_NS6detail17trampoline_kernelINS0_14default_configENS1_22reduce_config_selectorIiEEZNS1_11reduce_implILb1ES3_PiS7_iN6hipcub16HIPCUB_304000_NS6detail34convert_binary_result_type_wrapperINS9_3SumENS9_22TransformInputIteratorIbN2at6native12_GLOBAL__N_19NonZeroOpIN3c107complexIdEEEEPKSK_lEEiEEEE10hipError_tPvRmT1_T2_T3_mT4_P12ihipStream_tbEUlT_E0_NS1_11comp_targetILNS1_3genE0ELNS1_11target_archE4294967295ELNS1_3gpuE0ELNS1_3repE0EEENS1_30default_config_static_selectorELNS0_4arch9wavefront6targetE0EEEvST_,@function
_ZN7rocprim17ROCPRIM_400000_NS6detail17trampoline_kernelINS0_14default_configENS1_22reduce_config_selectorIiEEZNS1_11reduce_implILb1ES3_PiS7_iN6hipcub16HIPCUB_304000_NS6detail34convert_binary_result_type_wrapperINS9_3SumENS9_22TransformInputIteratorIbN2at6native12_GLOBAL__N_19NonZeroOpIN3c107complexIdEEEEPKSK_lEEiEEEE10hipError_tPvRmT1_T2_T3_mT4_P12ihipStream_tbEUlT_E0_NS1_11comp_targetILNS1_3genE0ELNS1_11target_archE4294967295ELNS1_3gpuE0ELNS1_3repE0EEENS1_30default_config_static_selectorELNS0_4arch9wavefront6targetE0EEEvST_: ; @_ZN7rocprim17ROCPRIM_400000_NS6detail17trampoline_kernelINS0_14default_configENS1_22reduce_config_selectorIiEEZNS1_11reduce_implILb1ES3_PiS7_iN6hipcub16HIPCUB_304000_NS6detail34convert_binary_result_type_wrapperINS9_3SumENS9_22TransformInputIteratorIbN2at6native12_GLOBAL__N_19NonZeroOpIN3c107complexIdEEEEPKSK_lEEiEEEE10hipError_tPvRmT1_T2_T3_mT4_P12ihipStream_tbEUlT_E0_NS1_11comp_targetILNS1_3genE0ELNS1_11target_archE4294967295ELNS1_3gpuE0ELNS1_3repE0EEENS1_30default_config_static_selectorELNS0_4arch9wavefront6targetE0EEEvST_
; %bb.0:
	.section	.rodata,"a",@progbits
	.p2align	6, 0x0
	.amdhsa_kernel _ZN7rocprim17ROCPRIM_400000_NS6detail17trampoline_kernelINS0_14default_configENS1_22reduce_config_selectorIiEEZNS1_11reduce_implILb1ES3_PiS7_iN6hipcub16HIPCUB_304000_NS6detail34convert_binary_result_type_wrapperINS9_3SumENS9_22TransformInputIteratorIbN2at6native12_GLOBAL__N_19NonZeroOpIN3c107complexIdEEEEPKSK_lEEiEEEE10hipError_tPvRmT1_T2_T3_mT4_P12ihipStream_tbEUlT_E0_NS1_11comp_targetILNS1_3genE0ELNS1_11target_archE4294967295ELNS1_3gpuE0ELNS1_3repE0EEENS1_30default_config_static_selectorELNS0_4arch9wavefront6targetE0EEEvST_
		.amdhsa_group_segment_fixed_size 0
		.amdhsa_private_segment_fixed_size 0
		.amdhsa_kernarg_size 56
		.amdhsa_user_sgpr_count 15
		.amdhsa_user_sgpr_dispatch_ptr 0
		.amdhsa_user_sgpr_queue_ptr 0
		.amdhsa_user_sgpr_kernarg_segment_ptr 1
		.amdhsa_user_sgpr_dispatch_id 0
		.amdhsa_user_sgpr_private_segment_size 0
		.amdhsa_wavefront_size32 1
		.amdhsa_uses_dynamic_stack 0
		.amdhsa_enable_private_segment 0
		.amdhsa_system_sgpr_workgroup_id_x 1
		.amdhsa_system_sgpr_workgroup_id_y 0
		.amdhsa_system_sgpr_workgroup_id_z 0
		.amdhsa_system_sgpr_workgroup_info 0
		.amdhsa_system_vgpr_workitem_id 0
		.amdhsa_next_free_vgpr 1
		.amdhsa_next_free_sgpr 1
		.amdhsa_reserve_vcc 0
		.amdhsa_float_round_mode_32 0
		.amdhsa_float_round_mode_16_64 0
		.amdhsa_float_denorm_mode_32 3
		.amdhsa_float_denorm_mode_16_64 3
		.amdhsa_dx10_clamp 1
		.amdhsa_ieee_mode 1
		.amdhsa_fp16_overflow 0
		.amdhsa_workgroup_processor_mode 1
		.amdhsa_memory_ordered 1
		.amdhsa_forward_progress 0
		.amdhsa_shared_vgpr_count 0
		.amdhsa_exception_fp_ieee_invalid_op 0
		.amdhsa_exception_fp_denorm_src 0
		.amdhsa_exception_fp_ieee_div_zero 0
		.amdhsa_exception_fp_ieee_overflow 0
		.amdhsa_exception_fp_ieee_underflow 0
		.amdhsa_exception_fp_ieee_inexact 0
		.amdhsa_exception_int_div_zero 0
	.end_amdhsa_kernel
	.section	.text._ZN7rocprim17ROCPRIM_400000_NS6detail17trampoline_kernelINS0_14default_configENS1_22reduce_config_selectorIiEEZNS1_11reduce_implILb1ES3_PiS7_iN6hipcub16HIPCUB_304000_NS6detail34convert_binary_result_type_wrapperINS9_3SumENS9_22TransformInputIteratorIbN2at6native12_GLOBAL__N_19NonZeroOpIN3c107complexIdEEEEPKSK_lEEiEEEE10hipError_tPvRmT1_T2_T3_mT4_P12ihipStream_tbEUlT_E0_NS1_11comp_targetILNS1_3genE0ELNS1_11target_archE4294967295ELNS1_3gpuE0ELNS1_3repE0EEENS1_30default_config_static_selectorELNS0_4arch9wavefront6targetE0EEEvST_,"axG",@progbits,_ZN7rocprim17ROCPRIM_400000_NS6detail17trampoline_kernelINS0_14default_configENS1_22reduce_config_selectorIiEEZNS1_11reduce_implILb1ES3_PiS7_iN6hipcub16HIPCUB_304000_NS6detail34convert_binary_result_type_wrapperINS9_3SumENS9_22TransformInputIteratorIbN2at6native12_GLOBAL__N_19NonZeroOpIN3c107complexIdEEEEPKSK_lEEiEEEE10hipError_tPvRmT1_T2_T3_mT4_P12ihipStream_tbEUlT_E0_NS1_11comp_targetILNS1_3genE0ELNS1_11target_archE4294967295ELNS1_3gpuE0ELNS1_3repE0EEENS1_30default_config_static_selectorELNS0_4arch9wavefront6targetE0EEEvST_,comdat
.Lfunc_end490:
	.size	_ZN7rocprim17ROCPRIM_400000_NS6detail17trampoline_kernelINS0_14default_configENS1_22reduce_config_selectorIiEEZNS1_11reduce_implILb1ES3_PiS7_iN6hipcub16HIPCUB_304000_NS6detail34convert_binary_result_type_wrapperINS9_3SumENS9_22TransformInputIteratorIbN2at6native12_GLOBAL__N_19NonZeroOpIN3c107complexIdEEEEPKSK_lEEiEEEE10hipError_tPvRmT1_T2_T3_mT4_P12ihipStream_tbEUlT_E0_NS1_11comp_targetILNS1_3genE0ELNS1_11target_archE4294967295ELNS1_3gpuE0ELNS1_3repE0EEENS1_30default_config_static_selectorELNS0_4arch9wavefront6targetE0EEEvST_, .Lfunc_end490-_ZN7rocprim17ROCPRIM_400000_NS6detail17trampoline_kernelINS0_14default_configENS1_22reduce_config_selectorIiEEZNS1_11reduce_implILb1ES3_PiS7_iN6hipcub16HIPCUB_304000_NS6detail34convert_binary_result_type_wrapperINS9_3SumENS9_22TransformInputIteratorIbN2at6native12_GLOBAL__N_19NonZeroOpIN3c107complexIdEEEEPKSK_lEEiEEEE10hipError_tPvRmT1_T2_T3_mT4_P12ihipStream_tbEUlT_E0_NS1_11comp_targetILNS1_3genE0ELNS1_11target_archE4294967295ELNS1_3gpuE0ELNS1_3repE0EEENS1_30default_config_static_selectorELNS0_4arch9wavefront6targetE0EEEvST_
                                        ; -- End function
	.section	.AMDGPU.csdata,"",@progbits
; Kernel info:
; codeLenInByte = 0
; NumSgprs: 0
; NumVgprs: 0
; ScratchSize: 0
; MemoryBound: 0
; FloatMode: 240
; IeeeMode: 1
; LDSByteSize: 0 bytes/workgroup (compile time only)
; SGPRBlocks: 0
; VGPRBlocks: 0
; NumSGPRsForWavesPerEU: 1
; NumVGPRsForWavesPerEU: 1
; Occupancy: 16
; WaveLimiterHint : 0
; COMPUTE_PGM_RSRC2:SCRATCH_EN: 0
; COMPUTE_PGM_RSRC2:USER_SGPR: 15
; COMPUTE_PGM_RSRC2:TRAP_HANDLER: 0
; COMPUTE_PGM_RSRC2:TGID_X_EN: 1
; COMPUTE_PGM_RSRC2:TGID_Y_EN: 0
; COMPUTE_PGM_RSRC2:TGID_Z_EN: 0
; COMPUTE_PGM_RSRC2:TIDIG_COMP_CNT: 0
	.section	.text._ZN7rocprim17ROCPRIM_400000_NS6detail17trampoline_kernelINS0_14default_configENS1_22reduce_config_selectorIiEEZNS1_11reduce_implILb1ES3_PiS7_iN6hipcub16HIPCUB_304000_NS6detail34convert_binary_result_type_wrapperINS9_3SumENS9_22TransformInputIteratorIbN2at6native12_GLOBAL__N_19NonZeroOpIN3c107complexIdEEEEPKSK_lEEiEEEE10hipError_tPvRmT1_T2_T3_mT4_P12ihipStream_tbEUlT_E0_NS1_11comp_targetILNS1_3genE5ELNS1_11target_archE942ELNS1_3gpuE9ELNS1_3repE0EEENS1_30default_config_static_selectorELNS0_4arch9wavefront6targetE0EEEvST_,"axG",@progbits,_ZN7rocprim17ROCPRIM_400000_NS6detail17trampoline_kernelINS0_14default_configENS1_22reduce_config_selectorIiEEZNS1_11reduce_implILb1ES3_PiS7_iN6hipcub16HIPCUB_304000_NS6detail34convert_binary_result_type_wrapperINS9_3SumENS9_22TransformInputIteratorIbN2at6native12_GLOBAL__N_19NonZeroOpIN3c107complexIdEEEEPKSK_lEEiEEEE10hipError_tPvRmT1_T2_T3_mT4_P12ihipStream_tbEUlT_E0_NS1_11comp_targetILNS1_3genE5ELNS1_11target_archE942ELNS1_3gpuE9ELNS1_3repE0EEENS1_30default_config_static_selectorELNS0_4arch9wavefront6targetE0EEEvST_,comdat
	.globl	_ZN7rocprim17ROCPRIM_400000_NS6detail17trampoline_kernelINS0_14default_configENS1_22reduce_config_selectorIiEEZNS1_11reduce_implILb1ES3_PiS7_iN6hipcub16HIPCUB_304000_NS6detail34convert_binary_result_type_wrapperINS9_3SumENS9_22TransformInputIteratorIbN2at6native12_GLOBAL__N_19NonZeroOpIN3c107complexIdEEEEPKSK_lEEiEEEE10hipError_tPvRmT1_T2_T3_mT4_P12ihipStream_tbEUlT_E0_NS1_11comp_targetILNS1_3genE5ELNS1_11target_archE942ELNS1_3gpuE9ELNS1_3repE0EEENS1_30default_config_static_selectorELNS0_4arch9wavefront6targetE0EEEvST_ ; -- Begin function _ZN7rocprim17ROCPRIM_400000_NS6detail17trampoline_kernelINS0_14default_configENS1_22reduce_config_selectorIiEEZNS1_11reduce_implILb1ES3_PiS7_iN6hipcub16HIPCUB_304000_NS6detail34convert_binary_result_type_wrapperINS9_3SumENS9_22TransformInputIteratorIbN2at6native12_GLOBAL__N_19NonZeroOpIN3c107complexIdEEEEPKSK_lEEiEEEE10hipError_tPvRmT1_T2_T3_mT4_P12ihipStream_tbEUlT_E0_NS1_11comp_targetILNS1_3genE5ELNS1_11target_archE942ELNS1_3gpuE9ELNS1_3repE0EEENS1_30default_config_static_selectorELNS0_4arch9wavefront6targetE0EEEvST_
	.p2align	8
	.type	_ZN7rocprim17ROCPRIM_400000_NS6detail17trampoline_kernelINS0_14default_configENS1_22reduce_config_selectorIiEEZNS1_11reduce_implILb1ES3_PiS7_iN6hipcub16HIPCUB_304000_NS6detail34convert_binary_result_type_wrapperINS9_3SumENS9_22TransformInputIteratorIbN2at6native12_GLOBAL__N_19NonZeroOpIN3c107complexIdEEEEPKSK_lEEiEEEE10hipError_tPvRmT1_T2_T3_mT4_P12ihipStream_tbEUlT_E0_NS1_11comp_targetILNS1_3genE5ELNS1_11target_archE942ELNS1_3gpuE9ELNS1_3repE0EEENS1_30default_config_static_selectorELNS0_4arch9wavefront6targetE0EEEvST_,@function
_ZN7rocprim17ROCPRIM_400000_NS6detail17trampoline_kernelINS0_14default_configENS1_22reduce_config_selectorIiEEZNS1_11reduce_implILb1ES3_PiS7_iN6hipcub16HIPCUB_304000_NS6detail34convert_binary_result_type_wrapperINS9_3SumENS9_22TransformInputIteratorIbN2at6native12_GLOBAL__N_19NonZeroOpIN3c107complexIdEEEEPKSK_lEEiEEEE10hipError_tPvRmT1_T2_T3_mT4_P12ihipStream_tbEUlT_E0_NS1_11comp_targetILNS1_3genE5ELNS1_11target_archE942ELNS1_3gpuE9ELNS1_3repE0EEENS1_30default_config_static_selectorELNS0_4arch9wavefront6targetE0EEEvST_: ; @_ZN7rocprim17ROCPRIM_400000_NS6detail17trampoline_kernelINS0_14default_configENS1_22reduce_config_selectorIiEEZNS1_11reduce_implILb1ES3_PiS7_iN6hipcub16HIPCUB_304000_NS6detail34convert_binary_result_type_wrapperINS9_3SumENS9_22TransformInputIteratorIbN2at6native12_GLOBAL__N_19NonZeroOpIN3c107complexIdEEEEPKSK_lEEiEEEE10hipError_tPvRmT1_T2_T3_mT4_P12ihipStream_tbEUlT_E0_NS1_11comp_targetILNS1_3genE5ELNS1_11target_archE942ELNS1_3gpuE9ELNS1_3repE0EEENS1_30default_config_static_selectorELNS0_4arch9wavefront6targetE0EEEvST_
; %bb.0:
	.section	.rodata,"a",@progbits
	.p2align	6, 0x0
	.amdhsa_kernel _ZN7rocprim17ROCPRIM_400000_NS6detail17trampoline_kernelINS0_14default_configENS1_22reduce_config_selectorIiEEZNS1_11reduce_implILb1ES3_PiS7_iN6hipcub16HIPCUB_304000_NS6detail34convert_binary_result_type_wrapperINS9_3SumENS9_22TransformInputIteratorIbN2at6native12_GLOBAL__N_19NonZeroOpIN3c107complexIdEEEEPKSK_lEEiEEEE10hipError_tPvRmT1_T2_T3_mT4_P12ihipStream_tbEUlT_E0_NS1_11comp_targetILNS1_3genE5ELNS1_11target_archE942ELNS1_3gpuE9ELNS1_3repE0EEENS1_30default_config_static_selectorELNS0_4arch9wavefront6targetE0EEEvST_
		.amdhsa_group_segment_fixed_size 0
		.amdhsa_private_segment_fixed_size 0
		.amdhsa_kernarg_size 56
		.amdhsa_user_sgpr_count 15
		.amdhsa_user_sgpr_dispatch_ptr 0
		.amdhsa_user_sgpr_queue_ptr 0
		.amdhsa_user_sgpr_kernarg_segment_ptr 1
		.amdhsa_user_sgpr_dispatch_id 0
		.amdhsa_user_sgpr_private_segment_size 0
		.amdhsa_wavefront_size32 1
		.amdhsa_uses_dynamic_stack 0
		.amdhsa_enable_private_segment 0
		.amdhsa_system_sgpr_workgroup_id_x 1
		.amdhsa_system_sgpr_workgroup_id_y 0
		.amdhsa_system_sgpr_workgroup_id_z 0
		.amdhsa_system_sgpr_workgroup_info 0
		.amdhsa_system_vgpr_workitem_id 0
		.amdhsa_next_free_vgpr 1
		.amdhsa_next_free_sgpr 1
		.amdhsa_reserve_vcc 0
		.amdhsa_float_round_mode_32 0
		.amdhsa_float_round_mode_16_64 0
		.amdhsa_float_denorm_mode_32 3
		.amdhsa_float_denorm_mode_16_64 3
		.amdhsa_dx10_clamp 1
		.amdhsa_ieee_mode 1
		.amdhsa_fp16_overflow 0
		.amdhsa_workgroup_processor_mode 1
		.amdhsa_memory_ordered 1
		.amdhsa_forward_progress 0
		.amdhsa_shared_vgpr_count 0
		.amdhsa_exception_fp_ieee_invalid_op 0
		.amdhsa_exception_fp_denorm_src 0
		.amdhsa_exception_fp_ieee_div_zero 0
		.amdhsa_exception_fp_ieee_overflow 0
		.amdhsa_exception_fp_ieee_underflow 0
		.amdhsa_exception_fp_ieee_inexact 0
		.amdhsa_exception_int_div_zero 0
	.end_amdhsa_kernel
	.section	.text._ZN7rocprim17ROCPRIM_400000_NS6detail17trampoline_kernelINS0_14default_configENS1_22reduce_config_selectorIiEEZNS1_11reduce_implILb1ES3_PiS7_iN6hipcub16HIPCUB_304000_NS6detail34convert_binary_result_type_wrapperINS9_3SumENS9_22TransformInputIteratorIbN2at6native12_GLOBAL__N_19NonZeroOpIN3c107complexIdEEEEPKSK_lEEiEEEE10hipError_tPvRmT1_T2_T3_mT4_P12ihipStream_tbEUlT_E0_NS1_11comp_targetILNS1_3genE5ELNS1_11target_archE942ELNS1_3gpuE9ELNS1_3repE0EEENS1_30default_config_static_selectorELNS0_4arch9wavefront6targetE0EEEvST_,"axG",@progbits,_ZN7rocprim17ROCPRIM_400000_NS6detail17trampoline_kernelINS0_14default_configENS1_22reduce_config_selectorIiEEZNS1_11reduce_implILb1ES3_PiS7_iN6hipcub16HIPCUB_304000_NS6detail34convert_binary_result_type_wrapperINS9_3SumENS9_22TransformInputIteratorIbN2at6native12_GLOBAL__N_19NonZeroOpIN3c107complexIdEEEEPKSK_lEEiEEEE10hipError_tPvRmT1_T2_T3_mT4_P12ihipStream_tbEUlT_E0_NS1_11comp_targetILNS1_3genE5ELNS1_11target_archE942ELNS1_3gpuE9ELNS1_3repE0EEENS1_30default_config_static_selectorELNS0_4arch9wavefront6targetE0EEEvST_,comdat
.Lfunc_end491:
	.size	_ZN7rocprim17ROCPRIM_400000_NS6detail17trampoline_kernelINS0_14default_configENS1_22reduce_config_selectorIiEEZNS1_11reduce_implILb1ES3_PiS7_iN6hipcub16HIPCUB_304000_NS6detail34convert_binary_result_type_wrapperINS9_3SumENS9_22TransformInputIteratorIbN2at6native12_GLOBAL__N_19NonZeroOpIN3c107complexIdEEEEPKSK_lEEiEEEE10hipError_tPvRmT1_T2_T3_mT4_P12ihipStream_tbEUlT_E0_NS1_11comp_targetILNS1_3genE5ELNS1_11target_archE942ELNS1_3gpuE9ELNS1_3repE0EEENS1_30default_config_static_selectorELNS0_4arch9wavefront6targetE0EEEvST_, .Lfunc_end491-_ZN7rocprim17ROCPRIM_400000_NS6detail17trampoline_kernelINS0_14default_configENS1_22reduce_config_selectorIiEEZNS1_11reduce_implILb1ES3_PiS7_iN6hipcub16HIPCUB_304000_NS6detail34convert_binary_result_type_wrapperINS9_3SumENS9_22TransformInputIteratorIbN2at6native12_GLOBAL__N_19NonZeroOpIN3c107complexIdEEEEPKSK_lEEiEEEE10hipError_tPvRmT1_T2_T3_mT4_P12ihipStream_tbEUlT_E0_NS1_11comp_targetILNS1_3genE5ELNS1_11target_archE942ELNS1_3gpuE9ELNS1_3repE0EEENS1_30default_config_static_selectorELNS0_4arch9wavefront6targetE0EEEvST_
                                        ; -- End function
	.section	.AMDGPU.csdata,"",@progbits
; Kernel info:
; codeLenInByte = 0
; NumSgprs: 0
; NumVgprs: 0
; ScratchSize: 0
; MemoryBound: 0
; FloatMode: 240
; IeeeMode: 1
; LDSByteSize: 0 bytes/workgroup (compile time only)
; SGPRBlocks: 0
; VGPRBlocks: 0
; NumSGPRsForWavesPerEU: 1
; NumVGPRsForWavesPerEU: 1
; Occupancy: 16
; WaveLimiterHint : 0
; COMPUTE_PGM_RSRC2:SCRATCH_EN: 0
; COMPUTE_PGM_RSRC2:USER_SGPR: 15
; COMPUTE_PGM_RSRC2:TRAP_HANDLER: 0
; COMPUTE_PGM_RSRC2:TGID_X_EN: 1
; COMPUTE_PGM_RSRC2:TGID_Y_EN: 0
; COMPUTE_PGM_RSRC2:TGID_Z_EN: 0
; COMPUTE_PGM_RSRC2:TIDIG_COMP_CNT: 0
	.section	.text._ZN7rocprim17ROCPRIM_400000_NS6detail17trampoline_kernelINS0_14default_configENS1_22reduce_config_selectorIiEEZNS1_11reduce_implILb1ES3_PiS7_iN6hipcub16HIPCUB_304000_NS6detail34convert_binary_result_type_wrapperINS9_3SumENS9_22TransformInputIteratorIbN2at6native12_GLOBAL__N_19NonZeroOpIN3c107complexIdEEEEPKSK_lEEiEEEE10hipError_tPvRmT1_T2_T3_mT4_P12ihipStream_tbEUlT_E0_NS1_11comp_targetILNS1_3genE4ELNS1_11target_archE910ELNS1_3gpuE8ELNS1_3repE0EEENS1_30default_config_static_selectorELNS0_4arch9wavefront6targetE0EEEvST_,"axG",@progbits,_ZN7rocprim17ROCPRIM_400000_NS6detail17trampoline_kernelINS0_14default_configENS1_22reduce_config_selectorIiEEZNS1_11reduce_implILb1ES3_PiS7_iN6hipcub16HIPCUB_304000_NS6detail34convert_binary_result_type_wrapperINS9_3SumENS9_22TransformInputIteratorIbN2at6native12_GLOBAL__N_19NonZeroOpIN3c107complexIdEEEEPKSK_lEEiEEEE10hipError_tPvRmT1_T2_T3_mT4_P12ihipStream_tbEUlT_E0_NS1_11comp_targetILNS1_3genE4ELNS1_11target_archE910ELNS1_3gpuE8ELNS1_3repE0EEENS1_30default_config_static_selectorELNS0_4arch9wavefront6targetE0EEEvST_,comdat
	.globl	_ZN7rocprim17ROCPRIM_400000_NS6detail17trampoline_kernelINS0_14default_configENS1_22reduce_config_selectorIiEEZNS1_11reduce_implILb1ES3_PiS7_iN6hipcub16HIPCUB_304000_NS6detail34convert_binary_result_type_wrapperINS9_3SumENS9_22TransformInputIteratorIbN2at6native12_GLOBAL__N_19NonZeroOpIN3c107complexIdEEEEPKSK_lEEiEEEE10hipError_tPvRmT1_T2_T3_mT4_P12ihipStream_tbEUlT_E0_NS1_11comp_targetILNS1_3genE4ELNS1_11target_archE910ELNS1_3gpuE8ELNS1_3repE0EEENS1_30default_config_static_selectorELNS0_4arch9wavefront6targetE0EEEvST_ ; -- Begin function _ZN7rocprim17ROCPRIM_400000_NS6detail17trampoline_kernelINS0_14default_configENS1_22reduce_config_selectorIiEEZNS1_11reduce_implILb1ES3_PiS7_iN6hipcub16HIPCUB_304000_NS6detail34convert_binary_result_type_wrapperINS9_3SumENS9_22TransformInputIteratorIbN2at6native12_GLOBAL__N_19NonZeroOpIN3c107complexIdEEEEPKSK_lEEiEEEE10hipError_tPvRmT1_T2_T3_mT4_P12ihipStream_tbEUlT_E0_NS1_11comp_targetILNS1_3genE4ELNS1_11target_archE910ELNS1_3gpuE8ELNS1_3repE0EEENS1_30default_config_static_selectorELNS0_4arch9wavefront6targetE0EEEvST_
	.p2align	8
	.type	_ZN7rocprim17ROCPRIM_400000_NS6detail17trampoline_kernelINS0_14default_configENS1_22reduce_config_selectorIiEEZNS1_11reduce_implILb1ES3_PiS7_iN6hipcub16HIPCUB_304000_NS6detail34convert_binary_result_type_wrapperINS9_3SumENS9_22TransformInputIteratorIbN2at6native12_GLOBAL__N_19NonZeroOpIN3c107complexIdEEEEPKSK_lEEiEEEE10hipError_tPvRmT1_T2_T3_mT4_P12ihipStream_tbEUlT_E0_NS1_11comp_targetILNS1_3genE4ELNS1_11target_archE910ELNS1_3gpuE8ELNS1_3repE0EEENS1_30default_config_static_selectorELNS0_4arch9wavefront6targetE0EEEvST_,@function
_ZN7rocprim17ROCPRIM_400000_NS6detail17trampoline_kernelINS0_14default_configENS1_22reduce_config_selectorIiEEZNS1_11reduce_implILb1ES3_PiS7_iN6hipcub16HIPCUB_304000_NS6detail34convert_binary_result_type_wrapperINS9_3SumENS9_22TransformInputIteratorIbN2at6native12_GLOBAL__N_19NonZeroOpIN3c107complexIdEEEEPKSK_lEEiEEEE10hipError_tPvRmT1_T2_T3_mT4_P12ihipStream_tbEUlT_E0_NS1_11comp_targetILNS1_3genE4ELNS1_11target_archE910ELNS1_3gpuE8ELNS1_3repE0EEENS1_30default_config_static_selectorELNS0_4arch9wavefront6targetE0EEEvST_: ; @_ZN7rocprim17ROCPRIM_400000_NS6detail17trampoline_kernelINS0_14default_configENS1_22reduce_config_selectorIiEEZNS1_11reduce_implILb1ES3_PiS7_iN6hipcub16HIPCUB_304000_NS6detail34convert_binary_result_type_wrapperINS9_3SumENS9_22TransformInputIteratorIbN2at6native12_GLOBAL__N_19NonZeroOpIN3c107complexIdEEEEPKSK_lEEiEEEE10hipError_tPvRmT1_T2_T3_mT4_P12ihipStream_tbEUlT_E0_NS1_11comp_targetILNS1_3genE4ELNS1_11target_archE910ELNS1_3gpuE8ELNS1_3repE0EEENS1_30default_config_static_selectorELNS0_4arch9wavefront6targetE0EEEvST_
; %bb.0:
	.section	.rodata,"a",@progbits
	.p2align	6, 0x0
	.amdhsa_kernel _ZN7rocprim17ROCPRIM_400000_NS6detail17trampoline_kernelINS0_14default_configENS1_22reduce_config_selectorIiEEZNS1_11reduce_implILb1ES3_PiS7_iN6hipcub16HIPCUB_304000_NS6detail34convert_binary_result_type_wrapperINS9_3SumENS9_22TransformInputIteratorIbN2at6native12_GLOBAL__N_19NonZeroOpIN3c107complexIdEEEEPKSK_lEEiEEEE10hipError_tPvRmT1_T2_T3_mT4_P12ihipStream_tbEUlT_E0_NS1_11comp_targetILNS1_3genE4ELNS1_11target_archE910ELNS1_3gpuE8ELNS1_3repE0EEENS1_30default_config_static_selectorELNS0_4arch9wavefront6targetE0EEEvST_
		.amdhsa_group_segment_fixed_size 0
		.amdhsa_private_segment_fixed_size 0
		.amdhsa_kernarg_size 56
		.amdhsa_user_sgpr_count 15
		.amdhsa_user_sgpr_dispatch_ptr 0
		.amdhsa_user_sgpr_queue_ptr 0
		.amdhsa_user_sgpr_kernarg_segment_ptr 1
		.amdhsa_user_sgpr_dispatch_id 0
		.amdhsa_user_sgpr_private_segment_size 0
		.amdhsa_wavefront_size32 1
		.amdhsa_uses_dynamic_stack 0
		.amdhsa_enable_private_segment 0
		.amdhsa_system_sgpr_workgroup_id_x 1
		.amdhsa_system_sgpr_workgroup_id_y 0
		.amdhsa_system_sgpr_workgroup_id_z 0
		.amdhsa_system_sgpr_workgroup_info 0
		.amdhsa_system_vgpr_workitem_id 0
		.amdhsa_next_free_vgpr 1
		.amdhsa_next_free_sgpr 1
		.amdhsa_reserve_vcc 0
		.amdhsa_float_round_mode_32 0
		.amdhsa_float_round_mode_16_64 0
		.amdhsa_float_denorm_mode_32 3
		.amdhsa_float_denorm_mode_16_64 3
		.amdhsa_dx10_clamp 1
		.amdhsa_ieee_mode 1
		.amdhsa_fp16_overflow 0
		.amdhsa_workgroup_processor_mode 1
		.amdhsa_memory_ordered 1
		.amdhsa_forward_progress 0
		.amdhsa_shared_vgpr_count 0
		.amdhsa_exception_fp_ieee_invalid_op 0
		.amdhsa_exception_fp_denorm_src 0
		.amdhsa_exception_fp_ieee_div_zero 0
		.amdhsa_exception_fp_ieee_overflow 0
		.amdhsa_exception_fp_ieee_underflow 0
		.amdhsa_exception_fp_ieee_inexact 0
		.amdhsa_exception_int_div_zero 0
	.end_amdhsa_kernel
	.section	.text._ZN7rocprim17ROCPRIM_400000_NS6detail17trampoline_kernelINS0_14default_configENS1_22reduce_config_selectorIiEEZNS1_11reduce_implILb1ES3_PiS7_iN6hipcub16HIPCUB_304000_NS6detail34convert_binary_result_type_wrapperINS9_3SumENS9_22TransformInputIteratorIbN2at6native12_GLOBAL__N_19NonZeroOpIN3c107complexIdEEEEPKSK_lEEiEEEE10hipError_tPvRmT1_T2_T3_mT4_P12ihipStream_tbEUlT_E0_NS1_11comp_targetILNS1_3genE4ELNS1_11target_archE910ELNS1_3gpuE8ELNS1_3repE0EEENS1_30default_config_static_selectorELNS0_4arch9wavefront6targetE0EEEvST_,"axG",@progbits,_ZN7rocprim17ROCPRIM_400000_NS6detail17trampoline_kernelINS0_14default_configENS1_22reduce_config_selectorIiEEZNS1_11reduce_implILb1ES3_PiS7_iN6hipcub16HIPCUB_304000_NS6detail34convert_binary_result_type_wrapperINS9_3SumENS9_22TransformInputIteratorIbN2at6native12_GLOBAL__N_19NonZeroOpIN3c107complexIdEEEEPKSK_lEEiEEEE10hipError_tPvRmT1_T2_T3_mT4_P12ihipStream_tbEUlT_E0_NS1_11comp_targetILNS1_3genE4ELNS1_11target_archE910ELNS1_3gpuE8ELNS1_3repE0EEENS1_30default_config_static_selectorELNS0_4arch9wavefront6targetE0EEEvST_,comdat
.Lfunc_end492:
	.size	_ZN7rocprim17ROCPRIM_400000_NS6detail17trampoline_kernelINS0_14default_configENS1_22reduce_config_selectorIiEEZNS1_11reduce_implILb1ES3_PiS7_iN6hipcub16HIPCUB_304000_NS6detail34convert_binary_result_type_wrapperINS9_3SumENS9_22TransformInputIteratorIbN2at6native12_GLOBAL__N_19NonZeroOpIN3c107complexIdEEEEPKSK_lEEiEEEE10hipError_tPvRmT1_T2_T3_mT4_P12ihipStream_tbEUlT_E0_NS1_11comp_targetILNS1_3genE4ELNS1_11target_archE910ELNS1_3gpuE8ELNS1_3repE0EEENS1_30default_config_static_selectorELNS0_4arch9wavefront6targetE0EEEvST_, .Lfunc_end492-_ZN7rocprim17ROCPRIM_400000_NS6detail17trampoline_kernelINS0_14default_configENS1_22reduce_config_selectorIiEEZNS1_11reduce_implILb1ES3_PiS7_iN6hipcub16HIPCUB_304000_NS6detail34convert_binary_result_type_wrapperINS9_3SumENS9_22TransformInputIteratorIbN2at6native12_GLOBAL__N_19NonZeroOpIN3c107complexIdEEEEPKSK_lEEiEEEE10hipError_tPvRmT1_T2_T3_mT4_P12ihipStream_tbEUlT_E0_NS1_11comp_targetILNS1_3genE4ELNS1_11target_archE910ELNS1_3gpuE8ELNS1_3repE0EEENS1_30default_config_static_selectorELNS0_4arch9wavefront6targetE0EEEvST_
                                        ; -- End function
	.section	.AMDGPU.csdata,"",@progbits
; Kernel info:
; codeLenInByte = 0
; NumSgprs: 0
; NumVgprs: 0
; ScratchSize: 0
; MemoryBound: 0
; FloatMode: 240
; IeeeMode: 1
; LDSByteSize: 0 bytes/workgroup (compile time only)
; SGPRBlocks: 0
; VGPRBlocks: 0
; NumSGPRsForWavesPerEU: 1
; NumVGPRsForWavesPerEU: 1
; Occupancy: 16
; WaveLimiterHint : 0
; COMPUTE_PGM_RSRC2:SCRATCH_EN: 0
; COMPUTE_PGM_RSRC2:USER_SGPR: 15
; COMPUTE_PGM_RSRC2:TRAP_HANDLER: 0
; COMPUTE_PGM_RSRC2:TGID_X_EN: 1
; COMPUTE_PGM_RSRC2:TGID_Y_EN: 0
; COMPUTE_PGM_RSRC2:TGID_Z_EN: 0
; COMPUTE_PGM_RSRC2:TIDIG_COMP_CNT: 0
	.section	.text._ZN7rocprim17ROCPRIM_400000_NS6detail17trampoline_kernelINS0_14default_configENS1_22reduce_config_selectorIiEEZNS1_11reduce_implILb1ES3_PiS7_iN6hipcub16HIPCUB_304000_NS6detail34convert_binary_result_type_wrapperINS9_3SumENS9_22TransformInputIteratorIbN2at6native12_GLOBAL__N_19NonZeroOpIN3c107complexIdEEEEPKSK_lEEiEEEE10hipError_tPvRmT1_T2_T3_mT4_P12ihipStream_tbEUlT_E0_NS1_11comp_targetILNS1_3genE3ELNS1_11target_archE908ELNS1_3gpuE7ELNS1_3repE0EEENS1_30default_config_static_selectorELNS0_4arch9wavefront6targetE0EEEvST_,"axG",@progbits,_ZN7rocprim17ROCPRIM_400000_NS6detail17trampoline_kernelINS0_14default_configENS1_22reduce_config_selectorIiEEZNS1_11reduce_implILb1ES3_PiS7_iN6hipcub16HIPCUB_304000_NS6detail34convert_binary_result_type_wrapperINS9_3SumENS9_22TransformInputIteratorIbN2at6native12_GLOBAL__N_19NonZeroOpIN3c107complexIdEEEEPKSK_lEEiEEEE10hipError_tPvRmT1_T2_T3_mT4_P12ihipStream_tbEUlT_E0_NS1_11comp_targetILNS1_3genE3ELNS1_11target_archE908ELNS1_3gpuE7ELNS1_3repE0EEENS1_30default_config_static_selectorELNS0_4arch9wavefront6targetE0EEEvST_,comdat
	.globl	_ZN7rocprim17ROCPRIM_400000_NS6detail17trampoline_kernelINS0_14default_configENS1_22reduce_config_selectorIiEEZNS1_11reduce_implILb1ES3_PiS7_iN6hipcub16HIPCUB_304000_NS6detail34convert_binary_result_type_wrapperINS9_3SumENS9_22TransformInputIteratorIbN2at6native12_GLOBAL__N_19NonZeroOpIN3c107complexIdEEEEPKSK_lEEiEEEE10hipError_tPvRmT1_T2_T3_mT4_P12ihipStream_tbEUlT_E0_NS1_11comp_targetILNS1_3genE3ELNS1_11target_archE908ELNS1_3gpuE7ELNS1_3repE0EEENS1_30default_config_static_selectorELNS0_4arch9wavefront6targetE0EEEvST_ ; -- Begin function _ZN7rocprim17ROCPRIM_400000_NS6detail17trampoline_kernelINS0_14default_configENS1_22reduce_config_selectorIiEEZNS1_11reduce_implILb1ES3_PiS7_iN6hipcub16HIPCUB_304000_NS6detail34convert_binary_result_type_wrapperINS9_3SumENS9_22TransformInputIteratorIbN2at6native12_GLOBAL__N_19NonZeroOpIN3c107complexIdEEEEPKSK_lEEiEEEE10hipError_tPvRmT1_T2_T3_mT4_P12ihipStream_tbEUlT_E0_NS1_11comp_targetILNS1_3genE3ELNS1_11target_archE908ELNS1_3gpuE7ELNS1_3repE0EEENS1_30default_config_static_selectorELNS0_4arch9wavefront6targetE0EEEvST_
	.p2align	8
	.type	_ZN7rocprim17ROCPRIM_400000_NS6detail17trampoline_kernelINS0_14default_configENS1_22reduce_config_selectorIiEEZNS1_11reduce_implILb1ES3_PiS7_iN6hipcub16HIPCUB_304000_NS6detail34convert_binary_result_type_wrapperINS9_3SumENS9_22TransformInputIteratorIbN2at6native12_GLOBAL__N_19NonZeroOpIN3c107complexIdEEEEPKSK_lEEiEEEE10hipError_tPvRmT1_T2_T3_mT4_P12ihipStream_tbEUlT_E0_NS1_11comp_targetILNS1_3genE3ELNS1_11target_archE908ELNS1_3gpuE7ELNS1_3repE0EEENS1_30default_config_static_selectorELNS0_4arch9wavefront6targetE0EEEvST_,@function
_ZN7rocprim17ROCPRIM_400000_NS6detail17trampoline_kernelINS0_14default_configENS1_22reduce_config_selectorIiEEZNS1_11reduce_implILb1ES3_PiS7_iN6hipcub16HIPCUB_304000_NS6detail34convert_binary_result_type_wrapperINS9_3SumENS9_22TransformInputIteratorIbN2at6native12_GLOBAL__N_19NonZeroOpIN3c107complexIdEEEEPKSK_lEEiEEEE10hipError_tPvRmT1_T2_T3_mT4_P12ihipStream_tbEUlT_E0_NS1_11comp_targetILNS1_3genE3ELNS1_11target_archE908ELNS1_3gpuE7ELNS1_3repE0EEENS1_30default_config_static_selectorELNS0_4arch9wavefront6targetE0EEEvST_: ; @_ZN7rocprim17ROCPRIM_400000_NS6detail17trampoline_kernelINS0_14default_configENS1_22reduce_config_selectorIiEEZNS1_11reduce_implILb1ES3_PiS7_iN6hipcub16HIPCUB_304000_NS6detail34convert_binary_result_type_wrapperINS9_3SumENS9_22TransformInputIteratorIbN2at6native12_GLOBAL__N_19NonZeroOpIN3c107complexIdEEEEPKSK_lEEiEEEE10hipError_tPvRmT1_T2_T3_mT4_P12ihipStream_tbEUlT_E0_NS1_11comp_targetILNS1_3genE3ELNS1_11target_archE908ELNS1_3gpuE7ELNS1_3repE0EEENS1_30default_config_static_selectorELNS0_4arch9wavefront6targetE0EEEvST_
; %bb.0:
	.section	.rodata,"a",@progbits
	.p2align	6, 0x0
	.amdhsa_kernel _ZN7rocprim17ROCPRIM_400000_NS6detail17trampoline_kernelINS0_14default_configENS1_22reduce_config_selectorIiEEZNS1_11reduce_implILb1ES3_PiS7_iN6hipcub16HIPCUB_304000_NS6detail34convert_binary_result_type_wrapperINS9_3SumENS9_22TransformInputIteratorIbN2at6native12_GLOBAL__N_19NonZeroOpIN3c107complexIdEEEEPKSK_lEEiEEEE10hipError_tPvRmT1_T2_T3_mT4_P12ihipStream_tbEUlT_E0_NS1_11comp_targetILNS1_3genE3ELNS1_11target_archE908ELNS1_3gpuE7ELNS1_3repE0EEENS1_30default_config_static_selectorELNS0_4arch9wavefront6targetE0EEEvST_
		.amdhsa_group_segment_fixed_size 0
		.amdhsa_private_segment_fixed_size 0
		.amdhsa_kernarg_size 56
		.amdhsa_user_sgpr_count 15
		.amdhsa_user_sgpr_dispatch_ptr 0
		.amdhsa_user_sgpr_queue_ptr 0
		.amdhsa_user_sgpr_kernarg_segment_ptr 1
		.amdhsa_user_sgpr_dispatch_id 0
		.amdhsa_user_sgpr_private_segment_size 0
		.amdhsa_wavefront_size32 1
		.amdhsa_uses_dynamic_stack 0
		.amdhsa_enable_private_segment 0
		.amdhsa_system_sgpr_workgroup_id_x 1
		.amdhsa_system_sgpr_workgroup_id_y 0
		.amdhsa_system_sgpr_workgroup_id_z 0
		.amdhsa_system_sgpr_workgroup_info 0
		.amdhsa_system_vgpr_workitem_id 0
		.amdhsa_next_free_vgpr 1
		.amdhsa_next_free_sgpr 1
		.amdhsa_reserve_vcc 0
		.amdhsa_float_round_mode_32 0
		.amdhsa_float_round_mode_16_64 0
		.amdhsa_float_denorm_mode_32 3
		.amdhsa_float_denorm_mode_16_64 3
		.amdhsa_dx10_clamp 1
		.amdhsa_ieee_mode 1
		.amdhsa_fp16_overflow 0
		.amdhsa_workgroup_processor_mode 1
		.amdhsa_memory_ordered 1
		.amdhsa_forward_progress 0
		.amdhsa_shared_vgpr_count 0
		.amdhsa_exception_fp_ieee_invalid_op 0
		.amdhsa_exception_fp_denorm_src 0
		.amdhsa_exception_fp_ieee_div_zero 0
		.amdhsa_exception_fp_ieee_overflow 0
		.amdhsa_exception_fp_ieee_underflow 0
		.amdhsa_exception_fp_ieee_inexact 0
		.amdhsa_exception_int_div_zero 0
	.end_amdhsa_kernel
	.section	.text._ZN7rocprim17ROCPRIM_400000_NS6detail17trampoline_kernelINS0_14default_configENS1_22reduce_config_selectorIiEEZNS1_11reduce_implILb1ES3_PiS7_iN6hipcub16HIPCUB_304000_NS6detail34convert_binary_result_type_wrapperINS9_3SumENS9_22TransformInputIteratorIbN2at6native12_GLOBAL__N_19NonZeroOpIN3c107complexIdEEEEPKSK_lEEiEEEE10hipError_tPvRmT1_T2_T3_mT4_P12ihipStream_tbEUlT_E0_NS1_11comp_targetILNS1_3genE3ELNS1_11target_archE908ELNS1_3gpuE7ELNS1_3repE0EEENS1_30default_config_static_selectorELNS0_4arch9wavefront6targetE0EEEvST_,"axG",@progbits,_ZN7rocprim17ROCPRIM_400000_NS6detail17trampoline_kernelINS0_14default_configENS1_22reduce_config_selectorIiEEZNS1_11reduce_implILb1ES3_PiS7_iN6hipcub16HIPCUB_304000_NS6detail34convert_binary_result_type_wrapperINS9_3SumENS9_22TransformInputIteratorIbN2at6native12_GLOBAL__N_19NonZeroOpIN3c107complexIdEEEEPKSK_lEEiEEEE10hipError_tPvRmT1_T2_T3_mT4_P12ihipStream_tbEUlT_E0_NS1_11comp_targetILNS1_3genE3ELNS1_11target_archE908ELNS1_3gpuE7ELNS1_3repE0EEENS1_30default_config_static_selectorELNS0_4arch9wavefront6targetE0EEEvST_,comdat
.Lfunc_end493:
	.size	_ZN7rocprim17ROCPRIM_400000_NS6detail17trampoline_kernelINS0_14default_configENS1_22reduce_config_selectorIiEEZNS1_11reduce_implILb1ES3_PiS7_iN6hipcub16HIPCUB_304000_NS6detail34convert_binary_result_type_wrapperINS9_3SumENS9_22TransformInputIteratorIbN2at6native12_GLOBAL__N_19NonZeroOpIN3c107complexIdEEEEPKSK_lEEiEEEE10hipError_tPvRmT1_T2_T3_mT4_P12ihipStream_tbEUlT_E0_NS1_11comp_targetILNS1_3genE3ELNS1_11target_archE908ELNS1_3gpuE7ELNS1_3repE0EEENS1_30default_config_static_selectorELNS0_4arch9wavefront6targetE0EEEvST_, .Lfunc_end493-_ZN7rocprim17ROCPRIM_400000_NS6detail17trampoline_kernelINS0_14default_configENS1_22reduce_config_selectorIiEEZNS1_11reduce_implILb1ES3_PiS7_iN6hipcub16HIPCUB_304000_NS6detail34convert_binary_result_type_wrapperINS9_3SumENS9_22TransformInputIteratorIbN2at6native12_GLOBAL__N_19NonZeroOpIN3c107complexIdEEEEPKSK_lEEiEEEE10hipError_tPvRmT1_T2_T3_mT4_P12ihipStream_tbEUlT_E0_NS1_11comp_targetILNS1_3genE3ELNS1_11target_archE908ELNS1_3gpuE7ELNS1_3repE0EEENS1_30default_config_static_selectorELNS0_4arch9wavefront6targetE0EEEvST_
                                        ; -- End function
	.section	.AMDGPU.csdata,"",@progbits
; Kernel info:
; codeLenInByte = 0
; NumSgprs: 0
; NumVgprs: 0
; ScratchSize: 0
; MemoryBound: 0
; FloatMode: 240
; IeeeMode: 1
; LDSByteSize: 0 bytes/workgroup (compile time only)
; SGPRBlocks: 0
; VGPRBlocks: 0
; NumSGPRsForWavesPerEU: 1
; NumVGPRsForWavesPerEU: 1
; Occupancy: 16
; WaveLimiterHint : 0
; COMPUTE_PGM_RSRC2:SCRATCH_EN: 0
; COMPUTE_PGM_RSRC2:USER_SGPR: 15
; COMPUTE_PGM_RSRC2:TRAP_HANDLER: 0
; COMPUTE_PGM_RSRC2:TGID_X_EN: 1
; COMPUTE_PGM_RSRC2:TGID_Y_EN: 0
; COMPUTE_PGM_RSRC2:TGID_Z_EN: 0
; COMPUTE_PGM_RSRC2:TIDIG_COMP_CNT: 0
	.section	.text._ZN7rocprim17ROCPRIM_400000_NS6detail17trampoline_kernelINS0_14default_configENS1_22reduce_config_selectorIiEEZNS1_11reduce_implILb1ES3_PiS7_iN6hipcub16HIPCUB_304000_NS6detail34convert_binary_result_type_wrapperINS9_3SumENS9_22TransformInputIteratorIbN2at6native12_GLOBAL__N_19NonZeroOpIN3c107complexIdEEEEPKSK_lEEiEEEE10hipError_tPvRmT1_T2_T3_mT4_P12ihipStream_tbEUlT_E0_NS1_11comp_targetILNS1_3genE2ELNS1_11target_archE906ELNS1_3gpuE6ELNS1_3repE0EEENS1_30default_config_static_selectorELNS0_4arch9wavefront6targetE0EEEvST_,"axG",@progbits,_ZN7rocprim17ROCPRIM_400000_NS6detail17trampoline_kernelINS0_14default_configENS1_22reduce_config_selectorIiEEZNS1_11reduce_implILb1ES3_PiS7_iN6hipcub16HIPCUB_304000_NS6detail34convert_binary_result_type_wrapperINS9_3SumENS9_22TransformInputIteratorIbN2at6native12_GLOBAL__N_19NonZeroOpIN3c107complexIdEEEEPKSK_lEEiEEEE10hipError_tPvRmT1_T2_T3_mT4_P12ihipStream_tbEUlT_E0_NS1_11comp_targetILNS1_3genE2ELNS1_11target_archE906ELNS1_3gpuE6ELNS1_3repE0EEENS1_30default_config_static_selectorELNS0_4arch9wavefront6targetE0EEEvST_,comdat
	.globl	_ZN7rocprim17ROCPRIM_400000_NS6detail17trampoline_kernelINS0_14default_configENS1_22reduce_config_selectorIiEEZNS1_11reduce_implILb1ES3_PiS7_iN6hipcub16HIPCUB_304000_NS6detail34convert_binary_result_type_wrapperINS9_3SumENS9_22TransformInputIteratorIbN2at6native12_GLOBAL__N_19NonZeroOpIN3c107complexIdEEEEPKSK_lEEiEEEE10hipError_tPvRmT1_T2_T3_mT4_P12ihipStream_tbEUlT_E0_NS1_11comp_targetILNS1_3genE2ELNS1_11target_archE906ELNS1_3gpuE6ELNS1_3repE0EEENS1_30default_config_static_selectorELNS0_4arch9wavefront6targetE0EEEvST_ ; -- Begin function _ZN7rocprim17ROCPRIM_400000_NS6detail17trampoline_kernelINS0_14default_configENS1_22reduce_config_selectorIiEEZNS1_11reduce_implILb1ES3_PiS7_iN6hipcub16HIPCUB_304000_NS6detail34convert_binary_result_type_wrapperINS9_3SumENS9_22TransformInputIteratorIbN2at6native12_GLOBAL__N_19NonZeroOpIN3c107complexIdEEEEPKSK_lEEiEEEE10hipError_tPvRmT1_T2_T3_mT4_P12ihipStream_tbEUlT_E0_NS1_11comp_targetILNS1_3genE2ELNS1_11target_archE906ELNS1_3gpuE6ELNS1_3repE0EEENS1_30default_config_static_selectorELNS0_4arch9wavefront6targetE0EEEvST_
	.p2align	8
	.type	_ZN7rocprim17ROCPRIM_400000_NS6detail17trampoline_kernelINS0_14default_configENS1_22reduce_config_selectorIiEEZNS1_11reduce_implILb1ES3_PiS7_iN6hipcub16HIPCUB_304000_NS6detail34convert_binary_result_type_wrapperINS9_3SumENS9_22TransformInputIteratorIbN2at6native12_GLOBAL__N_19NonZeroOpIN3c107complexIdEEEEPKSK_lEEiEEEE10hipError_tPvRmT1_T2_T3_mT4_P12ihipStream_tbEUlT_E0_NS1_11comp_targetILNS1_3genE2ELNS1_11target_archE906ELNS1_3gpuE6ELNS1_3repE0EEENS1_30default_config_static_selectorELNS0_4arch9wavefront6targetE0EEEvST_,@function
_ZN7rocprim17ROCPRIM_400000_NS6detail17trampoline_kernelINS0_14default_configENS1_22reduce_config_selectorIiEEZNS1_11reduce_implILb1ES3_PiS7_iN6hipcub16HIPCUB_304000_NS6detail34convert_binary_result_type_wrapperINS9_3SumENS9_22TransformInputIteratorIbN2at6native12_GLOBAL__N_19NonZeroOpIN3c107complexIdEEEEPKSK_lEEiEEEE10hipError_tPvRmT1_T2_T3_mT4_P12ihipStream_tbEUlT_E0_NS1_11comp_targetILNS1_3genE2ELNS1_11target_archE906ELNS1_3gpuE6ELNS1_3repE0EEENS1_30default_config_static_selectorELNS0_4arch9wavefront6targetE0EEEvST_: ; @_ZN7rocprim17ROCPRIM_400000_NS6detail17trampoline_kernelINS0_14default_configENS1_22reduce_config_selectorIiEEZNS1_11reduce_implILb1ES3_PiS7_iN6hipcub16HIPCUB_304000_NS6detail34convert_binary_result_type_wrapperINS9_3SumENS9_22TransformInputIteratorIbN2at6native12_GLOBAL__N_19NonZeroOpIN3c107complexIdEEEEPKSK_lEEiEEEE10hipError_tPvRmT1_T2_T3_mT4_P12ihipStream_tbEUlT_E0_NS1_11comp_targetILNS1_3genE2ELNS1_11target_archE906ELNS1_3gpuE6ELNS1_3repE0EEENS1_30default_config_static_selectorELNS0_4arch9wavefront6targetE0EEEvST_
; %bb.0:
	.section	.rodata,"a",@progbits
	.p2align	6, 0x0
	.amdhsa_kernel _ZN7rocprim17ROCPRIM_400000_NS6detail17trampoline_kernelINS0_14default_configENS1_22reduce_config_selectorIiEEZNS1_11reduce_implILb1ES3_PiS7_iN6hipcub16HIPCUB_304000_NS6detail34convert_binary_result_type_wrapperINS9_3SumENS9_22TransformInputIteratorIbN2at6native12_GLOBAL__N_19NonZeroOpIN3c107complexIdEEEEPKSK_lEEiEEEE10hipError_tPvRmT1_T2_T3_mT4_P12ihipStream_tbEUlT_E0_NS1_11comp_targetILNS1_3genE2ELNS1_11target_archE906ELNS1_3gpuE6ELNS1_3repE0EEENS1_30default_config_static_selectorELNS0_4arch9wavefront6targetE0EEEvST_
		.amdhsa_group_segment_fixed_size 0
		.amdhsa_private_segment_fixed_size 0
		.amdhsa_kernarg_size 56
		.amdhsa_user_sgpr_count 15
		.amdhsa_user_sgpr_dispatch_ptr 0
		.amdhsa_user_sgpr_queue_ptr 0
		.amdhsa_user_sgpr_kernarg_segment_ptr 1
		.amdhsa_user_sgpr_dispatch_id 0
		.amdhsa_user_sgpr_private_segment_size 0
		.amdhsa_wavefront_size32 1
		.amdhsa_uses_dynamic_stack 0
		.amdhsa_enable_private_segment 0
		.amdhsa_system_sgpr_workgroup_id_x 1
		.amdhsa_system_sgpr_workgroup_id_y 0
		.amdhsa_system_sgpr_workgroup_id_z 0
		.amdhsa_system_sgpr_workgroup_info 0
		.amdhsa_system_vgpr_workitem_id 0
		.amdhsa_next_free_vgpr 1
		.amdhsa_next_free_sgpr 1
		.amdhsa_reserve_vcc 0
		.amdhsa_float_round_mode_32 0
		.amdhsa_float_round_mode_16_64 0
		.amdhsa_float_denorm_mode_32 3
		.amdhsa_float_denorm_mode_16_64 3
		.amdhsa_dx10_clamp 1
		.amdhsa_ieee_mode 1
		.amdhsa_fp16_overflow 0
		.amdhsa_workgroup_processor_mode 1
		.amdhsa_memory_ordered 1
		.amdhsa_forward_progress 0
		.amdhsa_shared_vgpr_count 0
		.amdhsa_exception_fp_ieee_invalid_op 0
		.amdhsa_exception_fp_denorm_src 0
		.amdhsa_exception_fp_ieee_div_zero 0
		.amdhsa_exception_fp_ieee_overflow 0
		.amdhsa_exception_fp_ieee_underflow 0
		.amdhsa_exception_fp_ieee_inexact 0
		.amdhsa_exception_int_div_zero 0
	.end_amdhsa_kernel
	.section	.text._ZN7rocprim17ROCPRIM_400000_NS6detail17trampoline_kernelINS0_14default_configENS1_22reduce_config_selectorIiEEZNS1_11reduce_implILb1ES3_PiS7_iN6hipcub16HIPCUB_304000_NS6detail34convert_binary_result_type_wrapperINS9_3SumENS9_22TransformInputIteratorIbN2at6native12_GLOBAL__N_19NonZeroOpIN3c107complexIdEEEEPKSK_lEEiEEEE10hipError_tPvRmT1_T2_T3_mT4_P12ihipStream_tbEUlT_E0_NS1_11comp_targetILNS1_3genE2ELNS1_11target_archE906ELNS1_3gpuE6ELNS1_3repE0EEENS1_30default_config_static_selectorELNS0_4arch9wavefront6targetE0EEEvST_,"axG",@progbits,_ZN7rocprim17ROCPRIM_400000_NS6detail17trampoline_kernelINS0_14default_configENS1_22reduce_config_selectorIiEEZNS1_11reduce_implILb1ES3_PiS7_iN6hipcub16HIPCUB_304000_NS6detail34convert_binary_result_type_wrapperINS9_3SumENS9_22TransformInputIteratorIbN2at6native12_GLOBAL__N_19NonZeroOpIN3c107complexIdEEEEPKSK_lEEiEEEE10hipError_tPvRmT1_T2_T3_mT4_P12ihipStream_tbEUlT_E0_NS1_11comp_targetILNS1_3genE2ELNS1_11target_archE906ELNS1_3gpuE6ELNS1_3repE0EEENS1_30default_config_static_selectorELNS0_4arch9wavefront6targetE0EEEvST_,comdat
.Lfunc_end494:
	.size	_ZN7rocprim17ROCPRIM_400000_NS6detail17trampoline_kernelINS0_14default_configENS1_22reduce_config_selectorIiEEZNS1_11reduce_implILb1ES3_PiS7_iN6hipcub16HIPCUB_304000_NS6detail34convert_binary_result_type_wrapperINS9_3SumENS9_22TransformInputIteratorIbN2at6native12_GLOBAL__N_19NonZeroOpIN3c107complexIdEEEEPKSK_lEEiEEEE10hipError_tPvRmT1_T2_T3_mT4_P12ihipStream_tbEUlT_E0_NS1_11comp_targetILNS1_3genE2ELNS1_11target_archE906ELNS1_3gpuE6ELNS1_3repE0EEENS1_30default_config_static_selectorELNS0_4arch9wavefront6targetE0EEEvST_, .Lfunc_end494-_ZN7rocprim17ROCPRIM_400000_NS6detail17trampoline_kernelINS0_14default_configENS1_22reduce_config_selectorIiEEZNS1_11reduce_implILb1ES3_PiS7_iN6hipcub16HIPCUB_304000_NS6detail34convert_binary_result_type_wrapperINS9_3SumENS9_22TransformInputIteratorIbN2at6native12_GLOBAL__N_19NonZeroOpIN3c107complexIdEEEEPKSK_lEEiEEEE10hipError_tPvRmT1_T2_T3_mT4_P12ihipStream_tbEUlT_E0_NS1_11comp_targetILNS1_3genE2ELNS1_11target_archE906ELNS1_3gpuE6ELNS1_3repE0EEENS1_30default_config_static_selectorELNS0_4arch9wavefront6targetE0EEEvST_
                                        ; -- End function
	.section	.AMDGPU.csdata,"",@progbits
; Kernel info:
; codeLenInByte = 0
; NumSgprs: 0
; NumVgprs: 0
; ScratchSize: 0
; MemoryBound: 0
; FloatMode: 240
; IeeeMode: 1
; LDSByteSize: 0 bytes/workgroup (compile time only)
; SGPRBlocks: 0
; VGPRBlocks: 0
; NumSGPRsForWavesPerEU: 1
; NumVGPRsForWavesPerEU: 1
; Occupancy: 16
; WaveLimiterHint : 0
; COMPUTE_PGM_RSRC2:SCRATCH_EN: 0
; COMPUTE_PGM_RSRC2:USER_SGPR: 15
; COMPUTE_PGM_RSRC2:TRAP_HANDLER: 0
; COMPUTE_PGM_RSRC2:TGID_X_EN: 1
; COMPUTE_PGM_RSRC2:TGID_Y_EN: 0
; COMPUTE_PGM_RSRC2:TGID_Z_EN: 0
; COMPUTE_PGM_RSRC2:TIDIG_COMP_CNT: 0
	.section	.text._ZN7rocprim17ROCPRIM_400000_NS6detail17trampoline_kernelINS0_14default_configENS1_22reduce_config_selectorIiEEZNS1_11reduce_implILb1ES3_PiS7_iN6hipcub16HIPCUB_304000_NS6detail34convert_binary_result_type_wrapperINS9_3SumENS9_22TransformInputIteratorIbN2at6native12_GLOBAL__N_19NonZeroOpIN3c107complexIdEEEEPKSK_lEEiEEEE10hipError_tPvRmT1_T2_T3_mT4_P12ihipStream_tbEUlT_E0_NS1_11comp_targetILNS1_3genE10ELNS1_11target_archE1201ELNS1_3gpuE5ELNS1_3repE0EEENS1_30default_config_static_selectorELNS0_4arch9wavefront6targetE0EEEvST_,"axG",@progbits,_ZN7rocprim17ROCPRIM_400000_NS6detail17trampoline_kernelINS0_14default_configENS1_22reduce_config_selectorIiEEZNS1_11reduce_implILb1ES3_PiS7_iN6hipcub16HIPCUB_304000_NS6detail34convert_binary_result_type_wrapperINS9_3SumENS9_22TransformInputIteratorIbN2at6native12_GLOBAL__N_19NonZeroOpIN3c107complexIdEEEEPKSK_lEEiEEEE10hipError_tPvRmT1_T2_T3_mT4_P12ihipStream_tbEUlT_E0_NS1_11comp_targetILNS1_3genE10ELNS1_11target_archE1201ELNS1_3gpuE5ELNS1_3repE0EEENS1_30default_config_static_selectorELNS0_4arch9wavefront6targetE0EEEvST_,comdat
	.globl	_ZN7rocprim17ROCPRIM_400000_NS6detail17trampoline_kernelINS0_14default_configENS1_22reduce_config_selectorIiEEZNS1_11reduce_implILb1ES3_PiS7_iN6hipcub16HIPCUB_304000_NS6detail34convert_binary_result_type_wrapperINS9_3SumENS9_22TransformInputIteratorIbN2at6native12_GLOBAL__N_19NonZeroOpIN3c107complexIdEEEEPKSK_lEEiEEEE10hipError_tPvRmT1_T2_T3_mT4_P12ihipStream_tbEUlT_E0_NS1_11comp_targetILNS1_3genE10ELNS1_11target_archE1201ELNS1_3gpuE5ELNS1_3repE0EEENS1_30default_config_static_selectorELNS0_4arch9wavefront6targetE0EEEvST_ ; -- Begin function _ZN7rocprim17ROCPRIM_400000_NS6detail17trampoline_kernelINS0_14default_configENS1_22reduce_config_selectorIiEEZNS1_11reduce_implILb1ES3_PiS7_iN6hipcub16HIPCUB_304000_NS6detail34convert_binary_result_type_wrapperINS9_3SumENS9_22TransformInputIteratorIbN2at6native12_GLOBAL__N_19NonZeroOpIN3c107complexIdEEEEPKSK_lEEiEEEE10hipError_tPvRmT1_T2_T3_mT4_P12ihipStream_tbEUlT_E0_NS1_11comp_targetILNS1_3genE10ELNS1_11target_archE1201ELNS1_3gpuE5ELNS1_3repE0EEENS1_30default_config_static_selectorELNS0_4arch9wavefront6targetE0EEEvST_
	.p2align	8
	.type	_ZN7rocprim17ROCPRIM_400000_NS6detail17trampoline_kernelINS0_14default_configENS1_22reduce_config_selectorIiEEZNS1_11reduce_implILb1ES3_PiS7_iN6hipcub16HIPCUB_304000_NS6detail34convert_binary_result_type_wrapperINS9_3SumENS9_22TransformInputIteratorIbN2at6native12_GLOBAL__N_19NonZeroOpIN3c107complexIdEEEEPKSK_lEEiEEEE10hipError_tPvRmT1_T2_T3_mT4_P12ihipStream_tbEUlT_E0_NS1_11comp_targetILNS1_3genE10ELNS1_11target_archE1201ELNS1_3gpuE5ELNS1_3repE0EEENS1_30default_config_static_selectorELNS0_4arch9wavefront6targetE0EEEvST_,@function
_ZN7rocprim17ROCPRIM_400000_NS6detail17trampoline_kernelINS0_14default_configENS1_22reduce_config_selectorIiEEZNS1_11reduce_implILb1ES3_PiS7_iN6hipcub16HIPCUB_304000_NS6detail34convert_binary_result_type_wrapperINS9_3SumENS9_22TransformInputIteratorIbN2at6native12_GLOBAL__N_19NonZeroOpIN3c107complexIdEEEEPKSK_lEEiEEEE10hipError_tPvRmT1_T2_T3_mT4_P12ihipStream_tbEUlT_E0_NS1_11comp_targetILNS1_3genE10ELNS1_11target_archE1201ELNS1_3gpuE5ELNS1_3repE0EEENS1_30default_config_static_selectorELNS0_4arch9wavefront6targetE0EEEvST_: ; @_ZN7rocprim17ROCPRIM_400000_NS6detail17trampoline_kernelINS0_14default_configENS1_22reduce_config_selectorIiEEZNS1_11reduce_implILb1ES3_PiS7_iN6hipcub16HIPCUB_304000_NS6detail34convert_binary_result_type_wrapperINS9_3SumENS9_22TransformInputIteratorIbN2at6native12_GLOBAL__N_19NonZeroOpIN3c107complexIdEEEEPKSK_lEEiEEEE10hipError_tPvRmT1_T2_T3_mT4_P12ihipStream_tbEUlT_E0_NS1_11comp_targetILNS1_3genE10ELNS1_11target_archE1201ELNS1_3gpuE5ELNS1_3repE0EEENS1_30default_config_static_selectorELNS0_4arch9wavefront6targetE0EEEvST_
; %bb.0:
	.section	.rodata,"a",@progbits
	.p2align	6, 0x0
	.amdhsa_kernel _ZN7rocprim17ROCPRIM_400000_NS6detail17trampoline_kernelINS0_14default_configENS1_22reduce_config_selectorIiEEZNS1_11reduce_implILb1ES3_PiS7_iN6hipcub16HIPCUB_304000_NS6detail34convert_binary_result_type_wrapperINS9_3SumENS9_22TransformInputIteratorIbN2at6native12_GLOBAL__N_19NonZeroOpIN3c107complexIdEEEEPKSK_lEEiEEEE10hipError_tPvRmT1_T2_T3_mT4_P12ihipStream_tbEUlT_E0_NS1_11comp_targetILNS1_3genE10ELNS1_11target_archE1201ELNS1_3gpuE5ELNS1_3repE0EEENS1_30default_config_static_selectorELNS0_4arch9wavefront6targetE0EEEvST_
		.amdhsa_group_segment_fixed_size 0
		.amdhsa_private_segment_fixed_size 0
		.amdhsa_kernarg_size 56
		.amdhsa_user_sgpr_count 15
		.amdhsa_user_sgpr_dispatch_ptr 0
		.amdhsa_user_sgpr_queue_ptr 0
		.amdhsa_user_sgpr_kernarg_segment_ptr 1
		.amdhsa_user_sgpr_dispatch_id 0
		.amdhsa_user_sgpr_private_segment_size 0
		.amdhsa_wavefront_size32 1
		.amdhsa_uses_dynamic_stack 0
		.amdhsa_enable_private_segment 0
		.amdhsa_system_sgpr_workgroup_id_x 1
		.amdhsa_system_sgpr_workgroup_id_y 0
		.amdhsa_system_sgpr_workgroup_id_z 0
		.amdhsa_system_sgpr_workgroup_info 0
		.amdhsa_system_vgpr_workitem_id 0
		.amdhsa_next_free_vgpr 1
		.amdhsa_next_free_sgpr 1
		.amdhsa_reserve_vcc 0
		.amdhsa_float_round_mode_32 0
		.amdhsa_float_round_mode_16_64 0
		.amdhsa_float_denorm_mode_32 3
		.amdhsa_float_denorm_mode_16_64 3
		.amdhsa_dx10_clamp 1
		.amdhsa_ieee_mode 1
		.amdhsa_fp16_overflow 0
		.amdhsa_workgroup_processor_mode 1
		.amdhsa_memory_ordered 1
		.amdhsa_forward_progress 0
		.amdhsa_shared_vgpr_count 0
		.amdhsa_exception_fp_ieee_invalid_op 0
		.amdhsa_exception_fp_denorm_src 0
		.amdhsa_exception_fp_ieee_div_zero 0
		.amdhsa_exception_fp_ieee_overflow 0
		.amdhsa_exception_fp_ieee_underflow 0
		.amdhsa_exception_fp_ieee_inexact 0
		.amdhsa_exception_int_div_zero 0
	.end_amdhsa_kernel
	.section	.text._ZN7rocprim17ROCPRIM_400000_NS6detail17trampoline_kernelINS0_14default_configENS1_22reduce_config_selectorIiEEZNS1_11reduce_implILb1ES3_PiS7_iN6hipcub16HIPCUB_304000_NS6detail34convert_binary_result_type_wrapperINS9_3SumENS9_22TransformInputIteratorIbN2at6native12_GLOBAL__N_19NonZeroOpIN3c107complexIdEEEEPKSK_lEEiEEEE10hipError_tPvRmT1_T2_T3_mT4_P12ihipStream_tbEUlT_E0_NS1_11comp_targetILNS1_3genE10ELNS1_11target_archE1201ELNS1_3gpuE5ELNS1_3repE0EEENS1_30default_config_static_selectorELNS0_4arch9wavefront6targetE0EEEvST_,"axG",@progbits,_ZN7rocprim17ROCPRIM_400000_NS6detail17trampoline_kernelINS0_14default_configENS1_22reduce_config_selectorIiEEZNS1_11reduce_implILb1ES3_PiS7_iN6hipcub16HIPCUB_304000_NS6detail34convert_binary_result_type_wrapperINS9_3SumENS9_22TransformInputIteratorIbN2at6native12_GLOBAL__N_19NonZeroOpIN3c107complexIdEEEEPKSK_lEEiEEEE10hipError_tPvRmT1_T2_T3_mT4_P12ihipStream_tbEUlT_E0_NS1_11comp_targetILNS1_3genE10ELNS1_11target_archE1201ELNS1_3gpuE5ELNS1_3repE0EEENS1_30default_config_static_selectorELNS0_4arch9wavefront6targetE0EEEvST_,comdat
.Lfunc_end495:
	.size	_ZN7rocprim17ROCPRIM_400000_NS6detail17trampoline_kernelINS0_14default_configENS1_22reduce_config_selectorIiEEZNS1_11reduce_implILb1ES3_PiS7_iN6hipcub16HIPCUB_304000_NS6detail34convert_binary_result_type_wrapperINS9_3SumENS9_22TransformInputIteratorIbN2at6native12_GLOBAL__N_19NonZeroOpIN3c107complexIdEEEEPKSK_lEEiEEEE10hipError_tPvRmT1_T2_T3_mT4_P12ihipStream_tbEUlT_E0_NS1_11comp_targetILNS1_3genE10ELNS1_11target_archE1201ELNS1_3gpuE5ELNS1_3repE0EEENS1_30default_config_static_selectorELNS0_4arch9wavefront6targetE0EEEvST_, .Lfunc_end495-_ZN7rocprim17ROCPRIM_400000_NS6detail17trampoline_kernelINS0_14default_configENS1_22reduce_config_selectorIiEEZNS1_11reduce_implILb1ES3_PiS7_iN6hipcub16HIPCUB_304000_NS6detail34convert_binary_result_type_wrapperINS9_3SumENS9_22TransformInputIteratorIbN2at6native12_GLOBAL__N_19NonZeroOpIN3c107complexIdEEEEPKSK_lEEiEEEE10hipError_tPvRmT1_T2_T3_mT4_P12ihipStream_tbEUlT_E0_NS1_11comp_targetILNS1_3genE10ELNS1_11target_archE1201ELNS1_3gpuE5ELNS1_3repE0EEENS1_30default_config_static_selectorELNS0_4arch9wavefront6targetE0EEEvST_
                                        ; -- End function
	.section	.AMDGPU.csdata,"",@progbits
; Kernel info:
; codeLenInByte = 0
; NumSgprs: 0
; NumVgprs: 0
; ScratchSize: 0
; MemoryBound: 0
; FloatMode: 240
; IeeeMode: 1
; LDSByteSize: 0 bytes/workgroup (compile time only)
; SGPRBlocks: 0
; VGPRBlocks: 0
; NumSGPRsForWavesPerEU: 1
; NumVGPRsForWavesPerEU: 1
; Occupancy: 16
; WaveLimiterHint : 0
; COMPUTE_PGM_RSRC2:SCRATCH_EN: 0
; COMPUTE_PGM_RSRC2:USER_SGPR: 15
; COMPUTE_PGM_RSRC2:TRAP_HANDLER: 0
; COMPUTE_PGM_RSRC2:TGID_X_EN: 1
; COMPUTE_PGM_RSRC2:TGID_Y_EN: 0
; COMPUTE_PGM_RSRC2:TGID_Z_EN: 0
; COMPUTE_PGM_RSRC2:TIDIG_COMP_CNT: 0
	.section	.text._ZN7rocprim17ROCPRIM_400000_NS6detail17trampoline_kernelINS0_14default_configENS1_22reduce_config_selectorIiEEZNS1_11reduce_implILb1ES3_PiS7_iN6hipcub16HIPCUB_304000_NS6detail34convert_binary_result_type_wrapperINS9_3SumENS9_22TransformInputIteratorIbN2at6native12_GLOBAL__N_19NonZeroOpIN3c107complexIdEEEEPKSK_lEEiEEEE10hipError_tPvRmT1_T2_T3_mT4_P12ihipStream_tbEUlT_E0_NS1_11comp_targetILNS1_3genE10ELNS1_11target_archE1200ELNS1_3gpuE4ELNS1_3repE0EEENS1_30default_config_static_selectorELNS0_4arch9wavefront6targetE0EEEvST_,"axG",@progbits,_ZN7rocprim17ROCPRIM_400000_NS6detail17trampoline_kernelINS0_14default_configENS1_22reduce_config_selectorIiEEZNS1_11reduce_implILb1ES3_PiS7_iN6hipcub16HIPCUB_304000_NS6detail34convert_binary_result_type_wrapperINS9_3SumENS9_22TransformInputIteratorIbN2at6native12_GLOBAL__N_19NonZeroOpIN3c107complexIdEEEEPKSK_lEEiEEEE10hipError_tPvRmT1_T2_T3_mT4_P12ihipStream_tbEUlT_E0_NS1_11comp_targetILNS1_3genE10ELNS1_11target_archE1200ELNS1_3gpuE4ELNS1_3repE0EEENS1_30default_config_static_selectorELNS0_4arch9wavefront6targetE0EEEvST_,comdat
	.globl	_ZN7rocprim17ROCPRIM_400000_NS6detail17trampoline_kernelINS0_14default_configENS1_22reduce_config_selectorIiEEZNS1_11reduce_implILb1ES3_PiS7_iN6hipcub16HIPCUB_304000_NS6detail34convert_binary_result_type_wrapperINS9_3SumENS9_22TransformInputIteratorIbN2at6native12_GLOBAL__N_19NonZeroOpIN3c107complexIdEEEEPKSK_lEEiEEEE10hipError_tPvRmT1_T2_T3_mT4_P12ihipStream_tbEUlT_E0_NS1_11comp_targetILNS1_3genE10ELNS1_11target_archE1200ELNS1_3gpuE4ELNS1_3repE0EEENS1_30default_config_static_selectorELNS0_4arch9wavefront6targetE0EEEvST_ ; -- Begin function _ZN7rocprim17ROCPRIM_400000_NS6detail17trampoline_kernelINS0_14default_configENS1_22reduce_config_selectorIiEEZNS1_11reduce_implILb1ES3_PiS7_iN6hipcub16HIPCUB_304000_NS6detail34convert_binary_result_type_wrapperINS9_3SumENS9_22TransformInputIteratorIbN2at6native12_GLOBAL__N_19NonZeroOpIN3c107complexIdEEEEPKSK_lEEiEEEE10hipError_tPvRmT1_T2_T3_mT4_P12ihipStream_tbEUlT_E0_NS1_11comp_targetILNS1_3genE10ELNS1_11target_archE1200ELNS1_3gpuE4ELNS1_3repE0EEENS1_30default_config_static_selectorELNS0_4arch9wavefront6targetE0EEEvST_
	.p2align	8
	.type	_ZN7rocprim17ROCPRIM_400000_NS6detail17trampoline_kernelINS0_14default_configENS1_22reduce_config_selectorIiEEZNS1_11reduce_implILb1ES3_PiS7_iN6hipcub16HIPCUB_304000_NS6detail34convert_binary_result_type_wrapperINS9_3SumENS9_22TransformInputIteratorIbN2at6native12_GLOBAL__N_19NonZeroOpIN3c107complexIdEEEEPKSK_lEEiEEEE10hipError_tPvRmT1_T2_T3_mT4_P12ihipStream_tbEUlT_E0_NS1_11comp_targetILNS1_3genE10ELNS1_11target_archE1200ELNS1_3gpuE4ELNS1_3repE0EEENS1_30default_config_static_selectorELNS0_4arch9wavefront6targetE0EEEvST_,@function
_ZN7rocprim17ROCPRIM_400000_NS6detail17trampoline_kernelINS0_14default_configENS1_22reduce_config_selectorIiEEZNS1_11reduce_implILb1ES3_PiS7_iN6hipcub16HIPCUB_304000_NS6detail34convert_binary_result_type_wrapperINS9_3SumENS9_22TransformInputIteratorIbN2at6native12_GLOBAL__N_19NonZeroOpIN3c107complexIdEEEEPKSK_lEEiEEEE10hipError_tPvRmT1_T2_T3_mT4_P12ihipStream_tbEUlT_E0_NS1_11comp_targetILNS1_3genE10ELNS1_11target_archE1200ELNS1_3gpuE4ELNS1_3repE0EEENS1_30default_config_static_selectorELNS0_4arch9wavefront6targetE0EEEvST_: ; @_ZN7rocprim17ROCPRIM_400000_NS6detail17trampoline_kernelINS0_14default_configENS1_22reduce_config_selectorIiEEZNS1_11reduce_implILb1ES3_PiS7_iN6hipcub16HIPCUB_304000_NS6detail34convert_binary_result_type_wrapperINS9_3SumENS9_22TransformInputIteratorIbN2at6native12_GLOBAL__N_19NonZeroOpIN3c107complexIdEEEEPKSK_lEEiEEEE10hipError_tPvRmT1_T2_T3_mT4_P12ihipStream_tbEUlT_E0_NS1_11comp_targetILNS1_3genE10ELNS1_11target_archE1200ELNS1_3gpuE4ELNS1_3repE0EEENS1_30default_config_static_selectorELNS0_4arch9wavefront6targetE0EEEvST_
; %bb.0:
	.section	.rodata,"a",@progbits
	.p2align	6, 0x0
	.amdhsa_kernel _ZN7rocprim17ROCPRIM_400000_NS6detail17trampoline_kernelINS0_14default_configENS1_22reduce_config_selectorIiEEZNS1_11reduce_implILb1ES3_PiS7_iN6hipcub16HIPCUB_304000_NS6detail34convert_binary_result_type_wrapperINS9_3SumENS9_22TransformInputIteratorIbN2at6native12_GLOBAL__N_19NonZeroOpIN3c107complexIdEEEEPKSK_lEEiEEEE10hipError_tPvRmT1_T2_T3_mT4_P12ihipStream_tbEUlT_E0_NS1_11comp_targetILNS1_3genE10ELNS1_11target_archE1200ELNS1_3gpuE4ELNS1_3repE0EEENS1_30default_config_static_selectorELNS0_4arch9wavefront6targetE0EEEvST_
		.amdhsa_group_segment_fixed_size 0
		.amdhsa_private_segment_fixed_size 0
		.amdhsa_kernarg_size 56
		.amdhsa_user_sgpr_count 15
		.amdhsa_user_sgpr_dispatch_ptr 0
		.amdhsa_user_sgpr_queue_ptr 0
		.amdhsa_user_sgpr_kernarg_segment_ptr 1
		.amdhsa_user_sgpr_dispatch_id 0
		.amdhsa_user_sgpr_private_segment_size 0
		.amdhsa_wavefront_size32 1
		.amdhsa_uses_dynamic_stack 0
		.amdhsa_enable_private_segment 0
		.amdhsa_system_sgpr_workgroup_id_x 1
		.amdhsa_system_sgpr_workgroup_id_y 0
		.amdhsa_system_sgpr_workgroup_id_z 0
		.amdhsa_system_sgpr_workgroup_info 0
		.amdhsa_system_vgpr_workitem_id 0
		.amdhsa_next_free_vgpr 1
		.amdhsa_next_free_sgpr 1
		.amdhsa_reserve_vcc 0
		.amdhsa_float_round_mode_32 0
		.amdhsa_float_round_mode_16_64 0
		.amdhsa_float_denorm_mode_32 3
		.amdhsa_float_denorm_mode_16_64 3
		.amdhsa_dx10_clamp 1
		.amdhsa_ieee_mode 1
		.amdhsa_fp16_overflow 0
		.amdhsa_workgroup_processor_mode 1
		.amdhsa_memory_ordered 1
		.amdhsa_forward_progress 0
		.amdhsa_shared_vgpr_count 0
		.amdhsa_exception_fp_ieee_invalid_op 0
		.amdhsa_exception_fp_denorm_src 0
		.amdhsa_exception_fp_ieee_div_zero 0
		.amdhsa_exception_fp_ieee_overflow 0
		.amdhsa_exception_fp_ieee_underflow 0
		.amdhsa_exception_fp_ieee_inexact 0
		.amdhsa_exception_int_div_zero 0
	.end_amdhsa_kernel
	.section	.text._ZN7rocprim17ROCPRIM_400000_NS6detail17trampoline_kernelINS0_14default_configENS1_22reduce_config_selectorIiEEZNS1_11reduce_implILb1ES3_PiS7_iN6hipcub16HIPCUB_304000_NS6detail34convert_binary_result_type_wrapperINS9_3SumENS9_22TransformInputIteratorIbN2at6native12_GLOBAL__N_19NonZeroOpIN3c107complexIdEEEEPKSK_lEEiEEEE10hipError_tPvRmT1_T2_T3_mT4_P12ihipStream_tbEUlT_E0_NS1_11comp_targetILNS1_3genE10ELNS1_11target_archE1200ELNS1_3gpuE4ELNS1_3repE0EEENS1_30default_config_static_selectorELNS0_4arch9wavefront6targetE0EEEvST_,"axG",@progbits,_ZN7rocprim17ROCPRIM_400000_NS6detail17trampoline_kernelINS0_14default_configENS1_22reduce_config_selectorIiEEZNS1_11reduce_implILb1ES3_PiS7_iN6hipcub16HIPCUB_304000_NS6detail34convert_binary_result_type_wrapperINS9_3SumENS9_22TransformInputIteratorIbN2at6native12_GLOBAL__N_19NonZeroOpIN3c107complexIdEEEEPKSK_lEEiEEEE10hipError_tPvRmT1_T2_T3_mT4_P12ihipStream_tbEUlT_E0_NS1_11comp_targetILNS1_3genE10ELNS1_11target_archE1200ELNS1_3gpuE4ELNS1_3repE0EEENS1_30default_config_static_selectorELNS0_4arch9wavefront6targetE0EEEvST_,comdat
.Lfunc_end496:
	.size	_ZN7rocprim17ROCPRIM_400000_NS6detail17trampoline_kernelINS0_14default_configENS1_22reduce_config_selectorIiEEZNS1_11reduce_implILb1ES3_PiS7_iN6hipcub16HIPCUB_304000_NS6detail34convert_binary_result_type_wrapperINS9_3SumENS9_22TransformInputIteratorIbN2at6native12_GLOBAL__N_19NonZeroOpIN3c107complexIdEEEEPKSK_lEEiEEEE10hipError_tPvRmT1_T2_T3_mT4_P12ihipStream_tbEUlT_E0_NS1_11comp_targetILNS1_3genE10ELNS1_11target_archE1200ELNS1_3gpuE4ELNS1_3repE0EEENS1_30default_config_static_selectorELNS0_4arch9wavefront6targetE0EEEvST_, .Lfunc_end496-_ZN7rocprim17ROCPRIM_400000_NS6detail17trampoline_kernelINS0_14default_configENS1_22reduce_config_selectorIiEEZNS1_11reduce_implILb1ES3_PiS7_iN6hipcub16HIPCUB_304000_NS6detail34convert_binary_result_type_wrapperINS9_3SumENS9_22TransformInputIteratorIbN2at6native12_GLOBAL__N_19NonZeroOpIN3c107complexIdEEEEPKSK_lEEiEEEE10hipError_tPvRmT1_T2_T3_mT4_P12ihipStream_tbEUlT_E0_NS1_11comp_targetILNS1_3genE10ELNS1_11target_archE1200ELNS1_3gpuE4ELNS1_3repE0EEENS1_30default_config_static_selectorELNS0_4arch9wavefront6targetE0EEEvST_
                                        ; -- End function
	.section	.AMDGPU.csdata,"",@progbits
; Kernel info:
; codeLenInByte = 0
; NumSgprs: 0
; NumVgprs: 0
; ScratchSize: 0
; MemoryBound: 0
; FloatMode: 240
; IeeeMode: 1
; LDSByteSize: 0 bytes/workgroup (compile time only)
; SGPRBlocks: 0
; VGPRBlocks: 0
; NumSGPRsForWavesPerEU: 1
; NumVGPRsForWavesPerEU: 1
; Occupancy: 16
; WaveLimiterHint : 0
; COMPUTE_PGM_RSRC2:SCRATCH_EN: 0
; COMPUTE_PGM_RSRC2:USER_SGPR: 15
; COMPUTE_PGM_RSRC2:TRAP_HANDLER: 0
; COMPUTE_PGM_RSRC2:TGID_X_EN: 1
; COMPUTE_PGM_RSRC2:TGID_Y_EN: 0
; COMPUTE_PGM_RSRC2:TGID_Z_EN: 0
; COMPUTE_PGM_RSRC2:TIDIG_COMP_CNT: 0
	.section	.text._ZN7rocprim17ROCPRIM_400000_NS6detail17trampoline_kernelINS0_14default_configENS1_22reduce_config_selectorIiEEZNS1_11reduce_implILb1ES3_PiS7_iN6hipcub16HIPCUB_304000_NS6detail34convert_binary_result_type_wrapperINS9_3SumENS9_22TransformInputIteratorIbN2at6native12_GLOBAL__N_19NonZeroOpIN3c107complexIdEEEEPKSK_lEEiEEEE10hipError_tPvRmT1_T2_T3_mT4_P12ihipStream_tbEUlT_E0_NS1_11comp_targetILNS1_3genE9ELNS1_11target_archE1100ELNS1_3gpuE3ELNS1_3repE0EEENS1_30default_config_static_selectorELNS0_4arch9wavefront6targetE0EEEvST_,"axG",@progbits,_ZN7rocprim17ROCPRIM_400000_NS6detail17trampoline_kernelINS0_14default_configENS1_22reduce_config_selectorIiEEZNS1_11reduce_implILb1ES3_PiS7_iN6hipcub16HIPCUB_304000_NS6detail34convert_binary_result_type_wrapperINS9_3SumENS9_22TransformInputIteratorIbN2at6native12_GLOBAL__N_19NonZeroOpIN3c107complexIdEEEEPKSK_lEEiEEEE10hipError_tPvRmT1_T2_T3_mT4_P12ihipStream_tbEUlT_E0_NS1_11comp_targetILNS1_3genE9ELNS1_11target_archE1100ELNS1_3gpuE3ELNS1_3repE0EEENS1_30default_config_static_selectorELNS0_4arch9wavefront6targetE0EEEvST_,comdat
	.globl	_ZN7rocprim17ROCPRIM_400000_NS6detail17trampoline_kernelINS0_14default_configENS1_22reduce_config_selectorIiEEZNS1_11reduce_implILb1ES3_PiS7_iN6hipcub16HIPCUB_304000_NS6detail34convert_binary_result_type_wrapperINS9_3SumENS9_22TransformInputIteratorIbN2at6native12_GLOBAL__N_19NonZeroOpIN3c107complexIdEEEEPKSK_lEEiEEEE10hipError_tPvRmT1_T2_T3_mT4_P12ihipStream_tbEUlT_E0_NS1_11comp_targetILNS1_3genE9ELNS1_11target_archE1100ELNS1_3gpuE3ELNS1_3repE0EEENS1_30default_config_static_selectorELNS0_4arch9wavefront6targetE0EEEvST_ ; -- Begin function _ZN7rocprim17ROCPRIM_400000_NS6detail17trampoline_kernelINS0_14default_configENS1_22reduce_config_selectorIiEEZNS1_11reduce_implILb1ES3_PiS7_iN6hipcub16HIPCUB_304000_NS6detail34convert_binary_result_type_wrapperINS9_3SumENS9_22TransformInputIteratorIbN2at6native12_GLOBAL__N_19NonZeroOpIN3c107complexIdEEEEPKSK_lEEiEEEE10hipError_tPvRmT1_T2_T3_mT4_P12ihipStream_tbEUlT_E0_NS1_11comp_targetILNS1_3genE9ELNS1_11target_archE1100ELNS1_3gpuE3ELNS1_3repE0EEENS1_30default_config_static_selectorELNS0_4arch9wavefront6targetE0EEEvST_
	.p2align	8
	.type	_ZN7rocprim17ROCPRIM_400000_NS6detail17trampoline_kernelINS0_14default_configENS1_22reduce_config_selectorIiEEZNS1_11reduce_implILb1ES3_PiS7_iN6hipcub16HIPCUB_304000_NS6detail34convert_binary_result_type_wrapperINS9_3SumENS9_22TransformInputIteratorIbN2at6native12_GLOBAL__N_19NonZeroOpIN3c107complexIdEEEEPKSK_lEEiEEEE10hipError_tPvRmT1_T2_T3_mT4_P12ihipStream_tbEUlT_E0_NS1_11comp_targetILNS1_3genE9ELNS1_11target_archE1100ELNS1_3gpuE3ELNS1_3repE0EEENS1_30default_config_static_selectorELNS0_4arch9wavefront6targetE0EEEvST_,@function
_ZN7rocprim17ROCPRIM_400000_NS6detail17trampoline_kernelINS0_14default_configENS1_22reduce_config_selectorIiEEZNS1_11reduce_implILb1ES3_PiS7_iN6hipcub16HIPCUB_304000_NS6detail34convert_binary_result_type_wrapperINS9_3SumENS9_22TransformInputIteratorIbN2at6native12_GLOBAL__N_19NonZeroOpIN3c107complexIdEEEEPKSK_lEEiEEEE10hipError_tPvRmT1_T2_T3_mT4_P12ihipStream_tbEUlT_E0_NS1_11comp_targetILNS1_3genE9ELNS1_11target_archE1100ELNS1_3gpuE3ELNS1_3repE0EEENS1_30default_config_static_selectorELNS0_4arch9wavefront6targetE0EEEvST_: ; @_ZN7rocprim17ROCPRIM_400000_NS6detail17trampoline_kernelINS0_14default_configENS1_22reduce_config_selectorIiEEZNS1_11reduce_implILb1ES3_PiS7_iN6hipcub16HIPCUB_304000_NS6detail34convert_binary_result_type_wrapperINS9_3SumENS9_22TransformInputIteratorIbN2at6native12_GLOBAL__N_19NonZeroOpIN3c107complexIdEEEEPKSK_lEEiEEEE10hipError_tPvRmT1_T2_T3_mT4_P12ihipStream_tbEUlT_E0_NS1_11comp_targetILNS1_3genE9ELNS1_11target_archE1100ELNS1_3gpuE3ELNS1_3repE0EEENS1_30default_config_static_selectorELNS0_4arch9wavefront6targetE0EEEvST_
; %bb.0:
	s_mov_b32 s16, s15
	s_clause 0x1
	s_load_b256 s[4:11], s[0:1], 0x0
	s_load_b128 s[12:15], s[0:1], 0x20
	s_mov_b32 s3, 0
	v_lshlrev_b32_e32 v10, 2, v0
	v_mbcnt_lo_u32_b32 v9, -1, 0
	s_mov_b32 s17, s3
	s_waitcnt lgkmcnt(0)
	s_lshl_b64 s[6:7], s[6:7], 2
	s_delay_alu instid0(SALU_CYCLE_1) | instskip(SKIP_4) | instid1(SALU_CYCLE_1)
	s_add_u32 s18, s4, s6
	s_addc_u32 s19, s5, s7
	s_lshl_b32 s2, s16, 11
	s_lshr_b64 s[6:7], s[8:9], 11
	s_lshl_b64 s[4:5], s[2:3], 2
	s_add_u32 s18, s18, s4
	s_addc_u32 s19, s19, s5
	s_cmp_lg_u64 s[6:7], s[16:17]
	s_cbranch_scc0 .LBB497_6
; %bb.1:
	v_add_co_u32 v1, s3, s18, v10
	s_clause 0x1
	global_load_b32 v3, v10, s[18:19]
	global_load_b32 v4, v10, s[18:19] offset:1024
	v_add_co_ci_u32_e64 v2, null, s19, 0, s3
	v_add_co_u32 v1, vcc_lo, 0x1000, v1
	s_mov_b32 s3, exec_lo
	s_delay_alu instid0(VALU_DEP_2)
	v_add_co_ci_u32_e32 v2, vcc_lo, 0, v2, vcc_lo
	s_clause 0x5
	global_load_b32 v5, v10, s[18:19] offset:2048
	global_load_b32 v6, v10, s[18:19] offset:3072
	global_load_b32 v7, v[1:2], off
	global_load_b32 v8, v[1:2], off offset:1024
	global_load_b32 v11, v[1:2], off offset:2048
	global_load_b32 v1, v[1:2], off offset:3072
	s_waitcnt vmcnt(6)
	v_dual_mov_b32 v3, 0 :: v_dual_add_nc_u32 v2, v4, v3
	s_waitcnt vmcnt(4)
	s_delay_alu instid0(VALU_DEP_1) | instskip(SKIP_1) | instid1(VALU_DEP_1)
	v_add3_u32 v2, v2, v5, v6
	s_waitcnt vmcnt(2)
	v_add3_u32 v2, v2, v7, v8
	s_waitcnt vmcnt(0)
	s_delay_alu instid0(VALU_DEP_1) | instskip(NEXT) | instid1(VALU_DEP_1)
	v_add3_u32 v1, v2, v11, v1
	v_mov_b32_dpp v2, v1 quad_perm:[1,0,3,2] row_mask:0xf bank_mask:0xf
	s_delay_alu instid0(VALU_DEP_1) | instskip(NEXT) | instid1(VALU_DEP_1)
	v_add_nc_u32_e32 v1, v2, v1
	v_mov_b32_dpp v2, v1 quad_perm:[2,3,0,1] row_mask:0xf bank_mask:0xf
	s_delay_alu instid0(VALU_DEP_1) | instskip(NEXT) | instid1(VALU_DEP_1)
	v_add_nc_u32_e32 v1, v1, v2
	v_mov_b32_dpp v2, v1 row_ror:4 row_mask:0xf bank_mask:0xf
	s_delay_alu instid0(VALU_DEP_1) | instskip(NEXT) | instid1(VALU_DEP_1)
	v_add_nc_u32_e32 v1, v1, v2
	v_mov_b32_dpp v2, v1 row_ror:8 row_mask:0xf bank_mask:0xf
	s_delay_alu instid0(VALU_DEP_1)
	v_add_nc_u32_e32 v1, v1, v2
	ds_swizzle_b32 v2, v1 offset:swizzle(BROADCAST,32,15)
	s_waitcnt lgkmcnt(0)
	v_add_nc_u32_e32 v1, v1, v2
	ds_bpermute_b32 v1, v3, v1 offset:124
	v_cmpx_eq_u32_e32 0, v9
	s_cbranch_execz .LBB497_3
; %bb.2:
	v_lshrrev_b32_e32 v2, 3, v0
	s_delay_alu instid0(VALU_DEP_1)
	v_and_b32_e32 v2, 28, v2
	s_waitcnt lgkmcnt(0)
	ds_store_b32 v2, v1
.LBB497_3:
	s_or_b32 exec_lo, exec_lo, s3
	s_delay_alu instid0(SALU_CYCLE_1)
	s_mov_b32 s3, exec_lo
	s_waitcnt lgkmcnt(0)
	s_barrier
	buffer_gl0_inv
	v_cmpx_gt_u32_e32 32, v0
	s_cbranch_execz .LBB497_5
; %bb.4:
	v_and_b32_e32 v1, 7, v9
	s_delay_alu instid0(VALU_DEP_1) | instskip(SKIP_4) | instid1(VALU_DEP_2)
	v_lshlrev_b32_e32 v2, 2, v1
	v_cmp_ne_u32_e32 vcc_lo, 7, v1
	ds_load_b32 v2, v2
	v_add_co_ci_u32_e32 v3, vcc_lo, 0, v9, vcc_lo
	v_cmp_gt_u32_e32 vcc_lo, 6, v1
	v_lshlrev_b32_e32 v3, 2, v3
	v_cndmask_b32_e64 v4, 0, 1, vcc_lo
	v_cmp_gt_u32_e32 vcc_lo, 4, v1
	s_delay_alu instid0(VALU_DEP_2) | instskip(SKIP_1) | instid1(VALU_DEP_2)
	v_lshlrev_b32_e32 v4, 1, v4
	v_cndmask_b32_e64 v1, 0, 1, vcc_lo
	v_add_lshl_u32 v4, v4, v9, 2
	s_delay_alu instid0(VALU_DEP_2)
	v_lshlrev_b32_e32 v1, 2, v1
	s_waitcnt lgkmcnt(0)
	ds_bpermute_b32 v3, v3, v2
	v_add_lshl_u32 v1, v1, v9, 2
	s_waitcnt lgkmcnt(0)
	v_add_nc_u32_e32 v2, v3, v2
	ds_bpermute_b32 v3, v4, v2
	s_waitcnt lgkmcnt(0)
	v_add_nc_u32_e32 v2, v3, v2
	ds_bpermute_b32 v1, v1, v2
	s_waitcnt lgkmcnt(0)
	v_add_nc_u32_e32 v1, v1, v2
.LBB497_5:
	s_or_b32 exec_lo, exec_lo, s3
	s_branch .LBB497_28
.LBB497_6:
                                        ; implicit-def: $vgpr1
	s_cbranch_execz .LBB497_28
; %bb.7:
	s_sub_i32 s20, s8, s2
	s_mov_b32 s2, exec_lo
                                        ; implicit-def: $vgpr1_vgpr2_vgpr3_vgpr4_vgpr5_vgpr6_vgpr7_vgpr8
	v_cmpx_gt_u32_e64 s20, v0
	s_cbranch_execz .LBB497_9
; %bb.8:
	global_load_b32 v1, v10, s[18:19]
.LBB497_9:
	s_or_b32 exec_lo, exec_lo, s2
	v_or_b32_e32 v11, 0x100, v0
	s_delay_alu instid0(VALU_DEP_1)
	v_cmp_gt_u32_e32 vcc_lo, s20, v11
	s_and_saveexec_b32 s2, vcc_lo
	s_cbranch_execz .LBB497_11
; %bb.10:
	global_load_b32 v2, v10, s[18:19] offset:1024
.LBB497_11:
	s_or_b32 exec_lo, exec_lo, s2
	v_or_b32_e32 v11, 0x200, v0
	s_delay_alu instid0(VALU_DEP_1) | instskip(NEXT) | instid1(VALU_DEP_1)
	v_cmp_gt_u32_e64 s2, s20, v11
	s_and_saveexec_b32 s3, s2
	s_cbranch_execz .LBB497_13
; %bb.12:
	global_load_b32 v3, v10, s[18:19] offset:2048
.LBB497_13:
	s_or_b32 exec_lo, exec_lo, s3
	v_or_b32_e32 v11, 0x300, v0
	s_delay_alu instid0(VALU_DEP_1) | instskip(NEXT) | instid1(VALU_DEP_1)
	v_cmp_gt_u32_e64 s3, s20, v11
	s_and_saveexec_b32 s4, s3
	;; [unrolled: 9-line block ×3, first 2 shown]
	s_cbranch_execz .LBB497_17
; %bb.16:
	v_lshlrev_b32_e32 v5, 2, v10
	global_load_b32 v5, v5, s[18:19]
.LBB497_17:
	s_or_b32 exec_lo, exec_lo, s5
	v_or_b32_e32 v10, 0x500, v0
	s_delay_alu instid0(VALU_DEP_1) | instskip(NEXT) | instid1(VALU_DEP_1)
	v_cmp_gt_u32_e64 s5, s20, v10
	s_and_saveexec_b32 s6, s5
	s_cbranch_execz .LBB497_19
; %bb.18:
	v_lshlrev_b32_e32 v6, 2, v10
	global_load_b32 v6, v6, s[18:19]
.LBB497_19:
	s_or_b32 exec_lo, exec_lo, s6
	v_or_b32_e32 v10, 0x600, v0
	s_delay_alu instid0(VALU_DEP_1) | instskip(NEXT) | instid1(VALU_DEP_1)
	v_cmp_gt_u32_e64 s6, s20, v10
	s_and_saveexec_b32 s7, s6
	;; [unrolled: 10-line block ×3, first 2 shown]
	s_cbranch_execz .LBB497_23
; %bb.22:
	v_lshlrev_b32_e32 v8, 2, v10
	global_load_b32 v8, v8, s[18:19]
.LBB497_23:
	s_or_b32 exec_lo, exec_lo, s21
	s_waitcnt vmcnt(0)
	v_cndmask_b32_e32 v2, 0, v2, vcc_lo
	v_cndmask_b32_e64 v3, 0, v3, s2
	v_cndmask_b32_e64 v4, 0, v4, s3
	v_cmp_ne_u32_e32 vcc_lo, 31, v9
	s_min_u32 s2, s20, 0x100
	v_add_nc_u32_e32 v1, v2, v1
	v_cndmask_b32_e64 v2, 0, v5, s4
	v_cndmask_b32_e64 v5, 0, v6, s5
	;; [unrolled: 1-line block ×3, first 2 shown]
	s_mov_b32 s3, exec_lo
	v_add3_u32 v1, v1, v3, v4
	v_cndmask_b32_e64 v3, 0, v8, s7
	v_add_co_ci_u32_e32 v4, vcc_lo, 0, v9, vcc_lo
	v_cmp_gt_u32_e32 vcc_lo, 30, v9
	s_delay_alu instid0(VALU_DEP_4) | instskip(NEXT) | instid1(VALU_DEP_3)
	v_add3_u32 v1, v1, v2, v5
	v_lshlrev_b32_e32 v2, 2, v4
	v_add_nc_u32_e32 v4, 1, v9
	v_cndmask_b32_e64 v5, 0, 1, vcc_lo
	s_delay_alu instid0(VALU_DEP_4) | instskip(SKIP_1) | instid1(VALU_DEP_3)
	v_add3_u32 v1, v1, v6, v3
	v_and_b32_e32 v3, 0xe0, v0
	v_lshlrev_b32_e32 v5, 1, v5
	ds_bpermute_b32 v2, v2, v1
	v_sub_nc_u32_e64 v3, s2, v3 clamp
	s_delay_alu instid0(VALU_DEP_1) | instskip(SKIP_4) | instid1(VALU_DEP_2)
	v_cmp_lt_u32_e32 vcc_lo, v4, v3
	v_add_lshl_u32 v4, v5, v9, 2
	s_waitcnt lgkmcnt(0)
	v_dual_cndmask_b32 v2, 0, v2 :: v_dual_add_nc_u32 v5, 2, v9
	v_cmp_gt_u32_e32 vcc_lo, 28, v9
	v_add_nc_u32_e32 v1, v1, v2
	ds_bpermute_b32 v2, v4, v1
	v_cndmask_b32_e64 v4, 0, 1, vcc_lo
	v_cmp_lt_u32_e32 vcc_lo, v5, v3
	v_add_nc_u32_e32 v5, 4, v9
	s_delay_alu instid0(VALU_DEP_3) | instskip(NEXT) | instid1(VALU_DEP_1)
	v_lshlrev_b32_e32 v4, 2, v4
	v_add_lshl_u32 v4, v4, v9, 2
	s_waitcnt lgkmcnt(0)
	v_cndmask_b32_e32 v2, 0, v2, vcc_lo
	v_cmp_gt_u32_e32 vcc_lo, 24, v9
	s_delay_alu instid0(VALU_DEP_2) | instskip(SKIP_4) | instid1(VALU_DEP_3)
	v_add_nc_u32_e32 v1, v1, v2
	ds_bpermute_b32 v2, v4, v1
	v_cndmask_b32_e64 v4, 0, 1, vcc_lo
	v_cmp_lt_u32_e32 vcc_lo, v5, v3
	v_add_nc_u32_e32 v5, 8, v9
	v_lshlrev_b32_e32 v4, 3, v4
	s_delay_alu instid0(VALU_DEP_1) | instskip(SKIP_3) | instid1(VALU_DEP_2)
	v_add_lshl_u32 v4, v4, v9, 2
	s_waitcnt lgkmcnt(0)
	v_cndmask_b32_e32 v2, 0, v2, vcc_lo
	v_cmp_gt_u32_e32 vcc_lo, 16, v9
	v_add_nc_u32_e32 v1, v1, v2
	ds_bpermute_b32 v2, v4, v1
	v_cndmask_b32_e64 v4, 0, 1, vcc_lo
	v_cmp_lt_u32_e32 vcc_lo, v5, v3
	s_delay_alu instid0(VALU_DEP_2) | instskip(NEXT) | instid1(VALU_DEP_1)
	v_lshlrev_b32_e32 v4, 4, v4
	v_add_lshl_u32 v4, v4, v9, 2
	s_waitcnt lgkmcnt(0)
	v_cndmask_b32_e32 v2, 0, v2, vcc_lo
	s_delay_alu instid0(VALU_DEP_1) | instskip(SKIP_2) | instid1(VALU_DEP_1)
	v_add_nc_u32_e32 v1, v1, v2
	ds_bpermute_b32 v2, v4, v1
	v_add_nc_u32_e32 v4, 16, v9
	v_cmp_lt_u32_e32 vcc_lo, v4, v3
	s_waitcnt lgkmcnt(0)
	v_cndmask_b32_e32 v2, 0, v2, vcc_lo
	s_delay_alu instid0(VALU_DEP_1)
	v_add_nc_u32_e32 v1, v1, v2
	v_cmpx_eq_u32_e32 0, v9
	s_cbranch_execz .LBB497_25
; %bb.24:
	v_lshrrev_b32_e32 v2, 3, v0
	s_delay_alu instid0(VALU_DEP_1)
	v_and_b32_e32 v2, 28, v2
	ds_store_b32 v2, v1 offset:32
.LBB497_25:
	s_or_b32 exec_lo, exec_lo, s3
	s_delay_alu instid0(SALU_CYCLE_1)
	s_mov_b32 s3, exec_lo
	s_waitcnt lgkmcnt(0)
	s_barrier
	buffer_gl0_inv
	v_cmpx_gt_u32_e32 8, v0
	s_cbranch_execz .LBB497_27
; %bb.26:
	v_lshlrev_b32_e32 v1, 2, v9
	v_and_b32_e32 v2, 7, v9
	s_add_i32 s2, s2, 31
	s_delay_alu instid0(SALU_CYCLE_1)
	s_lshr_b32 s2, s2, 5
	ds_load_b32 v1, v1 offset:32
	v_cmp_ne_u32_e32 vcc_lo, 7, v2
	v_add_nc_u32_e32 v5, 1, v2
	v_add_co_ci_u32_e32 v3, vcc_lo, 0, v9, vcc_lo
	v_cmp_gt_u32_e32 vcc_lo, 6, v2
	s_delay_alu instid0(VALU_DEP_2) | instskip(SKIP_2) | instid1(VALU_DEP_2)
	v_lshlrev_b32_e32 v3, 2, v3
	v_cndmask_b32_e64 v4, 0, 1, vcc_lo
	v_cmp_gt_u32_e32 vcc_lo, s2, v5
	v_lshlrev_b32_e32 v4, 1, v4
	s_waitcnt lgkmcnt(0)
	ds_bpermute_b32 v3, v3, v1
	v_add_lshl_u32 v4, v4, v9, 2
	s_waitcnt lgkmcnt(0)
	v_cndmask_b32_e32 v3, 0, v3, vcc_lo
	v_cmp_gt_u32_e32 vcc_lo, 4, v2
	s_delay_alu instid0(VALU_DEP_2) | instskip(SKIP_4) | instid1(VALU_DEP_2)
	v_add_nc_u32_e32 v1, v3, v1
	v_cndmask_b32_e64 v5, 0, 1, vcc_lo
	ds_bpermute_b32 v3, v4, v1
	v_add_nc_u32_e32 v4, 2, v2
	v_add_nc_u32_e32 v2, 4, v2
	v_cmp_gt_u32_e32 vcc_lo, s2, v4
	s_waitcnt lgkmcnt(0)
	v_dual_cndmask_b32 v3, 0, v3 :: v_dual_lshlrev_b32 v4, 2, v5
	s_delay_alu instid0(VALU_DEP_3) | instskip(NEXT) | instid1(VALU_DEP_2)
	v_cmp_gt_u32_e32 vcc_lo, s2, v2
	v_add_nc_u32_e32 v1, v1, v3
	s_delay_alu instid0(VALU_DEP_3) | instskip(SKIP_3) | instid1(VALU_DEP_1)
	v_add_lshl_u32 v3, v4, v9, 2
	ds_bpermute_b32 v3, v3, v1
	s_waitcnt lgkmcnt(0)
	v_cndmask_b32_e32 v2, 0, v3, vcc_lo
	v_add_nc_u32_e32 v1, v1, v2
.LBB497_27:
	s_or_b32 exec_lo, exec_lo, s3
.LBB497_28:
	s_load_b32 s0, s[0:1], 0x30
	s_mov_b32 s1, exec_lo
	v_cmpx_eq_u32_e32 0, v0
	s_cbranch_execz .LBB497_30
; %bb.29:
	s_mul_i32 s1, s14, s13
	s_mul_hi_u32 s2, s14, s12
	s_mul_i32 s3, s15, s12
	s_add_i32 s1, s2, s1
	s_mul_i32 s2, s14, s12
	s_add_i32 s3, s1, s3
	s_delay_alu instid0(SALU_CYCLE_1) | instskip(NEXT) | instid1(SALU_CYCLE_1)
	s_lshl_b64 s[2:3], s[2:3], 2
	s_add_u32 s2, s10, s2
	s_addc_u32 s3, s11, s3
	s_cmp_eq_u64 s[8:9], 0
	s_cselect_b32 s1, -1, 0
	s_waitcnt lgkmcnt(0)
	v_cndmask_b32_e64 v0, v1, s0, s1
	s_lshl_b64 s[0:1], s[16:17], 2
	v_mov_b32_e32 v1, 0
	s_add_u32 s0, s2, s0
	s_addc_u32 s1, s3, s1
	global_store_b32 v1, v0, s[0:1]
.LBB497_30:
	s_nop 0
	s_sendmsg sendmsg(MSG_DEALLOC_VGPRS)
	s_endpgm
	.section	.rodata,"a",@progbits
	.p2align	6, 0x0
	.amdhsa_kernel _ZN7rocprim17ROCPRIM_400000_NS6detail17trampoline_kernelINS0_14default_configENS1_22reduce_config_selectorIiEEZNS1_11reduce_implILb1ES3_PiS7_iN6hipcub16HIPCUB_304000_NS6detail34convert_binary_result_type_wrapperINS9_3SumENS9_22TransformInputIteratorIbN2at6native12_GLOBAL__N_19NonZeroOpIN3c107complexIdEEEEPKSK_lEEiEEEE10hipError_tPvRmT1_T2_T3_mT4_P12ihipStream_tbEUlT_E0_NS1_11comp_targetILNS1_3genE9ELNS1_11target_archE1100ELNS1_3gpuE3ELNS1_3repE0EEENS1_30default_config_static_selectorELNS0_4arch9wavefront6targetE0EEEvST_
		.amdhsa_group_segment_fixed_size 64
		.amdhsa_private_segment_fixed_size 0
		.amdhsa_kernarg_size 56
		.amdhsa_user_sgpr_count 15
		.amdhsa_user_sgpr_dispatch_ptr 0
		.amdhsa_user_sgpr_queue_ptr 0
		.amdhsa_user_sgpr_kernarg_segment_ptr 1
		.amdhsa_user_sgpr_dispatch_id 0
		.amdhsa_user_sgpr_private_segment_size 0
		.amdhsa_wavefront_size32 1
		.amdhsa_uses_dynamic_stack 0
		.amdhsa_enable_private_segment 0
		.amdhsa_system_sgpr_workgroup_id_x 1
		.amdhsa_system_sgpr_workgroup_id_y 0
		.amdhsa_system_sgpr_workgroup_id_z 0
		.amdhsa_system_sgpr_workgroup_info 0
		.amdhsa_system_vgpr_workitem_id 0
		.amdhsa_next_free_vgpr 12
		.amdhsa_next_free_sgpr 22
		.amdhsa_reserve_vcc 1
		.amdhsa_float_round_mode_32 0
		.amdhsa_float_round_mode_16_64 0
		.amdhsa_float_denorm_mode_32 3
		.amdhsa_float_denorm_mode_16_64 3
		.amdhsa_dx10_clamp 1
		.amdhsa_ieee_mode 1
		.amdhsa_fp16_overflow 0
		.amdhsa_workgroup_processor_mode 1
		.amdhsa_memory_ordered 1
		.amdhsa_forward_progress 0
		.amdhsa_shared_vgpr_count 0
		.amdhsa_exception_fp_ieee_invalid_op 0
		.amdhsa_exception_fp_denorm_src 0
		.amdhsa_exception_fp_ieee_div_zero 0
		.amdhsa_exception_fp_ieee_overflow 0
		.amdhsa_exception_fp_ieee_underflow 0
		.amdhsa_exception_fp_ieee_inexact 0
		.amdhsa_exception_int_div_zero 0
	.end_amdhsa_kernel
	.section	.text._ZN7rocprim17ROCPRIM_400000_NS6detail17trampoline_kernelINS0_14default_configENS1_22reduce_config_selectorIiEEZNS1_11reduce_implILb1ES3_PiS7_iN6hipcub16HIPCUB_304000_NS6detail34convert_binary_result_type_wrapperINS9_3SumENS9_22TransformInputIteratorIbN2at6native12_GLOBAL__N_19NonZeroOpIN3c107complexIdEEEEPKSK_lEEiEEEE10hipError_tPvRmT1_T2_T3_mT4_P12ihipStream_tbEUlT_E0_NS1_11comp_targetILNS1_3genE9ELNS1_11target_archE1100ELNS1_3gpuE3ELNS1_3repE0EEENS1_30default_config_static_selectorELNS0_4arch9wavefront6targetE0EEEvST_,"axG",@progbits,_ZN7rocprim17ROCPRIM_400000_NS6detail17trampoline_kernelINS0_14default_configENS1_22reduce_config_selectorIiEEZNS1_11reduce_implILb1ES3_PiS7_iN6hipcub16HIPCUB_304000_NS6detail34convert_binary_result_type_wrapperINS9_3SumENS9_22TransformInputIteratorIbN2at6native12_GLOBAL__N_19NonZeroOpIN3c107complexIdEEEEPKSK_lEEiEEEE10hipError_tPvRmT1_T2_T3_mT4_P12ihipStream_tbEUlT_E0_NS1_11comp_targetILNS1_3genE9ELNS1_11target_archE1100ELNS1_3gpuE3ELNS1_3repE0EEENS1_30default_config_static_selectorELNS0_4arch9wavefront6targetE0EEEvST_,comdat
.Lfunc_end497:
	.size	_ZN7rocprim17ROCPRIM_400000_NS6detail17trampoline_kernelINS0_14default_configENS1_22reduce_config_selectorIiEEZNS1_11reduce_implILb1ES3_PiS7_iN6hipcub16HIPCUB_304000_NS6detail34convert_binary_result_type_wrapperINS9_3SumENS9_22TransformInputIteratorIbN2at6native12_GLOBAL__N_19NonZeroOpIN3c107complexIdEEEEPKSK_lEEiEEEE10hipError_tPvRmT1_T2_T3_mT4_P12ihipStream_tbEUlT_E0_NS1_11comp_targetILNS1_3genE9ELNS1_11target_archE1100ELNS1_3gpuE3ELNS1_3repE0EEENS1_30default_config_static_selectorELNS0_4arch9wavefront6targetE0EEEvST_, .Lfunc_end497-_ZN7rocprim17ROCPRIM_400000_NS6detail17trampoline_kernelINS0_14default_configENS1_22reduce_config_selectorIiEEZNS1_11reduce_implILb1ES3_PiS7_iN6hipcub16HIPCUB_304000_NS6detail34convert_binary_result_type_wrapperINS9_3SumENS9_22TransformInputIteratorIbN2at6native12_GLOBAL__N_19NonZeroOpIN3c107complexIdEEEEPKSK_lEEiEEEE10hipError_tPvRmT1_T2_T3_mT4_P12ihipStream_tbEUlT_E0_NS1_11comp_targetILNS1_3genE9ELNS1_11target_archE1100ELNS1_3gpuE3ELNS1_3repE0EEENS1_30default_config_static_selectorELNS0_4arch9wavefront6targetE0EEEvST_
                                        ; -- End function
	.section	.AMDGPU.csdata,"",@progbits
; Kernel info:
; codeLenInByte = 1664
; NumSgprs: 24
; NumVgprs: 12
; ScratchSize: 0
; MemoryBound: 0
; FloatMode: 240
; IeeeMode: 1
; LDSByteSize: 64 bytes/workgroup (compile time only)
; SGPRBlocks: 2
; VGPRBlocks: 1
; NumSGPRsForWavesPerEU: 24
; NumVGPRsForWavesPerEU: 12
; Occupancy: 16
; WaveLimiterHint : 1
; COMPUTE_PGM_RSRC2:SCRATCH_EN: 0
; COMPUTE_PGM_RSRC2:USER_SGPR: 15
; COMPUTE_PGM_RSRC2:TRAP_HANDLER: 0
; COMPUTE_PGM_RSRC2:TGID_X_EN: 1
; COMPUTE_PGM_RSRC2:TGID_Y_EN: 0
; COMPUTE_PGM_RSRC2:TGID_Z_EN: 0
; COMPUTE_PGM_RSRC2:TIDIG_COMP_CNT: 0
	.section	.text._ZN7rocprim17ROCPRIM_400000_NS6detail17trampoline_kernelINS0_14default_configENS1_22reduce_config_selectorIiEEZNS1_11reduce_implILb1ES3_PiS7_iN6hipcub16HIPCUB_304000_NS6detail34convert_binary_result_type_wrapperINS9_3SumENS9_22TransformInputIteratorIbN2at6native12_GLOBAL__N_19NonZeroOpIN3c107complexIdEEEEPKSK_lEEiEEEE10hipError_tPvRmT1_T2_T3_mT4_P12ihipStream_tbEUlT_E0_NS1_11comp_targetILNS1_3genE8ELNS1_11target_archE1030ELNS1_3gpuE2ELNS1_3repE0EEENS1_30default_config_static_selectorELNS0_4arch9wavefront6targetE0EEEvST_,"axG",@progbits,_ZN7rocprim17ROCPRIM_400000_NS6detail17trampoline_kernelINS0_14default_configENS1_22reduce_config_selectorIiEEZNS1_11reduce_implILb1ES3_PiS7_iN6hipcub16HIPCUB_304000_NS6detail34convert_binary_result_type_wrapperINS9_3SumENS9_22TransformInputIteratorIbN2at6native12_GLOBAL__N_19NonZeroOpIN3c107complexIdEEEEPKSK_lEEiEEEE10hipError_tPvRmT1_T2_T3_mT4_P12ihipStream_tbEUlT_E0_NS1_11comp_targetILNS1_3genE8ELNS1_11target_archE1030ELNS1_3gpuE2ELNS1_3repE0EEENS1_30default_config_static_selectorELNS0_4arch9wavefront6targetE0EEEvST_,comdat
	.globl	_ZN7rocprim17ROCPRIM_400000_NS6detail17trampoline_kernelINS0_14default_configENS1_22reduce_config_selectorIiEEZNS1_11reduce_implILb1ES3_PiS7_iN6hipcub16HIPCUB_304000_NS6detail34convert_binary_result_type_wrapperINS9_3SumENS9_22TransformInputIteratorIbN2at6native12_GLOBAL__N_19NonZeroOpIN3c107complexIdEEEEPKSK_lEEiEEEE10hipError_tPvRmT1_T2_T3_mT4_P12ihipStream_tbEUlT_E0_NS1_11comp_targetILNS1_3genE8ELNS1_11target_archE1030ELNS1_3gpuE2ELNS1_3repE0EEENS1_30default_config_static_selectorELNS0_4arch9wavefront6targetE0EEEvST_ ; -- Begin function _ZN7rocprim17ROCPRIM_400000_NS6detail17trampoline_kernelINS0_14default_configENS1_22reduce_config_selectorIiEEZNS1_11reduce_implILb1ES3_PiS7_iN6hipcub16HIPCUB_304000_NS6detail34convert_binary_result_type_wrapperINS9_3SumENS9_22TransformInputIteratorIbN2at6native12_GLOBAL__N_19NonZeroOpIN3c107complexIdEEEEPKSK_lEEiEEEE10hipError_tPvRmT1_T2_T3_mT4_P12ihipStream_tbEUlT_E0_NS1_11comp_targetILNS1_3genE8ELNS1_11target_archE1030ELNS1_3gpuE2ELNS1_3repE0EEENS1_30default_config_static_selectorELNS0_4arch9wavefront6targetE0EEEvST_
	.p2align	8
	.type	_ZN7rocprim17ROCPRIM_400000_NS6detail17trampoline_kernelINS0_14default_configENS1_22reduce_config_selectorIiEEZNS1_11reduce_implILb1ES3_PiS7_iN6hipcub16HIPCUB_304000_NS6detail34convert_binary_result_type_wrapperINS9_3SumENS9_22TransformInputIteratorIbN2at6native12_GLOBAL__N_19NonZeroOpIN3c107complexIdEEEEPKSK_lEEiEEEE10hipError_tPvRmT1_T2_T3_mT4_P12ihipStream_tbEUlT_E0_NS1_11comp_targetILNS1_3genE8ELNS1_11target_archE1030ELNS1_3gpuE2ELNS1_3repE0EEENS1_30default_config_static_selectorELNS0_4arch9wavefront6targetE0EEEvST_,@function
_ZN7rocprim17ROCPRIM_400000_NS6detail17trampoline_kernelINS0_14default_configENS1_22reduce_config_selectorIiEEZNS1_11reduce_implILb1ES3_PiS7_iN6hipcub16HIPCUB_304000_NS6detail34convert_binary_result_type_wrapperINS9_3SumENS9_22TransformInputIteratorIbN2at6native12_GLOBAL__N_19NonZeroOpIN3c107complexIdEEEEPKSK_lEEiEEEE10hipError_tPvRmT1_T2_T3_mT4_P12ihipStream_tbEUlT_E0_NS1_11comp_targetILNS1_3genE8ELNS1_11target_archE1030ELNS1_3gpuE2ELNS1_3repE0EEENS1_30default_config_static_selectorELNS0_4arch9wavefront6targetE0EEEvST_: ; @_ZN7rocprim17ROCPRIM_400000_NS6detail17trampoline_kernelINS0_14default_configENS1_22reduce_config_selectorIiEEZNS1_11reduce_implILb1ES3_PiS7_iN6hipcub16HIPCUB_304000_NS6detail34convert_binary_result_type_wrapperINS9_3SumENS9_22TransformInputIteratorIbN2at6native12_GLOBAL__N_19NonZeroOpIN3c107complexIdEEEEPKSK_lEEiEEEE10hipError_tPvRmT1_T2_T3_mT4_P12ihipStream_tbEUlT_E0_NS1_11comp_targetILNS1_3genE8ELNS1_11target_archE1030ELNS1_3gpuE2ELNS1_3repE0EEENS1_30default_config_static_selectorELNS0_4arch9wavefront6targetE0EEEvST_
; %bb.0:
	.section	.rodata,"a",@progbits
	.p2align	6, 0x0
	.amdhsa_kernel _ZN7rocprim17ROCPRIM_400000_NS6detail17trampoline_kernelINS0_14default_configENS1_22reduce_config_selectorIiEEZNS1_11reduce_implILb1ES3_PiS7_iN6hipcub16HIPCUB_304000_NS6detail34convert_binary_result_type_wrapperINS9_3SumENS9_22TransformInputIteratorIbN2at6native12_GLOBAL__N_19NonZeroOpIN3c107complexIdEEEEPKSK_lEEiEEEE10hipError_tPvRmT1_T2_T3_mT4_P12ihipStream_tbEUlT_E0_NS1_11comp_targetILNS1_3genE8ELNS1_11target_archE1030ELNS1_3gpuE2ELNS1_3repE0EEENS1_30default_config_static_selectorELNS0_4arch9wavefront6targetE0EEEvST_
		.amdhsa_group_segment_fixed_size 0
		.amdhsa_private_segment_fixed_size 0
		.amdhsa_kernarg_size 56
		.amdhsa_user_sgpr_count 15
		.amdhsa_user_sgpr_dispatch_ptr 0
		.amdhsa_user_sgpr_queue_ptr 0
		.amdhsa_user_sgpr_kernarg_segment_ptr 1
		.amdhsa_user_sgpr_dispatch_id 0
		.amdhsa_user_sgpr_private_segment_size 0
		.amdhsa_wavefront_size32 1
		.amdhsa_uses_dynamic_stack 0
		.amdhsa_enable_private_segment 0
		.amdhsa_system_sgpr_workgroup_id_x 1
		.amdhsa_system_sgpr_workgroup_id_y 0
		.amdhsa_system_sgpr_workgroup_id_z 0
		.amdhsa_system_sgpr_workgroup_info 0
		.amdhsa_system_vgpr_workitem_id 0
		.amdhsa_next_free_vgpr 1
		.amdhsa_next_free_sgpr 1
		.amdhsa_reserve_vcc 0
		.amdhsa_float_round_mode_32 0
		.amdhsa_float_round_mode_16_64 0
		.amdhsa_float_denorm_mode_32 3
		.amdhsa_float_denorm_mode_16_64 3
		.amdhsa_dx10_clamp 1
		.amdhsa_ieee_mode 1
		.amdhsa_fp16_overflow 0
		.amdhsa_workgroup_processor_mode 1
		.amdhsa_memory_ordered 1
		.amdhsa_forward_progress 0
		.amdhsa_shared_vgpr_count 0
		.amdhsa_exception_fp_ieee_invalid_op 0
		.amdhsa_exception_fp_denorm_src 0
		.amdhsa_exception_fp_ieee_div_zero 0
		.amdhsa_exception_fp_ieee_overflow 0
		.amdhsa_exception_fp_ieee_underflow 0
		.amdhsa_exception_fp_ieee_inexact 0
		.amdhsa_exception_int_div_zero 0
	.end_amdhsa_kernel
	.section	.text._ZN7rocprim17ROCPRIM_400000_NS6detail17trampoline_kernelINS0_14default_configENS1_22reduce_config_selectorIiEEZNS1_11reduce_implILb1ES3_PiS7_iN6hipcub16HIPCUB_304000_NS6detail34convert_binary_result_type_wrapperINS9_3SumENS9_22TransformInputIteratorIbN2at6native12_GLOBAL__N_19NonZeroOpIN3c107complexIdEEEEPKSK_lEEiEEEE10hipError_tPvRmT1_T2_T3_mT4_P12ihipStream_tbEUlT_E0_NS1_11comp_targetILNS1_3genE8ELNS1_11target_archE1030ELNS1_3gpuE2ELNS1_3repE0EEENS1_30default_config_static_selectorELNS0_4arch9wavefront6targetE0EEEvST_,"axG",@progbits,_ZN7rocprim17ROCPRIM_400000_NS6detail17trampoline_kernelINS0_14default_configENS1_22reduce_config_selectorIiEEZNS1_11reduce_implILb1ES3_PiS7_iN6hipcub16HIPCUB_304000_NS6detail34convert_binary_result_type_wrapperINS9_3SumENS9_22TransformInputIteratorIbN2at6native12_GLOBAL__N_19NonZeroOpIN3c107complexIdEEEEPKSK_lEEiEEEE10hipError_tPvRmT1_T2_T3_mT4_P12ihipStream_tbEUlT_E0_NS1_11comp_targetILNS1_3genE8ELNS1_11target_archE1030ELNS1_3gpuE2ELNS1_3repE0EEENS1_30default_config_static_selectorELNS0_4arch9wavefront6targetE0EEEvST_,comdat
.Lfunc_end498:
	.size	_ZN7rocprim17ROCPRIM_400000_NS6detail17trampoline_kernelINS0_14default_configENS1_22reduce_config_selectorIiEEZNS1_11reduce_implILb1ES3_PiS7_iN6hipcub16HIPCUB_304000_NS6detail34convert_binary_result_type_wrapperINS9_3SumENS9_22TransformInputIteratorIbN2at6native12_GLOBAL__N_19NonZeroOpIN3c107complexIdEEEEPKSK_lEEiEEEE10hipError_tPvRmT1_T2_T3_mT4_P12ihipStream_tbEUlT_E0_NS1_11comp_targetILNS1_3genE8ELNS1_11target_archE1030ELNS1_3gpuE2ELNS1_3repE0EEENS1_30default_config_static_selectorELNS0_4arch9wavefront6targetE0EEEvST_, .Lfunc_end498-_ZN7rocprim17ROCPRIM_400000_NS6detail17trampoline_kernelINS0_14default_configENS1_22reduce_config_selectorIiEEZNS1_11reduce_implILb1ES3_PiS7_iN6hipcub16HIPCUB_304000_NS6detail34convert_binary_result_type_wrapperINS9_3SumENS9_22TransformInputIteratorIbN2at6native12_GLOBAL__N_19NonZeroOpIN3c107complexIdEEEEPKSK_lEEiEEEE10hipError_tPvRmT1_T2_T3_mT4_P12ihipStream_tbEUlT_E0_NS1_11comp_targetILNS1_3genE8ELNS1_11target_archE1030ELNS1_3gpuE2ELNS1_3repE0EEENS1_30default_config_static_selectorELNS0_4arch9wavefront6targetE0EEEvST_
                                        ; -- End function
	.section	.AMDGPU.csdata,"",@progbits
; Kernel info:
; codeLenInByte = 0
; NumSgprs: 0
; NumVgprs: 0
; ScratchSize: 0
; MemoryBound: 0
; FloatMode: 240
; IeeeMode: 1
; LDSByteSize: 0 bytes/workgroup (compile time only)
; SGPRBlocks: 0
; VGPRBlocks: 0
; NumSGPRsForWavesPerEU: 1
; NumVGPRsForWavesPerEU: 1
; Occupancy: 16
; WaveLimiterHint : 0
; COMPUTE_PGM_RSRC2:SCRATCH_EN: 0
; COMPUTE_PGM_RSRC2:USER_SGPR: 15
; COMPUTE_PGM_RSRC2:TRAP_HANDLER: 0
; COMPUTE_PGM_RSRC2:TGID_X_EN: 1
; COMPUTE_PGM_RSRC2:TGID_Y_EN: 0
; COMPUTE_PGM_RSRC2:TGID_Z_EN: 0
; COMPUTE_PGM_RSRC2:TIDIG_COMP_CNT: 0
	.section	.text._ZN7rocprim17ROCPRIM_400000_NS6detail17trampoline_kernelINS0_14default_configENS1_22reduce_config_selectorIiEEZNS1_11reduce_implILb1ES3_PiS7_iN6hipcub16HIPCUB_304000_NS6detail34convert_binary_result_type_wrapperINS9_3SumENS9_22TransformInputIteratorIbN2at6native12_GLOBAL__N_19NonZeroOpIN3c107complexIdEEEEPKSK_lEEiEEEE10hipError_tPvRmT1_T2_T3_mT4_P12ihipStream_tbEUlT_E1_NS1_11comp_targetILNS1_3genE0ELNS1_11target_archE4294967295ELNS1_3gpuE0ELNS1_3repE0EEENS1_30default_config_static_selectorELNS0_4arch9wavefront6targetE0EEEvST_,"axG",@progbits,_ZN7rocprim17ROCPRIM_400000_NS6detail17trampoline_kernelINS0_14default_configENS1_22reduce_config_selectorIiEEZNS1_11reduce_implILb1ES3_PiS7_iN6hipcub16HIPCUB_304000_NS6detail34convert_binary_result_type_wrapperINS9_3SumENS9_22TransformInputIteratorIbN2at6native12_GLOBAL__N_19NonZeroOpIN3c107complexIdEEEEPKSK_lEEiEEEE10hipError_tPvRmT1_T2_T3_mT4_P12ihipStream_tbEUlT_E1_NS1_11comp_targetILNS1_3genE0ELNS1_11target_archE4294967295ELNS1_3gpuE0ELNS1_3repE0EEENS1_30default_config_static_selectorELNS0_4arch9wavefront6targetE0EEEvST_,comdat
	.globl	_ZN7rocprim17ROCPRIM_400000_NS6detail17trampoline_kernelINS0_14default_configENS1_22reduce_config_selectorIiEEZNS1_11reduce_implILb1ES3_PiS7_iN6hipcub16HIPCUB_304000_NS6detail34convert_binary_result_type_wrapperINS9_3SumENS9_22TransformInputIteratorIbN2at6native12_GLOBAL__N_19NonZeroOpIN3c107complexIdEEEEPKSK_lEEiEEEE10hipError_tPvRmT1_T2_T3_mT4_P12ihipStream_tbEUlT_E1_NS1_11comp_targetILNS1_3genE0ELNS1_11target_archE4294967295ELNS1_3gpuE0ELNS1_3repE0EEENS1_30default_config_static_selectorELNS0_4arch9wavefront6targetE0EEEvST_ ; -- Begin function _ZN7rocprim17ROCPRIM_400000_NS6detail17trampoline_kernelINS0_14default_configENS1_22reduce_config_selectorIiEEZNS1_11reduce_implILb1ES3_PiS7_iN6hipcub16HIPCUB_304000_NS6detail34convert_binary_result_type_wrapperINS9_3SumENS9_22TransformInputIteratorIbN2at6native12_GLOBAL__N_19NonZeroOpIN3c107complexIdEEEEPKSK_lEEiEEEE10hipError_tPvRmT1_T2_T3_mT4_P12ihipStream_tbEUlT_E1_NS1_11comp_targetILNS1_3genE0ELNS1_11target_archE4294967295ELNS1_3gpuE0ELNS1_3repE0EEENS1_30default_config_static_selectorELNS0_4arch9wavefront6targetE0EEEvST_
	.p2align	8
	.type	_ZN7rocprim17ROCPRIM_400000_NS6detail17trampoline_kernelINS0_14default_configENS1_22reduce_config_selectorIiEEZNS1_11reduce_implILb1ES3_PiS7_iN6hipcub16HIPCUB_304000_NS6detail34convert_binary_result_type_wrapperINS9_3SumENS9_22TransformInputIteratorIbN2at6native12_GLOBAL__N_19NonZeroOpIN3c107complexIdEEEEPKSK_lEEiEEEE10hipError_tPvRmT1_T2_T3_mT4_P12ihipStream_tbEUlT_E1_NS1_11comp_targetILNS1_3genE0ELNS1_11target_archE4294967295ELNS1_3gpuE0ELNS1_3repE0EEENS1_30default_config_static_selectorELNS0_4arch9wavefront6targetE0EEEvST_,@function
_ZN7rocprim17ROCPRIM_400000_NS6detail17trampoline_kernelINS0_14default_configENS1_22reduce_config_selectorIiEEZNS1_11reduce_implILb1ES3_PiS7_iN6hipcub16HIPCUB_304000_NS6detail34convert_binary_result_type_wrapperINS9_3SumENS9_22TransformInputIteratorIbN2at6native12_GLOBAL__N_19NonZeroOpIN3c107complexIdEEEEPKSK_lEEiEEEE10hipError_tPvRmT1_T2_T3_mT4_P12ihipStream_tbEUlT_E1_NS1_11comp_targetILNS1_3genE0ELNS1_11target_archE4294967295ELNS1_3gpuE0ELNS1_3repE0EEENS1_30default_config_static_selectorELNS0_4arch9wavefront6targetE0EEEvST_: ; @_ZN7rocprim17ROCPRIM_400000_NS6detail17trampoline_kernelINS0_14default_configENS1_22reduce_config_selectorIiEEZNS1_11reduce_implILb1ES3_PiS7_iN6hipcub16HIPCUB_304000_NS6detail34convert_binary_result_type_wrapperINS9_3SumENS9_22TransformInputIteratorIbN2at6native12_GLOBAL__N_19NonZeroOpIN3c107complexIdEEEEPKSK_lEEiEEEE10hipError_tPvRmT1_T2_T3_mT4_P12ihipStream_tbEUlT_E1_NS1_11comp_targetILNS1_3genE0ELNS1_11target_archE4294967295ELNS1_3gpuE0ELNS1_3repE0EEENS1_30default_config_static_selectorELNS0_4arch9wavefront6targetE0EEEvST_
; %bb.0:
	.section	.rodata,"a",@progbits
	.p2align	6, 0x0
	.amdhsa_kernel _ZN7rocprim17ROCPRIM_400000_NS6detail17trampoline_kernelINS0_14default_configENS1_22reduce_config_selectorIiEEZNS1_11reduce_implILb1ES3_PiS7_iN6hipcub16HIPCUB_304000_NS6detail34convert_binary_result_type_wrapperINS9_3SumENS9_22TransformInputIteratorIbN2at6native12_GLOBAL__N_19NonZeroOpIN3c107complexIdEEEEPKSK_lEEiEEEE10hipError_tPvRmT1_T2_T3_mT4_P12ihipStream_tbEUlT_E1_NS1_11comp_targetILNS1_3genE0ELNS1_11target_archE4294967295ELNS1_3gpuE0ELNS1_3repE0EEENS1_30default_config_static_selectorELNS0_4arch9wavefront6targetE0EEEvST_
		.amdhsa_group_segment_fixed_size 0
		.amdhsa_private_segment_fixed_size 0
		.amdhsa_kernarg_size 40
		.amdhsa_user_sgpr_count 15
		.amdhsa_user_sgpr_dispatch_ptr 0
		.amdhsa_user_sgpr_queue_ptr 0
		.amdhsa_user_sgpr_kernarg_segment_ptr 1
		.amdhsa_user_sgpr_dispatch_id 0
		.amdhsa_user_sgpr_private_segment_size 0
		.amdhsa_wavefront_size32 1
		.amdhsa_uses_dynamic_stack 0
		.amdhsa_enable_private_segment 0
		.amdhsa_system_sgpr_workgroup_id_x 1
		.amdhsa_system_sgpr_workgroup_id_y 0
		.amdhsa_system_sgpr_workgroup_id_z 0
		.amdhsa_system_sgpr_workgroup_info 0
		.amdhsa_system_vgpr_workitem_id 0
		.amdhsa_next_free_vgpr 1
		.amdhsa_next_free_sgpr 1
		.amdhsa_reserve_vcc 0
		.amdhsa_float_round_mode_32 0
		.amdhsa_float_round_mode_16_64 0
		.amdhsa_float_denorm_mode_32 3
		.amdhsa_float_denorm_mode_16_64 3
		.amdhsa_dx10_clamp 1
		.amdhsa_ieee_mode 1
		.amdhsa_fp16_overflow 0
		.amdhsa_workgroup_processor_mode 1
		.amdhsa_memory_ordered 1
		.amdhsa_forward_progress 0
		.amdhsa_shared_vgpr_count 0
		.amdhsa_exception_fp_ieee_invalid_op 0
		.amdhsa_exception_fp_denorm_src 0
		.amdhsa_exception_fp_ieee_div_zero 0
		.amdhsa_exception_fp_ieee_overflow 0
		.amdhsa_exception_fp_ieee_underflow 0
		.amdhsa_exception_fp_ieee_inexact 0
		.amdhsa_exception_int_div_zero 0
	.end_amdhsa_kernel
	.section	.text._ZN7rocprim17ROCPRIM_400000_NS6detail17trampoline_kernelINS0_14default_configENS1_22reduce_config_selectorIiEEZNS1_11reduce_implILb1ES3_PiS7_iN6hipcub16HIPCUB_304000_NS6detail34convert_binary_result_type_wrapperINS9_3SumENS9_22TransformInputIteratorIbN2at6native12_GLOBAL__N_19NonZeroOpIN3c107complexIdEEEEPKSK_lEEiEEEE10hipError_tPvRmT1_T2_T3_mT4_P12ihipStream_tbEUlT_E1_NS1_11comp_targetILNS1_3genE0ELNS1_11target_archE4294967295ELNS1_3gpuE0ELNS1_3repE0EEENS1_30default_config_static_selectorELNS0_4arch9wavefront6targetE0EEEvST_,"axG",@progbits,_ZN7rocprim17ROCPRIM_400000_NS6detail17trampoline_kernelINS0_14default_configENS1_22reduce_config_selectorIiEEZNS1_11reduce_implILb1ES3_PiS7_iN6hipcub16HIPCUB_304000_NS6detail34convert_binary_result_type_wrapperINS9_3SumENS9_22TransformInputIteratorIbN2at6native12_GLOBAL__N_19NonZeroOpIN3c107complexIdEEEEPKSK_lEEiEEEE10hipError_tPvRmT1_T2_T3_mT4_P12ihipStream_tbEUlT_E1_NS1_11comp_targetILNS1_3genE0ELNS1_11target_archE4294967295ELNS1_3gpuE0ELNS1_3repE0EEENS1_30default_config_static_selectorELNS0_4arch9wavefront6targetE0EEEvST_,comdat
.Lfunc_end499:
	.size	_ZN7rocprim17ROCPRIM_400000_NS6detail17trampoline_kernelINS0_14default_configENS1_22reduce_config_selectorIiEEZNS1_11reduce_implILb1ES3_PiS7_iN6hipcub16HIPCUB_304000_NS6detail34convert_binary_result_type_wrapperINS9_3SumENS9_22TransformInputIteratorIbN2at6native12_GLOBAL__N_19NonZeroOpIN3c107complexIdEEEEPKSK_lEEiEEEE10hipError_tPvRmT1_T2_T3_mT4_P12ihipStream_tbEUlT_E1_NS1_11comp_targetILNS1_3genE0ELNS1_11target_archE4294967295ELNS1_3gpuE0ELNS1_3repE0EEENS1_30default_config_static_selectorELNS0_4arch9wavefront6targetE0EEEvST_, .Lfunc_end499-_ZN7rocprim17ROCPRIM_400000_NS6detail17trampoline_kernelINS0_14default_configENS1_22reduce_config_selectorIiEEZNS1_11reduce_implILb1ES3_PiS7_iN6hipcub16HIPCUB_304000_NS6detail34convert_binary_result_type_wrapperINS9_3SumENS9_22TransformInputIteratorIbN2at6native12_GLOBAL__N_19NonZeroOpIN3c107complexIdEEEEPKSK_lEEiEEEE10hipError_tPvRmT1_T2_T3_mT4_P12ihipStream_tbEUlT_E1_NS1_11comp_targetILNS1_3genE0ELNS1_11target_archE4294967295ELNS1_3gpuE0ELNS1_3repE0EEENS1_30default_config_static_selectorELNS0_4arch9wavefront6targetE0EEEvST_
                                        ; -- End function
	.section	.AMDGPU.csdata,"",@progbits
; Kernel info:
; codeLenInByte = 0
; NumSgprs: 0
; NumVgprs: 0
; ScratchSize: 0
; MemoryBound: 0
; FloatMode: 240
; IeeeMode: 1
; LDSByteSize: 0 bytes/workgroup (compile time only)
; SGPRBlocks: 0
; VGPRBlocks: 0
; NumSGPRsForWavesPerEU: 1
; NumVGPRsForWavesPerEU: 1
; Occupancy: 16
; WaveLimiterHint : 0
; COMPUTE_PGM_RSRC2:SCRATCH_EN: 0
; COMPUTE_PGM_RSRC2:USER_SGPR: 15
; COMPUTE_PGM_RSRC2:TRAP_HANDLER: 0
; COMPUTE_PGM_RSRC2:TGID_X_EN: 1
; COMPUTE_PGM_RSRC2:TGID_Y_EN: 0
; COMPUTE_PGM_RSRC2:TGID_Z_EN: 0
; COMPUTE_PGM_RSRC2:TIDIG_COMP_CNT: 0
	.section	.text._ZN7rocprim17ROCPRIM_400000_NS6detail17trampoline_kernelINS0_14default_configENS1_22reduce_config_selectorIiEEZNS1_11reduce_implILb1ES3_PiS7_iN6hipcub16HIPCUB_304000_NS6detail34convert_binary_result_type_wrapperINS9_3SumENS9_22TransformInputIteratorIbN2at6native12_GLOBAL__N_19NonZeroOpIN3c107complexIdEEEEPKSK_lEEiEEEE10hipError_tPvRmT1_T2_T3_mT4_P12ihipStream_tbEUlT_E1_NS1_11comp_targetILNS1_3genE5ELNS1_11target_archE942ELNS1_3gpuE9ELNS1_3repE0EEENS1_30default_config_static_selectorELNS0_4arch9wavefront6targetE0EEEvST_,"axG",@progbits,_ZN7rocprim17ROCPRIM_400000_NS6detail17trampoline_kernelINS0_14default_configENS1_22reduce_config_selectorIiEEZNS1_11reduce_implILb1ES3_PiS7_iN6hipcub16HIPCUB_304000_NS6detail34convert_binary_result_type_wrapperINS9_3SumENS9_22TransformInputIteratorIbN2at6native12_GLOBAL__N_19NonZeroOpIN3c107complexIdEEEEPKSK_lEEiEEEE10hipError_tPvRmT1_T2_T3_mT4_P12ihipStream_tbEUlT_E1_NS1_11comp_targetILNS1_3genE5ELNS1_11target_archE942ELNS1_3gpuE9ELNS1_3repE0EEENS1_30default_config_static_selectorELNS0_4arch9wavefront6targetE0EEEvST_,comdat
	.globl	_ZN7rocprim17ROCPRIM_400000_NS6detail17trampoline_kernelINS0_14default_configENS1_22reduce_config_selectorIiEEZNS1_11reduce_implILb1ES3_PiS7_iN6hipcub16HIPCUB_304000_NS6detail34convert_binary_result_type_wrapperINS9_3SumENS9_22TransformInputIteratorIbN2at6native12_GLOBAL__N_19NonZeroOpIN3c107complexIdEEEEPKSK_lEEiEEEE10hipError_tPvRmT1_T2_T3_mT4_P12ihipStream_tbEUlT_E1_NS1_11comp_targetILNS1_3genE5ELNS1_11target_archE942ELNS1_3gpuE9ELNS1_3repE0EEENS1_30default_config_static_selectorELNS0_4arch9wavefront6targetE0EEEvST_ ; -- Begin function _ZN7rocprim17ROCPRIM_400000_NS6detail17trampoline_kernelINS0_14default_configENS1_22reduce_config_selectorIiEEZNS1_11reduce_implILb1ES3_PiS7_iN6hipcub16HIPCUB_304000_NS6detail34convert_binary_result_type_wrapperINS9_3SumENS9_22TransformInputIteratorIbN2at6native12_GLOBAL__N_19NonZeroOpIN3c107complexIdEEEEPKSK_lEEiEEEE10hipError_tPvRmT1_T2_T3_mT4_P12ihipStream_tbEUlT_E1_NS1_11comp_targetILNS1_3genE5ELNS1_11target_archE942ELNS1_3gpuE9ELNS1_3repE0EEENS1_30default_config_static_selectorELNS0_4arch9wavefront6targetE0EEEvST_
	.p2align	8
	.type	_ZN7rocprim17ROCPRIM_400000_NS6detail17trampoline_kernelINS0_14default_configENS1_22reduce_config_selectorIiEEZNS1_11reduce_implILb1ES3_PiS7_iN6hipcub16HIPCUB_304000_NS6detail34convert_binary_result_type_wrapperINS9_3SumENS9_22TransformInputIteratorIbN2at6native12_GLOBAL__N_19NonZeroOpIN3c107complexIdEEEEPKSK_lEEiEEEE10hipError_tPvRmT1_T2_T3_mT4_P12ihipStream_tbEUlT_E1_NS1_11comp_targetILNS1_3genE5ELNS1_11target_archE942ELNS1_3gpuE9ELNS1_3repE0EEENS1_30default_config_static_selectorELNS0_4arch9wavefront6targetE0EEEvST_,@function
_ZN7rocprim17ROCPRIM_400000_NS6detail17trampoline_kernelINS0_14default_configENS1_22reduce_config_selectorIiEEZNS1_11reduce_implILb1ES3_PiS7_iN6hipcub16HIPCUB_304000_NS6detail34convert_binary_result_type_wrapperINS9_3SumENS9_22TransformInputIteratorIbN2at6native12_GLOBAL__N_19NonZeroOpIN3c107complexIdEEEEPKSK_lEEiEEEE10hipError_tPvRmT1_T2_T3_mT4_P12ihipStream_tbEUlT_E1_NS1_11comp_targetILNS1_3genE5ELNS1_11target_archE942ELNS1_3gpuE9ELNS1_3repE0EEENS1_30default_config_static_selectorELNS0_4arch9wavefront6targetE0EEEvST_: ; @_ZN7rocprim17ROCPRIM_400000_NS6detail17trampoline_kernelINS0_14default_configENS1_22reduce_config_selectorIiEEZNS1_11reduce_implILb1ES3_PiS7_iN6hipcub16HIPCUB_304000_NS6detail34convert_binary_result_type_wrapperINS9_3SumENS9_22TransformInputIteratorIbN2at6native12_GLOBAL__N_19NonZeroOpIN3c107complexIdEEEEPKSK_lEEiEEEE10hipError_tPvRmT1_T2_T3_mT4_P12ihipStream_tbEUlT_E1_NS1_11comp_targetILNS1_3genE5ELNS1_11target_archE942ELNS1_3gpuE9ELNS1_3repE0EEENS1_30default_config_static_selectorELNS0_4arch9wavefront6targetE0EEEvST_
; %bb.0:
	.section	.rodata,"a",@progbits
	.p2align	6, 0x0
	.amdhsa_kernel _ZN7rocprim17ROCPRIM_400000_NS6detail17trampoline_kernelINS0_14default_configENS1_22reduce_config_selectorIiEEZNS1_11reduce_implILb1ES3_PiS7_iN6hipcub16HIPCUB_304000_NS6detail34convert_binary_result_type_wrapperINS9_3SumENS9_22TransformInputIteratorIbN2at6native12_GLOBAL__N_19NonZeroOpIN3c107complexIdEEEEPKSK_lEEiEEEE10hipError_tPvRmT1_T2_T3_mT4_P12ihipStream_tbEUlT_E1_NS1_11comp_targetILNS1_3genE5ELNS1_11target_archE942ELNS1_3gpuE9ELNS1_3repE0EEENS1_30default_config_static_selectorELNS0_4arch9wavefront6targetE0EEEvST_
		.amdhsa_group_segment_fixed_size 0
		.amdhsa_private_segment_fixed_size 0
		.amdhsa_kernarg_size 40
		.amdhsa_user_sgpr_count 15
		.amdhsa_user_sgpr_dispatch_ptr 0
		.amdhsa_user_sgpr_queue_ptr 0
		.amdhsa_user_sgpr_kernarg_segment_ptr 1
		.amdhsa_user_sgpr_dispatch_id 0
		.amdhsa_user_sgpr_private_segment_size 0
		.amdhsa_wavefront_size32 1
		.amdhsa_uses_dynamic_stack 0
		.amdhsa_enable_private_segment 0
		.amdhsa_system_sgpr_workgroup_id_x 1
		.amdhsa_system_sgpr_workgroup_id_y 0
		.amdhsa_system_sgpr_workgroup_id_z 0
		.amdhsa_system_sgpr_workgroup_info 0
		.amdhsa_system_vgpr_workitem_id 0
		.amdhsa_next_free_vgpr 1
		.amdhsa_next_free_sgpr 1
		.amdhsa_reserve_vcc 0
		.amdhsa_float_round_mode_32 0
		.amdhsa_float_round_mode_16_64 0
		.amdhsa_float_denorm_mode_32 3
		.amdhsa_float_denorm_mode_16_64 3
		.amdhsa_dx10_clamp 1
		.amdhsa_ieee_mode 1
		.amdhsa_fp16_overflow 0
		.amdhsa_workgroup_processor_mode 1
		.amdhsa_memory_ordered 1
		.amdhsa_forward_progress 0
		.amdhsa_shared_vgpr_count 0
		.amdhsa_exception_fp_ieee_invalid_op 0
		.amdhsa_exception_fp_denorm_src 0
		.amdhsa_exception_fp_ieee_div_zero 0
		.amdhsa_exception_fp_ieee_overflow 0
		.amdhsa_exception_fp_ieee_underflow 0
		.amdhsa_exception_fp_ieee_inexact 0
		.amdhsa_exception_int_div_zero 0
	.end_amdhsa_kernel
	.section	.text._ZN7rocprim17ROCPRIM_400000_NS6detail17trampoline_kernelINS0_14default_configENS1_22reduce_config_selectorIiEEZNS1_11reduce_implILb1ES3_PiS7_iN6hipcub16HIPCUB_304000_NS6detail34convert_binary_result_type_wrapperINS9_3SumENS9_22TransformInputIteratorIbN2at6native12_GLOBAL__N_19NonZeroOpIN3c107complexIdEEEEPKSK_lEEiEEEE10hipError_tPvRmT1_T2_T3_mT4_P12ihipStream_tbEUlT_E1_NS1_11comp_targetILNS1_3genE5ELNS1_11target_archE942ELNS1_3gpuE9ELNS1_3repE0EEENS1_30default_config_static_selectorELNS0_4arch9wavefront6targetE0EEEvST_,"axG",@progbits,_ZN7rocprim17ROCPRIM_400000_NS6detail17trampoline_kernelINS0_14default_configENS1_22reduce_config_selectorIiEEZNS1_11reduce_implILb1ES3_PiS7_iN6hipcub16HIPCUB_304000_NS6detail34convert_binary_result_type_wrapperINS9_3SumENS9_22TransformInputIteratorIbN2at6native12_GLOBAL__N_19NonZeroOpIN3c107complexIdEEEEPKSK_lEEiEEEE10hipError_tPvRmT1_T2_T3_mT4_P12ihipStream_tbEUlT_E1_NS1_11comp_targetILNS1_3genE5ELNS1_11target_archE942ELNS1_3gpuE9ELNS1_3repE0EEENS1_30default_config_static_selectorELNS0_4arch9wavefront6targetE0EEEvST_,comdat
.Lfunc_end500:
	.size	_ZN7rocprim17ROCPRIM_400000_NS6detail17trampoline_kernelINS0_14default_configENS1_22reduce_config_selectorIiEEZNS1_11reduce_implILb1ES3_PiS7_iN6hipcub16HIPCUB_304000_NS6detail34convert_binary_result_type_wrapperINS9_3SumENS9_22TransformInputIteratorIbN2at6native12_GLOBAL__N_19NonZeroOpIN3c107complexIdEEEEPKSK_lEEiEEEE10hipError_tPvRmT1_T2_T3_mT4_P12ihipStream_tbEUlT_E1_NS1_11comp_targetILNS1_3genE5ELNS1_11target_archE942ELNS1_3gpuE9ELNS1_3repE0EEENS1_30default_config_static_selectorELNS0_4arch9wavefront6targetE0EEEvST_, .Lfunc_end500-_ZN7rocprim17ROCPRIM_400000_NS6detail17trampoline_kernelINS0_14default_configENS1_22reduce_config_selectorIiEEZNS1_11reduce_implILb1ES3_PiS7_iN6hipcub16HIPCUB_304000_NS6detail34convert_binary_result_type_wrapperINS9_3SumENS9_22TransformInputIteratorIbN2at6native12_GLOBAL__N_19NonZeroOpIN3c107complexIdEEEEPKSK_lEEiEEEE10hipError_tPvRmT1_T2_T3_mT4_P12ihipStream_tbEUlT_E1_NS1_11comp_targetILNS1_3genE5ELNS1_11target_archE942ELNS1_3gpuE9ELNS1_3repE0EEENS1_30default_config_static_selectorELNS0_4arch9wavefront6targetE0EEEvST_
                                        ; -- End function
	.section	.AMDGPU.csdata,"",@progbits
; Kernel info:
; codeLenInByte = 0
; NumSgprs: 0
; NumVgprs: 0
; ScratchSize: 0
; MemoryBound: 0
; FloatMode: 240
; IeeeMode: 1
; LDSByteSize: 0 bytes/workgroup (compile time only)
; SGPRBlocks: 0
; VGPRBlocks: 0
; NumSGPRsForWavesPerEU: 1
; NumVGPRsForWavesPerEU: 1
; Occupancy: 16
; WaveLimiterHint : 0
; COMPUTE_PGM_RSRC2:SCRATCH_EN: 0
; COMPUTE_PGM_RSRC2:USER_SGPR: 15
; COMPUTE_PGM_RSRC2:TRAP_HANDLER: 0
; COMPUTE_PGM_RSRC2:TGID_X_EN: 1
; COMPUTE_PGM_RSRC2:TGID_Y_EN: 0
; COMPUTE_PGM_RSRC2:TGID_Z_EN: 0
; COMPUTE_PGM_RSRC2:TIDIG_COMP_CNT: 0
	.section	.text._ZN7rocprim17ROCPRIM_400000_NS6detail17trampoline_kernelINS0_14default_configENS1_22reduce_config_selectorIiEEZNS1_11reduce_implILb1ES3_PiS7_iN6hipcub16HIPCUB_304000_NS6detail34convert_binary_result_type_wrapperINS9_3SumENS9_22TransformInputIteratorIbN2at6native12_GLOBAL__N_19NonZeroOpIN3c107complexIdEEEEPKSK_lEEiEEEE10hipError_tPvRmT1_T2_T3_mT4_P12ihipStream_tbEUlT_E1_NS1_11comp_targetILNS1_3genE4ELNS1_11target_archE910ELNS1_3gpuE8ELNS1_3repE0EEENS1_30default_config_static_selectorELNS0_4arch9wavefront6targetE0EEEvST_,"axG",@progbits,_ZN7rocprim17ROCPRIM_400000_NS6detail17trampoline_kernelINS0_14default_configENS1_22reduce_config_selectorIiEEZNS1_11reduce_implILb1ES3_PiS7_iN6hipcub16HIPCUB_304000_NS6detail34convert_binary_result_type_wrapperINS9_3SumENS9_22TransformInputIteratorIbN2at6native12_GLOBAL__N_19NonZeroOpIN3c107complexIdEEEEPKSK_lEEiEEEE10hipError_tPvRmT1_T2_T3_mT4_P12ihipStream_tbEUlT_E1_NS1_11comp_targetILNS1_3genE4ELNS1_11target_archE910ELNS1_3gpuE8ELNS1_3repE0EEENS1_30default_config_static_selectorELNS0_4arch9wavefront6targetE0EEEvST_,comdat
	.globl	_ZN7rocprim17ROCPRIM_400000_NS6detail17trampoline_kernelINS0_14default_configENS1_22reduce_config_selectorIiEEZNS1_11reduce_implILb1ES3_PiS7_iN6hipcub16HIPCUB_304000_NS6detail34convert_binary_result_type_wrapperINS9_3SumENS9_22TransformInputIteratorIbN2at6native12_GLOBAL__N_19NonZeroOpIN3c107complexIdEEEEPKSK_lEEiEEEE10hipError_tPvRmT1_T2_T3_mT4_P12ihipStream_tbEUlT_E1_NS1_11comp_targetILNS1_3genE4ELNS1_11target_archE910ELNS1_3gpuE8ELNS1_3repE0EEENS1_30default_config_static_selectorELNS0_4arch9wavefront6targetE0EEEvST_ ; -- Begin function _ZN7rocprim17ROCPRIM_400000_NS6detail17trampoline_kernelINS0_14default_configENS1_22reduce_config_selectorIiEEZNS1_11reduce_implILb1ES3_PiS7_iN6hipcub16HIPCUB_304000_NS6detail34convert_binary_result_type_wrapperINS9_3SumENS9_22TransformInputIteratorIbN2at6native12_GLOBAL__N_19NonZeroOpIN3c107complexIdEEEEPKSK_lEEiEEEE10hipError_tPvRmT1_T2_T3_mT4_P12ihipStream_tbEUlT_E1_NS1_11comp_targetILNS1_3genE4ELNS1_11target_archE910ELNS1_3gpuE8ELNS1_3repE0EEENS1_30default_config_static_selectorELNS0_4arch9wavefront6targetE0EEEvST_
	.p2align	8
	.type	_ZN7rocprim17ROCPRIM_400000_NS6detail17trampoline_kernelINS0_14default_configENS1_22reduce_config_selectorIiEEZNS1_11reduce_implILb1ES3_PiS7_iN6hipcub16HIPCUB_304000_NS6detail34convert_binary_result_type_wrapperINS9_3SumENS9_22TransformInputIteratorIbN2at6native12_GLOBAL__N_19NonZeroOpIN3c107complexIdEEEEPKSK_lEEiEEEE10hipError_tPvRmT1_T2_T3_mT4_P12ihipStream_tbEUlT_E1_NS1_11comp_targetILNS1_3genE4ELNS1_11target_archE910ELNS1_3gpuE8ELNS1_3repE0EEENS1_30default_config_static_selectorELNS0_4arch9wavefront6targetE0EEEvST_,@function
_ZN7rocprim17ROCPRIM_400000_NS6detail17trampoline_kernelINS0_14default_configENS1_22reduce_config_selectorIiEEZNS1_11reduce_implILb1ES3_PiS7_iN6hipcub16HIPCUB_304000_NS6detail34convert_binary_result_type_wrapperINS9_3SumENS9_22TransformInputIteratorIbN2at6native12_GLOBAL__N_19NonZeroOpIN3c107complexIdEEEEPKSK_lEEiEEEE10hipError_tPvRmT1_T2_T3_mT4_P12ihipStream_tbEUlT_E1_NS1_11comp_targetILNS1_3genE4ELNS1_11target_archE910ELNS1_3gpuE8ELNS1_3repE0EEENS1_30default_config_static_selectorELNS0_4arch9wavefront6targetE0EEEvST_: ; @_ZN7rocprim17ROCPRIM_400000_NS6detail17trampoline_kernelINS0_14default_configENS1_22reduce_config_selectorIiEEZNS1_11reduce_implILb1ES3_PiS7_iN6hipcub16HIPCUB_304000_NS6detail34convert_binary_result_type_wrapperINS9_3SumENS9_22TransformInputIteratorIbN2at6native12_GLOBAL__N_19NonZeroOpIN3c107complexIdEEEEPKSK_lEEiEEEE10hipError_tPvRmT1_T2_T3_mT4_P12ihipStream_tbEUlT_E1_NS1_11comp_targetILNS1_3genE4ELNS1_11target_archE910ELNS1_3gpuE8ELNS1_3repE0EEENS1_30default_config_static_selectorELNS0_4arch9wavefront6targetE0EEEvST_
; %bb.0:
	.section	.rodata,"a",@progbits
	.p2align	6, 0x0
	.amdhsa_kernel _ZN7rocprim17ROCPRIM_400000_NS6detail17trampoline_kernelINS0_14default_configENS1_22reduce_config_selectorIiEEZNS1_11reduce_implILb1ES3_PiS7_iN6hipcub16HIPCUB_304000_NS6detail34convert_binary_result_type_wrapperINS9_3SumENS9_22TransformInputIteratorIbN2at6native12_GLOBAL__N_19NonZeroOpIN3c107complexIdEEEEPKSK_lEEiEEEE10hipError_tPvRmT1_T2_T3_mT4_P12ihipStream_tbEUlT_E1_NS1_11comp_targetILNS1_3genE4ELNS1_11target_archE910ELNS1_3gpuE8ELNS1_3repE0EEENS1_30default_config_static_selectorELNS0_4arch9wavefront6targetE0EEEvST_
		.amdhsa_group_segment_fixed_size 0
		.amdhsa_private_segment_fixed_size 0
		.amdhsa_kernarg_size 40
		.amdhsa_user_sgpr_count 15
		.amdhsa_user_sgpr_dispatch_ptr 0
		.amdhsa_user_sgpr_queue_ptr 0
		.amdhsa_user_sgpr_kernarg_segment_ptr 1
		.amdhsa_user_sgpr_dispatch_id 0
		.amdhsa_user_sgpr_private_segment_size 0
		.amdhsa_wavefront_size32 1
		.amdhsa_uses_dynamic_stack 0
		.amdhsa_enable_private_segment 0
		.amdhsa_system_sgpr_workgroup_id_x 1
		.amdhsa_system_sgpr_workgroup_id_y 0
		.amdhsa_system_sgpr_workgroup_id_z 0
		.amdhsa_system_sgpr_workgroup_info 0
		.amdhsa_system_vgpr_workitem_id 0
		.amdhsa_next_free_vgpr 1
		.amdhsa_next_free_sgpr 1
		.amdhsa_reserve_vcc 0
		.amdhsa_float_round_mode_32 0
		.amdhsa_float_round_mode_16_64 0
		.amdhsa_float_denorm_mode_32 3
		.amdhsa_float_denorm_mode_16_64 3
		.amdhsa_dx10_clamp 1
		.amdhsa_ieee_mode 1
		.amdhsa_fp16_overflow 0
		.amdhsa_workgroup_processor_mode 1
		.amdhsa_memory_ordered 1
		.amdhsa_forward_progress 0
		.amdhsa_shared_vgpr_count 0
		.amdhsa_exception_fp_ieee_invalid_op 0
		.amdhsa_exception_fp_denorm_src 0
		.amdhsa_exception_fp_ieee_div_zero 0
		.amdhsa_exception_fp_ieee_overflow 0
		.amdhsa_exception_fp_ieee_underflow 0
		.amdhsa_exception_fp_ieee_inexact 0
		.amdhsa_exception_int_div_zero 0
	.end_amdhsa_kernel
	.section	.text._ZN7rocprim17ROCPRIM_400000_NS6detail17trampoline_kernelINS0_14default_configENS1_22reduce_config_selectorIiEEZNS1_11reduce_implILb1ES3_PiS7_iN6hipcub16HIPCUB_304000_NS6detail34convert_binary_result_type_wrapperINS9_3SumENS9_22TransformInputIteratorIbN2at6native12_GLOBAL__N_19NonZeroOpIN3c107complexIdEEEEPKSK_lEEiEEEE10hipError_tPvRmT1_T2_T3_mT4_P12ihipStream_tbEUlT_E1_NS1_11comp_targetILNS1_3genE4ELNS1_11target_archE910ELNS1_3gpuE8ELNS1_3repE0EEENS1_30default_config_static_selectorELNS0_4arch9wavefront6targetE0EEEvST_,"axG",@progbits,_ZN7rocprim17ROCPRIM_400000_NS6detail17trampoline_kernelINS0_14default_configENS1_22reduce_config_selectorIiEEZNS1_11reduce_implILb1ES3_PiS7_iN6hipcub16HIPCUB_304000_NS6detail34convert_binary_result_type_wrapperINS9_3SumENS9_22TransformInputIteratorIbN2at6native12_GLOBAL__N_19NonZeroOpIN3c107complexIdEEEEPKSK_lEEiEEEE10hipError_tPvRmT1_T2_T3_mT4_P12ihipStream_tbEUlT_E1_NS1_11comp_targetILNS1_3genE4ELNS1_11target_archE910ELNS1_3gpuE8ELNS1_3repE0EEENS1_30default_config_static_selectorELNS0_4arch9wavefront6targetE0EEEvST_,comdat
.Lfunc_end501:
	.size	_ZN7rocprim17ROCPRIM_400000_NS6detail17trampoline_kernelINS0_14default_configENS1_22reduce_config_selectorIiEEZNS1_11reduce_implILb1ES3_PiS7_iN6hipcub16HIPCUB_304000_NS6detail34convert_binary_result_type_wrapperINS9_3SumENS9_22TransformInputIteratorIbN2at6native12_GLOBAL__N_19NonZeroOpIN3c107complexIdEEEEPKSK_lEEiEEEE10hipError_tPvRmT1_T2_T3_mT4_P12ihipStream_tbEUlT_E1_NS1_11comp_targetILNS1_3genE4ELNS1_11target_archE910ELNS1_3gpuE8ELNS1_3repE0EEENS1_30default_config_static_selectorELNS0_4arch9wavefront6targetE0EEEvST_, .Lfunc_end501-_ZN7rocprim17ROCPRIM_400000_NS6detail17trampoline_kernelINS0_14default_configENS1_22reduce_config_selectorIiEEZNS1_11reduce_implILb1ES3_PiS7_iN6hipcub16HIPCUB_304000_NS6detail34convert_binary_result_type_wrapperINS9_3SumENS9_22TransformInputIteratorIbN2at6native12_GLOBAL__N_19NonZeroOpIN3c107complexIdEEEEPKSK_lEEiEEEE10hipError_tPvRmT1_T2_T3_mT4_P12ihipStream_tbEUlT_E1_NS1_11comp_targetILNS1_3genE4ELNS1_11target_archE910ELNS1_3gpuE8ELNS1_3repE0EEENS1_30default_config_static_selectorELNS0_4arch9wavefront6targetE0EEEvST_
                                        ; -- End function
	.section	.AMDGPU.csdata,"",@progbits
; Kernel info:
; codeLenInByte = 0
; NumSgprs: 0
; NumVgprs: 0
; ScratchSize: 0
; MemoryBound: 0
; FloatMode: 240
; IeeeMode: 1
; LDSByteSize: 0 bytes/workgroup (compile time only)
; SGPRBlocks: 0
; VGPRBlocks: 0
; NumSGPRsForWavesPerEU: 1
; NumVGPRsForWavesPerEU: 1
; Occupancy: 16
; WaveLimiterHint : 0
; COMPUTE_PGM_RSRC2:SCRATCH_EN: 0
; COMPUTE_PGM_RSRC2:USER_SGPR: 15
; COMPUTE_PGM_RSRC2:TRAP_HANDLER: 0
; COMPUTE_PGM_RSRC2:TGID_X_EN: 1
; COMPUTE_PGM_RSRC2:TGID_Y_EN: 0
; COMPUTE_PGM_RSRC2:TGID_Z_EN: 0
; COMPUTE_PGM_RSRC2:TIDIG_COMP_CNT: 0
	.section	.text._ZN7rocprim17ROCPRIM_400000_NS6detail17trampoline_kernelINS0_14default_configENS1_22reduce_config_selectorIiEEZNS1_11reduce_implILb1ES3_PiS7_iN6hipcub16HIPCUB_304000_NS6detail34convert_binary_result_type_wrapperINS9_3SumENS9_22TransformInputIteratorIbN2at6native12_GLOBAL__N_19NonZeroOpIN3c107complexIdEEEEPKSK_lEEiEEEE10hipError_tPvRmT1_T2_T3_mT4_P12ihipStream_tbEUlT_E1_NS1_11comp_targetILNS1_3genE3ELNS1_11target_archE908ELNS1_3gpuE7ELNS1_3repE0EEENS1_30default_config_static_selectorELNS0_4arch9wavefront6targetE0EEEvST_,"axG",@progbits,_ZN7rocprim17ROCPRIM_400000_NS6detail17trampoline_kernelINS0_14default_configENS1_22reduce_config_selectorIiEEZNS1_11reduce_implILb1ES3_PiS7_iN6hipcub16HIPCUB_304000_NS6detail34convert_binary_result_type_wrapperINS9_3SumENS9_22TransformInputIteratorIbN2at6native12_GLOBAL__N_19NonZeroOpIN3c107complexIdEEEEPKSK_lEEiEEEE10hipError_tPvRmT1_T2_T3_mT4_P12ihipStream_tbEUlT_E1_NS1_11comp_targetILNS1_3genE3ELNS1_11target_archE908ELNS1_3gpuE7ELNS1_3repE0EEENS1_30default_config_static_selectorELNS0_4arch9wavefront6targetE0EEEvST_,comdat
	.globl	_ZN7rocprim17ROCPRIM_400000_NS6detail17trampoline_kernelINS0_14default_configENS1_22reduce_config_selectorIiEEZNS1_11reduce_implILb1ES3_PiS7_iN6hipcub16HIPCUB_304000_NS6detail34convert_binary_result_type_wrapperINS9_3SumENS9_22TransformInputIteratorIbN2at6native12_GLOBAL__N_19NonZeroOpIN3c107complexIdEEEEPKSK_lEEiEEEE10hipError_tPvRmT1_T2_T3_mT4_P12ihipStream_tbEUlT_E1_NS1_11comp_targetILNS1_3genE3ELNS1_11target_archE908ELNS1_3gpuE7ELNS1_3repE0EEENS1_30default_config_static_selectorELNS0_4arch9wavefront6targetE0EEEvST_ ; -- Begin function _ZN7rocprim17ROCPRIM_400000_NS6detail17trampoline_kernelINS0_14default_configENS1_22reduce_config_selectorIiEEZNS1_11reduce_implILb1ES3_PiS7_iN6hipcub16HIPCUB_304000_NS6detail34convert_binary_result_type_wrapperINS9_3SumENS9_22TransformInputIteratorIbN2at6native12_GLOBAL__N_19NonZeroOpIN3c107complexIdEEEEPKSK_lEEiEEEE10hipError_tPvRmT1_T2_T3_mT4_P12ihipStream_tbEUlT_E1_NS1_11comp_targetILNS1_3genE3ELNS1_11target_archE908ELNS1_3gpuE7ELNS1_3repE0EEENS1_30default_config_static_selectorELNS0_4arch9wavefront6targetE0EEEvST_
	.p2align	8
	.type	_ZN7rocprim17ROCPRIM_400000_NS6detail17trampoline_kernelINS0_14default_configENS1_22reduce_config_selectorIiEEZNS1_11reduce_implILb1ES3_PiS7_iN6hipcub16HIPCUB_304000_NS6detail34convert_binary_result_type_wrapperINS9_3SumENS9_22TransformInputIteratorIbN2at6native12_GLOBAL__N_19NonZeroOpIN3c107complexIdEEEEPKSK_lEEiEEEE10hipError_tPvRmT1_T2_T3_mT4_P12ihipStream_tbEUlT_E1_NS1_11comp_targetILNS1_3genE3ELNS1_11target_archE908ELNS1_3gpuE7ELNS1_3repE0EEENS1_30default_config_static_selectorELNS0_4arch9wavefront6targetE0EEEvST_,@function
_ZN7rocprim17ROCPRIM_400000_NS6detail17trampoline_kernelINS0_14default_configENS1_22reduce_config_selectorIiEEZNS1_11reduce_implILb1ES3_PiS7_iN6hipcub16HIPCUB_304000_NS6detail34convert_binary_result_type_wrapperINS9_3SumENS9_22TransformInputIteratorIbN2at6native12_GLOBAL__N_19NonZeroOpIN3c107complexIdEEEEPKSK_lEEiEEEE10hipError_tPvRmT1_T2_T3_mT4_P12ihipStream_tbEUlT_E1_NS1_11comp_targetILNS1_3genE3ELNS1_11target_archE908ELNS1_3gpuE7ELNS1_3repE0EEENS1_30default_config_static_selectorELNS0_4arch9wavefront6targetE0EEEvST_: ; @_ZN7rocprim17ROCPRIM_400000_NS6detail17trampoline_kernelINS0_14default_configENS1_22reduce_config_selectorIiEEZNS1_11reduce_implILb1ES3_PiS7_iN6hipcub16HIPCUB_304000_NS6detail34convert_binary_result_type_wrapperINS9_3SumENS9_22TransformInputIteratorIbN2at6native12_GLOBAL__N_19NonZeroOpIN3c107complexIdEEEEPKSK_lEEiEEEE10hipError_tPvRmT1_T2_T3_mT4_P12ihipStream_tbEUlT_E1_NS1_11comp_targetILNS1_3genE3ELNS1_11target_archE908ELNS1_3gpuE7ELNS1_3repE0EEENS1_30default_config_static_selectorELNS0_4arch9wavefront6targetE0EEEvST_
; %bb.0:
	.section	.rodata,"a",@progbits
	.p2align	6, 0x0
	.amdhsa_kernel _ZN7rocprim17ROCPRIM_400000_NS6detail17trampoline_kernelINS0_14default_configENS1_22reduce_config_selectorIiEEZNS1_11reduce_implILb1ES3_PiS7_iN6hipcub16HIPCUB_304000_NS6detail34convert_binary_result_type_wrapperINS9_3SumENS9_22TransformInputIteratorIbN2at6native12_GLOBAL__N_19NonZeroOpIN3c107complexIdEEEEPKSK_lEEiEEEE10hipError_tPvRmT1_T2_T3_mT4_P12ihipStream_tbEUlT_E1_NS1_11comp_targetILNS1_3genE3ELNS1_11target_archE908ELNS1_3gpuE7ELNS1_3repE0EEENS1_30default_config_static_selectorELNS0_4arch9wavefront6targetE0EEEvST_
		.amdhsa_group_segment_fixed_size 0
		.amdhsa_private_segment_fixed_size 0
		.amdhsa_kernarg_size 40
		.amdhsa_user_sgpr_count 15
		.amdhsa_user_sgpr_dispatch_ptr 0
		.amdhsa_user_sgpr_queue_ptr 0
		.amdhsa_user_sgpr_kernarg_segment_ptr 1
		.amdhsa_user_sgpr_dispatch_id 0
		.amdhsa_user_sgpr_private_segment_size 0
		.amdhsa_wavefront_size32 1
		.amdhsa_uses_dynamic_stack 0
		.amdhsa_enable_private_segment 0
		.amdhsa_system_sgpr_workgroup_id_x 1
		.amdhsa_system_sgpr_workgroup_id_y 0
		.amdhsa_system_sgpr_workgroup_id_z 0
		.amdhsa_system_sgpr_workgroup_info 0
		.amdhsa_system_vgpr_workitem_id 0
		.amdhsa_next_free_vgpr 1
		.amdhsa_next_free_sgpr 1
		.amdhsa_reserve_vcc 0
		.amdhsa_float_round_mode_32 0
		.amdhsa_float_round_mode_16_64 0
		.amdhsa_float_denorm_mode_32 3
		.amdhsa_float_denorm_mode_16_64 3
		.amdhsa_dx10_clamp 1
		.amdhsa_ieee_mode 1
		.amdhsa_fp16_overflow 0
		.amdhsa_workgroup_processor_mode 1
		.amdhsa_memory_ordered 1
		.amdhsa_forward_progress 0
		.amdhsa_shared_vgpr_count 0
		.amdhsa_exception_fp_ieee_invalid_op 0
		.amdhsa_exception_fp_denorm_src 0
		.amdhsa_exception_fp_ieee_div_zero 0
		.amdhsa_exception_fp_ieee_overflow 0
		.amdhsa_exception_fp_ieee_underflow 0
		.amdhsa_exception_fp_ieee_inexact 0
		.amdhsa_exception_int_div_zero 0
	.end_amdhsa_kernel
	.section	.text._ZN7rocprim17ROCPRIM_400000_NS6detail17trampoline_kernelINS0_14default_configENS1_22reduce_config_selectorIiEEZNS1_11reduce_implILb1ES3_PiS7_iN6hipcub16HIPCUB_304000_NS6detail34convert_binary_result_type_wrapperINS9_3SumENS9_22TransformInputIteratorIbN2at6native12_GLOBAL__N_19NonZeroOpIN3c107complexIdEEEEPKSK_lEEiEEEE10hipError_tPvRmT1_T2_T3_mT4_P12ihipStream_tbEUlT_E1_NS1_11comp_targetILNS1_3genE3ELNS1_11target_archE908ELNS1_3gpuE7ELNS1_3repE0EEENS1_30default_config_static_selectorELNS0_4arch9wavefront6targetE0EEEvST_,"axG",@progbits,_ZN7rocprim17ROCPRIM_400000_NS6detail17trampoline_kernelINS0_14default_configENS1_22reduce_config_selectorIiEEZNS1_11reduce_implILb1ES3_PiS7_iN6hipcub16HIPCUB_304000_NS6detail34convert_binary_result_type_wrapperINS9_3SumENS9_22TransformInputIteratorIbN2at6native12_GLOBAL__N_19NonZeroOpIN3c107complexIdEEEEPKSK_lEEiEEEE10hipError_tPvRmT1_T2_T3_mT4_P12ihipStream_tbEUlT_E1_NS1_11comp_targetILNS1_3genE3ELNS1_11target_archE908ELNS1_3gpuE7ELNS1_3repE0EEENS1_30default_config_static_selectorELNS0_4arch9wavefront6targetE0EEEvST_,comdat
.Lfunc_end502:
	.size	_ZN7rocprim17ROCPRIM_400000_NS6detail17trampoline_kernelINS0_14default_configENS1_22reduce_config_selectorIiEEZNS1_11reduce_implILb1ES3_PiS7_iN6hipcub16HIPCUB_304000_NS6detail34convert_binary_result_type_wrapperINS9_3SumENS9_22TransformInputIteratorIbN2at6native12_GLOBAL__N_19NonZeroOpIN3c107complexIdEEEEPKSK_lEEiEEEE10hipError_tPvRmT1_T2_T3_mT4_P12ihipStream_tbEUlT_E1_NS1_11comp_targetILNS1_3genE3ELNS1_11target_archE908ELNS1_3gpuE7ELNS1_3repE0EEENS1_30default_config_static_selectorELNS0_4arch9wavefront6targetE0EEEvST_, .Lfunc_end502-_ZN7rocprim17ROCPRIM_400000_NS6detail17trampoline_kernelINS0_14default_configENS1_22reduce_config_selectorIiEEZNS1_11reduce_implILb1ES3_PiS7_iN6hipcub16HIPCUB_304000_NS6detail34convert_binary_result_type_wrapperINS9_3SumENS9_22TransformInputIteratorIbN2at6native12_GLOBAL__N_19NonZeroOpIN3c107complexIdEEEEPKSK_lEEiEEEE10hipError_tPvRmT1_T2_T3_mT4_P12ihipStream_tbEUlT_E1_NS1_11comp_targetILNS1_3genE3ELNS1_11target_archE908ELNS1_3gpuE7ELNS1_3repE0EEENS1_30default_config_static_selectorELNS0_4arch9wavefront6targetE0EEEvST_
                                        ; -- End function
	.section	.AMDGPU.csdata,"",@progbits
; Kernel info:
; codeLenInByte = 0
; NumSgprs: 0
; NumVgprs: 0
; ScratchSize: 0
; MemoryBound: 0
; FloatMode: 240
; IeeeMode: 1
; LDSByteSize: 0 bytes/workgroup (compile time only)
; SGPRBlocks: 0
; VGPRBlocks: 0
; NumSGPRsForWavesPerEU: 1
; NumVGPRsForWavesPerEU: 1
; Occupancy: 16
; WaveLimiterHint : 0
; COMPUTE_PGM_RSRC2:SCRATCH_EN: 0
; COMPUTE_PGM_RSRC2:USER_SGPR: 15
; COMPUTE_PGM_RSRC2:TRAP_HANDLER: 0
; COMPUTE_PGM_RSRC2:TGID_X_EN: 1
; COMPUTE_PGM_RSRC2:TGID_Y_EN: 0
; COMPUTE_PGM_RSRC2:TGID_Z_EN: 0
; COMPUTE_PGM_RSRC2:TIDIG_COMP_CNT: 0
	.section	.text._ZN7rocprim17ROCPRIM_400000_NS6detail17trampoline_kernelINS0_14default_configENS1_22reduce_config_selectorIiEEZNS1_11reduce_implILb1ES3_PiS7_iN6hipcub16HIPCUB_304000_NS6detail34convert_binary_result_type_wrapperINS9_3SumENS9_22TransformInputIteratorIbN2at6native12_GLOBAL__N_19NonZeroOpIN3c107complexIdEEEEPKSK_lEEiEEEE10hipError_tPvRmT1_T2_T3_mT4_P12ihipStream_tbEUlT_E1_NS1_11comp_targetILNS1_3genE2ELNS1_11target_archE906ELNS1_3gpuE6ELNS1_3repE0EEENS1_30default_config_static_selectorELNS0_4arch9wavefront6targetE0EEEvST_,"axG",@progbits,_ZN7rocprim17ROCPRIM_400000_NS6detail17trampoline_kernelINS0_14default_configENS1_22reduce_config_selectorIiEEZNS1_11reduce_implILb1ES3_PiS7_iN6hipcub16HIPCUB_304000_NS6detail34convert_binary_result_type_wrapperINS9_3SumENS9_22TransformInputIteratorIbN2at6native12_GLOBAL__N_19NonZeroOpIN3c107complexIdEEEEPKSK_lEEiEEEE10hipError_tPvRmT1_T2_T3_mT4_P12ihipStream_tbEUlT_E1_NS1_11comp_targetILNS1_3genE2ELNS1_11target_archE906ELNS1_3gpuE6ELNS1_3repE0EEENS1_30default_config_static_selectorELNS0_4arch9wavefront6targetE0EEEvST_,comdat
	.globl	_ZN7rocprim17ROCPRIM_400000_NS6detail17trampoline_kernelINS0_14default_configENS1_22reduce_config_selectorIiEEZNS1_11reduce_implILb1ES3_PiS7_iN6hipcub16HIPCUB_304000_NS6detail34convert_binary_result_type_wrapperINS9_3SumENS9_22TransformInputIteratorIbN2at6native12_GLOBAL__N_19NonZeroOpIN3c107complexIdEEEEPKSK_lEEiEEEE10hipError_tPvRmT1_T2_T3_mT4_P12ihipStream_tbEUlT_E1_NS1_11comp_targetILNS1_3genE2ELNS1_11target_archE906ELNS1_3gpuE6ELNS1_3repE0EEENS1_30default_config_static_selectorELNS0_4arch9wavefront6targetE0EEEvST_ ; -- Begin function _ZN7rocprim17ROCPRIM_400000_NS6detail17trampoline_kernelINS0_14default_configENS1_22reduce_config_selectorIiEEZNS1_11reduce_implILb1ES3_PiS7_iN6hipcub16HIPCUB_304000_NS6detail34convert_binary_result_type_wrapperINS9_3SumENS9_22TransformInputIteratorIbN2at6native12_GLOBAL__N_19NonZeroOpIN3c107complexIdEEEEPKSK_lEEiEEEE10hipError_tPvRmT1_T2_T3_mT4_P12ihipStream_tbEUlT_E1_NS1_11comp_targetILNS1_3genE2ELNS1_11target_archE906ELNS1_3gpuE6ELNS1_3repE0EEENS1_30default_config_static_selectorELNS0_4arch9wavefront6targetE0EEEvST_
	.p2align	8
	.type	_ZN7rocprim17ROCPRIM_400000_NS6detail17trampoline_kernelINS0_14default_configENS1_22reduce_config_selectorIiEEZNS1_11reduce_implILb1ES3_PiS7_iN6hipcub16HIPCUB_304000_NS6detail34convert_binary_result_type_wrapperINS9_3SumENS9_22TransformInputIteratorIbN2at6native12_GLOBAL__N_19NonZeroOpIN3c107complexIdEEEEPKSK_lEEiEEEE10hipError_tPvRmT1_T2_T3_mT4_P12ihipStream_tbEUlT_E1_NS1_11comp_targetILNS1_3genE2ELNS1_11target_archE906ELNS1_3gpuE6ELNS1_3repE0EEENS1_30default_config_static_selectorELNS0_4arch9wavefront6targetE0EEEvST_,@function
_ZN7rocprim17ROCPRIM_400000_NS6detail17trampoline_kernelINS0_14default_configENS1_22reduce_config_selectorIiEEZNS1_11reduce_implILb1ES3_PiS7_iN6hipcub16HIPCUB_304000_NS6detail34convert_binary_result_type_wrapperINS9_3SumENS9_22TransformInputIteratorIbN2at6native12_GLOBAL__N_19NonZeroOpIN3c107complexIdEEEEPKSK_lEEiEEEE10hipError_tPvRmT1_T2_T3_mT4_P12ihipStream_tbEUlT_E1_NS1_11comp_targetILNS1_3genE2ELNS1_11target_archE906ELNS1_3gpuE6ELNS1_3repE0EEENS1_30default_config_static_selectorELNS0_4arch9wavefront6targetE0EEEvST_: ; @_ZN7rocprim17ROCPRIM_400000_NS6detail17trampoline_kernelINS0_14default_configENS1_22reduce_config_selectorIiEEZNS1_11reduce_implILb1ES3_PiS7_iN6hipcub16HIPCUB_304000_NS6detail34convert_binary_result_type_wrapperINS9_3SumENS9_22TransformInputIteratorIbN2at6native12_GLOBAL__N_19NonZeroOpIN3c107complexIdEEEEPKSK_lEEiEEEE10hipError_tPvRmT1_T2_T3_mT4_P12ihipStream_tbEUlT_E1_NS1_11comp_targetILNS1_3genE2ELNS1_11target_archE906ELNS1_3gpuE6ELNS1_3repE0EEENS1_30default_config_static_selectorELNS0_4arch9wavefront6targetE0EEEvST_
; %bb.0:
	.section	.rodata,"a",@progbits
	.p2align	6, 0x0
	.amdhsa_kernel _ZN7rocprim17ROCPRIM_400000_NS6detail17trampoline_kernelINS0_14default_configENS1_22reduce_config_selectorIiEEZNS1_11reduce_implILb1ES3_PiS7_iN6hipcub16HIPCUB_304000_NS6detail34convert_binary_result_type_wrapperINS9_3SumENS9_22TransformInputIteratorIbN2at6native12_GLOBAL__N_19NonZeroOpIN3c107complexIdEEEEPKSK_lEEiEEEE10hipError_tPvRmT1_T2_T3_mT4_P12ihipStream_tbEUlT_E1_NS1_11comp_targetILNS1_3genE2ELNS1_11target_archE906ELNS1_3gpuE6ELNS1_3repE0EEENS1_30default_config_static_selectorELNS0_4arch9wavefront6targetE0EEEvST_
		.amdhsa_group_segment_fixed_size 0
		.amdhsa_private_segment_fixed_size 0
		.amdhsa_kernarg_size 40
		.amdhsa_user_sgpr_count 15
		.amdhsa_user_sgpr_dispatch_ptr 0
		.amdhsa_user_sgpr_queue_ptr 0
		.amdhsa_user_sgpr_kernarg_segment_ptr 1
		.amdhsa_user_sgpr_dispatch_id 0
		.amdhsa_user_sgpr_private_segment_size 0
		.amdhsa_wavefront_size32 1
		.amdhsa_uses_dynamic_stack 0
		.amdhsa_enable_private_segment 0
		.amdhsa_system_sgpr_workgroup_id_x 1
		.amdhsa_system_sgpr_workgroup_id_y 0
		.amdhsa_system_sgpr_workgroup_id_z 0
		.amdhsa_system_sgpr_workgroup_info 0
		.amdhsa_system_vgpr_workitem_id 0
		.amdhsa_next_free_vgpr 1
		.amdhsa_next_free_sgpr 1
		.amdhsa_reserve_vcc 0
		.amdhsa_float_round_mode_32 0
		.amdhsa_float_round_mode_16_64 0
		.amdhsa_float_denorm_mode_32 3
		.amdhsa_float_denorm_mode_16_64 3
		.amdhsa_dx10_clamp 1
		.amdhsa_ieee_mode 1
		.amdhsa_fp16_overflow 0
		.amdhsa_workgroup_processor_mode 1
		.amdhsa_memory_ordered 1
		.amdhsa_forward_progress 0
		.amdhsa_shared_vgpr_count 0
		.amdhsa_exception_fp_ieee_invalid_op 0
		.amdhsa_exception_fp_denorm_src 0
		.amdhsa_exception_fp_ieee_div_zero 0
		.amdhsa_exception_fp_ieee_overflow 0
		.amdhsa_exception_fp_ieee_underflow 0
		.amdhsa_exception_fp_ieee_inexact 0
		.amdhsa_exception_int_div_zero 0
	.end_amdhsa_kernel
	.section	.text._ZN7rocprim17ROCPRIM_400000_NS6detail17trampoline_kernelINS0_14default_configENS1_22reduce_config_selectorIiEEZNS1_11reduce_implILb1ES3_PiS7_iN6hipcub16HIPCUB_304000_NS6detail34convert_binary_result_type_wrapperINS9_3SumENS9_22TransformInputIteratorIbN2at6native12_GLOBAL__N_19NonZeroOpIN3c107complexIdEEEEPKSK_lEEiEEEE10hipError_tPvRmT1_T2_T3_mT4_P12ihipStream_tbEUlT_E1_NS1_11comp_targetILNS1_3genE2ELNS1_11target_archE906ELNS1_3gpuE6ELNS1_3repE0EEENS1_30default_config_static_selectorELNS0_4arch9wavefront6targetE0EEEvST_,"axG",@progbits,_ZN7rocprim17ROCPRIM_400000_NS6detail17trampoline_kernelINS0_14default_configENS1_22reduce_config_selectorIiEEZNS1_11reduce_implILb1ES3_PiS7_iN6hipcub16HIPCUB_304000_NS6detail34convert_binary_result_type_wrapperINS9_3SumENS9_22TransformInputIteratorIbN2at6native12_GLOBAL__N_19NonZeroOpIN3c107complexIdEEEEPKSK_lEEiEEEE10hipError_tPvRmT1_T2_T3_mT4_P12ihipStream_tbEUlT_E1_NS1_11comp_targetILNS1_3genE2ELNS1_11target_archE906ELNS1_3gpuE6ELNS1_3repE0EEENS1_30default_config_static_selectorELNS0_4arch9wavefront6targetE0EEEvST_,comdat
.Lfunc_end503:
	.size	_ZN7rocprim17ROCPRIM_400000_NS6detail17trampoline_kernelINS0_14default_configENS1_22reduce_config_selectorIiEEZNS1_11reduce_implILb1ES3_PiS7_iN6hipcub16HIPCUB_304000_NS6detail34convert_binary_result_type_wrapperINS9_3SumENS9_22TransformInputIteratorIbN2at6native12_GLOBAL__N_19NonZeroOpIN3c107complexIdEEEEPKSK_lEEiEEEE10hipError_tPvRmT1_T2_T3_mT4_P12ihipStream_tbEUlT_E1_NS1_11comp_targetILNS1_3genE2ELNS1_11target_archE906ELNS1_3gpuE6ELNS1_3repE0EEENS1_30default_config_static_selectorELNS0_4arch9wavefront6targetE0EEEvST_, .Lfunc_end503-_ZN7rocprim17ROCPRIM_400000_NS6detail17trampoline_kernelINS0_14default_configENS1_22reduce_config_selectorIiEEZNS1_11reduce_implILb1ES3_PiS7_iN6hipcub16HIPCUB_304000_NS6detail34convert_binary_result_type_wrapperINS9_3SumENS9_22TransformInputIteratorIbN2at6native12_GLOBAL__N_19NonZeroOpIN3c107complexIdEEEEPKSK_lEEiEEEE10hipError_tPvRmT1_T2_T3_mT4_P12ihipStream_tbEUlT_E1_NS1_11comp_targetILNS1_3genE2ELNS1_11target_archE906ELNS1_3gpuE6ELNS1_3repE0EEENS1_30default_config_static_selectorELNS0_4arch9wavefront6targetE0EEEvST_
                                        ; -- End function
	.section	.AMDGPU.csdata,"",@progbits
; Kernel info:
; codeLenInByte = 0
; NumSgprs: 0
; NumVgprs: 0
; ScratchSize: 0
; MemoryBound: 0
; FloatMode: 240
; IeeeMode: 1
; LDSByteSize: 0 bytes/workgroup (compile time only)
; SGPRBlocks: 0
; VGPRBlocks: 0
; NumSGPRsForWavesPerEU: 1
; NumVGPRsForWavesPerEU: 1
; Occupancy: 16
; WaveLimiterHint : 0
; COMPUTE_PGM_RSRC2:SCRATCH_EN: 0
; COMPUTE_PGM_RSRC2:USER_SGPR: 15
; COMPUTE_PGM_RSRC2:TRAP_HANDLER: 0
; COMPUTE_PGM_RSRC2:TGID_X_EN: 1
; COMPUTE_PGM_RSRC2:TGID_Y_EN: 0
; COMPUTE_PGM_RSRC2:TGID_Z_EN: 0
; COMPUTE_PGM_RSRC2:TIDIG_COMP_CNT: 0
	.section	.text._ZN7rocprim17ROCPRIM_400000_NS6detail17trampoline_kernelINS0_14default_configENS1_22reduce_config_selectorIiEEZNS1_11reduce_implILb1ES3_PiS7_iN6hipcub16HIPCUB_304000_NS6detail34convert_binary_result_type_wrapperINS9_3SumENS9_22TransformInputIteratorIbN2at6native12_GLOBAL__N_19NonZeroOpIN3c107complexIdEEEEPKSK_lEEiEEEE10hipError_tPvRmT1_T2_T3_mT4_P12ihipStream_tbEUlT_E1_NS1_11comp_targetILNS1_3genE10ELNS1_11target_archE1201ELNS1_3gpuE5ELNS1_3repE0EEENS1_30default_config_static_selectorELNS0_4arch9wavefront6targetE0EEEvST_,"axG",@progbits,_ZN7rocprim17ROCPRIM_400000_NS6detail17trampoline_kernelINS0_14default_configENS1_22reduce_config_selectorIiEEZNS1_11reduce_implILb1ES3_PiS7_iN6hipcub16HIPCUB_304000_NS6detail34convert_binary_result_type_wrapperINS9_3SumENS9_22TransformInputIteratorIbN2at6native12_GLOBAL__N_19NonZeroOpIN3c107complexIdEEEEPKSK_lEEiEEEE10hipError_tPvRmT1_T2_T3_mT4_P12ihipStream_tbEUlT_E1_NS1_11comp_targetILNS1_3genE10ELNS1_11target_archE1201ELNS1_3gpuE5ELNS1_3repE0EEENS1_30default_config_static_selectorELNS0_4arch9wavefront6targetE0EEEvST_,comdat
	.globl	_ZN7rocprim17ROCPRIM_400000_NS6detail17trampoline_kernelINS0_14default_configENS1_22reduce_config_selectorIiEEZNS1_11reduce_implILb1ES3_PiS7_iN6hipcub16HIPCUB_304000_NS6detail34convert_binary_result_type_wrapperINS9_3SumENS9_22TransformInputIteratorIbN2at6native12_GLOBAL__N_19NonZeroOpIN3c107complexIdEEEEPKSK_lEEiEEEE10hipError_tPvRmT1_T2_T3_mT4_P12ihipStream_tbEUlT_E1_NS1_11comp_targetILNS1_3genE10ELNS1_11target_archE1201ELNS1_3gpuE5ELNS1_3repE0EEENS1_30default_config_static_selectorELNS0_4arch9wavefront6targetE0EEEvST_ ; -- Begin function _ZN7rocprim17ROCPRIM_400000_NS6detail17trampoline_kernelINS0_14default_configENS1_22reduce_config_selectorIiEEZNS1_11reduce_implILb1ES3_PiS7_iN6hipcub16HIPCUB_304000_NS6detail34convert_binary_result_type_wrapperINS9_3SumENS9_22TransformInputIteratorIbN2at6native12_GLOBAL__N_19NonZeroOpIN3c107complexIdEEEEPKSK_lEEiEEEE10hipError_tPvRmT1_T2_T3_mT4_P12ihipStream_tbEUlT_E1_NS1_11comp_targetILNS1_3genE10ELNS1_11target_archE1201ELNS1_3gpuE5ELNS1_3repE0EEENS1_30default_config_static_selectorELNS0_4arch9wavefront6targetE0EEEvST_
	.p2align	8
	.type	_ZN7rocprim17ROCPRIM_400000_NS6detail17trampoline_kernelINS0_14default_configENS1_22reduce_config_selectorIiEEZNS1_11reduce_implILb1ES3_PiS7_iN6hipcub16HIPCUB_304000_NS6detail34convert_binary_result_type_wrapperINS9_3SumENS9_22TransformInputIteratorIbN2at6native12_GLOBAL__N_19NonZeroOpIN3c107complexIdEEEEPKSK_lEEiEEEE10hipError_tPvRmT1_T2_T3_mT4_P12ihipStream_tbEUlT_E1_NS1_11comp_targetILNS1_3genE10ELNS1_11target_archE1201ELNS1_3gpuE5ELNS1_3repE0EEENS1_30default_config_static_selectorELNS0_4arch9wavefront6targetE0EEEvST_,@function
_ZN7rocprim17ROCPRIM_400000_NS6detail17trampoline_kernelINS0_14default_configENS1_22reduce_config_selectorIiEEZNS1_11reduce_implILb1ES3_PiS7_iN6hipcub16HIPCUB_304000_NS6detail34convert_binary_result_type_wrapperINS9_3SumENS9_22TransformInputIteratorIbN2at6native12_GLOBAL__N_19NonZeroOpIN3c107complexIdEEEEPKSK_lEEiEEEE10hipError_tPvRmT1_T2_T3_mT4_P12ihipStream_tbEUlT_E1_NS1_11comp_targetILNS1_3genE10ELNS1_11target_archE1201ELNS1_3gpuE5ELNS1_3repE0EEENS1_30default_config_static_selectorELNS0_4arch9wavefront6targetE0EEEvST_: ; @_ZN7rocprim17ROCPRIM_400000_NS6detail17trampoline_kernelINS0_14default_configENS1_22reduce_config_selectorIiEEZNS1_11reduce_implILb1ES3_PiS7_iN6hipcub16HIPCUB_304000_NS6detail34convert_binary_result_type_wrapperINS9_3SumENS9_22TransformInputIteratorIbN2at6native12_GLOBAL__N_19NonZeroOpIN3c107complexIdEEEEPKSK_lEEiEEEE10hipError_tPvRmT1_T2_T3_mT4_P12ihipStream_tbEUlT_E1_NS1_11comp_targetILNS1_3genE10ELNS1_11target_archE1201ELNS1_3gpuE5ELNS1_3repE0EEENS1_30default_config_static_selectorELNS0_4arch9wavefront6targetE0EEEvST_
; %bb.0:
	.section	.rodata,"a",@progbits
	.p2align	6, 0x0
	.amdhsa_kernel _ZN7rocprim17ROCPRIM_400000_NS6detail17trampoline_kernelINS0_14default_configENS1_22reduce_config_selectorIiEEZNS1_11reduce_implILb1ES3_PiS7_iN6hipcub16HIPCUB_304000_NS6detail34convert_binary_result_type_wrapperINS9_3SumENS9_22TransformInputIteratorIbN2at6native12_GLOBAL__N_19NonZeroOpIN3c107complexIdEEEEPKSK_lEEiEEEE10hipError_tPvRmT1_T2_T3_mT4_P12ihipStream_tbEUlT_E1_NS1_11comp_targetILNS1_3genE10ELNS1_11target_archE1201ELNS1_3gpuE5ELNS1_3repE0EEENS1_30default_config_static_selectorELNS0_4arch9wavefront6targetE0EEEvST_
		.amdhsa_group_segment_fixed_size 0
		.amdhsa_private_segment_fixed_size 0
		.amdhsa_kernarg_size 40
		.amdhsa_user_sgpr_count 15
		.amdhsa_user_sgpr_dispatch_ptr 0
		.amdhsa_user_sgpr_queue_ptr 0
		.amdhsa_user_sgpr_kernarg_segment_ptr 1
		.amdhsa_user_sgpr_dispatch_id 0
		.amdhsa_user_sgpr_private_segment_size 0
		.amdhsa_wavefront_size32 1
		.amdhsa_uses_dynamic_stack 0
		.amdhsa_enable_private_segment 0
		.amdhsa_system_sgpr_workgroup_id_x 1
		.amdhsa_system_sgpr_workgroup_id_y 0
		.amdhsa_system_sgpr_workgroup_id_z 0
		.amdhsa_system_sgpr_workgroup_info 0
		.amdhsa_system_vgpr_workitem_id 0
		.amdhsa_next_free_vgpr 1
		.amdhsa_next_free_sgpr 1
		.amdhsa_reserve_vcc 0
		.amdhsa_float_round_mode_32 0
		.amdhsa_float_round_mode_16_64 0
		.amdhsa_float_denorm_mode_32 3
		.amdhsa_float_denorm_mode_16_64 3
		.amdhsa_dx10_clamp 1
		.amdhsa_ieee_mode 1
		.amdhsa_fp16_overflow 0
		.amdhsa_workgroup_processor_mode 1
		.amdhsa_memory_ordered 1
		.amdhsa_forward_progress 0
		.amdhsa_shared_vgpr_count 0
		.amdhsa_exception_fp_ieee_invalid_op 0
		.amdhsa_exception_fp_denorm_src 0
		.amdhsa_exception_fp_ieee_div_zero 0
		.amdhsa_exception_fp_ieee_overflow 0
		.amdhsa_exception_fp_ieee_underflow 0
		.amdhsa_exception_fp_ieee_inexact 0
		.amdhsa_exception_int_div_zero 0
	.end_amdhsa_kernel
	.section	.text._ZN7rocprim17ROCPRIM_400000_NS6detail17trampoline_kernelINS0_14default_configENS1_22reduce_config_selectorIiEEZNS1_11reduce_implILb1ES3_PiS7_iN6hipcub16HIPCUB_304000_NS6detail34convert_binary_result_type_wrapperINS9_3SumENS9_22TransformInputIteratorIbN2at6native12_GLOBAL__N_19NonZeroOpIN3c107complexIdEEEEPKSK_lEEiEEEE10hipError_tPvRmT1_T2_T3_mT4_P12ihipStream_tbEUlT_E1_NS1_11comp_targetILNS1_3genE10ELNS1_11target_archE1201ELNS1_3gpuE5ELNS1_3repE0EEENS1_30default_config_static_selectorELNS0_4arch9wavefront6targetE0EEEvST_,"axG",@progbits,_ZN7rocprim17ROCPRIM_400000_NS6detail17trampoline_kernelINS0_14default_configENS1_22reduce_config_selectorIiEEZNS1_11reduce_implILb1ES3_PiS7_iN6hipcub16HIPCUB_304000_NS6detail34convert_binary_result_type_wrapperINS9_3SumENS9_22TransformInputIteratorIbN2at6native12_GLOBAL__N_19NonZeroOpIN3c107complexIdEEEEPKSK_lEEiEEEE10hipError_tPvRmT1_T2_T3_mT4_P12ihipStream_tbEUlT_E1_NS1_11comp_targetILNS1_3genE10ELNS1_11target_archE1201ELNS1_3gpuE5ELNS1_3repE0EEENS1_30default_config_static_selectorELNS0_4arch9wavefront6targetE0EEEvST_,comdat
.Lfunc_end504:
	.size	_ZN7rocprim17ROCPRIM_400000_NS6detail17trampoline_kernelINS0_14default_configENS1_22reduce_config_selectorIiEEZNS1_11reduce_implILb1ES3_PiS7_iN6hipcub16HIPCUB_304000_NS6detail34convert_binary_result_type_wrapperINS9_3SumENS9_22TransformInputIteratorIbN2at6native12_GLOBAL__N_19NonZeroOpIN3c107complexIdEEEEPKSK_lEEiEEEE10hipError_tPvRmT1_T2_T3_mT4_P12ihipStream_tbEUlT_E1_NS1_11comp_targetILNS1_3genE10ELNS1_11target_archE1201ELNS1_3gpuE5ELNS1_3repE0EEENS1_30default_config_static_selectorELNS0_4arch9wavefront6targetE0EEEvST_, .Lfunc_end504-_ZN7rocprim17ROCPRIM_400000_NS6detail17trampoline_kernelINS0_14default_configENS1_22reduce_config_selectorIiEEZNS1_11reduce_implILb1ES3_PiS7_iN6hipcub16HIPCUB_304000_NS6detail34convert_binary_result_type_wrapperINS9_3SumENS9_22TransformInputIteratorIbN2at6native12_GLOBAL__N_19NonZeroOpIN3c107complexIdEEEEPKSK_lEEiEEEE10hipError_tPvRmT1_T2_T3_mT4_P12ihipStream_tbEUlT_E1_NS1_11comp_targetILNS1_3genE10ELNS1_11target_archE1201ELNS1_3gpuE5ELNS1_3repE0EEENS1_30default_config_static_selectorELNS0_4arch9wavefront6targetE0EEEvST_
                                        ; -- End function
	.section	.AMDGPU.csdata,"",@progbits
; Kernel info:
; codeLenInByte = 0
; NumSgprs: 0
; NumVgprs: 0
; ScratchSize: 0
; MemoryBound: 0
; FloatMode: 240
; IeeeMode: 1
; LDSByteSize: 0 bytes/workgroup (compile time only)
; SGPRBlocks: 0
; VGPRBlocks: 0
; NumSGPRsForWavesPerEU: 1
; NumVGPRsForWavesPerEU: 1
; Occupancy: 16
; WaveLimiterHint : 0
; COMPUTE_PGM_RSRC2:SCRATCH_EN: 0
; COMPUTE_PGM_RSRC2:USER_SGPR: 15
; COMPUTE_PGM_RSRC2:TRAP_HANDLER: 0
; COMPUTE_PGM_RSRC2:TGID_X_EN: 1
; COMPUTE_PGM_RSRC2:TGID_Y_EN: 0
; COMPUTE_PGM_RSRC2:TGID_Z_EN: 0
; COMPUTE_PGM_RSRC2:TIDIG_COMP_CNT: 0
	.section	.text._ZN7rocprim17ROCPRIM_400000_NS6detail17trampoline_kernelINS0_14default_configENS1_22reduce_config_selectorIiEEZNS1_11reduce_implILb1ES3_PiS7_iN6hipcub16HIPCUB_304000_NS6detail34convert_binary_result_type_wrapperINS9_3SumENS9_22TransformInputIteratorIbN2at6native12_GLOBAL__N_19NonZeroOpIN3c107complexIdEEEEPKSK_lEEiEEEE10hipError_tPvRmT1_T2_T3_mT4_P12ihipStream_tbEUlT_E1_NS1_11comp_targetILNS1_3genE10ELNS1_11target_archE1200ELNS1_3gpuE4ELNS1_3repE0EEENS1_30default_config_static_selectorELNS0_4arch9wavefront6targetE0EEEvST_,"axG",@progbits,_ZN7rocprim17ROCPRIM_400000_NS6detail17trampoline_kernelINS0_14default_configENS1_22reduce_config_selectorIiEEZNS1_11reduce_implILb1ES3_PiS7_iN6hipcub16HIPCUB_304000_NS6detail34convert_binary_result_type_wrapperINS9_3SumENS9_22TransformInputIteratorIbN2at6native12_GLOBAL__N_19NonZeroOpIN3c107complexIdEEEEPKSK_lEEiEEEE10hipError_tPvRmT1_T2_T3_mT4_P12ihipStream_tbEUlT_E1_NS1_11comp_targetILNS1_3genE10ELNS1_11target_archE1200ELNS1_3gpuE4ELNS1_3repE0EEENS1_30default_config_static_selectorELNS0_4arch9wavefront6targetE0EEEvST_,comdat
	.globl	_ZN7rocprim17ROCPRIM_400000_NS6detail17trampoline_kernelINS0_14default_configENS1_22reduce_config_selectorIiEEZNS1_11reduce_implILb1ES3_PiS7_iN6hipcub16HIPCUB_304000_NS6detail34convert_binary_result_type_wrapperINS9_3SumENS9_22TransformInputIteratorIbN2at6native12_GLOBAL__N_19NonZeroOpIN3c107complexIdEEEEPKSK_lEEiEEEE10hipError_tPvRmT1_T2_T3_mT4_P12ihipStream_tbEUlT_E1_NS1_11comp_targetILNS1_3genE10ELNS1_11target_archE1200ELNS1_3gpuE4ELNS1_3repE0EEENS1_30default_config_static_selectorELNS0_4arch9wavefront6targetE0EEEvST_ ; -- Begin function _ZN7rocprim17ROCPRIM_400000_NS6detail17trampoline_kernelINS0_14default_configENS1_22reduce_config_selectorIiEEZNS1_11reduce_implILb1ES3_PiS7_iN6hipcub16HIPCUB_304000_NS6detail34convert_binary_result_type_wrapperINS9_3SumENS9_22TransformInputIteratorIbN2at6native12_GLOBAL__N_19NonZeroOpIN3c107complexIdEEEEPKSK_lEEiEEEE10hipError_tPvRmT1_T2_T3_mT4_P12ihipStream_tbEUlT_E1_NS1_11comp_targetILNS1_3genE10ELNS1_11target_archE1200ELNS1_3gpuE4ELNS1_3repE0EEENS1_30default_config_static_selectorELNS0_4arch9wavefront6targetE0EEEvST_
	.p2align	8
	.type	_ZN7rocprim17ROCPRIM_400000_NS6detail17trampoline_kernelINS0_14default_configENS1_22reduce_config_selectorIiEEZNS1_11reduce_implILb1ES3_PiS7_iN6hipcub16HIPCUB_304000_NS6detail34convert_binary_result_type_wrapperINS9_3SumENS9_22TransformInputIteratorIbN2at6native12_GLOBAL__N_19NonZeroOpIN3c107complexIdEEEEPKSK_lEEiEEEE10hipError_tPvRmT1_T2_T3_mT4_P12ihipStream_tbEUlT_E1_NS1_11comp_targetILNS1_3genE10ELNS1_11target_archE1200ELNS1_3gpuE4ELNS1_3repE0EEENS1_30default_config_static_selectorELNS0_4arch9wavefront6targetE0EEEvST_,@function
_ZN7rocprim17ROCPRIM_400000_NS6detail17trampoline_kernelINS0_14default_configENS1_22reduce_config_selectorIiEEZNS1_11reduce_implILb1ES3_PiS7_iN6hipcub16HIPCUB_304000_NS6detail34convert_binary_result_type_wrapperINS9_3SumENS9_22TransformInputIteratorIbN2at6native12_GLOBAL__N_19NonZeroOpIN3c107complexIdEEEEPKSK_lEEiEEEE10hipError_tPvRmT1_T2_T3_mT4_P12ihipStream_tbEUlT_E1_NS1_11comp_targetILNS1_3genE10ELNS1_11target_archE1200ELNS1_3gpuE4ELNS1_3repE0EEENS1_30default_config_static_selectorELNS0_4arch9wavefront6targetE0EEEvST_: ; @_ZN7rocprim17ROCPRIM_400000_NS6detail17trampoline_kernelINS0_14default_configENS1_22reduce_config_selectorIiEEZNS1_11reduce_implILb1ES3_PiS7_iN6hipcub16HIPCUB_304000_NS6detail34convert_binary_result_type_wrapperINS9_3SumENS9_22TransformInputIteratorIbN2at6native12_GLOBAL__N_19NonZeroOpIN3c107complexIdEEEEPKSK_lEEiEEEE10hipError_tPvRmT1_T2_T3_mT4_P12ihipStream_tbEUlT_E1_NS1_11comp_targetILNS1_3genE10ELNS1_11target_archE1200ELNS1_3gpuE4ELNS1_3repE0EEENS1_30default_config_static_selectorELNS0_4arch9wavefront6targetE0EEEvST_
; %bb.0:
	.section	.rodata,"a",@progbits
	.p2align	6, 0x0
	.amdhsa_kernel _ZN7rocprim17ROCPRIM_400000_NS6detail17trampoline_kernelINS0_14default_configENS1_22reduce_config_selectorIiEEZNS1_11reduce_implILb1ES3_PiS7_iN6hipcub16HIPCUB_304000_NS6detail34convert_binary_result_type_wrapperINS9_3SumENS9_22TransformInputIteratorIbN2at6native12_GLOBAL__N_19NonZeroOpIN3c107complexIdEEEEPKSK_lEEiEEEE10hipError_tPvRmT1_T2_T3_mT4_P12ihipStream_tbEUlT_E1_NS1_11comp_targetILNS1_3genE10ELNS1_11target_archE1200ELNS1_3gpuE4ELNS1_3repE0EEENS1_30default_config_static_selectorELNS0_4arch9wavefront6targetE0EEEvST_
		.amdhsa_group_segment_fixed_size 0
		.amdhsa_private_segment_fixed_size 0
		.amdhsa_kernarg_size 40
		.amdhsa_user_sgpr_count 15
		.amdhsa_user_sgpr_dispatch_ptr 0
		.amdhsa_user_sgpr_queue_ptr 0
		.amdhsa_user_sgpr_kernarg_segment_ptr 1
		.amdhsa_user_sgpr_dispatch_id 0
		.amdhsa_user_sgpr_private_segment_size 0
		.amdhsa_wavefront_size32 1
		.amdhsa_uses_dynamic_stack 0
		.amdhsa_enable_private_segment 0
		.amdhsa_system_sgpr_workgroup_id_x 1
		.amdhsa_system_sgpr_workgroup_id_y 0
		.amdhsa_system_sgpr_workgroup_id_z 0
		.amdhsa_system_sgpr_workgroup_info 0
		.amdhsa_system_vgpr_workitem_id 0
		.amdhsa_next_free_vgpr 1
		.amdhsa_next_free_sgpr 1
		.amdhsa_reserve_vcc 0
		.amdhsa_float_round_mode_32 0
		.amdhsa_float_round_mode_16_64 0
		.amdhsa_float_denorm_mode_32 3
		.amdhsa_float_denorm_mode_16_64 3
		.amdhsa_dx10_clamp 1
		.amdhsa_ieee_mode 1
		.amdhsa_fp16_overflow 0
		.amdhsa_workgroup_processor_mode 1
		.amdhsa_memory_ordered 1
		.amdhsa_forward_progress 0
		.amdhsa_shared_vgpr_count 0
		.amdhsa_exception_fp_ieee_invalid_op 0
		.amdhsa_exception_fp_denorm_src 0
		.amdhsa_exception_fp_ieee_div_zero 0
		.amdhsa_exception_fp_ieee_overflow 0
		.amdhsa_exception_fp_ieee_underflow 0
		.amdhsa_exception_fp_ieee_inexact 0
		.amdhsa_exception_int_div_zero 0
	.end_amdhsa_kernel
	.section	.text._ZN7rocprim17ROCPRIM_400000_NS6detail17trampoline_kernelINS0_14default_configENS1_22reduce_config_selectorIiEEZNS1_11reduce_implILb1ES3_PiS7_iN6hipcub16HIPCUB_304000_NS6detail34convert_binary_result_type_wrapperINS9_3SumENS9_22TransformInputIteratorIbN2at6native12_GLOBAL__N_19NonZeroOpIN3c107complexIdEEEEPKSK_lEEiEEEE10hipError_tPvRmT1_T2_T3_mT4_P12ihipStream_tbEUlT_E1_NS1_11comp_targetILNS1_3genE10ELNS1_11target_archE1200ELNS1_3gpuE4ELNS1_3repE0EEENS1_30default_config_static_selectorELNS0_4arch9wavefront6targetE0EEEvST_,"axG",@progbits,_ZN7rocprim17ROCPRIM_400000_NS6detail17trampoline_kernelINS0_14default_configENS1_22reduce_config_selectorIiEEZNS1_11reduce_implILb1ES3_PiS7_iN6hipcub16HIPCUB_304000_NS6detail34convert_binary_result_type_wrapperINS9_3SumENS9_22TransformInputIteratorIbN2at6native12_GLOBAL__N_19NonZeroOpIN3c107complexIdEEEEPKSK_lEEiEEEE10hipError_tPvRmT1_T2_T3_mT4_P12ihipStream_tbEUlT_E1_NS1_11comp_targetILNS1_3genE10ELNS1_11target_archE1200ELNS1_3gpuE4ELNS1_3repE0EEENS1_30default_config_static_selectorELNS0_4arch9wavefront6targetE0EEEvST_,comdat
.Lfunc_end505:
	.size	_ZN7rocprim17ROCPRIM_400000_NS6detail17trampoline_kernelINS0_14default_configENS1_22reduce_config_selectorIiEEZNS1_11reduce_implILb1ES3_PiS7_iN6hipcub16HIPCUB_304000_NS6detail34convert_binary_result_type_wrapperINS9_3SumENS9_22TransformInputIteratorIbN2at6native12_GLOBAL__N_19NonZeroOpIN3c107complexIdEEEEPKSK_lEEiEEEE10hipError_tPvRmT1_T2_T3_mT4_P12ihipStream_tbEUlT_E1_NS1_11comp_targetILNS1_3genE10ELNS1_11target_archE1200ELNS1_3gpuE4ELNS1_3repE0EEENS1_30default_config_static_selectorELNS0_4arch9wavefront6targetE0EEEvST_, .Lfunc_end505-_ZN7rocprim17ROCPRIM_400000_NS6detail17trampoline_kernelINS0_14default_configENS1_22reduce_config_selectorIiEEZNS1_11reduce_implILb1ES3_PiS7_iN6hipcub16HIPCUB_304000_NS6detail34convert_binary_result_type_wrapperINS9_3SumENS9_22TransformInputIteratorIbN2at6native12_GLOBAL__N_19NonZeroOpIN3c107complexIdEEEEPKSK_lEEiEEEE10hipError_tPvRmT1_T2_T3_mT4_P12ihipStream_tbEUlT_E1_NS1_11comp_targetILNS1_3genE10ELNS1_11target_archE1200ELNS1_3gpuE4ELNS1_3repE0EEENS1_30default_config_static_selectorELNS0_4arch9wavefront6targetE0EEEvST_
                                        ; -- End function
	.section	.AMDGPU.csdata,"",@progbits
; Kernel info:
; codeLenInByte = 0
; NumSgprs: 0
; NumVgprs: 0
; ScratchSize: 0
; MemoryBound: 0
; FloatMode: 240
; IeeeMode: 1
; LDSByteSize: 0 bytes/workgroup (compile time only)
; SGPRBlocks: 0
; VGPRBlocks: 0
; NumSGPRsForWavesPerEU: 1
; NumVGPRsForWavesPerEU: 1
; Occupancy: 16
; WaveLimiterHint : 0
; COMPUTE_PGM_RSRC2:SCRATCH_EN: 0
; COMPUTE_PGM_RSRC2:USER_SGPR: 15
; COMPUTE_PGM_RSRC2:TRAP_HANDLER: 0
; COMPUTE_PGM_RSRC2:TGID_X_EN: 1
; COMPUTE_PGM_RSRC2:TGID_Y_EN: 0
; COMPUTE_PGM_RSRC2:TGID_Z_EN: 0
; COMPUTE_PGM_RSRC2:TIDIG_COMP_CNT: 0
	.section	.text._ZN7rocprim17ROCPRIM_400000_NS6detail17trampoline_kernelINS0_14default_configENS1_22reduce_config_selectorIiEEZNS1_11reduce_implILb1ES3_PiS7_iN6hipcub16HIPCUB_304000_NS6detail34convert_binary_result_type_wrapperINS9_3SumENS9_22TransformInputIteratorIbN2at6native12_GLOBAL__N_19NonZeroOpIN3c107complexIdEEEEPKSK_lEEiEEEE10hipError_tPvRmT1_T2_T3_mT4_P12ihipStream_tbEUlT_E1_NS1_11comp_targetILNS1_3genE9ELNS1_11target_archE1100ELNS1_3gpuE3ELNS1_3repE0EEENS1_30default_config_static_selectorELNS0_4arch9wavefront6targetE0EEEvST_,"axG",@progbits,_ZN7rocprim17ROCPRIM_400000_NS6detail17trampoline_kernelINS0_14default_configENS1_22reduce_config_selectorIiEEZNS1_11reduce_implILb1ES3_PiS7_iN6hipcub16HIPCUB_304000_NS6detail34convert_binary_result_type_wrapperINS9_3SumENS9_22TransformInputIteratorIbN2at6native12_GLOBAL__N_19NonZeroOpIN3c107complexIdEEEEPKSK_lEEiEEEE10hipError_tPvRmT1_T2_T3_mT4_P12ihipStream_tbEUlT_E1_NS1_11comp_targetILNS1_3genE9ELNS1_11target_archE1100ELNS1_3gpuE3ELNS1_3repE0EEENS1_30default_config_static_selectorELNS0_4arch9wavefront6targetE0EEEvST_,comdat
	.globl	_ZN7rocprim17ROCPRIM_400000_NS6detail17trampoline_kernelINS0_14default_configENS1_22reduce_config_selectorIiEEZNS1_11reduce_implILb1ES3_PiS7_iN6hipcub16HIPCUB_304000_NS6detail34convert_binary_result_type_wrapperINS9_3SumENS9_22TransformInputIteratorIbN2at6native12_GLOBAL__N_19NonZeroOpIN3c107complexIdEEEEPKSK_lEEiEEEE10hipError_tPvRmT1_T2_T3_mT4_P12ihipStream_tbEUlT_E1_NS1_11comp_targetILNS1_3genE9ELNS1_11target_archE1100ELNS1_3gpuE3ELNS1_3repE0EEENS1_30default_config_static_selectorELNS0_4arch9wavefront6targetE0EEEvST_ ; -- Begin function _ZN7rocprim17ROCPRIM_400000_NS6detail17trampoline_kernelINS0_14default_configENS1_22reduce_config_selectorIiEEZNS1_11reduce_implILb1ES3_PiS7_iN6hipcub16HIPCUB_304000_NS6detail34convert_binary_result_type_wrapperINS9_3SumENS9_22TransformInputIteratorIbN2at6native12_GLOBAL__N_19NonZeroOpIN3c107complexIdEEEEPKSK_lEEiEEEE10hipError_tPvRmT1_T2_T3_mT4_P12ihipStream_tbEUlT_E1_NS1_11comp_targetILNS1_3genE9ELNS1_11target_archE1100ELNS1_3gpuE3ELNS1_3repE0EEENS1_30default_config_static_selectorELNS0_4arch9wavefront6targetE0EEEvST_
	.p2align	8
	.type	_ZN7rocprim17ROCPRIM_400000_NS6detail17trampoline_kernelINS0_14default_configENS1_22reduce_config_selectorIiEEZNS1_11reduce_implILb1ES3_PiS7_iN6hipcub16HIPCUB_304000_NS6detail34convert_binary_result_type_wrapperINS9_3SumENS9_22TransformInputIteratorIbN2at6native12_GLOBAL__N_19NonZeroOpIN3c107complexIdEEEEPKSK_lEEiEEEE10hipError_tPvRmT1_T2_T3_mT4_P12ihipStream_tbEUlT_E1_NS1_11comp_targetILNS1_3genE9ELNS1_11target_archE1100ELNS1_3gpuE3ELNS1_3repE0EEENS1_30default_config_static_selectorELNS0_4arch9wavefront6targetE0EEEvST_,@function
_ZN7rocprim17ROCPRIM_400000_NS6detail17trampoline_kernelINS0_14default_configENS1_22reduce_config_selectorIiEEZNS1_11reduce_implILb1ES3_PiS7_iN6hipcub16HIPCUB_304000_NS6detail34convert_binary_result_type_wrapperINS9_3SumENS9_22TransformInputIteratorIbN2at6native12_GLOBAL__N_19NonZeroOpIN3c107complexIdEEEEPKSK_lEEiEEEE10hipError_tPvRmT1_T2_T3_mT4_P12ihipStream_tbEUlT_E1_NS1_11comp_targetILNS1_3genE9ELNS1_11target_archE1100ELNS1_3gpuE3ELNS1_3repE0EEENS1_30default_config_static_selectorELNS0_4arch9wavefront6targetE0EEEvST_: ; @_ZN7rocprim17ROCPRIM_400000_NS6detail17trampoline_kernelINS0_14default_configENS1_22reduce_config_selectorIiEEZNS1_11reduce_implILb1ES3_PiS7_iN6hipcub16HIPCUB_304000_NS6detail34convert_binary_result_type_wrapperINS9_3SumENS9_22TransformInputIteratorIbN2at6native12_GLOBAL__N_19NonZeroOpIN3c107complexIdEEEEPKSK_lEEiEEEE10hipError_tPvRmT1_T2_T3_mT4_P12ihipStream_tbEUlT_E1_NS1_11comp_targetILNS1_3genE9ELNS1_11target_archE1100ELNS1_3gpuE3ELNS1_3repE0EEENS1_30default_config_static_selectorELNS0_4arch9wavefront6targetE0EEEvST_
; %bb.0:
	s_clause 0x1
	s_load_b32 s24, s[0:1], 0x4
	s_load_b128 s[16:19], s[0:1], 0x8
	s_mov_b32 s20, s15
	s_waitcnt lgkmcnt(0)
	s_cmp_lt_i32 s24, 8
	s_cbranch_scc1 .LBB506_11
; %bb.1:
	s_cmp_gt_i32 s24, 15
	s_cbranch_scc0 .LBB506_12
; %bb.2:
	s_cmp_gt_i32 s24, 31
	s_cbranch_scc0 .LBB506_13
; %bb.3:
	s_cmp_eq_u32 s24, 32
	s_mov_b32 s6, 0
	s_cbranch_scc0 .LBB506_14
; %bb.4:
	s_mov_b32 s21, 0
	s_lshl_b32 s4, s20, 13
	s_mov_b32 s5, s21
	s_lshr_b64 s[8:9], s[18:19], 13
	s_lshl_b64 s[2:3], s[4:5], 2
	s_delay_alu instid0(SALU_CYCLE_1)
	s_add_u32 s2, s16, s2
	s_addc_u32 s3, s17, s3
	s_cmp_lg_u64 s[8:9], s[20:21]
	s_cbranch_scc0 .LBB506_23
; %bb.5:
	v_lshlrev_b32_e32 v5, 2, v0
	s_clause 0x1
	global_load_b32 v9, v5, s[2:3]
	global_load_b32 v10, v5, s[2:3] offset:1024
	v_add_co_u32 v7, s5, s2, v5
	s_delay_alu instid0(VALU_DEP_1) | instskip(SKIP_1) | instid1(VALU_DEP_2)
	v_add_co_ci_u32_e64 v8, null, s3, 0, s5
	s_mov_b32 s5, exec_lo
	v_add_co_u32 v1, vcc_lo, 0x1000, v7
	s_delay_alu instid0(VALU_DEP_2)
	v_add_co_ci_u32_e32 v2, vcc_lo, 0, v8, vcc_lo
	s_clause 0x2
	global_load_b32 v11, v5, s[2:3] offset:2048
	global_load_b32 v12, v5, s[2:3] offset:3072
	global_load_b32 v13, v[1:2], off offset:1024
	v_add_co_u32 v3, vcc_lo, v7, 0x2000
	v_add_co_ci_u32_e32 v4, vcc_lo, 0, v8, vcc_lo
	v_add_co_u32 v5, vcc_lo, 0x2000, v7
	v_add_co_ci_u32_e32 v6, vcc_lo, 0, v8, vcc_lo
	s_clause 0x4
	global_load_b32 v14, v[3:4], off offset:-4096
	global_load_b32 v15, v[3:4], off
	global_load_b32 v16, v[1:2], off offset:2048
	global_load_b32 v17, v[1:2], off offset:3072
	global_load_b32 v18, v[5:6], off offset:1024
	v_add_co_u32 v1, vcc_lo, 0x3000, v7
	v_add_co_ci_u32_e32 v2, vcc_lo, 0, v8, vcc_lo
	s_clause 0x2
	global_load_b32 v19, v[5:6], off offset:2048
	global_load_b32 v20, v[5:6], off offset:3072
	;; [unrolled: 1-line block ×3, first 2 shown]
	v_add_co_u32 v3, vcc_lo, v7, 0x4000
	v_add_co_ci_u32_e32 v4, vcc_lo, 0, v8, vcc_lo
	v_add_co_u32 v5, vcc_lo, 0x4000, v7
	v_add_co_ci_u32_e32 v6, vcc_lo, 0, v8, vcc_lo
	s_clause 0x4
	global_load_b32 v22, v[3:4], off offset:-4096
	global_load_b32 v23, v[3:4], off
	global_load_b32 v24, v[1:2], off offset:2048
	global_load_b32 v25, v[1:2], off offset:3072
	;; [unrolled: 1-line block ×3, first 2 shown]
	v_add_co_u32 v1, vcc_lo, 0x5000, v7
	v_add_co_ci_u32_e32 v2, vcc_lo, 0, v8, vcc_lo
	v_add_co_u32 v3, vcc_lo, v7, 0x6000
	v_add_co_ci_u32_e32 v4, vcc_lo, 0, v8, vcc_lo
	s_clause 0x3
	global_load_b32 v27, v[5:6], off offset:2048
	global_load_b32 v28, v[5:6], off offset:3072
	global_load_b32 v29, v[3:4], off offset:-4096
	global_load_b32 v30, v[1:2], off offset:1024
	v_add_co_u32 v5, vcc_lo, 0x6000, v7
	v_add_co_ci_u32_e32 v6, vcc_lo, 0, v8, vcc_lo
	s_clause 0x3
	global_load_b32 v31, v[1:2], off offset:2048
	global_load_b32 v32, v[1:2], off offset:3072
	global_load_b32 v3, v[3:4], off
	global_load_b32 v4, v[5:6], off offset:1024
	v_add_co_u32 v1, vcc_lo, 0x7000, v7
	v_add_co_ci_u32_e32 v2, vcc_lo, 0, v8, vcc_lo
	s_clause 0x5
	global_load_b32 v7, v[5:6], off offset:2048
	global_load_b32 v5, v[5:6], off offset:3072
	global_load_b32 v6, v[1:2], off
	global_load_b32 v8, v[1:2], off offset:1024
	global_load_b32 v33, v[1:2], off offset:2048
	;; [unrolled: 1-line block ×3, first 2 shown]
	s_waitcnt vmcnt(30)
	v_add_nc_u32_e32 v2, v10, v9
	s_waitcnt vmcnt(28)
	s_delay_alu instid0(VALU_DEP_1) | instskip(SKIP_1) | instid1(VALU_DEP_1)
	v_add3_u32 v2, v2, v11, v12
	s_waitcnt vmcnt(26)
	v_add3_u32 v2, v2, v14, v13
	s_waitcnt vmcnt(23)
	s_delay_alu instid0(VALU_DEP_1) | instskip(SKIP_1) | instid1(VALU_DEP_1)
	v_add3_u32 v2, v2, v16, v17
	s_waitcnt vmcnt(22)
	v_add3_u32 v2, v2, v15, v18
	;; [unrolled: 5-line block ×6, first 2 shown]
	v_mov_b32_e32 v3, 0
	s_waitcnt vmcnt(4)
	s_delay_alu instid0(VALU_DEP_2) | instskip(SKIP_1) | instid1(VALU_DEP_1)
	v_add3_u32 v2, v2, v7, v5
	s_waitcnt vmcnt(2)
	v_add3_u32 v2, v2, v6, v8
	s_waitcnt vmcnt(0)
	s_delay_alu instid0(VALU_DEP_1) | instskip(NEXT) | instid1(VALU_DEP_1)
	v_add3_u32 v1, v2, v33, v1
	v_mov_b32_dpp v2, v1 quad_perm:[1,0,3,2] row_mask:0xf bank_mask:0xf
	s_delay_alu instid0(VALU_DEP_1) | instskip(NEXT) | instid1(VALU_DEP_1)
	v_add_nc_u32_e32 v1, v2, v1
	v_mov_b32_dpp v2, v1 quad_perm:[2,3,0,1] row_mask:0xf bank_mask:0xf
	s_delay_alu instid0(VALU_DEP_1) | instskip(NEXT) | instid1(VALU_DEP_1)
	v_add_nc_u32_e32 v1, v1, v2
	v_mov_b32_dpp v2, v1 row_ror:4 row_mask:0xf bank_mask:0xf
	s_delay_alu instid0(VALU_DEP_1) | instskip(NEXT) | instid1(VALU_DEP_1)
	v_add_nc_u32_e32 v1, v1, v2
	v_mov_b32_dpp v2, v1 row_ror:8 row_mask:0xf bank_mask:0xf
	s_delay_alu instid0(VALU_DEP_1)
	v_add_nc_u32_e32 v1, v1, v2
	ds_swizzle_b32 v2, v1 offset:swizzle(BROADCAST,32,15)
	s_waitcnt lgkmcnt(0)
	v_add_nc_u32_e32 v1, v1, v2
	v_mbcnt_lo_u32_b32 v2, -1, 0
	ds_bpermute_b32 v1, v3, v1 offset:124
	v_cmpx_eq_u32_e32 0, v2
	s_cbranch_execz .LBB506_7
; %bb.6:
	v_lshrrev_b32_e32 v3, 3, v0
	s_delay_alu instid0(VALU_DEP_1)
	v_and_b32_e32 v3, 28, v3
	s_waitcnt lgkmcnt(0)
	ds_store_b32 v3, v1 offset:96
.LBB506_7:
	s_or_b32 exec_lo, exec_lo, s5
	s_delay_alu instid0(SALU_CYCLE_1)
	s_mov_b32 s5, exec_lo
	s_waitcnt lgkmcnt(0)
	s_barrier
	buffer_gl0_inv
	v_cmpx_gt_u32_e32 32, v0
	s_cbranch_execz .LBB506_9
; %bb.8:
	v_lshl_or_b32 v1, v2, 2, 0x60
	v_and_b32_e32 v3, 7, v2
	ds_load_b32 v1, v1
	v_cmp_ne_u32_e32 vcc_lo, 7, v3
	v_add_co_ci_u32_e32 v4, vcc_lo, 0, v2, vcc_lo
	v_cmp_gt_u32_e32 vcc_lo, 6, v3
	s_delay_alu instid0(VALU_DEP_2) | instskip(SKIP_2) | instid1(VALU_DEP_2)
	v_lshlrev_b32_e32 v4, 2, v4
	v_cndmask_b32_e64 v5, 0, 1, vcc_lo
	v_cmp_gt_u32_e32 vcc_lo, 4, v3
	v_lshlrev_b32_e32 v5, 1, v5
	v_cndmask_b32_e64 v3, 0, 1, vcc_lo
	s_waitcnt lgkmcnt(0)
	ds_bpermute_b32 v4, v4, v1
	v_add_lshl_u32 v5, v5, v2, 2
	v_lshlrev_b32_e32 v3, 2, v3
	s_delay_alu instid0(VALU_DEP_1)
	v_add_lshl_u32 v2, v3, v2, 2
	s_waitcnt lgkmcnt(0)
	v_add_nc_u32_e32 v1, v4, v1
	ds_bpermute_b32 v4, v5, v1
	s_waitcnt lgkmcnt(0)
	v_add_nc_u32_e32 v1, v4, v1
	ds_bpermute_b32 v2, v2, v1
	s_waitcnt lgkmcnt(0)
	v_add_nc_u32_e32 v1, v2, v1
.LBB506_9:
	s_or_b32 exec_lo, exec_lo, s5
.LBB506_10:
	v_cmp_eq_u32_e64 s2, 0, v0
	s_and_b32 vcc_lo, exec_lo, s6
	s_cbranch_vccnz .LBB506_15
	s_branch .LBB506_93
.LBB506_11:
	s_mov_b32 s2, 0
                                        ; implicit-def: $vgpr1
	s_cbranch_execnz .LBB506_166
	s_branch .LBB506_224
.LBB506_12:
	s_mov_b32 s2, 0
                                        ; implicit-def: $vgpr1
	s_cbranch_execnz .LBB506_134
	s_branch .LBB506_142
.LBB506_13:
	s_mov_b32 s6, -1
.LBB506_14:
	s_mov_b32 s2, 0
                                        ; implicit-def: $vgpr1
	s_and_b32 vcc_lo, exec_lo, s6
	s_cbranch_vccz .LBB506_93
.LBB506_15:
	s_cmp_eq_u32 s24, 16
	s_cbranch_scc0 .LBB506_22
; %bb.16:
	s_mov_b32 s21, 0
	s_lshl_b32 s2, s20, 12
	s_mov_b32 s3, s21
	s_lshr_b64 s[6:7], s[18:19], 12
	s_lshl_b64 s[4:5], s[2:3], 2
	s_delay_alu instid0(SALU_CYCLE_1)
	s_add_u32 s22, s16, s4
	s_addc_u32 s23, s17, s5
	s_cmp_lg_u64 s[6:7], s[20:21]
	s_cbranch_scc0 .LBB506_94
; %bb.17:
	v_lshlrev_b32_e32 v5, 2, v0
	s_clause 0x1
	global_load_b32 v9, v5, s[22:23]
	global_load_b32 v10, v5, s[22:23] offset:1024
	v_add_co_u32 v7, s3, s22, v5
	s_delay_alu instid0(VALU_DEP_1) | instskip(SKIP_1) | instid1(VALU_DEP_2)
	v_add_co_ci_u32_e64 v8, null, s23, 0, s3
	s_mov_b32 s3, exec_lo
	v_add_co_u32 v1, vcc_lo, 0x1000, v7
	s_delay_alu instid0(VALU_DEP_2)
	v_add_co_ci_u32_e32 v2, vcc_lo, 0, v8, vcc_lo
	v_add_co_u32 v3, vcc_lo, v7, 0x2000
	v_add_co_ci_u32_e32 v4, vcc_lo, 0, v8, vcc_lo
	s_clause 0x3
	global_load_b32 v11, v5, s[22:23] offset:2048
	global_load_b32 v12, v5, s[22:23] offset:3072
	global_load_b32 v13, v[3:4], off offset:-4096
	global_load_b32 v14, v[1:2], off offset:1024
	v_add_co_u32 v5, vcc_lo, 0x2000, v7
	v_add_co_ci_u32_e32 v6, vcc_lo, 0, v8, vcc_lo
	s_clause 0x3
	global_load_b32 v15, v[1:2], off offset:2048
	global_load_b32 v16, v[1:2], off offset:3072
	global_load_b32 v3, v[3:4], off
	global_load_b32 v4, v[5:6], off offset:1024
	v_add_co_u32 v1, vcc_lo, 0x3000, v7
	v_add_co_ci_u32_e32 v2, vcc_lo, 0, v8, vcc_lo
	s_clause 0x5
	global_load_b32 v7, v[5:6], off offset:2048
	global_load_b32 v5, v[5:6], off offset:3072
	global_load_b32 v6, v[1:2], off
	global_load_b32 v8, v[1:2], off offset:1024
	global_load_b32 v17, v[1:2], off offset:2048
	;; [unrolled: 1-line block ×3, first 2 shown]
	s_waitcnt vmcnt(14)
	v_add_nc_u32_e32 v2, v10, v9
	s_waitcnt vmcnt(12)
	s_delay_alu instid0(VALU_DEP_1) | instskip(SKIP_1) | instid1(VALU_DEP_1)
	v_add3_u32 v2, v2, v11, v12
	s_waitcnt vmcnt(10)
	v_add3_u32 v2, v2, v13, v14
	s_waitcnt vmcnt(8)
	s_delay_alu instid0(VALU_DEP_1) | instskip(SKIP_1) | instid1(VALU_DEP_1)
	v_add3_u32 v2, v2, v15, v16
	s_waitcnt vmcnt(6)
	v_add3_u32 v2, v2, v3, v4
	v_mov_b32_e32 v3, 0
	s_waitcnt vmcnt(4)
	s_delay_alu instid0(VALU_DEP_2) | instskip(SKIP_1) | instid1(VALU_DEP_1)
	v_add3_u32 v2, v2, v7, v5
	s_waitcnt vmcnt(2)
	v_add3_u32 v2, v2, v6, v8
	s_waitcnt vmcnt(0)
	s_delay_alu instid0(VALU_DEP_1) | instskip(NEXT) | instid1(VALU_DEP_1)
	v_add3_u32 v1, v2, v17, v1
	v_mov_b32_dpp v2, v1 quad_perm:[1,0,3,2] row_mask:0xf bank_mask:0xf
	s_delay_alu instid0(VALU_DEP_1) | instskip(NEXT) | instid1(VALU_DEP_1)
	v_add_nc_u32_e32 v1, v2, v1
	v_mov_b32_dpp v2, v1 quad_perm:[2,3,0,1] row_mask:0xf bank_mask:0xf
	s_delay_alu instid0(VALU_DEP_1) | instskip(NEXT) | instid1(VALU_DEP_1)
	v_add_nc_u32_e32 v1, v1, v2
	v_mov_b32_dpp v2, v1 row_ror:4 row_mask:0xf bank_mask:0xf
	s_delay_alu instid0(VALU_DEP_1) | instskip(NEXT) | instid1(VALU_DEP_1)
	v_add_nc_u32_e32 v1, v1, v2
	v_mov_b32_dpp v2, v1 row_ror:8 row_mask:0xf bank_mask:0xf
	s_delay_alu instid0(VALU_DEP_1)
	v_add_nc_u32_e32 v1, v1, v2
	ds_swizzle_b32 v2, v1 offset:swizzle(BROADCAST,32,15)
	s_waitcnt lgkmcnt(0)
	v_add_nc_u32_e32 v1, v1, v2
	v_mbcnt_lo_u32_b32 v2, -1, 0
	ds_bpermute_b32 v1, v3, v1 offset:124
	v_cmpx_eq_u32_e32 0, v2
	s_cbranch_execz .LBB506_19
; %bb.18:
	v_lshrrev_b32_e32 v3, 3, v0
	s_delay_alu instid0(VALU_DEP_1)
	v_and_b32_e32 v3, 28, v3
	s_waitcnt lgkmcnt(0)
	ds_store_b32 v3, v1
.LBB506_19:
	s_or_b32 exec_lo, exec_lo, s3
	s_delay_alu instid0(SALU_CYCLE_1)
	s_mov_b32 s3, exec_lo
	s_waitcnt lgkmcnt(0)
	s_barrier
	buffer_gl0_inv
	v_cmpx_gt_u32_e32 32, v0
	s_cbranch_execz .LBB506_21
; %bb.20:
	v_and_b32_e32 v1, 7, v2
	s_delay_alu instid0(VALU_DEP_1) | instskip(SKIP_4) | instid1(VALU_DEP_2)
	v_lshlrev_b32_e32 v3, 2, v1
	v_cmp_ne_u32_e32 vcc_lo, 7, v1
	ds_load_b32 v3, v3
	v_add_co_ci_u32_e32 v4, vcc_lo, 0, v2, vcc_lo
	v_cmp_gt_u32_e32 vcc_lo, 6, v1
	v_lshlrev_b32_e32 v4, 2, v4
	v_cndmask_b32_e64 v5, 0, 1, vcc_lo
	v_cmp_gt_u32_e32 vcc_lo, 4, v1
	s_delay_alu instid0(VALU_DEP_2) | instskip(SKIP_1) | instid1(VALU_DEP_2)
	v_lshlrev_b32_e32 v5, 1, v5
	v_cndmask_b32_e64 v1, 0, 1, vcc_lo
	v_add_lshl_u32 v5, v5, v2, 2
	s_delay_alu instid0(VALU_DEP_2)
	v_lshlrev_b32_e32 v1, 2, v1
	s_waitcnt lgkmcnt(0)
	ds_bpermute_b32 v4, v4, v3
	v_add_lshl_u32 v1, v1, v2, 2
	s_waitcnt lgkmcnt(0)
	v_add_nc_u32_e32 v3, v4, v3
	ds_bpermute_b32 v4, v5, v3
	s_waitcnt lgkmcnt(0)
	v_add_nc_u32_e32 v3, v4, v3
	ds_bpermute_b32 v1, v1, v3
	s_waitcnt lgkmcnt(0)
	v_add_nc_u32_e32 v1, v1, v3
.LBB506_21:
	s_or_b32 exec_lo, exec_lo, s3
	s_mov_b32 s3, 0
	s_branch .LBB506_95
.LBB506_22:
                                        ; implicit-def: $vgpr1
	s_branch .LBB506_142
.LBB506_23:
                                        ; implicit-def: $vgpr1
	s_cbranch_execz .LBB506_10
; %bb.24:
	s_sub_i32 s4, s18, s4
	s_mov_b32 s5, exec_lo
                                        ; implicit-def: $vgpr1
	v_cmpx_gt_u32_e64 s4, v0
	s_cbranch_execz .LBB506_26
; %bb.25:
	v_lshlrev_b32_e32 v1, 2, v0
	global_load_b32 v1, v1, s[2:3]
.LBB506_26:
	s_or_b32 exec_lo, exec_lo, s5
	v_or_b32_e32 v3, 0x100, v0
	v_mov_b32_e32 v2, 0
	s_delay_alu instid0(VALU_DEP_2)
	v_cmp_gt_u32_e32 vcc_lo, s4, v3
	v_mov_b32_e32 v3, 0
	s_and_saveexec_b32 s5, vcc_lo
	s_cbranch_execz .LBB506_28
; %bb.27:
	v_lshlrev_b32_e32 v3, 2, v0
	global_load_b32 v3, v3, s[2:3] offset:1024
.LBB506_28:
	s_or_b32 exec_lo, exec_lo, s5
	v_or_b32_e32 v4, 0x200, v0
	s_mov_b32 s5, exec_lo
	s_delay_alu instid0(VALU_DEP_1)
	v_cmpx_gt_u32_e64 s4, v4
	s_cbranch_execz .LBB506_30
; %bb.29:
	v_lshlrev_b32_e32 v2, 2, v0
	global_load_b32 v2, v2, s[2:3] offset:2048
.LBB506_30:
	s_or_b32 exec_lo, exec_lo, s5
	v_or_b32_e32 v5, 0x300, v0
	v_mov_b32_e32 v4, 0
	s_delay_alu instid0(VALU_DEP_2)
	v_cmp_gt_u32_e32 vcc_lo, s4, v5
	v_mov_b32_e32 v5, 0
	s_and_saveexec_b32 s5, vcc_lo
	s_cbranch_execz .LBB506_32
; %bb.31:
	v_lshlrev_b32_e32 v5, 2, v0
	global_load_b32 v5, v5, s[2:3] offset:3072
.LBB506_32:
	s_or_b32 exec_lo, exec_lo, s5
	v_or_b32_e32 v6, 0x400, v0
	s_mov_b32 s5, exec_lo
	s_delay_alu instid0(VALU_DEP_1)
	v_cmpx_gt_u32_e64 s4, v6
	s_cbranch_execz .LBB506_34
; %bb.33:
	v_lshlrev_b32_e32 v4, 2, v6
	global_load_b32 v4, v4, s[2:3]
.LBB506_34:
	s_or_b32 exec_lo, exec_lo, s5
	v_or_b32_e32 v8, 0x500, v0
	v_dual_mov_b32 v6, 0 :: v_dual_mov_b32 v7, 0
	s_mov_b32 s5, exec_lo
	s_delay_alu instid0(VALU_DEP_2)
	v_cmpx_gt_u32_e64 s4, v8
	s_cbranch_execz .LBB506_36
; %bb.35:
	v_lshlrev_b32_e32 v7, 2, v8
	global_load_b32 v7, v7, s[2:3]
.LBB506_36:
	s_or_b32 exec_lo, exec_lo, s5
	v_or_b32_e32 v8, 0x600, v0
	s_mov_b32 s5, exec_lo
	s_delay_alu instid0(VALU_DEP_1)
	v_cmpx_gt_u32_e64 s4, v8
	s_cbranch_execz .LBB506_38
; %bb.37:
	v_lshlrev_b32_e32 v6, 2, v8
	global_load_b32 v6, v6, s[2:3]
.LBB506_38:
	s_or_b32 exec_lo, exec_lo, s5
	v_or_b32_e32 v10, 0x700, v0
	v_dual_mov_b32 v8, 0 :: v_dual_mov_b32 v9, 0
	s_mov_b32 s5, exec_lo
	s_delay_alu instid0(VALU_DEP_2)
	v_cmpx_gt_u32_e64 s4, v10
	s_cbranch_execz .LBB506_40
; %bb.39:
	v_lshlrev_b32_e32 v9, 2, v10
	global_load_b32 v9, v9, s[2:3]
.LBB506_40:
	;; [unrolled: 21-line block ×13, first 2 shown]
	s_or_b32 exec_lo, exec_lo, s5
	v_or_b32_e32 v32, 0x1e00, v0
	s_mov_b32 s5, exec_lo
	s_delay_alu instid0(VALU_DEP_1)
	v_cmpx_gt_u32_e64 s4, v32
	s_cbranch_execz .LBB506_86
; %bb.85:
	v_lshlrev_b32_e32 v30, 2, v32
	global_load_b32 v30, v30, s[2:3]
.LBB506_86:
	s_or_b32 exec_lo, exec_lo, s5
	v_or_b32_e32 v33, 0x1f00, v0
	v_mov_b32_e32 v32, 0
	s_mov_b32 s5, exec_lo
	s_delay_alu instid0(VALU_DEP_2)
	v_cmpx_gt_u32_e64 s4, v33
	s_cbranch_execz .LBB506_88
; %bb.87:
	v_lshlrev_b32_e32 v32, 2, v33
	global_load_b32 v32, v32, s[2:3]
.LBB506_88:
	s_or_b32 exec_lo, exec_lo, s5
	s_waitcnt vmcnt(0)
	v_add_nc_u32_e32 v1, v3, v1
	s_min_u32 s2, s4, 0x100
	s_mov_b32 s3, exec_lo
	s_delay_alu instid0(VALU_DEP_1) | instskip(SKIP_1) | instid1(VALU_DEP_2)
	v_add3_u32 v1, v1, v2, v5
	v_mbcnt_lo_u32_b32 v2, -1, 0
	v_add3_u32 v1, v1, v4, v7
	s_delay_alu instid0(VALU_DEP_2) | instskip(NEXT) | instid1(VALU_DEP_2)
	v_cmp_ne_u32_e32 vcc_lo, 31, v2
	v_add3_u32 v1, v1, v6, v9
	v_add_co_ci_u32_e32 v3, vcc_lo, 0, v2, vcc_lo
	v_cmp_gt_u32_e32 vcc_lo, 30, v2
	v_add_nc_u32_e32 v6, 1, v2
	s_delay_alu instid0(VALU_DEP_4) | instskip(NEXT) | instid1(VALU_DEP_4)
	v_add3_u32 v1, v1, v8, v11
	v_lshlrev_b32_e32 v3, 2, v3
	v_cndmask_b32_e64 v5, 0, 1, vcc_lo
	s_delay_alu instid0(VALU_DEP_3) | instskip(NEXT) | instid1(VALU_DEP_2)
	v_add3_u32 v1, v1, v10, v13
	v_lshlrev_b32_e32 v5, 1, v5
	s_delay_alu instid0(VALU_DEP_2) | instskip(NEXT) | instid1(VALU_DEP_2)
	v_add3_u32 v1, v1, v12, v15
	v_add_lshl_u32 v5, v5, v2, 2
	s_delay_alu instid0(VALU_DEP_2) | instskip(NEXT) | instid1(VALU_DEP_1)
	v_add3_u32 v1, v1, v14, v17
	v_add3_u32 v1, v1, v16, v19
	s_delay_alu instid0(VALU_DEP_1) | instskip(NEXT) | instid1(VALU_DEP_1)
	v_add3_u32 v1, v1, v18, v21
	v_add3_u32 v1, v1, v20, v23
	s_delay_alu instid0(VALU_DEP_1) | instskip(NEXT) | instid1(VALU_DEP_1)
	;; [unrolled: 3-line block ×3, first 2 shown]
	v_add3_u32 v1, v1, v26, v29
	v_add3_u32 v1, v1, v28, v31
	s_delay_alu instid0(VALU_DEP_1) | instskip(SKIP_2) | instid1(VALU_DEP_1)
	v_add3_u32 v1, v1, v30, v32
	ds_bpermute_b32 v3, v3, v1
	v_and_b32_e32 v4, 0xe0, v0
	v_sub_nc_u32_e64 v4, s2, v4 clamp
	s_delay_alu instid0(VALU_DEP_1) | instskip(SKIP_3) | instid1(VALU_DEP_2)
	v_cmp_lt_u32_e32 vcc_lo, v6, v4
	s_waitcnt lgkmcnt(0)
	v_dual_cndmask_b32 v3, 0, v3 :: v_dual_add_nc_u32 v6, 2, v2
	v_cmp_gt_u32_e32 vcc_lo, 28, v2
	v_add_nc_u32_e32 v1, v3, v1
	ds_bpermute_b32 v3, v5, v1
	v_cndmask_b32_e64 v5, 0, 1, vcc_lo
	v_cmp_lt_u32_e32 vcc_lo, v6, v4
	v_add_nc_u32_e32 v6, 4, v2
	s_delay_alu instid0(VALU_DEP_3) | instskip(NEXT) | instid1(VALU_DEP_1)
	v_lshlrev_b32_e32 v5, 2, v5
	v_add_lshl_u32 v5, v5, v2, 2
	s_waitcnt lgkmcnt(0)
	v_cndmask_b32_e32 v3, 0, v3, vcc_lo
	v_cmp_gt_u32_e32 vcc_lo, 24, v2
	s_delay_alu instid0(VALU_DEP_2) | instskip(SKIP_4) | instid1(VALU_DEP_3)
	v_add_nc_u32_e32 v1, v1, v3
	ds_bpermute_b32 v3, v5, v1
	v_cndmask_b32_e64 v5, 0, 1, vcc_lo
	v_cmp_lt_u32_e32 vcc_lo, v6, v4
	v_add_nc_u32_e32 v6, 8, v2
	v_lshlrev_b32_e32 v5, 3, v5
	s_delay_alu instid0(VALU_DEP_1) | instskip(SKIP_3) | instid1(VALU_DEP_2)
	v_add_lshl_u32 v5, v5, v2, 2
	s_waitcnt lgkmcnt(0)
	v_cndmask_b32_e32 v3, 0, v3, vcc_lo
	v_cmp_gt_u32_e32 vcc_lo, 16, v2
	v_add_nc_u32_e32 v1, v1, v3
	ds_bpermute_b32 v3, v5, v1
	v_cndmask_b32_e64 v5, 0, 1, vcc_lo
	v_cmp_lt_u32_e32 vcc_lo, v6, v4
	s_delay_alu instid0(VALU_DEP_2) | instskip(NEXT) | instid1(VALU_DEP_1)
	v_lshlrev_b32_e32 v5, 4, v5
	v_add_lshl_u32 v5, v5, v2, 2
	s_waitcnt lgkmcnt(0)
	v_cndmask_b32_e32 v3, 0, v3, vcc_lo
	s_delay_alu instid0(VALU_DEP_1) | instskip(SKIP_2) | instid1(VALU_DEP_1)
	v_add_nc_u32_e32 v1, v1, v3
	ds_bpermute_b32 v3, v5, v1
	v_add_nc_u32_e32 v5, 16, v2
	v_cmp_lt_u32_e32 vcc_lo, v5, v4
	s_waitcnt lgkmcnt(0)
	v_cndmask_b32_e32 v3, 0, v3, vcc_lo
	s_delay_alu instid0(VALU_DEP_1)
	v_add_nc_u32_e32 v1, v1, v3
	v_cmpx_eq_u32_e32 0, v2
	s_cbranch_execz .LBB506_90
; %bb.89:
	v_lshrrev_b32_e32 v3, 3, v0
	s_delay_alu instid0(VALU_DEP_1)
	v_and_b32_e32 v3, 28, v3
	ds_store_b32 v3, v1 offset:192
.LBB506_90:
	s_or_b32 exec_lo, exec_lo, s3
	s_delay_alu instid0(SALU_CYCLE_1)
	s_mov_b32 s3, exec_lo
	s_waitcnt lgkmcnt(0)
	s_barrier
	buffer_gl0_inv
	v_cmpx_gt_u32_e32 8, v0
	s_cbranch_execz .LBB506_92
; %bb.91:
	v_and_b32_e32 v3, 7, v2
	s_add_i32 s2, s2, 31
	s_delay_alu instid0(SALU_CYCLE_1) | instskip(NEXT) | instid1(VALU_DEP_1)
	s_lshr_b32 s2, s2, 5
	v_cmp_ne_u32_e32 vcc_lo, 7, v3
	v_add_nc_u32_e32 v6, 1, v3
	v_add_co_ci_u32_e32 v4, vcc_lo, 0, v2, vcc_lo
	v_cmp_gt_u32_e32 vcc_lo, 6, v3
	s_delay_alu instid0(VALU_DEP_2) | instskip(SKIP_3) | instid1(VALU_DEP_3)
	v_lshlrev_b32_e32 v4, 2, v4
	v_cndmask_b32_e64 v5, 0, 1, vcc_lo
	v_cmp_gt_u32_e32 vcc_lo, s2, v6
	v_lshlrev_b32_e32 v1, 2, v2
	v_lshlrev_b32_e32 v5, 1, v5
	ds_load_b32 v1, v1 offset:192
	v_add_lshl_u32 v5, v5, v2, 2
	s_waitcnt lgkmcnt(0)
	ds_bpermute_b32 v4, v4, v1
	s_waitcnt lgkmcnt(0)
	v_cndmask_b32_e32 v4, 0, v4, vcc_lo
	v_cmp_gt_u32_e32 vcc_lo, 4, v3
	s_delay_alu instid0(VALU_DEP_2) | instskip(SKIP_3) | instid1(VALU_DEP_1)
	v_add_nc_u32_e32 v1, v4, v1
	v_cndmask_b32_e64 v6, 0, 1, vcc_lo
	ds_bpermute_b32 v4, v5, v1
	v_add_nc_u32_e32 v5, 2, v3
	v_cmp_gt_u32_e32 vcc_lo, s2, v5
	v_lshlrev_b32_e32 v5, 2, v6
	s_delay_alu instid0(VALU_DEP_1) | instskip(SKIP_2) | instid1(VALU_DEP_1)
	v_add_lshl_u32 v2, v5, v2, 2
	s_waitcnt lgkmcnt(0)
	v_dual_cndmask_b32 v4, 0, v4 :: v_dual_add_nc_u32 v3, 4, v3
	v_add_nc_u32_e32 v1, v1, v4
	s_delay_alu instid0(VALU_DEP_2) | instskip(SKIP_3) | instid1(VALU_DEP_1)
	v_cmp_gt_u32_e32 vcc_lo, s2, v3
	ds_bpermute_b32 v2, v2, v1
	s_waitcnt lgkmcnt(0)
	v_cndmask_b32_e32 v2, 0, v2, vcc_lo
	v_add_nc_u32_e32 v1, v1, v2
.LBB506_92:
	s_or_b32 exec_lo, exec_lo, s3
	v_cmp_eq_u32_e64 s2, 0, v0
	s_and_b32 vcc_lo, exec_lo, s6
	s_cbranch_vccnz .LBB506_15
.LBB506_93:
	s_branch .LBB506_142
.LBB506_94:
	s_mov_b32 s3, -1
                                        ; implicit-def: $vgpr1
.LBB506_95:
	s_delay_alu instid0(SALU_CYCLE_1)
	s_and_b32 vcc_lo, exec_lo, s3
	s_cbranch_vccz .LBB506_133
; %bb.96:
	s_sub_i32 s25, s18, s2
	s_mov_b32 s2, exec_lo
                                        ; implicit-def: $vgpr1_vgpr2_vgpr3_vgpr4_vgpr5_vgpr6_vgpr7_vgpr8_vgpr9_vgpr10_vgpr11_vgpr12_vgpr13_vgpr14_vgpr15_vgpr16
	v_cmpx_gt_u32_e64 s25, v0
	s_cbranch_execz .LBB506_98
; %bb.97:
	v_lshlrev_b32_e32 v1, 2, v0
	global_load_b32 v1, v1, s[22:23]
.LBB506_98:
	s_or_b32 exec_lo, exec_lo, s2
	v_or_b32_e32 v17, 0x100, v0
	s_delay_alu instid0(VALU_DEP_1)
	v_cmp_gt_u32_e32 vcc_lo, s25, v17
	s_and_saveexec_b32 s2, vcc_lo
	s_cbranch_execz .LBB506_100
; %bb.99:
	v_lshlrev_b32_e32 v2, 2, v0
	global_load_b32 v2, v2, s[22:23] offset:1024
.LBB506_100:
	s_or_b32 exec_lo, exec_lo, s2
	v_or_b32_e32 v17, 0x200, v0
	s_delay_alu instid0(VALU_DEP_1) | instskip(NEXT) | instid1(VALU_DEP_1)
	v_cmp_gt_u32_e64 s2, s25, v17
	s_and_saveexec_b32 s3, s2
	s_cbranch_execz .LBB506_102
; %bb.101:
	v_lshlrev_b32_e32 v3, 2, v0
	global_load_b32 v3, v3, s[22:23] offset:2048
.LBB506_102:
	s_or_b32 exec_lo, exec_lo, s3
	v_or_b32_e32 v17, 0x300, v0
	s_delay_alu instid0(VALU_DEP_1) | instskip(NEXT) | instid1(VALU_DEP_1)
	v_cmp_gt_u32_e64 s3, s25, v17
	s_and_saveexec_b32 s4, s3
	;; [unrolled: 10-line block ×3, first 2 shown]
	s_cbranch_execz .LBB506_106
; %bb.105:
	v_lshlrev_b32_e32 v5, 2, v17
	global_load_b32 v5, v5, s[22:23]
.LBB506_106:
	s_or_b32 exec_lo, exec_lo, s5
	v_or_b32_e32 v17, 0x500, v0
	s_delay_alu instid0(VALU_DEP_1) | instskip(NEXT) | instid1(VALU_DEP_1)
	v_cmp_gt_u32_e64 s5, s25, v17
	s_and_saveexec_b32 s6, s5
	s_cbranch_execz .LBB506_108
; %bb.107:
	v_lshlrev_b32_e32 v6, 2, v17
	global_load_b32 v6, v6, s[22:23]
.LBB506_108:
	s_or_b32 exec_lo, exec_lo, s6
	v_or_b32_e32 v17, 0x600, v0
	s_delay_alu instid0(VALU_DEP_1) | instskip(NEXT) | instid1(VALU_DEP_1)
	v_cmp_gt_u32_e64 s6, s25, v17
	s_and_saveexec_b32 s7, s6
	;; [unrolled: 10-line block ×11, first 2 shown]
	s_cbranch_execz .LBB506_128
; %bb.127:
	v_lshlrev_b32_e32 v16, 2, v17
	global_load_b32 v16, v16, s[22:23]
.LBB506_128:
	s_or_b32 exec_lo, exec_lo, s26
	s_waitcnt vmcnt(0)
	v_cndmask_b32_e32 v2, 0, v2, vcc_lo
	v_cndmask_b32_e64 v3, 0, v3, s2
	v_cndmask_b32_e64 v4, 0, v4, s3
	s_min_u32 s2, s25, 0x100
	s_mov_b32 s3, exec_lo
	v_add_nc_u32_e32 v1, v2, v1
	v_cndmask_b32_e64 v2, 0, v5, s4
	v_cndmask_b32_e64 v5, 0, v6, s5
	;; [unrolled: 1-line block ×3, first 2 shown]
	s_delay_alu instid0(VALU_DEP_4) | instskip(SKIP_3) | instid1(VALU_DEP_4)
	v_add3_u32 v1, v1, v3, v4
	v_cndmask_b32_e64 v3, 0, v7, s6
	v_cndmask_b32_e64 v4, 0, v8, s7
	;; [unrolled: 1-line block ×3, first 2 shown]
	v_add3_u32 v1, v1, v2, v5
	v_cndmask_b32_e64 v2, 0, v9, s8
	v_cndmask_b32_e64 v5, 0, v10, s9
	s_delay_alu instid0(VALU_DEP_3) | instskip(SKIP_2) | instid1(VALU_DEP_3)
	v_add3_u32 v1, v1, v3, v4
	v_cndmask_b32_e64 v3, 0, v11, s10
	v_cndmask_b32_e64 v4, 0, v12, s11
	v_add3_u32 v1, v1, v2, v5
	v_mbcnt_lo_u32_b32 v2, -1, 0
	v_cndmask_b32_e64 v5, 0, v13, s12
	s_delay_alu instid0(VALU_DEP_3) | instskip(NEXT) | instid1(VALU_DEP_3)
	v_add3_u32 v1, v1, v3, v4
	v_cmp_ne_u32_e32 vcc_lo, 31, v2
	v_cndmask_b32_e64 v3, 0, v16, s15
	s_delay_alu instid0(VALU_DEP_3) | instskip(SKIP_3) | instid1(VALU_DEP_4)
	v_add3_u32 v1, v1, v5, v6
	v_add_co_ci_u32_e32 v4, vcc_lo, 0, v2, vcc_lo
	v_cmp_gt_u32_e32 vcc_lo, 30, v2
	v_add_nc_u32_e32 v6, 1, v2
	v_add3_u32 v1, v1, v7, v3
	s_delay_alu instid0(VALU_DEP_4) | instskip(SKIP_4) | instid1(VALU_DEP_2)
	v_lshlrev_b32_e32 v4, 2, v4
	v_cndmask_b32_e64 v5, 0, 1, vcc_lo
	ds_bpermute_b32 v3, v4, v1
	v_and_b32_e32 v4, 0xe0, v0
	v_lshlrev_b32_e32 v5, 1, v5
	v_sub_nc_u32_e64 v4, s2, v4 clamp
	s_delay_alu instid0(VALU_DEP_2) | instskip(NEXT) | instid1(VALU_DEP_2)
	v_add_lshl_u32 v5, v5, v2, 2
	v_cmp_lt_u32_e32 vcc_lo, v6, v4
	s_waitcnt lgkmcnt(0)
	v_dual_cndmask_b32 v3, 0, v3 :: v_dual_add_nc_u32 v6, 2, v2
	v_cmp_gt_u32_e32 vcc_lo, 28, v2
	s_delay_alu instid0(VALU_DEP_2) | instskip(SKIP_4) | instid1(VALU_DEP_3)
	v_add_nc_u32_e32 v1, v1, v3
	ds_bpermute_b32 v3, v5, v1
	v_cndmask_b32_e64 v5, 0, 1, vcc_lo
	v_cmp_lt_u32_e32 vcc_lo, v6, v4
	v_add_nc_u32_e32 v6, 4, v2
	v_lshlrev_b32_e32 v5, 2, v5
	s_delay_alu instid0(VALU_DEP_1) | instskip(SKIP_3) | instid1(VALU_DEP_2)
	v_add_lshl_u32 v5, v5, v2, 2
	s_waitcnt lgkmcnt(0)
	v_cndmask_b32_e32 v3, 0, v3, vcc_lo
	v_cmp_gt_u32_e32 vcc_lo, 24, v2
	v_add_nc_u32_e32 v1, v1, v3
	ds_bpermute_b32 v3, v5, v1
	v_cndmask_b32_e64 v5, 0, 1, vcc_lo
	v_cmp_lt_u32_e32 vcc_lo, v6, v4
	v_add_nc_u32_e32 v6, 8, v2
	s_delay_alu instid0(VALU_DEP_3) | instskip(NEXT) | instid1(VALU_DEP_1)
	v_lshlrev_b32_e32 v5, 3, v5
	v_add_lshl_u32 v5, v5, v2, 2
	s_waitcnt lgkmcnt(0)
	v_cndmask_b32_e32 v3, 0, v3, vcc_lo
	v_cmp_gt_u32_e32 vcc_lo, 16, v2
	s_delay_alu instid0(VALU_DEP_2) | instskip(SKIP_3) | instid1(VALU_DEP_2)
	v_add_nc_u32_e32 v1, v1, v3
	ds_bpermute_b32 v3, v5, v1
	v_cndmask_b32_e64 v5, 0, 1, vcc_lo
	v_cmp_lt_u32_e32 vcc_lo, v6, v4
	v_lshlrev_b32_e32 v5, 4, v5
	s_delay_alu instid0(VALU_DEP_1) | instskip(SKIP_2) | instid1(VALU_DEP_1)
	v_add_lshl_u32 v5, v5, v2, 2
	s_waitcnt lgkmcnt(0)
	v_cndmask_b32_e32 v3, 0, v3, vcc_lo
	v_add_nc_u32_e32 v1, v1, v3
	ds_bpermute_b32 v3, v5, v1
	v_add_nc_u32_e32 v5, 16, v2
	s_delay_alu instid0(VALU_DEP_1) | instskip(SKIP_2) | instid1(VALU_DEP_1)
	v_cmp_lt_u32_e32 vcc_lo, v5, v4
	s_waitcnt lgkmcnt(0)
	v_cndmask_b32_e32 v3, 0, v3, vcc_lo
	v_add_nc_u32_e32 v1, v1, v3
	v_cmpx_eq_u32_e32 0, v2
	s_cbranch_execz .LBB506_130
; %bb.129:
	v_lshrrev_b32_e32 v3, 3, v0
	s_delay_alu instid0(VALU_DEP_1)
	v_and_b32_e32 v3, 28, v3
	ds_store_b32 v3, v1 offset:192
.LBB506_130:
	s_or_b32 exec_lo, exec_lo, s3
	s_delay_alu instid0(SALU_CYCLE_1)
	s_mov_b32 s3, exec_lo
	s_waitcnt lgkmcnt(0)
	s_barrier
	buffer_gl0_inv
	v_cmpx_gt_u32_e32 8, v0
	s_cbranch_execz .LBB506_132
; %bb.131:
	v_and_b32_e32 v3, 7, v2
	s_add_i32 s2, s2, 31
	s_delay_alu instid0(SALU_CYCLE_1) | instskip(NEXT) | instid1(VALU_DEP_1)
	s_lshr_b32 s2, s2, 5
	v_cmp_ne_u32_e32 vcc_lo, 7, v3
	v_add_nc_u32_e32 v6, 1, v3
	v_add_co_ci_u32_e32 v4, vcc_lo, 0, v2, vcc_lo
	v_cmp_gt_u32_e32 vcc_lo, 6, v3
	s_delay_alu instid0(VALU_DEP_2) | instskip(SKIP_3) | instid1(VALU_DEP_3)
	v_lshlrev_b32_e32 v4, 2, v4
	v_cndmask_b32_e64 v5, 0, 1, vcc_lo
	v_cmp_gt_u32_e32 vcc_lo, s2, v6
	v_lshlrev_b32_e32 v1, 2, v2
	v_lshlrev_b32_e32 v5, 1, v5
	ds_load_b32 v1, v1 offset:192
	v_add_lshl_u32 v5, v5, v2, 2
	s_waitcnt lgkmcnt(0)
	ds_bpermute_b32 v4, v4, v1
	s_waitcnt lgkmcnt(0)
	v_cndmask_b32_e32 v4, 0, v4, vcc_lo
	v_cmp_gt_u32_e32 vcc_lo, 4, v3
	s_delay_alu instid0(VALU_DEP_2) | instskip(SKIP_3) | instid1(VALU_DEP_1)
	v_add_nc_u32_e32 v1, v4, v1
	v_cndmask_b32_e64 v6, 0, 1, vcc_lo
	ds_bpermute_b32 v4, v5, v1
	v_add_nc_u32_e32 v5, 2, v3
	v_cmp_gt_u32_e32 vcc_lo, s2, v5
	v_lshlrev_b32_e32 v5, 2, v6
	s_delay_alu instid0(VALU_DEP_1) | instskip(SKIP_2) | instid1(VALU_DEP_1)
	v_add_lshl_u32 v2, v5, v2, 2
	s_waitcnt lgkmcnt(0)
	v_dual_cndmask_b32 v4, 0, v4 :: v_dual_add_nc_u32 v3, 4, v3
	v_add_nc_u32_e32 v1, v1, v4
	s_delay_alu instid0(VALU_DEP_2) | instskip(SKIP_3) | instid1(VALU_DEP_1)
	v_cmp_gt_u32_e32 vcc_lo, s2, v3
	ds_bpermute_b32 v2, v2, v1
	s_waitcnt lgkmcnt(0)
	v_cndmask_b32_e32 v2, 0, v2, vcc_lo
	v_add_nc_u32_e32 v1, v1, v2
.LBB506_132:
	s_or_b32 exec_lo, exec_lo, s3
.LBB506_133:
	v_cmp_eq_u32_e64 s2, 0, v0
	s_branch .LBB506_142
.LBB506_134:
	s_cmp_eq_u32 s24, 8
	s_cbranch_scc0 .LBB506_141
; %bb.135:
	s_mov_b32 s21, 0
	s_lshl_b32 s2, s20, 11
	s_mov_b32 s3, s21
	s_lshr_b64 s[6:7], s[18:19], 11
	s_lshl_b64 s[4:5], s[2:3], 2
	s_delay_alu instid0(SALU_CYCLE_1)
	s_add_u32 s8, s16, s4
	s_addc_u32 s9, s17, s5
	s_cmp_lg_u64 s[6:7], s[20:21]
	s_cbranch_scc0 .LBB506_143
; %bb.136:
	v_lshlrev_b32_e32 v3, 2, v0
	s_clause 0x1
	global_load_b32 v4, v3, s[8:9]
	global_load_b32 v5, v3, s[8:9] offset:1024
	v_add_co_u32 v1, s3, s8, v3
	s_delay_alu instid0(VALU_DEP_1) | instskip(SKIP_1) | instid1(VALU_DEP_2)
	v_add_co_ci_u32_e64 v2, null, s9, 0, s3
	s_mov_b32 s3, exec_lo
	v_add_co_u32 v1, vcc_lo, 0x1000, v1
	s_delay_alu instid0(VALU_DEP_2)
	v_add_co_ci_u32_e32 v2, vcc_lo, 0, v2, vcc_lo
	s_clause 0x5
	global_load_b32 v6, v3, s[8:9] offset:2048
	global_load_b32 v3, v3, s[8:9] offset:3072
	global_load_b32 v7, v[1:2], off
	global_load_b32 v8, v[1:2], off offset:1024
	global_load_b32 v9, v[1:2], off offset:2048
	;; [unrolled: 1-line block ×3, first 2 shown]
	s_waitcnt vmcnt(6)
	v_add_nc_u32_e32 v2, v5, v4
	s_waitcnt vmcnt(4)
	s_delay_alu instid0(VALU_DEP_1) | instskip(SKIP_2) | instid1(VALU_DEP_2)
	v_add3_u32 v2, v2, v6, v3
	v_mov_b32_e32 v3, 0
	s_waitcnt vmcnt(2)
	v_add3_u32 v2, v2, v7, v8
	s_waitcnt vmcnt(0)
	s_delay_alu instid0(VALU_DEP_1) | instskip(NEXT) | instid1(VALU_DEP_1)
	v_add3_u32 v1, v2, v9, v1
	v_mov_b32_dpp v2, v1 quad_perm:[1,0,3,2] row_mask:0xf bank_mask:0xf
	s_delay_alu instid0(VALU_DEP_1) | instskip(NEXT) | instid1(VALU_DEP_1)
	v_add_nc_u32_e32 v1, v2, v1
	v_mov_b32_dpp v2, v1 quad_perm:[2,3,0,1] row_mask:0xf bank_mask:0xf
	s_delay_alu instid0(VALU_DEP_1) | instskip(NEXT) | instid1(VALU_DEP_1)
	v_add_nc_u32_e32 v1, v1, v2
	v_mov_b32_dpp v2, v1 row_ror:4 row_mask:0xf bank_mask:0xf
	s_delay_alu instid0(VALU_DEP_1) | instskip(NEXT) | instid1(VALU_DEP_1)
	v_add_nc_u32_e32 v1, v1, v2
	v_mov_b32_dpp v2, v1 row_ror:8 row_mask:0xf bank_mask:0xf
	s_delay_alu instid0(VALU_DEP_1)
	v_add_nc_u32_e32 v1, v1, v2
	ds_swizzle_b32 v2, v1 offset:swizzle(BROADCAST,32,15)
	s_waitcnt lgkmcnt(0)
	v_add_nc_u32_e32 v1, v1, v2
	v_mbcnt_lo_u32_b32 v2, -1, 0
	ds_bpermute_b32 v1, v3, v1 offset:124
	v_cmpx_eq_u32_e32 0, v2
	s_cbranch_execz .LBB506_138
; %bb.137:
	v_lshrrev_b32_e32 v3, 3, v0
	s_delay_alu instid0(VALU_DEP_1)
	v_and_b32_e32 v3, 28, v3
	s_waitcnt lgkmcnt(0)
	ds_store_b32 v3, v1 offset:160
.LBB506_138:
	s_or_b32 exec_lo, exec_lo, s3
	s_delay_alu instid0(SALU_CYCLE_1)
	s_mov_b32 s3, exec_lo
	s_waitcnt lgkmcnt(0)
	s_barrier
	buffer_gl0_inv
	v_cmpx_gt_u32_e32 32, v0
	s_cbranch_execz .LBB506_140
; %bb.139:
	v_and_b32_e32 v1, 7, v2
	s_delay_alu instid0(VALU_DEP_1) | instskip(SKIP_4) | instid1(VALU_DEP_2)
	v_lshlrev_b32_e32 v3, 2, v1
	v_cmp_ne_u32_e32 vcc_lo, 7, v1
	ds_load_b32 v3, v3 offset:160
	v_add_co_ci_u32_e32 v4, vcc_lo, 0, v2, vcc_lo
	v_cmp_gt_u32_e32 vcc_lo, 6, v1
	v_lshlrev_b32_e32 v4, 2, v4
	v_cndmask_b32_e64 v5, 0, 1, vcc_lo
	v_cmp_gt_u32_e32 vcc_lo, 4, v1
	s_delay_alu instid0(VALU_DEP_2) | instskip(SKIP_1) | instid1(VALU_DEP_2)
	v_lshlrev_b32_e32 v5, 1, v5
	v_cndmask_b32_e64 v1, 0, 1, vcc_lo
	v_add_lshl_u32 v5, v5, v2, 2
	s_delay_alu instid0(VALU_DEP_2)
	v_lshlrev_b32_e32 v1, 2, v1
	s_waitcnt lgkmcnt(0)
	ds_bpermute_b32 v4, v4, v3
	v_add_lshl_u32 v1, v1, v2, 2
	s_waitcnt lgkmcnt(0)
	v_add_nc_u32_e32 v3, v4, v3
	ds_bpermute_b32 v4, v5, v3
	s_waitcnt lgkmcnt(0)
	v_add_nc_u32_e32 v3, v4, v3
	ds_bpermute_b32 v1, v1, v3
	s_waitcnt lgkmcnt(0)
	v_add_nc_u32_e32 v1, v1, v3
.LBB506_140:
	s_or_b32 exec_lo, exec_lo, s3
	s_branch .LBB506_165
.LBB506_141:
                                        ; implicit-def: $vgpr1
.LBB506_142:
	s_branch .LBB506_224
.LBB506_143:
                                        ; implicit-def: $vgpr1
	s_cbranch_execz .LBB506_165
; %bb.144:
	s_sub_i32 s10, s18, s2
	s_mov_b32 s2, exec_lo
                                        ; implicit-def: $vgpr1_vgpr2_vgpr3_vgpr4_vgpr5_vgpr6_vgpr7_vgpr8
	v_cmpx_gt_u32_e64 s10, v0
	s_cbranch_execz .LBB506_146
; %bb.145:
	v_lshlrev_b32_e32 v1, 2, v0
	global_load_b32 v1, v1, s[8:9]
.LBB506_146:
	s_or_b32 exec_lo, exec_lo, s2
	v_or_b32_e32 v9, 0x100, v0
	s_delay_alu instid0(VALU_DEP_1)
	v_cmp_gt_u32_e32 vcc_lo, s10, v9
	s_and_saveexec_b32 s2, vcc_lo
	s_cbranch_execz .LBB506_148
; %bb.147:
	v_lshlrev_b32_e32 v2, 2, v0
	global_load_b32 v2, v2, s[8:9] offset:1024
.LBB506_148:
	s_or_b32 exec_lo, exec_lo, s2
	v_or_b32_e32 v9, 0x200, v0
	s_delay_alu instid0(VALU_DEP_1) | instskip(NEXT) | instid1(VALU_DEP_1)
	v_cmp_gt_u32_e64 s2, s10, v9
	s_and_saveexec_b32 s3, s2
	s_cbranch_execz .LBB506_150
; %bb.149:
	v_lshlrev_b32_e32 v3, 2, v0
	global_load_b32 v3, v3, s[8:9] offset:2048
.LBB506_150:
	s_or_b32 exec_lo, exec_lo, s3
	v_or_b32_e32 v9, 0x300, v0
	s_delay_alu instid0(VALU_DEP_1) | instskip(NEXT) | instid1(VALU_DEP_1)
	v_cmp_gt_u32_e64 s3, s10, v9
	s_and_saveexec_b32 s4, s3
	;; [unrolled: 10-line block ×3, first 2 shown]
	s_cbranch_execz .LBB506_154
; %bb.153:
	v_lshlrev_b32_e32 v5, 2, v9
	global_load_b32 v5, v5, s[8:9]
.LBB506_154:
	s_or_b32 exec_lo, exec_lo, s5
	v_or_b32_e32 v9, 0x500, v0
	s_delay_alu instid0(VALU_DEP_1) | instskip(NEXT) | instid1(VALU_DEP_1)
	v_cmp_gt_u32_e64 s5, s10, v9
	s_and_saveexec_b32 s6, s5
	s_cbranch_execz .LBB506_156
; %bb.155:
	v_lshlrev_b32_e32 v6, 2, v9
	global_load_b32 v6, v6, s[8:9]
.LBB506_156:
	s_or_b32 exec_lo, exec_lo, s6
	v_or_b32_e32 v9, 0x600, v0
	s_delay_alu instid0(VALU_DEP_1) | instskip(NEXT) | instid1(VALU_DEP_1)
	v_cmp_gt_u32_e64 s6, s10, v9
	s_and_saveexec_b32 s7, s6
	;; [unrolled: 10-line block ×3, first 2 shown]
	s_cbranch_execz .LBB506_160
; %bb.159:
	v_lshlrev_b32_e32 v8, 2, v9
	global_load_b32 v8, v8, s[8:9]
.LBB506_160:
	s_or_b32 exec_lo, exec_lo, s11
	s_waitcnt vmcnt(0)
	v_cndmask_b32_e32 v2, 0, v2, vcc_lo
	v_cndmask_b32_e64 v3, 0, v3, s2
	v_cndmask_b32_e64 v4, 0, v4, s3
	;; [unrolled: 1-line block ×4, first 2 shown]
	v_add_nc_u32_e32 v1, v2, v1
	v_mbcnt_lo_u32_b32 v2, -1, 0
	v_cndmask_b32_e64 v7, 0, v7, s6
	s_min_u32 s2, s10, 0x100
	s_mov_b32 s3, exec_lo
	v_add3_u32 v1, v1, v3, v4
	v_cmp_ne_u32_e32 vcc_lo, 31, v2
	v_cndmask_b32_e64 v3, 0, v8, s7
	s_delay_alu instid0(VALU_DEP_3) | instskip(SKIP_3) | instid1(VALU_DEP_4)
	v_add3_u32 v1, v1, v5, v6
	v_add_co_ci_u32_e32 v4, vcc_lo, 0, v2, vcc_lo
	v_cmp_gt_u32_e32 vcc_lo, 30, v2
	v_add_nc_u32_e32 v6, 1, v2
	v_add3_u32 v1, v1, v7, v3
	s_delay_alu instid0(VALU_DEP_4) | instskip(SKIP_4) | instid1(VALU_DEP_2)
	v_lshlrev_b32_e32 v4, 2, v4
	v_cndmask_b32_e64 v5, 0, 1, vcc_lo
	ds_bpermute_b32 v3, v4, v1
	v_and_b32_e32 v4, 0xe0, v0
	v_lshlrev_b32_e32 v5, 1, v5
	v_sub_nc_u32_e64 v4, s2, v4 clamp
	s_delay_alu instid0(VALU_DEP_2) | instskip(NEXT) | instid1(VALU_DEP_2)
	v_add_lshl_u32 v5, v5, v2, 2
	v_cmp_lt_u32_e32 vcc_lo, v6, v4
	s_waitcnt lgkmcnt(0)
	v_dual_cndmask_b32 v3, 0, v3 :: v_dual_add_nc_u32 v6, 2, v2
	v_cmp_gt_u32_e32 vcc_lo, 28, v2
	s_delay_alu instid0(VALU_DEP_2) | instskip(SKIP_4) | instid1(VALU_DEP_3)
	v_add_nc_u32_e32 v1, v1, v3
	ds_bpermute_b32 v3, v5, v1
	v_cndmask_b32_e64 v5, 0, 1, vcc_lo
	v_cmp_lt_u32_e32 vcc_lo, v6, v4
	v_add_nc_u32_e32 v6, 4, v2
	v_lshlrev_b32_e32 v5, 2, v5
	s_delay_alu instid0(VALU_DEP_1) | instskip(SKIP_3) | instid1(VALU_DEP_2)
	v_add_lshl_u32 v5, v5, v2, 2
	s_waitcnt lgkmcnt(0)
	v_cndmask_b32_e32 v3, 0, v3, vcc_lo
	v_cmp_gt_u32_e32 vcc_lo, 24, v2
	v_add_nc_u32_e32 v1, v1, v3
	ds_bpermute_b32 v3, v5, v1
	v_cndmask_b32_e64 v5, 0, 1, vcc_lo
	v_cmp_lt_u32_e32 vcc_lo, v6, v4
	v_add_nc_u32_e32 v6, 8, v2
	s_delay_alu instid0(VALU_DEP_3) | instskip(NEXT) | instid1(VALU_DEP_1)
	v_lshlrev_b32_e32 v5, 3, v5
	v_add_lshl_u32 v5, v5, v2, 2
	s_waitcnt lgkmcnt(0)
	v_cndmask_b32_e32 v3, 0, v3, vcc_lo
	v_cmp_gt_u32_e32 vcc_lo, 16, v2
	s_delay_alu instid0(VALU_DEP_2) | instskip(SKIP_3) | instid1(VALU_DEP_2)
	v_add_nc_u32_e32 v1, v1, v3
	ds_bpermute_b32 v3, v5, v1
	v_cndmask_b32_e64 v5, 0, 1, vcc_lo
	v_cmp_lt_u32_e32 vcc_lo, v6, v4
	v_lshlrev_b32_e32 v5, 4, v5
	s_delay_alu instid0(VALU_DEP_1) | instskip(SKIP_2) | instid1(VALU_DEP_1)
	v_add_lshl_u32 v5, v5, v2, 2
	s_waitcnt lgkmcnt(0)
	v_cndmask_b32_e32 v3, 0, v3, vcc_lo
	v_add_nc_u32_e32 v1, v1, v3
	ds_bpermute_b32 v3, v5, v1
	v_add_nc_u32_e32 v5, 16, v2
	s_delay_alu instid0(VALU_DEP_1) | instskip(SKIP_2) | instid1(VALU_DEP_1)
	v_cmp_lt_u32_e32 vcc_lo, v5, v4
	s_waitcnt lgkmcnt(0)
	v_cndmask_b32_e32 v3, 0, v3, vcc_lo
	v_add_nc_u32_e32 v1, v1, v3
	v_cmpx_eq_u32_e32 0, v2
	s_cbranch_execz .LBB506_162
; %bb.161:
	v_lshrrev_b32_e32 v3, 3, v0
	s_delay_alu instid0(VALU_DEP_1)
	v_and_b32_e32 v3, 28, v3
	ds_store_b32 v3, v1 offset:192
.LBB506_162:
	s_or_b32 exec_lo, exec_lo, s3
	s_delay_alu instid0(SALU_CYCLE_1)
	s_mov_b32 s3, exec_lo
	s_waitcnt lgkmcnt(0)
	s_barrier
	buffer_gl0_inv
	v_cmpx_gt_u32_e32 8, v0
	s_cbranch_execz .LBB506_164
; %bb.163:
	v_and_b32_e32 v3, 7, v2
	s_add_i32 s2, s2, 31
	s_delay_alu instid0(SALU_CYCLE_1) | instskip(NEXT) | instid1(VALU_DEP_1)
	s_lshr_b32 s2, s2, 5
	v_cmp_ne_u32_e32 vcc_lo, 7, v3
	v_add_nc_u32_e32 v6, 1, v3
	v_add_co_ci_u32_e32 v4, vcc_lo, 0, v2, vcc_lo
	v_cmp_gt_u32_e32 vcc_lo, 6, v3
	s_delay_alu instid0(VALU_DEP_2) | instskip(SKIP_3) | instid1(VALU_DEP_3)
	v_lshlrev_b32_e32 v4, 2, v4
	v_cndmask_b32_e64 v5, 0, 1, vcc_lo
	v_cmp_gt_u32_e32 vcc_lo, s2, v6
	v_lshlrev_b32_e32 v1, 2, v2
	v_lshlrev_b32_e32 v5, 1, v5
	ds_load_b32 v1, v1 offset:192
	v_add_lshl_u32 v5, v5, v2, 2
	s_waitcnt lgkmcnt(0)
	ds_bpermute_b32 v4, v4, v1
	s_waitcnt lgkmcnt(0)
	v_cndmask_b32_e32 v4, 0, v4, vcc_lo
	v_cmp_gt_u32_e32 vcc_lo, 4, v3
	s_delay_alu instid0(VALU_DEP_2) | instskip(SKIP_3) | instid1(VALU_DEP_1)
	v_add_nc_u32_e32 v1, v4, v1
	v_cndmask_b32_e64 v6, 0, 1, vcc_lo
	ds_bpermute_b32 v4, v5, v1
	v_add_nc_u32_e32 v5, 2, v3
	v_cmp_gt_u32_e32 vcc_lo, s2, v5
	v_lshlrev_b32_e32 v5, 2, v6
	s_delay_alu instid0(VALU_DEP_1) | instskip(SKIP_2) | instid1(VALU_DEP_1)
	v_add_lshl_u32 v2, v5, v2, 2
	s_waitcnt lgkmcnt(0)
	v_dual_cndmask_b32 v4, 0, v4 :: v_dual_add_nc_u32 v3, 4, v3
	v_add_nc_u32_e32 v1, v1, v4
	s_delay_alu instid0(VALU_DEP_2) | instskip(SKIP_3) | instid1(VALU_DEP_1)
	v_cmp_gt_u32_e32 vcc_lo, s2, v3
	ds_bpermute_b32 v2, v2, v1
	s_waitcnt lgkmcnt(0)
	v_cndmask_b32_e32 v2, 0, v2, vcc_lo
	v_add_nc_u32_e32 v1, v1, v2
.LBB506_164:
	s_or_b32 exec_lo, exec_lo, s3
.LBB506_165:
	v_cmp_eq_u32_e64 s2, 0, v0
	s_branch .LBB506_224
.LBB506_166:
	s_cmp_gt_i32 s24, 1
	s_cbranch_scc0 .LBB506_175
; %bb.167:
	s_cmp_gt_i32 s24, 3
	s_cbranch_scc0 .LBB506_176
; %bb.168:
	s_cmp_eq_u32 s24, 4
	s_cbranch_scc0 .LBB506_177
; %bb.169:
	s_mov_b32 s21, 0
	s_lshl_b32 s2, s20, 10
	s_mov_b32 s3, s21
	s_lshr_b64 s[6:7], s[18:19], 10
	s_lshl_b64 s[4:5], s[2:3], 2
	s_delay_alu instid0(SALU_CYCLE_1)
	s_add_u32 s4, s16, s4
	s_addc_u32 s5, s17, s5
	s_cmp_lg_u64 s[6:7], s[20:21]
	s_cbranch_scc0 .LBB506_179
; %bb.170:
	v_lshlrev_b32_e32 v1, 2, v0
	s_mov_b32 s3, exec_lo
	s_clause 0x3
	global_load_b32 v2, v1, s[4:5]
	global_load_b32 v3, v1, s[4:5] offset:1024
	global_load_b32 v4, v1, s[4:5] offset:2048
	global_load_b32 v1, v1, s[4:5] offset:3072
	s_waitcnt vmcnt(2)
	v_add_nc_u32_e32 v2, v3, v2
	s_waitcnt vmcnt(0)
	s_delay_alu instid0(VALU_DEP_1) | instskip(NEXT) | instid1(VALU_DEP_1)
	v_add3_u32 v1, v2, v4, v1
	v_mov_b32_dpp v2, v1 quad_perm:[1,0,3,2] row_mask:0xf bank_mask:0xf
	s_delay_alu instid0(VALU_DEP_1) | instskip(NEXT) | instid1(VALU_DEP_1)
	v_add_nc_u32_e32 v1, v2, v1
	v_mov_b32_dpp v2, v1 quad_perm:[2,3,0,1] row_mask:0xf bank_mask:0xf
	s_delay_alu instid0(VALU_DEP_1) | instskip(NEXT) | instid1(VALU_DEP_1)
	v_add_nc_u32_e32 v1, v1, v2
	v_mov_b32_dpp v2, v1 row_ror:4 row_mask:0xf bank_mask:0xf
	s_delay_alu instid0(VALU_DEP_1) | instskip(NEXT) | instid1(VALU_DEP_1)
	v_add_nc_u32_e32 v1, v1, v2
	v_mov_b32_dpp v2, v1 row_ror:8 row_mask:0xf bank_mask:0xf
	s_delay_alu instid0(VALU_DEP_1)
	v_add_nc_u32_e32 v1, v1, v2
	ds_swizzle_b32 v2, v1 offset:swizzle(BROADCAST,32,15)
	s_waitcnt lgkmcnt(0)
	v_dual_mov_b32 v2, 0 :: v_dual_add_nc_u32 v1, v1, v2
	ds_bpermute_b32 v1, v2, v1 offset:124
	v_mbcnt_lo_u32_b32 v2, -1, 0
	s_delay_alu instid0(VALU_DEP_1)
	v_cmpx_eq_u32_e32 0, v2
	s_cbranch_execz .LBB506_172
; %bb.171:
	v_lshrrev_b32_e32 v3, 3, v0
	s_delay_alu instid0(VALU_DEP_1)
	v_and_b32_e32 v3, 28, v3
	s_waitcnt lgkmcnt(0)
	ds_store_b32 v3, v1 offset:128
.LBB506_172:
	s_or_b32 exec_lo, exec_lo, s3
	s_delay_alu instid0(SALU_CYCLE_1)
	s_mov_b32 s3, exec_lo
	s_waitcnt lgkmcnt(0)
	s_barrier
	buffer_gl0_inv
	v_cmpx_gt_u32_e32 32, v0
	s_cbranch_execz .LBB506_174
; %bb.173:
	v_and_b32_e32 v1, 7, v2
	s_delay_alu instid0(VALU_DEP_1) | instskip(SKIP_4) | instid1(VALU_DEP_2)
	v_lshlrev_b32_e32 v3, 2, v1
	v_cmp_ne_u32_e32 vcc_lo, 7, v1
	ds_load_b32 v3, v3 offset:128
	v_add_co_ci_u32_e32 v4, vcc_lo, 0, v2, vcc_lo
	v_cmp_gt_u32_e32 vcc_lo, 6, v1
	v_lshlrev_b32_e32 v4, 2, v4
	v_cndmask_b32_e64 v5, 0, 1, vcc_lo
	v_cmp_gt_u32_e32 vcc_lo, 4, v1
	s_delay_alu instid0(VALU_DEP_2) | instskip(SKIP_1) | instid1(VALU_DEP_2)
	v_lshlrev_b32_e32 v5, 1, v5
	v_cndmask_b32_e64 v1, 0, 1, vcc_lo
	v_add_lshl_u32 v5, v5, v2, 2
	s_delay_alu instid0(VALU_DEP_2)
	v_lshlrev_b32_e32 v1, 2, v1
	s_waitcnt lgkmcnt(0)
	ds_bpermute_b32 v4, v4, v3
	v_add_lshl_u32 v1, v1, v2, 2
	s_waitcnt lgkmcnt(0)
	v_add_nc_u32_e32 v3, v4, v3
	ds_bpermute_b32 v4, v5, v3
	s_waitcnt lgkmcnt(0)
	v_add_nc_u32_e32 v3, v4, v3
	ds_bpermute_b32 v1, v1, v3
	s_waitcnt lgkmcnt(0)
	v_add_nc_u32_e32 v1, v1, v3
.LBB506_174:
	s_or_b32 exec_lo, exec_lo, s3
	s_mov_b32 s3, 0
	s_branch .LBB506_180
.LBB506_175:
                                        ; implicit-def: $vgpr1
	s_cbranch_execnz .LBB506_215
	s_branch .LBB506_224
.LBB506_176:
                                        ; implicit-def: $vgpr1
	s_cbranch_execz .LBB506_178
	s_branch .LBB506_195
.LBB506_177:
                                        ; implicit-def: $vgpr1
.LBB506_178:
	s_branch .LBB506_224
.LBB506_179:
	s_mov_b32 s3, -1
                                        ; implicit-def: $vgpr1
.LBB506_180:
	s_delay_alu instid0(SALU_CYCLE_1)
	s_and_b32 vcc_lo, exec_lo, s3
	s_cbranch_vccz .LBB506_194
; %bb.181:
	s_sub_i32 s6, s18, s2
	s_mov_b32 s2, exec_lo
                                        ; implicit-def: $vgpr1_vgpr2_vgpr3_vgpr4
	v_cmpx_gt_u32_e64 s6, v0
	s_cbranch_execz .LBB506_183
; %bb.182:
	v_lshlrev_b32_e32 v1, 2, v0
	global_load_b32 v1, v1, s[4:5]
.LBB506_183:
	s_or_b32 exec_lo, exec_lo, s2
	v_or_b32_e32 v5, 0x100, v0
	s_delay_alu instid0(VALU_DEP_1)
	v_cmp_gt_u32_e32 vcc_lo, s6, v5
	s_and_saveexec_b32 s2, vcc_lo
	s_cbranch_execz .LBB506_185
; %bb.184:
	v_lshlrev_b32_e32 v2, 2, v0
	global_load_b32 v2, v2, s[4:5] offset:1024
.LBB506_185:
	s_or_b32 exec_lo, exec_lo, s2
	v_or_b32_e32 v5, 0x200, v0
	s_delay_alu instid0(VALU_DEP_1) | instskip(NEXT) | instid1(VALU_DEP_1)
	v_cmp_gt_u32_e64 s2, s6, v5
	s_and_saveexec_b32 s3, s2
	s_cbranch_execz .LBB506_187
; %bb.186:
	v_lshlrev_b32_e32 v3, 2, v0
	global_load_b32 v3, v3, s[4:5] offset:2048
.LBB506_187:
	s_or_b32 exec_lo, exec_lo, s3
	v_or_b32_e32 v5, 0x300, v0
	s_delay_alu instid0(VALU_DEP_1) | instskip(NEXT) | instid1(VALU_DEP_1)
	v_cmp_gt_u32_e64 s3, s6, v5
	s_and_saveexec_b32 s7, s3
	s_cbranch_execz .LBB506_189
; %bb.188:
	v_lshlrev_b32_e32 v4, 2, v0
	global_load_b32 v4, v4, s[4:5] offset:3072
.LBB506_189:
	s_or_b32 exec_lo, exec_lo, s7
	s_waitcnt vmcnt(0)
	v_cndmask_b32_e32 v5, 0, v2, vcc_lo
	v_mbcnt_lo_u32_b32 v2, -1, 0
	v_cndmask_b32_e64 v3, 0, v3, s2
	v_cndmask_b32_e64 v4, 0, v4, s3
	s_min_u32 s2, s6, 0x100
	v_add_nc_u32_e32 v1, v5, v1
	v_cmp_ne_u32_e32 vcc_lo, 31, v2
	s_mov_b32 s3, exec_lo
	s_delay_alu instid0(VALU_DEP_2) | instskip(SKIP_3) | instid1(VALU_DEP_3)
	v_add3_u32 v1, v1, v3, v4
	v_and_b32_e32 v4, 0xe0, v0
	v_add_co_ci_u32_e32 v5, vcc_lo, 0, v2, vcc_lo
	v_cmp_gt_u32_e32 vcc_lo, 30, v2
	v_sub_nc_u32_e64 v4, s2, v4 clamp
	s_delay_alu instid0(VALU_DEP_3) | instskip(SKIP_4) | instid1(VALU_DEP_2)
	v_lshlrev_b32_e32 v3, 2, v5
	v_cndmask_b32_e64 v5, 0, 1, vcc_lo
	ds_bpermute_b32 v3, v3, v1
	v_add_nc_u32_e32 v6, 1, v2
	v_lshlrev_b32_e32 v5, 1, v5
	v_cmp_lt_u32_e32 vcc_lo, v6, v4
	s_delay_alu instid0(VALU_DEP_2) | instskip(SKIP_3) | instid1(VALU_DEP_2)
	v_add_lshl_u32 v5, v5, v2, 2
	s_waitcnt lgkmcnt(0)
	v_cndmask_b32_e32 v3, 0, v3, vcc_lo
	v_cmp_gt_u32_e32 vcc_lo, 28, v2
	v_add_nc_u32_e32 v1, v3, v1
	ds_bpermute_b32 v3, v5, v1
	v_add_nc_u32_e32 v6, 2, v2
	v_cndmask_b32_e64 v5, 0, 1, vcc_lo
	s_delay_alu instid0(VALU_DEP_2) | instskip(NEXT) | instid1(VALU_DEP_2)
	v_cmp_lt_u32_e32 vcc_lo, v6, v4
	v_lshlrev_b32_e32 v5, 2, v5
	s_delay_alu instid0(VALU_DEP_1) | instskip(SKIP_3) | instid1(VALU_DEP_2)
	v_add_lshl_u32 v5, v5, v2, 2
	s_waitcnt lgkmcnt(0)
	v_cndmask_b32_e32 v3, 0, v3, vcc_lo
	v_cmp_gt_u32_e32 vcc_lo, 24, v2
	v_add_nc_u32_e32 v1, v1, v3
	ds_bpermute_b32 v3, v5, v1
	v_add_nc_u32_e32 v6, 4, v2
	v_cndmask_b32_e64 v5, 0, 1, vcc_lo
	s_delay_alu instid0(VALU_DEP_2) | instskip(NEXT) | instid1(VALU_DEP_2)
	v_cmp_lt_u32_e32 vcc_lo, v6, v4
	v_lshlrev_b32_e32 v5, 3, v5
	s_delay_alu instid0(VALU_DEP_1) | instskip(SKIP_3) | instid1(VALU_DEP_2)
	v_add_lshl_u32 v5, v5, v2, 2
	s_waitcnt lgkmcnt(0)
	v_cndmask_b32_e32 v3, 0, v3, vcc_lo
	v_cmp_gt_u32_e32 vcc_lo, 16, v2
	v_add_nc_u32_e32 v1, v1, v3
	ds_bpermute_b32 v3, v5, v1
	v_add_nc_u32_e32 v6, 8, v2
	v_cndmask_b32_e64 v5, 0, 1, vcc_lo
	s_delay_alu instid0(VALU_DEP_2) | instskip(NEXT) | instid1(VALU_DEP_2)
	v_cmp_lt_u32_e32 vcc_lo, v6, v4
	v_lshlrev_b32_e32 v5, 4, v5
	s_delay_alu instid0(VALU_DEP_1) | instskip(SKIP_2) | instid1(VALU_DEP_1)
	v_add_lshl_u32 v5, v5, v2, 2
	s_waitcnt lgkmcnt(0)
	v_cndmask_b32_e32 v3, 0, v3, vcc_lo
	v_add_nc_u32_e32 v1, v1, v3
	ds_bpermute_b32 v3, v5, v1
	v_add_nc_u32_e32 v5, 16, v2
	s_delay_alu instid0(VALU_DEP_1) | instskip(SKIP_2) | instid1(VALU_DEP_1)
	v_cmp_lt_u32_e32 vcc_lo, v5, v4
	s_waitcnt lgkmcnt(0)
	v_cndmask_b32_e32 v3, 0, v3, vcc_lo
	v_add_nc_u32_e32 v1, v1, v3
	v_cmpx_eq_u32_e32 0, v2
	s_cbranch_execz .LBB506_191
; %bb.190:
	v_lshrrev_b32_e32 v3, 3, v0
	s_delay_alu instid0(VALU_DEP_1)
	v_and_b32_e32 v3, 28, v3
	ds_store_b32 v3, v1 offset:192
.LBB506_191:
	s_or_b32 exec_lo, exec_lo, s3
	s_delay_alu instid0(SALU_CYCLE_1)
	s_mov_b32 s3, exec_lo
	s_waitcnt lgkmcnt(0)
	s_barrier
	buffer_gl0_inv
	v_cmpx_gt_u32_e32 8, v0
	s_cbranch_execz .LBB506_193
; %bb.192:
	v_and_b32_e32 v3, 7, v2
	s_add_i32 s2, s2, 31
	s_delay_alu instid0(SALU_CYCLE_1) | instskip(NEXT) | instid1(VALU_DEP_1)
	s_lshr_b32 s2, s2, 5
	v_cmp_ne_u32_e32 vcc_lo, 7, v3
	v_add_nc_u32_e32 v6, 1, v3
	v_add_co_ci_u32_e32 v4, vcc_lo, 0, v2, vcc_lo
	v_cmp_gt_u32_e32 vcc_lo, 6, v3
	s_delay_alu instid0(VALU_DEP_2) | instskip(SKIP_3) | instid1(VALU_DEP_3)
	v_lshlrev_b32_e32 v4, 2, v4
	v_cndmask_b32_e64 v5, 0, 1, vcc_lo
	v_cmp_gt_u32_e32 vcc_lo, s2, v6
	v_lshlrev_b32_e32 v1, 2, v2
	v_lshlrev_b32_e32 v5, 1, v5
	ds_load_b32 v1, v1 offset:192
	v_add_lshl_u32 v5, v5, v2, 2
	s_waitcnt lgkmcnt(0)
	ds_bpermute_b32 v4, v4, v1
	s_waitcnt lgkmcnt(0)
	v_cndmask_b32_e32 v4, 0, v4, vcc_lo
	v_cmp_gt_u32_e32 vcc_lo, 4, v3
	s_delay_alu instid0(VALU_DEP_2) | instskip(SKIP_3) | instid1(VALU_DEP_1)
	v_add_nc_u32_e32 v1, v4, v1
	v_cndmask_b32_e64 v6, 0, 1, vcc_lo
	ds_bpermute_b32 v4, v5, v1
	v_add_nc_u32_e32 v5, 2, v3
	v_cmp_gt_u32_e32 vcc_lo, s2, v5
	v_lshlrev_b32_e32 v5, 2, v6
	s_delay_alu instid0(VALU_DEP_1) | instskip(SKIP_2) | instid1(VALU_DEP_1)
	v_add_lshl_u32 v2, v5, v2, 2
	s_waitcnt lgkmcnt(0)
	v_dual_cndmask_b32 v4, 0, v4 :: v_dual_add_nc_u32 v3, 4, v3
	v_add_nc_u32_e32 v1, v1, v4
	s_delay_alu instid0(VALU_DEP_2) | instskip(SKIP_3) | instid1(VALU_DEP_1)
	v_cmp_gt_u32_e32 vcc_lo, s2, v3
	ds_bpermute_b32 v2, v2, v1
	s_waitcnt lgkmcnt(0)
	v_cndmask_b32_e32 v2, 0, v2, vcc_lo
	v_add_nc_u32_e32 v1, v1, v2
.LBB506_193:
	s_or_b32 exec_lo, exec_lo, s3
.LBB506_194:
	v_cmp_eq_u32_e64 s2, 0, v0
	s_branch .LBB506_178
.LBB506_195:
	s_cmp_eq_u32 s24, 2
	s_cbranch_scc0 .LBB506_202
; %bb.196:
	s_mov_b32 s21, 0
	s_lshl_b32 s4, s20, 9
	s_mov_b32 s5, s21
	s_lshr_b64 s[6:7], s[18:19], 9
	s_lshl_b64 s[2:3], s[4:5], 2
	s_delay_alu instid0(SALU_CYCLE_1)
	s_add_u32 s2, s16, s2
	s_addc_u32 s3, s17, s3
	s_cmp_lg_u64 s[6:7], s[20:21]
	s_cbranch_scc0 .LBB506_203
; %bb.197:
	v_lshlrev_b32_e32 v1, 2, v0
	s_mov_b32 s5, exec_lo
	s_clause 0x1
	global_load_b32 v2, v1, s[2:3]
	global_load_b32 v1, v1, s[2:3] offset:1024
	s_waitcnt vmcnt(0)
	v_add_nc_u32_e32 v1, v1, v2
	s_delay_alu instid0(VALU_DEP_1) | instskip(NEXT) | instid1(VALU_DEP_1)
	v_mov_b32_dpp v2, v1 quad_perm:[1,0,3,2] row_mask:0xf bank_mask:0xf
	v_add_nc_u32_e32 v1, v2, v1
	s_delay_alu instid0(VALU_DEP_1) | instskip(NEXT) | instid1(VALU_DEP_1)
	v_mov_b32_dpp v2, v1 quad_perm:[2,3,0,1] row_mask:0xf bank_mask:0xf
	v_add_nc_u32_e32 v1, v1, v2
	s_delay_alu instid0(VALU_DEP_1) | instskip(NEXT) | instid1(VALU_DEP_1)
	v_mov_b32_dpp v2, v1 row_ror:4 row_mask:0xf bank_mask:0xf
	v_add_nc_u32_e32 v1, v1, v2
	s_delay_alu instid0(VALU_DEP_1) | instskip(NEXT) | instid1(VALU_DEP_1)
	v_mov_b32_dpp v2, v1 row_ror:8 row_mask:0xf bank_mask:0xf
	v_add_nc_u32_e32 v1, v1, v2
	ds_swizzle_b32 v2, v1 offset:swizzle(BROADCAST,32,15)
	s_waitcnt lgkmcnt(0)
	v_dual_mov_b32 v2, 0 :: v_dual_add_nc_u32 v1, v1, v2
	ds_bpermute_b32 v1, v2, v1 offset:124
	v_mbcnt_lo_u32_b32 v2, -1, 0
	s_delay_alu instid0(VALU_DEP_1)
	v_cmpx_eq_u32_e32 0, v2
	s_cbranch_execz .LBB506_199
; %bb.198:
	v_lshrrev_b32_e32 v3, 3, v0
	s_delay_alu instid0(VALU_DEP_1)
	v_and_b32_e32 v3, 28, v3
	s_waitcnt lgkmcnt(0)
	ds_store_b32 v3, v1 offset:64
.LBB506_199:
	s_or_b32 exec_lo, exec_lo, s5
	s_delay_alu instid0(SALU_CYCLE_1)
	s_mov_b32 s5, exec_lo
	s_waitcnt lgkmcnt(0)
	s_barrier
	buffer_gl0_inv
	v_cmpx_gt_u32_e32 32, v0
	s_cbranch_execz .LBB506_201
; %bb.200:
	v_and_b32_e32 v1, 7, v2
	s_delay_alu instid0(VALU_DEP_1) | instskip(SKIP_4) | instid1(VALU_DEP_2)
	v_lshlrev_b32_e32 v3, 2, v1
	v_cmp_ne_u32_e32 vcc_lo, 7, v1
	ds_load_b32 v3, v3 offset:64
	v_add_co_ci_u32_e32 v4, vcc_lo, 0, v2, vcc_lo
	v_cmp_gt_u32_e32 vcc_lo, 6, v1
	v_lshlrev_b32_e32 v4, 2, v4
	v_cndmask_b32_e64 v5, 0, 1, vcc_lo
	v_cmp_gt_u32_e32 vcc_lo, 4, v1
	s_delay_alu instid0(VALU_DEP_2) | instskip(SKIP_1) | instid1(VALU_DEP_2)
	v_lshlrev_b32_e32 v5, 1, v5
	v_cndmask_b32_e64 v1, 0, 1, vcc_lo
	v_add_lshl_u32 v5, v5, v2, 2
	s_delay_alu instid0(VALU_DEP_2)
	v_lshlrev_b32_e32 v1, 2, v1
	s_waitcnt lgkmcnt(0)
	ds_bpermute_b32 v4, v4, v3
	v_add_lshl_u32 v1, v1, v2, 2
	s_waitcnt lgkmcnt(0)
	v_add_nc_u32_e32 v3, v4, v3
	ds_bpermute_b32 v4, v5, v3
	s_waitcnt lgkmcnt(0)
	v_add_nc_u32_e32 v3, v4, v3
	ds_bpermute_b32 v1, v1, v3
	s_waitcnt lgkmcnt(0)
	v_add_nc_u32_e32 v1, v1, v3
.LBB506_201:
	s_or_b32 exec_lo, exec_lo, s5
	s_mov_b32 s5, 0
	s_branch .LBB506_204
.LBB506_202:
                                        ; implicit-def: $vgpr1
	s_branch .LBB506_224
.LBB506_203:
	s_mov_b32 s5, -1
                                        ; implicit-def: $vgpr1
.LBB506_204:
	s_delay_alu instid0(SALU_CYCLE_1)
	s_and_b32 vcc_lo, exec_lo, s5
	s_cbranch_vccz .LBB506_214
; %bb.205:
	s_sub_i32 s4, s18, s4
	s_mov_b32 s5, exec_lo
                                        ; implicit-def: $vgpr1_vgpr2
	v_cmpx_gt_u32_e64 s4, v0
	s_cbranch_execz .LBB506_207
; %bb.206:
	v_lshlrev_b32_e32 v1, 2, v0
	global_load_b32 v1, v1, s[2:3]
.LBB506_207:
	s_or_b32 exec_lo, exec_lo, s5
	v_or_b32_e32 v3, 0x100, v0
	s_delay_alu instid0(VALU_DEP_1)
	v_cmp_gt_u32_e32 vcc_lo, s4, v3
	s_and_saveexec_b32 s5, vcc_lo
	s_cbranch_execz .LBB506_209
; %bb.208:
	v_lshlrev_b32_e32 v2, 2, v0
	global_load_b32 v2, v2, s[2:3] offset:1024
.LBB506_209:
	s_or_b32 exec_lo, exec_lo, s5
	v_mbcnt_lo_u32_b32 v3, -1, 0
	s_waitcnt vmcnt(0)
	v_cndmask_b32_e32 v2, 0, v2, vcc_lo
	s_min_u32 s2, s4, 0x100
	s_mov_b32 s3, exec_lo
	v_cmp_ne_u32_e32 vcc_lo, 31, v3
	v_add_nc_u32_e32 v6, 1, v3
	v_add_co_ci_u32_e32 v4, vcc_lo, 0, v3, vcc_lo
	v_cmp_gt_u32_e32 vcc_lo, 30, v3
	v_cndmask_b32_e64 v5, 0, 1, vcc_lo
	s_delay_alu instid0(VALU_DEP_1) | instskip(SKIP_3) | instid1(VALU_DEP_4)
	v_lshlrev_b32_e32 v5, 1, v5
	v_add_nc_u32_e32 v1, v2, v1
	v_lshlrev_b32_e32 v2, 2, v4
	v_and_b32_e32 v4, 0xe0, v0
	v_add_lshl_u32 v5, v5, v3, 2
	ds_bpermute_b32 v2, v2, v1
	v_sub_nc_u32_e64 v4, s2, v4 clamp
	s_delay_alu instid0(VALU_DEP_1) | instskip(SKIP_4) | instid1(VALU_DEP_2)
	v_cmp_lt_u32_e32 vcc_lo, v6, v4
	v_add_nc_u32_e32 v6, 2, v3
	s_waitcnt lgkmcnt(0)
	v_cndmask_b32_e32 v2, 0, v2, vcc_lo
	v_cmp_gt_u32_e32 vcc_lo, 28, v3
	v_add_nc_u32_e32 v1, v2, v1
	ds_bpermute_b32 v2, v5, v1
	v_cndmask_b32_e64 v5, 0, 1, vcc_lo
	v_cmp_lt_u32_e32 vcc_lo, v6, v4
	v_add_nc_u32_e32 v6, 4, v3
	s_delay_alu instid0(VALU_DEP_3) | instskip(NEXT) | instid1(VALU_DEP_1)
	v_lshlrev_b32_e32 v5, 2, v5
	v_add_lshl_u32 v5, v5, v3, 2
	s_waitcnt lgkmcnt(0)
	v_cndmask_b32_e32 v2, 0, v2, vcc_lo
	v_cmp_gt_u32_e32 vcc_lo, 24, v3
	s_delay_alu instid0(VALU_DEP_2) | instskip(SKIP_4) | instid1(VALU_DEP_3)
	v_add_nc_u32_e32 v1, v1, v2
	ds_bpermute_b32 v2, v5, v1
	v_cndmask_b32_e64 v5, 0, 1, vcc_lo
	v_cmp_lt_u32_e32 vcc_lo, v6, v4
	v_add_nc_u32_e32 v6, 8, v3
	v_lshlrev_b32_e32 v5, 3, v5
	s_delay_alu instid0(VALU_DEP_1) | instskip(SKIP_3) | instid1(VALU_DEP_2)
	v_add_lshl_u32 v5, v5, v3, 2
	s_waitcnt lgkmcnt(0)
	v_cndmask_b32_e32 v2, 0, v2, vcc_lo
	v_cmp_gt_u32_e32 vcc_lo, 16, v3
	v_add_nc_u32_e32 v1, v1, v2
	ds_bpermute_b32 v2, v5, v1
	v_cndmask_b32_e64 v5, 0, 1, vcc_lo
	v_cmp_lt_u32_e32 vcc_lo, v6, v4
	s_delay_alu instid0(VALU_DEP_2) | instskip(NEXT) | instid1(VALU_DEP_1)
	v_lshlrev_b32_e32 v5, 4, v5
	v_add_lshl_u32 v5, v5, v3, 2
	s_waitcnt lgkmcnt(0)
	v_cndmask_b32_e32 v2, 0, v2, vcc_lo
	s_delay_alu instid0(VALU_DEP_1) | instskip(SKIP_2) | instid1(VALU_DEP_1)
	v_add_nc_u32_e32 v1, v1, v2
	ds_bpermute_b32 v2, v5, v1
	v_add_nc_u32_e32 v5, 16, v3
	v_cmp_lt_u32_e32 vcc_lo, v5, v4
	s_waitcnt lgkmcnt(0)
	v_cndmask_b32_e32 v2, 0, v2, vcc_lo
	s_delay_alu instid0(VALU_DEP_1)
	v_add_nc_u32_e32 v1, v1, v2
	v_cmpx_eq_u32_e32 0, v3
	s_cbranch_execz .LBB506_211
; %bb.210:
	v_lshrrev_b32_e32 v2, 3, v0
	s_delay_alu instid0(VALU_DEP_1)
	v_and_b32_e32 v2, 28, v2
	ds_store_b32 v2, v1 offset:192
.LBB506_211:
	s_or_b32 exec_lo, exec_lo, s3
	s_delay_alu instid0(SALU_CYCLE_1)
	s_mov_b32 s3, exec_lo
	s_waitcnt lgkmcnt(0)
	s_barrier
	buffer_gl0_inv
	v_cmpx_gt_u32_e32 8, v0
	s_cbranch_execz .LBB506_213
; %bb.212:
	v_and_b32_e32 v2, 7, v3
	s_add_i32 s2, s2, 31
	s_delay_alu instid0(SALU_CYCLE_1) | instskip(NEXT) | instid1(VALU_DEP_1)
	s_lshr_b32 s2, s2, 5
	v_cmp_ne_u32_e32 vcc_lo, 7, v2
	v_add_nc_u32_e32 v6, 1, v2
	v_add_co_ci_u32_e32 v4, vcc_lo, 0, v3, vcc_lo
	v_cmp_gt_u32_e32 vcc_lo, 6, v2
	s_delay_alu instid0(VALU_DEP_2) | instskip(SKIP_3) | instid1(VALU_DEP_3)
	v_lshlrev_b32_e32 v4, 2, v4
	v_cndmask_b32_e64 v5, 0, 1, vcc_lo
	v_cmp_gt_u32_e32 vcc_lo, s2, v6
	v_lshlrev_b32_e32 v1, 2, v3
	v_lshlrev_b32_e32 v5, 1, v5
	ds_load_b32 v1, v1 offset:192
	v_add_lshl_u32 v5, v5, v3, 2
	s_waitcnt lgkmcnt(0)
	ds_bpermute_b32 v4, v4, v1
	s_waitcnt lgkmcnt(0)
	v_cndmask_b32_e32 v4, 0, v4, vcc_lo
	v_cmp_gt_u32_e32 vcc_lo, 4, v2
	s_delay_alu instid0(VALU_DEP_2) | instskip(SKIP_4) | instid1(VALU_DEP_2)
	v_add_nc_u32_e32 v1, v4, v1
	v_cndmask_b32_e64 v6, 0, 1, vcc_lo
	ds_bpermute_b32 v4, v5, v1
	v_add_nc_u32_e32 v5, 2, v2
	v_add_nc_u32_e32 v2, 4, v2
	v_cmp_gt_u32_e32 vcc_lo, s2, v5
	v_lshlrev_b32_e32 v5, 2, v6
	s_delay_alu instid0(VALU_DEP_1) | instskip(SKIP_3) | instid1(VALU_DEP_2)
	v_add_lshl_u32 v3, v5, v3, 2
	s_waitcnt lgkmcnt(0)
	v_cndmask_b32_e32 v4, 0, v4, vcc_lo
	v_cmp_gt_u32_e32 vcc_lo, s2, v2
	v_add_nc_u32_e32 v1, v1, v4
	ds_bpermute_b32 v3, v3, v1
	s_waitcnt lgkmcnt(0)
	v_cndmask_b32_e32 v2, 0, v3, vcc_lo
	s_delay_alu instid0(VALU_DEP_1)
	v_add_nc_u32_e32 v1, v1, v2
.LBB506_213:
	s_or_b32 exec_lo, exec_lo, s3
.LBB506_214:
	v_cmp_eq_u32_e64 s2, 0, v0
	s_branch .LBB506_224
.LBB506_215:
	s_cmp_eq_u32 s24, 1
	s_cbranch_scc0 .LBB506_223
; %bb.216:
	s_mov_b32 s3, 0
	v_mbcnt_lo_u32_b32 v2, -1, 0
	s_lshr_b64 s[4:5], s[18:19], 8
	s_mov_b32 s21, s3
	s_lshl_b32 s2, s20, 8
	s_cmp_lg_u64 s[4:5], s[20:21]
	s_cbranch_scc0 .LBB506_227
; %bb.217:
	s_lshl_b64 s[4:5], s[2:3], 2
	v_lshlrev_b32_e32 v1, 2, v0
	s_add_u32 s4, s16, s4
	s_addc_u32 s5, s17, s5
	global_load_b32 v1, v1, s[4:5]
	s_mov_b32 s4, exec_lo
	s_waitcnt vmcnt(0)
	v_mov_b32_dpp v3, v1 quad_perm:[1,0,3,2] row_mask:0xf bank_mask:0xf
	s_delay_alu instid0(VALU_DEP_1) | instskip(NEXT) | instid1(VALU_DEP_1)
	v_add_nc_u32_e32 v1, v3, v1
	v_mov_b32_dpp v3, v1 quad_perm:[2,3,0,1] row_mask:0xf bank_mask:0xf
	s_delay_alu instid0(VALU_DEP_1) | instskip(NEXT) | instid1(VALU_DEP_1)
	v_add_nc_u32_e32 v1, v1, v3
	v_mov_b32_dpp v3, v1 row_ror:4 row_mask:0xf bank_mask:0xf
	s_delay_alu instid0(VALU_DEP_1) | instskip(NEXT) | instid1(VALU_DEP_1)
	v_add_nc_u32_e32 v1, v1, v3
	v_mov_b32_dpp v3, v1 row_ror:8 row_mask:0xf bank_mask:0xf
	s_delay_alu instid0(VALU_DEP_1)
	v_add_nc_u32_e32 v1, v1, v3
	ds_swizzle_b32 v3, v1 offset:swizzle(BROADCAST,32,15)
	s_waitcnt lgkmcnt(0)
	v_add_nc_u32_e32 v1, v1, v3
	v_mov_b32_e32 v3, 0
	ds_bpermute_b32 v1, v3, v1 offset:124
	v_cmpx_eq_u32_e32 0, v2
	s_cbranch_execz .LBB506_219
; %bb.218:
	v_lshrrev_b32_e32 v3, 3, v0
	s_delay_alu instid0(VALU_DEP_1)
	v_and_b32_e32 v3, 28, v3
	s_waitcnt lgkmcnt(0)
	ds_store_b32 v3, v1 offset:32
.LBB506_219:
	s_or_b32 exec_lo, exec_lo, s4
	s_delay_alu instid0(SALU_CYCLE_1)
	s_mov_b32 s4, exec_lo
	s_waitcnt lgkmcnt(0)
	s_barrier
	buffer_gl0_inv
	v_cmpx_gt_u32_e32 32, v0
	s_cbranch_execz .LBB506_221
; %bb.220:
	v_and_b32_e32 v1, 7, v2
	s_delay_alu instid0(VALU_DEP_1) | instskip(SKIP_4) | instid1(VALU_DEP_2)
	v_lshlrev_b32_e32 v3, 2, v1
	v_cmp_ne_u32_e32 vcc_lo, 7, v1
	ds_load_b32 v3, v3 offset:32
	v_add_co_ci_u32_e32 v4, vcc_lo, 0, v2, vcc_lo
	v_cmp_gt_u32_e32 vcc_lo, 6, v1
	v_lshlrev_b32_e32 v4, 2, v4
	v_cndmask_b32_e64 v5, 0, 1, vcc_lo
	v_cmp_gt_u32_e32 vcc_lo, 4, v1
	s_delay_alu instid0(VALU_DEP_2) | instskip(SKIP_1) | instid1(VALU_DEP_2)
	v_lshlrev_b32_e32 v5, 1, v5
	v_cndmask_b32_e64 v1, 0, 1, vcc_lo
	v_add_lshl_u32 v5, v5, v2, 2
	s_delay_alu instid0(VALU_DEP_2)
	v_lshlrev_b32_e32 v1, 2, v1
	s_waitcnt lgkmcnt(0)
	ds_bpermute_b32 v4, v4, v3
	v_add_lshl_u32 v1, v1, v2, 2
	s_waitcnt lgkmcnt(0)
	v_add_nc_u32_e32 v3, v4, v3
	ds_bpermute_b32 v4, v5, v3
	s_waitcnt lgkmcnt(0)
	v_add_nc_u32_e32 v3, v4, v3
	ds_bpermute_b32 v1, v1, v3
	s_waitcnt lgkmcnt(0)
	v_add_nc_u32_e32 v1, v1, v3
.LBB506_221:
	s_or_b32 exec_lo, exec_lo, s4
.LBB506_222:
	v_cmp_eq_u32_e64 s2, 0, v0
	s_delay_alu instid0(VALU_DEP_1)
	s_and_saveexec_b32 s3, s2
	s_cbranch_execnz .LBB506_225
	s_branch .LBB506_226
.LBB506_223:
                                        ; implicit-def: $vgpr1
                                        ; implicit-def: $sgpr20_sgpr21
.LBB506_224:
	s_delay_alu instid0(VALU_DEP_1)
	s_and_saveexec_b32 s3, s2
	s_cbranch_execz .LBB506_226
.LBB506_225:
	s_clause 0x1
	s_load_b64 s[2:3], s[0:1], 0x18
	s_load_b32 s4, s[0:1], 0x20
	s_lshl_b64 s[0:1], s[20:21], 2
	s_waitcnt lgkmcnt(0)
	s_add_u32 s0, s2, s0
	s_addc_u32 s1, s3, s1
	s_cmp_lg_u64 s[18:19], 0
	s_cselect_b32 vcc_lo, -1, 0
	v_dual_cndmask_b32 v0, 0, v1 :: v_dual_mov_b32 v1, 0
	s_delay_alu instid0(VALU_DEP_1)
	v_add_nc_u32_e32 v0, s4, v0
	global_store_b32 v1, v0, s[0:1]
.LBB506_226:
	s_nop 0
	s_sendmsg sendmsg(MSG_DEALLOC_VGPRS)
	s_endpgm
.LBB506_227:
                                        ; implicit-def: $vgpr1
	s_cbranch_execz .LBB506_222
; %bb.228:
	s_sub_i32 s4, s18, s2
	s_mov_b32 s5, exec_lo
                                        ; implicit-def: $vgpr1
	v_cmpx_gt_u32_e64 s4, v0
	s_cbranch_execz .LBB506_230
; %bb.229:
	s_lshl_b64 s[2:3], s[2:3], 2
	v_lshlrev_b32_e32 v1, 2, v0
	s_add_u32 s2, s16, s2
	s_addc_u32 s3, s17, s3
	global_load_b32 v1, v1, s[2:3]
.LBB506_230:
	s_or_b32 exec_lo, exec_lo, s5
	v_cmp_ne_u32_e32 vcc_lo, 31, v2
	s_min_u32 s2, s4, 0x100
	v_add_nc_u32_e32 v5, 1, v2
	s_mov_b32 s3, exec_lo
	v_add_co_ci_u32_e32 v3, vcc_lo, 0, v2, vcc_lo
	v_cmp_gt_u32_e32 vcc_lo, 30, v2
	s_delay_alu instid0(VALU_DEP_2)
	v_lshlrev_b32_e32 v3, 2, v3
	v_cndmask_b32_e64 v6, 0, 1, vcc_lo
	s_waitcnt vmcnt(0)
	ds_bpermute_b32 v3, v3, v1
	v_and_b32_e32 v4, 0xe0, v0
	v_lshlrev_b32_e32 v6, 1, v6
	s_delay_alu instid0(VALU_DEP_2) | instskip(NEXT) | instid1(VALU_DEP_1)
	v_sub_nc_u32_e64 v4, s2, v4 clamp
	v_cmp_lt_u32_e32 vcc_lo, v5, v4
	s_delay_alu instid0(VALU_DEP_3) | instskip(SKIP_3) | instid1(VALU_DEP_2)
	v_add_lshl_u32 v5, v6, v2, 2
	s_waitcnt lgkmcnt(0)
	v_dual_cndmask_b32 v3, 0, v3 :: v_dual_add_nc_u32 v6, 2, v2
	v_cmp_gt_u32_e32 vcc_lo, 28, v2
	v_add_nc_u32_e32 v1, v3, v1
	ds_bpermute_b32 v3, v5, v1
	v_cndmask_b32_e64 v5, 0, 1, vcc_lo
	v_cmp_lt_u32_e32 vcc_lo, v6, v4
	v_add_nc_u32_e32 v6, 4, v2
	s_delay_alu instid0(VALU_DEP_3) | instskip(NEXT) | instid1(VALU_DEP_1)
	v_lshlrev_b32_e32 v5, 2, v5
	v_add_lshl_u32 v5, v5, v2, 2
	s_waitcnt lgkmcnt(0)
	v_cndmask_b32_e32 v3, 0, v3, vcc_lo
	v_cmp_gt_u32_e32 vcc_lo, 24, v2
	s_delay_alu instid0(VALU_DEP_2) | instskip(SKIP_4) | instid1(VALU_DEP_3)
	v_add_nc_u32_e32 v1, v1, v3
	ds_bpermute_b32 v3, v5, v1
	v_cndmask_b32_e64 v5, 0, 1, vcc_lo
	v_cmp_lt_u32_e32 vcc_lo, v6, v4
	v_add_nc_u32_e32 v6, 8, v2
	v_lshlrev_b32_e32 v5, 3, v5
	s_delay_alu instid0(VALU_DEP_1) | instskip(SKIP_3) | instid1(VALU_DEP_2)
	v_add_lshl_u32 v5, v5, v2, 2
	s_waitcnt lgkmcnt(0)
	v_cndmask_b32_e32 v3, 0, v3, vcc_lo
	v_cmp_gt_u32_e32 vcc_lo, 16, v2
	v_add_nc_u32_e32 v1, v1, v3
	ds_bpermute_b32 v3, v5, v1
	v_cndmask_b32_e64 v5, 0, 1, vcc_lo
	v_cmp_lt_u32_e32 vcc_lo, v6, v4
	s_delay_alu instid0(VALU_DEP_2) | instskip(NEXT) | instid1(VALU_DEP_1)
	v_lshlrev_b32_e32 v5, 4, v5
	v_add_lshl_u32 v5, v5, v2, 2
	s_waitcnt lgkmcnt(0)
	v_cndmask_b32_e32 v3, 0, v3, vcc_lo
	s_delay_alu instid0(VALU_DEP_1) | instskip(SKIP_2) | instid1(VALU_DEP_1)
	v_add_nc_u32_e32 v1, v1, v3
	ds_bpermute_b32 v3, v5, v1
	v_add_nc_u32_e32 v5, 16, v2
	v_cmp_lt_u32_e32 vcc_lo, v5, v4
	s_waitcnt lgkmcnt(0)
	v_cndmask_b32_e32 v3, 0, v3, vcc_lo
	s_delay_alu instid0(VALU_DEP_1)
	v_add_nc_u32_e32 v1, v1, v3
	v_cmpx_eq_u32_e32 0, v2
	s_cbranch_execz .LBB506_232
; %bb.231:
	v_lshrrev_b32_e32 v3, 3, v0
	s_delay_alu instid0(VALU_DEP_1)
	v_and_b32_e32 v3, 28, v3
	ds_store_b32 v3, v1 offset:192
.LBB506_232:
	s_or_b32 exec_lo, exec_lo, s3
	s_delay_alu instid0(SALU_CYCLE_1)
	s_mov_b32 s3, exec_lo
	s_waitcnt lgkmcnt(0)
	s_barrier
	buffer_gl0_inv
	v_cmpx_gt_u32_e32 8, v0
	s_cbranch_execz .LBB506_234
; %bb.233:
	v_and_b32_e32 v3, 7, v2
	s_add_i32 s2, s2, 31
	s_delay_alu instid0(SALU_CYCLE_1) | instskip(NEXT) | instid1(VALU_DEP_1)
	s_lshr_b32 s2, s2, 5
	v_cmp_ne_u32_e32 vcc_lo, 7, v3
	v_add_nc_u32_e32 v6, 1, v3
	v_add_co_ci_u32_e32 v4, vcc_lo, 0, v2, vcc_lo
	v_cmp_gt_u32_e32 vcc_lo, 6, v3
	s_delay_alu instid0(VALU_DEP_2) | instskip(SKIP_3) | instid1(VALU_DEP_3)
	v_lshlrev_b32_e32 v4, 2, v4
	v_cndmask_b32_e64 v5, 0, 1, vcc_lo
	v_cmp_gt_u32_e32 vcc_lo, s2, v6
	v_lshlrev_b32_e32 v1, 2, v2
	v_lshlrev_b32_e32 v5, 1, v5
	ds_load_b32 v1, v1 offset:192
	v_add_lshl_u32 v5, v5, v2, 2
	s_waitcnt lgkmcnt(0)
	ds_bpermute_b32 v4, v4, v1
	s_waitcnt lgkmcnt(0)
	v_cndmask_b32_e32 v4, 0, v4, vcc_lo
	v_cmp_gt_u32_e32 vcc_lo, 4, v3
	s_delay_alu instid0(VALU_DEP_2) | instskip(SKIP_3) | instid1(VALU_DEP_1)
	v_add_nc_u32_e32 v1, v4, v1
	v_cndmask_b32_e64 v6, 0, 1, vcc_lo
	ds_bpermute_b32 v4, v5, v1
	v_add_nc_u32_e32 v5, 2, v3
	v_cmp_gt_u32_e32 vcc_lo, s2, v5
	v_lshlrev_b32_e32 v5, 2, v6
	s_delay_alu instid0(VALU_DEP_1) | instskip(SKIP_2) | instid1(VALU_DEP_1)
	v_add_lshl_u32 v2, v5, v2, 2
	s_waitcnt lgkmcnt(0)
	v_dual_cndmask_b32 v4, 0, v4 :: v_dual_add_nc_u32 v3, 4, v3
	v_add_nc_u32_e32 v1, v1, v4
	s_delay_alu instid0(VALU_DEP_2) | instskip(SKIP_3) | instid1(VALU_DEP_1)
	v_cmp_gt_u32_e32 vcc_lo, s2, v3
	ds_bpermute_b32 v2, v2, v1
	s_waitcnt lgkmcnt(0)
	v_cndmask_b32_e32 v2, 0, v2, vcc_lo
	v_add_nc_u32_e32 v1, v1, v2
.LBB506_234:
	s_or_b32 exec_lo, exec_lo, s3
	v_cmp_eq_u32_e64 s2, 0, v0
	s_delay_alu instid0(VALU_DEP_1)
	s_and_saveexec_b32 s3, s2
	s_cbranch_execnz .LBB506_225
	s_branch .LBB506_226
	.section	.rodata,"a",@progbits
	.p2align	6, 0x0
	.amdhsa_kernel _ZN7rocprim17ROCPRIM_400000_NS6detail17trampoline_kernelINS0_14default_configENS1_22reduce_config_selectorIiEEZNS1_11reduce_implILb1ES3_PiS7_iN6hipcub16HIPCUB_304000_NS6detail34convert_binary_result_type_wrapperINS9_3SumENS9_22TransformInputIteratorIbN2at6native12_GLOBAL__N_19NonZeroOpIN3c107complexIdEEEEPKSK_lEEiEEEE10hipError_tPvRmT1_T2_T3_mT4_P12ihipStream_tbEUlT_E1_NS1_11comp_targetILNS1_3genE9ELNS1_11target_archE1100ELNS1_3gpuE3ELNS1_3repE0EEENS1_30default_config_static_selectorELNS0_4arch9wavefront6targetE0EEEvST_
		.amdhsa_group_segment_fixed_size 224
		.amdhsa_private_segment_fixed_size 0
		.amdhsa_kernarg_size 40
		.amdhsa_user_sgpr_count 15
		.amdhsa_user_sgpr_dispatch_ptr 0
		.amdhsa_user_sgpr_queue_ptr 0
		.amdhsa_user_sgpr_kernarg_segment_ptr 1
		.amdhsa_user_sgpr_dispatch_id 0
		.amdhsa_user_sgpr_private_segment_size 0
		.amdhsa_wavefront_size32 1
		.amdhsa_uses_dynamic_stack 0
		.amdhsa_enable_private_segment 0
		.amdhsa_system_sgpr_workgroup_id_x 1
		.amdhsa_system_sgpr_workgroup_id_y 0
		.amdhsa_system_sgpr_workgroup_id_z 0
		.amdhsa_system_sgpr_workgroup_info 0
		.amdhsa_system_vgpr_workitem_id 0
		.amdhsa_next_free_vgpr 34
		.amdhsa_next_free_sgpr 27
		.amdhsa_reserve_vcc 1
		.amdhsa_float_round_mode_32 0
		.amdhsa_float_round_mode_16_64 0
		.amdhsa_float_denorm_mode_32 3
		.amdhsa_float_denorm_mode_16_64 3
		.amdhsa_dx10_clamp 1
		.amdhsa_ieee_mode 1
		.amdhsa_fp16_overflow 0
		.amdhsa_workgroup_processor_mode 1
		.amdhsa_memory_ordered 1
		.amdhsa_forward_progress 0
		.amdhsa_shared_vgpr_count 0
		.amdhsa_exception_fp_ieee_invalid_op 0
		.amdhsa_exception_fp_denorm_src 0
		.amdhsa_exception_fp_ieee_div_zero 0
		.amdhsa_exception_fp_ieee_overflow 0
		.amdhsa_exception_fp_ieee_underflow 0
		.amdhsa_exception_fp_ieee_inexact 0
		.amdhsa_exception_int_div_zero 0
	.end_amdhsa_kernel
	.section	.text._ZN7rocprim17ROCPRIM_400000_NS6detail17trampoline_kernelINS0_14default_configENS1_22reduce_config_selectorIiEEZNS1_11reduce_implILb1ES3_PiS7_iN6hipcub16HIPCUB_304000_NS6detail34convert_binary_result_type_wrapperINS9_3SumENS9_22TransformInputIteratorIbN2at6native12_GLOBAL__N_19NonZeroOpIN3c107complexIdEEEEPKSK_lEEiEEEE10hipError_tPvRmT1_T2_T3_mT4_P12ihipStream_tbEUlT_E1_NS1_11comp_targetILNS1_3genE9ELNS1_11target_archE1100ELNS1_3gpuE3ELNS1_3repE0EEENS1_30default_config_static_selectorELNS0_4arch9wavefront6targetE0EEEvST_,"axG",@progbits,_ZN7rocprim17ROCPRIM_400000_NS6detail17trampoline_kernelINS0_14default_configENS1_22reduce_config_selectorIiEEZNS1_11reduce_implILb1ES3_PiS7_iN6hipcub16HIPCUB_304000_NS6detail34convert_binary_result_type_wrapperINS9_3SumENS9_22TransformInputIteratorIbN2at6native12_GLOBAL__N_19NonZeroOpIN3c107complexIdEEEEPKSK_lEEiEEEE10hipError_tPvRmT1_T2_T3_mT4_P12ihipStream_tbEUlT_E1_NS1_11comp_targetILNS1_3genE9ELNS1_11target_archE1100ELNS1_3gpuE3ELNS1_3repE0EEENS1_30default_config_static_selectorELNS0_4arch9wavefront6targetE0EEEvST_,comdat
.Lfunc_end506:
	.size	_ZN7rocprim17ROCPRIM_400000_NS6detail17trampoline_kernelINS0_14default_configENS1_22reduce_config_selectorIiEEZNS1_11reduce_implILb1ES3_PiS7_iN6hipcub16HIPCUB_304000_NS6detail34convert_binary_result_type_wrapperINS9_3SumENS9_22TransformInputIteratorIbN2at6native12_GLOBAL__N_19NonZeroOpIN3c107complexIdEEEEPKSK_lEEiEEEE10hipError_tPvRmT1_T2_T3_mT4_P12ihipStream_tbEUlT_E1_NS1_11comp_targetILNS1_3genE9ELNS1_11target_archE1100ELNS1_3gpuE3ELNS1_3repE0EEENS1_30default_config_static_selectorELNS0_4arch9wavefront6targetE0EEEvST_, .Lfunc_end506-_ZN7rocprim17ROCPRIM_400000_NS6detail17trampoline_kernelINS0_14default_configENS1_22reduce_config_selectorIiEEZNS1_11reduce_implILb1ES3_PiS7_iN6hipcub16HIPCUB_304000_NS6detail34convert_binary_result_type_wrapperINS9_3SumENS9_22TransformInputIteratorIbN2at6native12_GLOBAL__N_19NonZeroOpIN3c107complexIdEEEEPKSK_lEEiEEEE10hipError_tPvRmT1_T2_T3_mT4_P12ihipStream_tbEUlT_E1_NS1_11comp_targetILNS1_3genE9ELNS1_11target_archE1100ELNS1_3gpuE3ELNS1_3repE0EEENS1_30default_config_static_selectorELNS0_4arch9wavefront6targetE0EEEvST_
                                        ; -- End function
	.section	.AMDGPU.csdata,"",@progbits
; Kernel info:
; codeLenInByte = 10768
; NumSgprs: 29
; NumVgprs: 34
; ScratchSize: 0
; MemoryBound: 0
; FloatMode: 240
; IeeeMode: 1
; LDSByteSize: 224 bytes/workgroup (compile time only)
; SGPRBlocks: 3
; VGPRBlocks: 4
; NumSGPRsForWavesPerEU: 29
; NumVGPRsForWavesPerEU: 34
; Occupancy: 16
; WaveLimiterHint : 1
; COMPUTE_PGM_RSRC2:SCRATCH_EN: 0
; COMPUTE_PGM_RSRC2:USER_SGPR: 15
; COMPUTE_PGM_RSRC2:TRAP_HANDLER: 0
; COMPUTE_PGM_RSRC2:TGID_X_EN: 1
; COMPUTE_PGM_RSRC2:TGID_Y_EN: 0
; COMPUTE_PGM_RSRC2:TGID_Z_EN: 0
; COMPUTE_PGM_RSRC2:TIDIG_COMP_CNT: 0
	.section	.text._ZN7rocprim17ROCPRIM_400000_NS6detail17trampoline_kernelINS0_14default_configENS1_22reduce_config_selectorIiEEZNS1_11reduce_implILb1ES3_PiS7_iN6hipcub16HIPCUB_304000_NS6detail34convert_binary_result_type_wrapperINS9_3SumENS9_22TransformInputIteratorIbN2at6native12_GLOBAL__N_19NonZeroOpIN3c107complexIdEEEEPKSK_lEEiEEEE10hipError_tPvRmT1_T2_T3_mT4_P12ihipStream_tbEUlT_E1_NS1_11comp_targetILNS1_3genE8ELNS1_11target_archE1030ELNS1_3gpuE2ELNS1_3repE0EEENS1_30default_config_static_selectorELNS0_4arch9wavefront6targetE0EEEvST_,"axG",@progbits,_ZN7rocprim17ROCPRIM_400000_NS6detail17trampoline_kernelINS0_14default_configENS1_22reduce_config_selectorIiEEZNS1_11reduce_implILb1ES3_PiS7_iN6hipcub16HIPCUB_304000_NS6detail34convert_binary_result_type_wrapperINS9_3SumENS9_22TransformInputIteratorIbN2at6native12_GLOBAL__N_19NonZeroOpIN3c107complexIdEEEEPKSK_lEEiEEEE10hipError_tPvRmT1_T2_T3_mT4_P12ihipStream_tbEUlT_E1_NS1_11comp_targetILNS1_3genE8ELNS1_11target_archE1030ELNS1_3gpuE2ELNS1_3repE0EEENS1_30default_config_static_selectorELNS0_4arch9wavefront6targetE0EEEvST_,comdat
	.globl	_ZN7rocprim17ROCPRIM_400000_NS6detail17trampoline_kernelINS0_14default_configENS1_22reduce_config_selectorIiEEZNS1_11reduce_implILb1ES3_PiS7_iN6hipcub16HIPCUB_304000_NS6detail34convert_binary_result_type_wrapperINS9_3SumENS9_22TransformInputIteratorIbN2at6native12_GLOBAL__N_19NonZeroOpIN3c107complexIdEEEEPKSK_lEEiEEEE10hipError_tPvRmT1_T2_T3_mT4_P12ihipStream_tbEUlT_E1_NS1_11comp_targetILNS1_3genE8ELNS1_11target_archE1030ELNS1_3gpuE2ELNS1_3repE0EEENS1_30default_config_static_selectorELNS0_4arch9wavefront6targetE0EEEvST_ ; -- Begin function _ZN7rocprim17ROCPRIM_400000_NS6detail17trampoline_kernelINS0_14default_configENS1_22reduce_config_selectorIiEEZNS1_11reduce_implILb1ES3_PiS7_iN6hipcub16HIPCUB_304000_NS6detail34convert_binary_result_type_wrapperINS9_3SumENS9_22TransformInputIteratorIbN2at6native12_GLOBAL__N_19NonZeroOpIN3c107complexIdEEEEPKSK_lEEiEEEE10hipError_tPvRmT1_T2_T3_mT4_P12ihipStream_tbEUlT_E1_NS1_11comp_targetILNS1_3genE8ELNS1_11target_archE1030ELNS1_3gpuE2ELNS1_3repE0EEENS1_30default_config_static_selectorELNS0_4arch9wavefront6targetE0EEEvST_
	.p2align	8
	.type	_ZN7rocprim17ROCPRIM_400000_NS6detail17trampoline_kernelINS0_14default_configENS1_22reduce_config_selectorIiEEZNS1_11reduce_implILb1ES3_PiS7_iN6hipcub16HIPCUB_304000_NS6detail34convert_binary_result_type_wrapperINS9_3SumENS9_22TransformInputIteratorIbN2at6native12_GLOBAL__N_19NonZeroOpIN3c107complexIdEEEEPKSK_lEEiEEEE10hipError_tPvRmT1_T2_T3_mT4_P12ihipStream_tbEUlT_E1_NS1_11comp_targetILNS1_3genE8ELNS1_11target_archE1030ELNS1_3gpuE2ELNS1_3repE0EEENS1_30default_config_static_selectorELNS0_4arch9wavefront6targetE0EEEvST_,@function
_ZN7rocprim17ROCPRIM_400000_NS6detail17trampoline_kernelINS0_14default_configENS1_22reduce_config_selectorIiEEZNS1_11reduce_implILb1ES3_PiS7_iN6hipcub16HIPCUB_304000_NS6detail34convert_binary_result_type_wrapperINS9_3SumENS9_22TransformInputIteratorIbN2at6native12_GLOBAL__N_19NonZeroOpIN3c107complexIdEEEEPKSK_lEEiEEEE10hipError_tPvRmT1_T2_T3_mT4_P12ihipStream_tbEUlT_E1_NS1_11comp_targetILNS1_3genE8ELNS1_11target_archE1030ELNS1_3gpuE2ELNS1_3repE0EEENS1_30default_config_static_selectorELNS0_4arch9wavefront6targetE0EEEvST_: ; @_ZN7rocprim17ROCPRIM_400000_NS6detail17trampoline_kernelINS0_14default_configENS1_22reduce_config_selectorIiEEZNS1_11reduce_implILb1ES3_PiS7_iN6hipcub16HIPCUB_304000_NS6detail34convert_binary_result_type_wrapperINS9_3SumENS9_22TransformInputIteratorIbN2at6native12_GLOBAL__N_19NonZeroOpIN3c107complexIdEEEEPKSK_lEEiEEEE10hipError_tPvRmT1_T2_T3_mT4_P12ihipStream_tbEUlT_E1_NS1_11comp_targetILNS1_3genE8ELNS1_11target_archE1030ELNS1_3gpuE2ELNS1_3repE0EEENS1_30default_config_static_selectorELNS0_4arch9wavefront6targetE0EEEvST_
; %bb.0:
	.section	.rodata,"a",@progbits
	.p2align	6, 0x0
	.amdhsa_kernel _ZN7rocprim17ROCPRIM_400000_NS6detail17trampoline_kernelINS0_14default_configENS1_22reduce_config_selectorIiEEZNS1_11reduce_implILb1ES3_PiS7_iN6hipcub16HIPCUB_304000_NS6detail34convert_binary_result_type_wrapperINS9_3SumENS9_22TransformInputIteratorIbN2at6native12_GLOBAL__N_19NonZeroOpIN3c107complexIdEEEEPKSK_lEEiEEEE10hipError_tPvRmT1_T2_T3_mT4_P12ihipStream_tbEUlT_E1_NS1_11comp_targetILNS1_3genE8ELNS1_11target_archE1030ELNS1_3gpuE2ELNS1_3repE0EEENS1_30default_config_static_selectorELNS0_4arch9wavefront6targetE0EEEvST_
		.amdhsa_group_segment_fixed_size 0
		.amdhsa_private_segment_fixed_size 0
		.amdhsa_kernarg_size 40
		.amdhsa_user_sgpr_count 15
		.amdhsa_user_sgpr_dispatch_ptr 0
		.amdhsa_user_sgpr_queue_ptr 0
		.amdhsa_user_sgpr_kernarg_segment_ptr 1
		.amdhsa_user_sgpr_dispatch_id 0
		.amdhsa_user_sgpr_private_segment_size 0
		.amdhsa_wavefront_size32 1
		.amdhsa_uses_dynamic_stack 0
		.amdhsa_enable_private_segment 0
		.amdhsa_system_sgpr_workgroup_id_x 1
		.amdhsa_system_sgpr_workgroup_id_y 0
		.amdhsa_system_sgpr_workgroup_id_z 0
		.amdhsa_system_sgpr_workgroup_info 0
		.amdhsa_system_vgpr_workitem_id 0
		.amdhsa_next_free_vgpr 1
		.amdhsa_next_free_sgpr 1
		.amdhsa_reserve_vcc 0
		.amdhsa_float_round_mode_32 0
		.amdhsa_float_round_mode_16_64 0
		.amdhsa_float_denorm_mode_32 3
		.amdhsa_float_denorm_mode_16_64 3
		.amdhsa_dx10_clamp 1
		.amdhsa_ieee_mode 1
		.amdhsa_fp16_overflow 0
		.amdhsa_workgroup_processor_mode 1
		.amdhsa_memory_ordered 1
		.amdhsa_forward_progress 0
		.amdhsa_shared_vgpr_count 0
		.amdhsa_exception_fp_ieee_invalid_op 0
		.amdhsa_exception_fp_denorm_src 0
		.amdhsa_exception_fp_ieee_div_zero 0
		.amdhsa_exception_fp_ieee_overflow 0
		.amdhsa_exception_fp_ieee_underflow 0
		.amdhsa_exception_fp_ieee_inexact 0
		.amdhsa_exception_int_div_zero 0
	.end_amdhsa_kernel
	.section	.text._ZN7rocprim17ROCPRIM_400000_NS6detail17trampoline_kernelINS0_14default_configENS1_22reduce_config_selectorIiEEZNS1_11reduce_implILb1ES3_PiS7_iN6hipcub16HIPCUB_304000_NS6detail34convert_binary_result_type_wrapperINS9_3SumENS9_22TransformInputIteratorIbN2at6native12_GLOBAL__N_19NonZeroOpIN3c107complexIdEEEEPKSK_lEEiEEEE10hipError_tPvRmT1_T2_T3_mT4_P12ihipStream_tbEUlT_E1_NS1_11comp_targetILNS1_3genE8ELNS1_11target_archE1030ELNS1_3gpuE2ELNS1_3repE0EEENS1_30default_config_static_selectorELNS0_4arch9wavefront6targetE0EEEvST_,"axG",@progbits,_ZN7rocprim17ROCPRIM_400000_NS6detail17trampoline_kernelINS0_14default_configENS1_22reduce_config_selectorIiEEZNS1_11reduce_implILb1ES3_PiS7_iN6hipcub16HIPCUB_304000_NS6detail34convert_binary_result_type_wrapperINS9_3SumENS9_22TransformInputIteratorIbN2at6native12_GLOBAL__N_19NonZeroOpIN3c107complexIdEEEEPKSK_lEEiEEEE10hipError_tPvRmT1_T2_T3_mT4_P12ihipStream_tbEUlT_E1_NS1_11comp_targetILNS1_3genE8ELNS1_11target_archE1030ELNS1_3gpuE2ELNS1_3repE0EEENS1_30default_config_static_selectorELNS0_4arch9wavefront6targetE0EEEvST_,comdat
.Lfunc_end507:
	.size	_ZN7rocprim17ROCPRIM_400000_NS6detail17trampoline_kernelINS0_14default_configENS1_22reduce_config_selectorIiEEZNS1_11reduce_implILb1ES3_PiS7_iN6hipcub16HIPCUB_304000_NS6detail34convert_binary_result_type_wrapperINS9_3SumENS9_22TransformInputIteratorIbN2at6native12_GLOBAL__N_19NonZeroOpIN3c107complexIdEEEEPKSK_lEEiEEEE10hipError_tPvRmT1_T2_T3_mT4_P12ihipStream_tbEUlT_E1_NS1_11comp_targetILNS1_3genE8ELNS1_11target_archE1030ELNS1_3gpuE2ELNS1_3repE0EEENS1_30default_config_static_selectorELNS0_4arch9wavefront6targetE0EEEvST_, .Lfunc_end507-_ZN7rocprim17ROCPRIM_400000_NS6detail17trampoline_kernelINS0_14default_configENS1_22reduce_config_selectorIiEEZNS1_11reduce_implILb1ES3_PiS7_iN6hipcub16HIPCUB_304000_NS6detail34convert_binary_result_type_wrapperINS9_3SumENS9_22TransformInputIteratorIbN2at6native12_GLOBAL__N_19NonZeroOpIN3c107complexIdEEEEPKSK_lEEiEEEE10hipError_tPvRmT1_T2_T3_mT4_P12ihipStream_tbEUlT_E1_NS1_11comp_targetILNS1_3genE8ELNS1_11target_archE1030ELNS1_3gpuE2ELNS1_3repE0EEENS1_30default_config_static_selectorELNS0_4arch9wavefront6targetE0EEEvST_
                                        ; -- End function
	.section	.AMDGPU.csdata,"",@progbits
; Kernel info:
; codeLenInByte = 0
; NumSgprs: 0
; NumVgprs: 0
; ScratchSize: 0
; MemoryBound: 0
; FloatMode: 240
; IeeeMode: 1
; LDSByteSize: 0 bytes/workgroup (compile time only)
; SGPRBlocks: 0
; VGPRBlocks: 0
; NumSGPRsForWavesPerEU: 1
; NumVGPRsForWavesPerEU: 1
; Occupancy: 16
; WaveLimiterHint : 0
; COMPUTE_PGM_RSRC2:SCRATCH_EN: 0
; COMPUTE_PGM_RSRC2:USER_SGPR: 15
; COMPUTE_PGM_RSRC2:TRAP_HANDLER: 0
; COMPUTE_PGM_RSRC2:TGID_X_EN: 1
; COMPUTE_PGM_RSRC2:TGID_Y_EN: 0
; COMPUTE_PGM_RSRC2:TGID_Z_EN: 0
; COMPUTE_PGM_RSRC2:TIDIG_COMP_CNT: 0
	.section	.text._ZN7rocprim17ROCPRIM_400000_NS6detail17trampoline_kernelINS0_14default_configENS1_22reduce_config_selectorIbEEZNS1_11reduce_implILb1ES3_N6hipcub16HIPCUB_304000_NS22TransformInputIteratorIbN2at6native12_GLOBAL__N_19NonZeroOpIN3c107complexIdEEEEPKSG_lEEPiiNS8_6detail34convert_binary_result_type_wrapperINS8_3SumESK_iEEEE10hipError_tPvRmT1_T2_T3_mT4_P12ihipStream_tbEUlT_E0_NS1_11comp_targetILNS1_3genE0ELNS1_11target_archE4294967295ELNS1_3gpuE0ELNS1_3repE0EEENS1_30default_config_static_selectorELNS0_4arch9wavefront6targetE0EEEvST_,"axG",@progbits,_ZN7rocprim17ROCPRIM_400000_NS6detail17trampoline_kernelINS0_14default_configENS1_22reduce_config_selectorIbEEZNS1_11reduce_implILb1ES3_N6hipcub16HIPCUB_304000_NS22TransformInputIteratorIbN2at6native12_GLOBAL__N_19NonZeroOpIN3c107complexIdEEEEPKSG_lEEPiiNS8_6detail34convert_binary_result_type_wrapperINS8_3SumESK_iEEEE10hipError_tPvRmT1_T2_T3_mT4_P12ihipStream_tbEUlT_E0_NS1_11comp_targetILNS1_3genE0ELNS1_11target_archE4294967295ELNS1_3gpuE0ELNS1_3repE0EEENS1_30default_config_static_selectorELNS0_4arch9wavefront6targetE0EEEvST_,comdat
	.globl	_ZN7rocprim17ROCPRIM_400000_NS6detail17trampoline_kernelINS0_14default_configENS1_22reduce_config_selectorIbEEZNS1_11reduce_implILb1ES3_N6hipcub16HIPCUB_304000_NS22TransformInputIteratorIbN2at6native12_GLOBAL__N_19NonZeroOpIN3c107complexIdEEEEPKSG_lEEPiiNS8_6detail34convert_binary_result_type_wrapperINS8_3SumESK_iEEEE10hipError_tPvRmT1_T2_T3_mT4_P12ihipStream_tbEUlT_E0_NS1_11comp_targetILNS1_3genE0ELNS1_11target_archE4294967295ELNS1_3gpuE0ELNS1_3repE0EEENS1_30default_config_static_selectorELNS0_4arch9wavefront6targetE0EEEvST_ ; -- Begin function _ZN7rocprim17ROCPRIM_400000_NS6detail17trampoline_kernelINS0_14default_configENS1_22reduce_config_selectorIbEEZNS1_11reduce_implILb1ES3_N6hipcub16HIPCUB_304000_NS22TransformInputIteratorIbN2at6native12_GLOBAL__N_19NonZeroOpIN3c107complexIdEEEEPKSG_lEEPiiNS8_6detail34convert_binary_result_type_wrapperINS8_3SumESK_iEEEE10hipError_tPvRmT1_T2_T3_mT4_P12ihipStream_tbEUlT_E0_NS1_11comp_targetILNS1_3genE0ELNS1_11target_archE4294967295ELNS1_3gpuE0ELNS1_3repE0EEENS1_30default_config_static_selectorELNS0_4arch9wavefront6targetE0EEEvST_
	.p2align	8
	.type	_ZN7rocprim17ROCPRIM_400000_NS6detail17trampoline_kernelINS0_14default_configENS1_22reduce_config_selectorIbEEZNS1_11reduce_implILb1ES3_N6hipcub16HIPCUB_304000_NS22TransformInputIteratorIbN2at6native12_GLOBAL__N_19NonZeroOpIN3c107complexIdEEEEPKSG_lEEPiiNS8_6detail34convert_binary_result_type_wrapperINS8_3SumESK_iEEEE10hipError_tPvRmT1_T2_T3_mT4_P12ihipStream_tbEUlT_E0_NS1_11comp_targetILNS1_3genE0ELNS1_11target_archE4294967295ELNS1_3gpuE0ELNS1_3repE0EEENS1_30default_config_static_selectorELNS0_4arch9wavefront6targetE0EEEvST_,@function
_ZN7rocprim17ROCPRIM_400000_NS6detail17trampoline_kernelINS0_14default_configENS1_22reduce_config_selectorIbEEZNS1_11reduce_implILb1ES3_N6hipcub16HIPCUB_304000_NS22TransformInputIteratorIbN2at6native12_GLOBAL__N_19NonZeroOpIN3c107complexIdEEEEPKSG_lEEPiiNS8_6detail34convert_binary_result_type_wrapperINS8_3SumESK_iEEEE10hipError_tPvRmT1_T2_T3_mT4_P12ihipStream_tbEUlT_E0_NS1_11comp_targetILNS1_3genE0ELNS1_11target_archE4294967295ELNS1_3gpuE0ELNS1_3repE0EEENS1_30default_config_static_selectorELNS0_4arch9wavefront6targetE0EEEvST_: ; @_ZN7rocprim17ROCPRIM_400000_NS6detail17trampoline_kernelINS0_14default_configENS1_22reduce_config_selectorIbEEZNS1_11reduce_implILb1ES3_N6hipcub16HIPCUB_304000_NS22TransformInputIteratorIbN2at6native12_GLOBAL__N_19NonZeroOpIN3c107complexIdEEEEPKSG_lEEPiiNS8_6detail34convert_binary_result_type_wrapperINS8_3SumESK_iEEEE10hipError_tPvRmT1_T2_T3_mT4_P12ihipStream_tbEUlT_E0_NS1_11comp_targetILNS1_3genE0ELNS1_11target_archE4294967295ELNS1_3gpuE0ELNS1_3repE0EEENS1_30default_config_static_selectorELNS0_4arch9wavefront6targetE0EEEvST_
; %bb.0:
	.section	.rodata,"a",@progbits
	.p2align	6, 0x0
	.amdhsa_kernel _ZN7rocprim17ROCPRIM_400000_NS6detail17trampoline_kernelINS0_14default_configENS1_22reduce_config_selectorIbEEZNS1_11reduce_implILb1ES3_N6hipcub16HIPCUB_304000_NS22TransformInputIteratorIbN2at6native12_GLOBAL__N_19NonZeroOpIN3c107complexIdEEEEPKSG_lEEPiiNS8_6detail34convert_binary_result_type_wrapperINS8_3SumESK_iEEEE10hipError_tPvRmT1_T2_T3_mT4_P12ihipStream_tbEUlT_E0_NS1_11comp_targetILNS1_3genE0ELNS1_11target_archE4294967295ELNS1_3gpuE0ELNS1_3repE0EEENS1_30default_config_static_selectorELNS0_4arch9wavefront6targetE0EEEvST_
		.amdhsa_group_segment_fixed_size 0
		.amdhsa_private_segment_fixed_size 0
		.amdhsa_kernarg_size 64
		.amdhsa_user_sgpr_count 15
		.amdhsa_user_sgpr_dispatch_ptr 0
		.amdhsa_user_sgpr_queue_ptr 0
		.amdhsa_user_sgpr_kernarg_segment_ptr 1
		.amdhsa_user_sgpr_dispatch_id 0
		.amdhsa_user_sgpr_private_segment_size 0
		.amdhsa_wavefront_size32 1
		.amdhsa_uses_dynamic_stack 0
		.amdhsa_enable_private_segment 0
		.amdhsa_system_sgpr_workgroup_id_x 1
		.amdhsa_system_sgpr_workgroup_id_y 0
		.amdhsa_system_sgpr_workgroup_id_z 0
		.amdhsa_system_sgpr_workgroup_info 0
		.amdhsa_system_vgpr_workitem_id 0
		.amdhsa_next_free_vgpr 1
		.amdhsa_next_free_sgpr 1
		.amdhsa_reserve_vcc 0
		.amdhsa_float_round_mode_32 0
		.amdhsa_float_round_mode_16_64 0
		.amdhsa_float_denorm_mode_32 3
		.amdhsa_float_denorm_mode_16_64 3
		.amdhsa_dx10_clamp 1
		.amdhsa_ieee_mode 1
		.amdhsa_fp16_overflow 0
		.amdhsa_workgroup_processor_mode 1
		.amdhsa_memory_ordered 1
		.amdhsa_forward_progress 0
		.amdhsa_shared_vgpr_count 0
		.amdhsa_exception_fp_ieee_invalid_op 0
		.amdhsa_exception_fp_denorm_src 0
		.amdhsa_exception_fp_ieee_div_zero 0
		.amdhsa_exception_fp_ieee_overflow 0
		.amdhsa_exception_fp_ieee_underflow 0
		.amdhsa_exception_fp_ieee_inexact 0
		.amdhsa_exception_int_div_zero 0
	.end_amdhsa_kernel
	.section	.text._ZN7rocprim17ROCPRIM_400000_NS6detail17trampoline_kernelINS0_14default_configENS1_22reduce_config_selectorIbEEZNS1_11reduce_implILb1ES3_N6hipcub16HIPCUB_304000_NS22TransformInputIteratorIbN2at6native12_GLOBAL__N_19NonZeroOpIN3c107complexIdEEEEPKSG_lEEPiiNS8_6detail34convert_binary_result_type_wrapperINS8_3SumESK_iEEEE10hipError_tPvRmT1_T2_T3_mT4_P12ihipStream_tbEUlT_E0_NS1_11comp_targetILNS1_3genE0ELNS1_11target_archE4294967295ELNS1_3gpuE0ELNS1_3repE0EEENS1_30default_config_static_selectorELNS0_4arch9wavefront6targetE0EEEvST_,"axG",@progbits,_ZN7rocprim17ROCPRIM_400000_NS6detail17trampoline_kernelINS0_14default_configENS1_22reduce_config_selectorIbEEZNS1_11reduce_implILb1ES3_N6hipcub16HIPCUB_304000_NS22TransformInputIteratorIbN2at6native12_GLOBAL__N_19NonZeroOpIN3c107complexIdEEEEPKSG_lEEPiiNS8_6detail34convert_binary_result_type_wrapperINS8_3SumESK_iEEEE10hipError_tPvRmT1_T2_T3_mT4_P12ihipStream_tbEUlT_E0_NS1_11comp_targetILNS1_3genE0ELNS1_11target_archE4294967295ELNS1_3gpuE0ELNS1_3repE0EEENS1_30default_config_static_selectorELNS0_4arch9wavefront6targetE0EEEvST_,comdat
.Lfunc_end508:
	.size	_ZN7rocprim17ROCPRIM_400000_NS6detail17trampoline_kernelINS0_14default_configENS1_22reduce_config_selectorIbEEZNS1_11reduce_implILb1ES3_N6hipcub16HIPCUB_304000_NS22TransformInputIteratorIbN2at6native12_GLOBAL__N_19NonZeroOpIN3c107complexIdEEEEPKSG_lEEPiiNS8_6detail34convert_binary_result_type_wrapperINS8_3SumESK_iEEEE10hipError_tPvRmT1_T2_T3_mT4_P12ihipStream_tbEUlT_E0_NS1_11comp_targetILNS1_3genE0ELNS1_11target_archE4294967295ELNS1_3gpuE0ELNS1_3repE0EEENS1_30default_config_static_selectorELNS0_4arch9wavefront6targetE0EEEvST_, .Lfunc_end508-_ZN7rocprim17ROCPRIM_400000_NS6detail17trampoline_kernelINS0_14default_configENS1_22reduce_config_selectorIbEEZNS1_11reduce_implILb1ES3_N6hipcub16HIPCUB_304000_NS22TransformInputIteratorIbN2at6native12_GLOBAL__N_19NonZeroOpIN3c107complexIdEEEEPKSG_lEEPiiNS8_6detail34convert_binary_result_type_wrapperINS8_3SumESK_iEEEE10hipError_tPvRmT1_T2_T3_mT4_P12ihipStream_tbEUlT_E0_NS1_11comp_targetILNS1_3genE0ELNS1_11target_archE4294967295ELNS1_3gpuE0ELNS1_3repE0EEENS1_30default_config_static_selectorELNS0_4arch9wavefront6targetE0EEEvST_
                                        ; -- End function
	.section	.AMDGPU.csdata,"",@progbits
; Kernel info:
; codeLenInByte = 0
; NumSgprs: 0
; NumVgprs: 0
; ScratchSize: 0
; MemoryBound: 0
; FloatMode: 240
; IeeeMode: 1
; LDSByteSize: 0 bytes/workgroup (compile time only)
; SGPRBlocks: 0
; VGPRBlocks: 0
; NumSGPRsForWavesPerEU: 1
; NumVGPRsForWavesPerEU: 1
; Occupancy: 16
; WaveLimiterHint : 0
; COMPUTE_PGM_RSRC2:SCRATCH_EN: 0
; COMPUTE_PGM_RSRC2:USER_SGPR: 15
; COMPUTE_PGM_RSRC2:TRAP_HANDLER: 0
; COMPUTE_PGM_RSRC2:TGID_X_EN: 1
; COMPUTE_PGM_RSRC2:TGID_Y_EN: 0
; COMPUTE_PGM_RSRC2:TGID_Z_EN: 0
; COMPUTE_PGM_RSRC2:TIDIG_COMP_CNT: 0
	.section	.text._ZN7rocprim17ROCPRIM_400000_NS6detail17trampoline_kernelINS0_14default_configENS1_22reduce_config_selectorIbEEZNS1_11reduce_implILb1ES3_N6hipcub16HIPCUB_304000_NS22TransformInputIteratorIbN2at6native12_GLOBAL__N_19NonZeroOpIN3c107complexIdEEEEPKSG_lEEPiiNS8_6detail34convert_binary_result_type_wrapperINS8_3SumESK_iEEEE10hipError_tPvRmT1_T2_T3_mT4_P12ihipStream_tbEUlT_E0_NS1_11comp_targetILNS1_3genE5ELNS1_11target_archE942ELNS1_3gpuE9ELNS1_3repE0EEENS1_30default_config_static_selectorELNS0_4arch9wavefront6targetE0EEEvST_,"axG",@progbits,_ZN7rocprim17ROCPRIM_400000_NS6detail17trampoline_kernelINS0_14default_configENS1_22reduce_config_selectorIbEEZNS1_11reduce_implILb1ES3_N6hipcub16HIPCUB_304000_NS22TransformInputIteratorIbN2at6native12_GLOBAL__N_19NonZeroOpIN3c107complexIdEEEEPKSG_lEEPiiNS8_6detail34convert_binary_result_type_wrapperINS8_3SumESK_iEEEE10hipError_tPvRmT1_T2_T3_mT4_P12ihipStream_tbEUlT_E0_NS1_11comp_targetILNS1_3genE5ELNS1_11target_archE942ELNS1_3gpuE9ELNS1_3repE0EEENS1_30default_config_static_selectorELNS0_4arch9wavefront6targetE0EEEvST_,comdat
	.globl	_ZN7rocprim17ROCPRIM_400000_NS6detail17trampoline_kernelINS0_14default_configENS1_22reduce_config_selectorIbEEZNS1_11reduce_implILb1ES3_N6hipcub16HIPCUB_304000_NS22TransformInputIteratorIbN2at6native12_GLOBAL__N_19NonZeroOpIN3c107complexIdEEEEPKSG_lEEPiiNS8_6detail34convert_binary_result_type_wrapperINS8_3SumESK_iEEEE10hipError_tPvRmT1_T2_T3_mT4_P12ihipStream_tbEUlT_E0_NS1_11comp_targetILNS1_3genE5ELNS1_11target_archE942ELNS1_3gpuE9ELNS1_3repE0EEENS1_30default_config_static_selectorELNS0_4arch9wavefront6targetE0EEEvST_ ; -- Begin function _ZN7rocprim17ROCPRIM_400000_NS6detail17trampoline_kernelINS0_14default_configENS1_22reduce_config_selectorIbEEZNS1_11reduce_implILb1ES3_N6hipcub16HIPCUB_304000_NS22TransformInputIteratorIbN2at6native12_GLOBAL__N_19NonZeroOpIN3c107complexIdEEEEPKSG_lEEPiiNS8_6detail34convert_binary_result_type_wrapperINS8_3SumESK_iEEEE10hipError_tPvRmT1_T2_T3_mT4_P12ihipStream_tbEUlT_E0_NS1_11comp_targetILNS1_3genE5ELNS1_11target_archE942ELNS1_3gpuE9ELNS1_3repE0EEENS1_30default_config_static_selectorELNS0_4arch9wavefront6targetE0EEEvST_
	.p2align	8
	.type	_ZN7rocprim17ROCPRIM_400000_NS6detail17trampoline_kernelINS0_14default_configENS1_22reduce_config_selectorIbEEZNS1_11reduce_implILb1ES3_N6hipcub16HIPCUB_304000_NS22TransformInputIteratorIbN2at6native12_GLOBAL__N_19NonZeroOpIN3c107complexIdEEEEPKSG_lEEPiiNS8_6detail34convert_binary_result_type_wrapperINS8_3SumESK_iEEEE10hipError_tPvRmT1_T2_T3_mT4_P12ihipStream_tbEUlT_E0_NS1_11comp_targetILNS1_3genE5ELNS1_11target_archE942ELNS1_3gpuE9ELNS1_3repE0EEENS1_30default_config_static_selectorELNS0_4arch9wavefront6targetE0EEEvST_,@function
_ZN7rocprim17ROCPRIM_400000_NS6detail17trampoline_kernelINS0_14default_configENS1_22reduce_config_selectorIbEEZNS1_11reduce_implILb1ES3_N6hipcub16HIPCUB_304000_NS22TransformInputIteratorIbN2at6native12_GLOBAL__N_19NonZeroOpIN3c107complexIdEEEEPKSG_lEEPiiNS8_6detail34convert_binary_result_type_wrapperINS8_3SumESK_iEEEE10hipError_tPvRmT1_T2_T3_mT4_P12ihipStream_tbEUlT_E0_NS1_11comp_targetILNS1_3genE5ELNS1_11target_archE942ELNS1_3gpuE9ELNS1_3repE0EEENS1_30default_config_static_selectorELNS0_4arch9wavefront6targetE0EEEvST_: ; @_ZN7rocprim17ROCPRIM_400000_NS6detail17trampoline_kernelINS0_14default_configENS1_22reduce_config_selectorIbEEZNS1_11reduce_implILb1ES3_N6hipcub16HIPCUB_304000_NS22TransformInputIteratorIbN2at6native12_GLOBAL__N_19NonZeroOpIN3c107complexIdEEEEPKSG_lEEPiiNS8_6detail34convert_binary_result_type_wrapperINS8_3SumESK_iEEEE10hipError_tPvRmT1_T2_T3_mT4_P12ihipStream_tbEUlT_E0_NS1_11comp_targetILNS1_3genE5ELNS1_11target_archE942ELNS1_3gpuE9ELNS1_3repE0EEENS1_30default_config_static_selectorELNS0_4arch9wavefront6targetE0EEEvST_
; %bb.0:
	.section	.rodata,"a",@progbits
	.p2align	6, 0x0
	.amdhsa_kernel _ZN7rocprim17ROCPRIM_400000_NS6detail17trampoline_kernelINS0_14default_configENS1_22reduce_config_selectorIbEEZNS1_11reduce_implILb1ES3_N6hipcub16HIPCUB_304000_NS22TransformInputIteratorIbN2at6native12_GLOBAL__N_19NonZeroOpIN3c107complexIdEEEEPKSG_lEEPiiNS8_6detail34convert_binary_result_type_wrapperINS8_3SumESK_iEEEE10hipError_tPvRmT1_T2_T3_mT4_P12ihipStream_tbEUlT_E0_NS1_11comp_targetILNS1_3genE5ELNS1_11target_archE942ELNS1_3gpuE9ELNS1_3repE0EEENS1_30default_config_static_selectorELNS0_4arch9wavefront6targetE0EEEvST_
		.amdhsa_group_segment_fixed_size 0
		.amdhsa_private_segment_fixed_size 0
		.amdhsa_kernarg_size 64
		.amdhsa_user_sgpr_count 15
		.amdhsa_user_sgpr_dispatch_ptr 0
		.amdhsa_user_sgpr_queue_ptr 0
		.amdhsa_user_sgpr_kernarg_segment_ptr 1
		.amdhsa_user_sgpr_dispatch_id 0
		.amdhsa_user_sgpr_private_segment_size 0
		.amdhsa_wavefront_size32 1
		.amdhsa_uses_dynamic_stack 0
		.amdhsa_enable_private_segment 0
		.amdhsa_system_sgpr_workgroup_id_x 1
		.amdhsa_system_sgpr_workgroup_id_y 0
		.amdhsa_system_sgpr_workgroup_id_z 0
		.amdhsa_system_sgpr_workgroup_info 0
		.amdhsa_system_vgpr_workitem_id 0
		.amdhsa_next_free_vgpr 1
		.amdhsa_next_free_sgpr 1
		.amdhsa_reserve_vcc 0
		.amdhsa_float_round_mode_32 0
		.amdhsa_float_round_mode_16_64 0
		.amdhsa_float_denorm_mode_32 3
		.amdhsa_float_denorm_mode_16_64 3
		.amdhsa_dx10_clamp 1
		.amdhsa_ieee_mode 1
		.amdhsa_fp16_overflow 0
		.amdhsa_workgroup_processor_mode 1
		.amdhsa_memory_ordered 1
		.amdhsa_forward_progress 0
		.amdhsa_shared_vgpr_count 0
		.amdhsa_exception_fp_ieee_invalid_op 0
		.amdhsa_exception_fp_denorm_src 0
		.amdhsa_exception_fp_ieee_div_zero 0
		.amdhsa_exception_fp_ieee_overflow 0
		.amdhsa_exception_fp_ieee_underflow 0
		.amdhsa_exception_fp_ieee_inexact 0
		.amdhsa_exception_int_div_zero 0
	.end_amdhsa_kernel
	.section	.text._ZN7rocprim17ROCPRIM_400000_NS6detail17trampoline_kernelINS0_14default_configENS1_22reduce_config_selectorIbEEZNS1_11reduce_implILb1ES3_N6hipcub16HIPCUB_304000_NS22TransformInputIteratorIbN2at6native12_GLOBAL__N_19NonZeroOpIN3c107complexIdEEEEPKSG_lEEPiiNS8_6detail34convert_binary_result_type_wrapperINS8_3SumESK_iEEEE10hipError_tPvRmT1_T2_T3_mT4_P12ihipStream_tbEUlT_E0_NS1_11comp_targetILNS1_3genE5ELNS1_11target_archE942ELNS1_3gpuE9ELNS1_3repE0EEENS1_30default_config_static_selectorELNS0_4arch9wavefront6targetE0EEEvST_,"axG",@progbits,_ZN7rocprim17ROCPRIM_400000_NS6detail17trampoline_kernelINS0_14default_configENS1_22reduce_config_selectorIbEEZNS1_11reduce_implILb1ES3_N6hipcub16HIPCUB_304000_NS22TransformInputIteratorIbN2at6native12_GLOBAL__N_19NonZeroOpIN3c107complexIdEEEEPKSG_lEEPiiNS8_6detail34convert_binary_result_type_wrapperINS8_3SumESK_iEEEE10hipError_tPvRmT1_T2_T3_mT4_P12ihipStream_tbEUlT_E0_NS1_11comp_targetILNS1_3genE5ELNS1_11target_archE942ELNS1_3gpuE9ELNS1_3repE0EEENS1_30default_config_static_selectorELNS0_4arch9wavefront6targetE0EEEvST_,comdat
.Lfunc_end509:
	.size	_ZN7rocprim17ROCPRIM_400000_NS6detail17trampoline_kernelINS0_14default_configENS1_22reduce_config_selectorIbEEZNS1_11reduce_implILb1ES3_N6hipcub16HIPCUB_304000_NS22TransformInputIteratorIbN2at6native12_GLOBAL__N_19NonZeroOpIN3c107complexIdEEEEPKSG_lEEPiiNS8_6detail34convert_binary_result_type_wrapperINS8_3SumESK_iEEEE10hipError_tPvRmT1_T2_T3_mT4_P12ihipStream_tbEUlT_E0_NS1_11comp_targetILNS1_3genE5ELNS1_11target_archE942ELNS1_3gpuE9ELNS1_3repE0EEENS1_30default_config_static_selectorELNS0_4arch9wavefront6targetE0EEEvST_, .Lfunc_end509-_ZN7rocprim17ROCPRIM_400000_NS6detail17trampoline_kernelINS0_14default_configENS1_22reduce_config_selectorIbEEZNS1_11reduce_implILb1ES3_N6hipcub16HIPCUB_304000_NS22TransformInputIteratorIbN2at6native12_GLOBAL__N_19NonZeroOpIN3c107complexIdEEEEPKSG_lEEPiiNS8_6detail34convert_binary_result_type_wrapperINS8_3SumESK_iEEEE10hipError_tPvRmT1_T2_T3_mT4_P12ihipStream_tbEUlT_E0_NS1_11comp_targetILNS1_3genE5ELNS1_11target_archE942ELNS1_3gpuE9ELNS1_3repE0EEENS1_30default_config_static_selectorELNS0_4arch9wavefront6targetE0EEEvST_
                                        ; -- End function
	.section	.AMDGPU.csdata,"",@progbits
; Kernel info:
; codeLenInByte = 0
; NumSgprs: 0
; NumVgprs: 0
; ScratchSize: 0
; MemoryBound: 0
; FloatMode: 240
; IeeeMode: 1
; LDSByteSize: 0 bytes/workgroup (compile time only)
; SGPRBlocks: 0
; VGPRBlocks: 0
; NumSGPRsForWavesPerEU: 1
; NumVGPRsForWavesPerEU: 1
; Occupancy: 16
; WaveLimiterHint : 0
; COMPUTE_PGM_RSRC2:SCRATCH_EN: 0
; COMPUTE_PGM_RSRC2:USER_SGPR: 15
; COMPUTE_PGM_RSRC2:TRAP_HANDLER: 0
; COMPUTE_PGM_RSRC2:TGID_X_EN: 1
; COMPUTE_PGM_RSRC2:TGID_Y_EN: 0
; COMPUTE_PGM_RSRC2:TGID_Z_EN: 0
; COMPUTE_PGM_RSRC2:TIDIG_COMP_CNT: 0
	.section	.text._ZN7rocprim17ROCPRIM_400000_NS6detail17trampoline_kernelINS0_14default_configENS1_22reduce_config_selectorIbEEZNS1_11reduce_implILb1ES3_N6hipcub16HIPCUB_304000_NS22TransformInputIteratorIbN2at6native12_GLOBAL__N_19NonZeroOpIN3c107complexIdEEEEPKSG_lEEPiiNS8_6detail34convert_binary_result_type_wrapperINS8_3SumESK_iEEEE10hipError_tPvRmT1_T2_T3_mT4_P12ihipStream_tbEUlT_E0_NS1_11comp_targetILNS1_3genE4ELNS1_11target_archE910ELNS1_3gpuE8ELNS1_3repE0EEENS1_30default_config_static_selectorELNS0_4arch9wavefront6targetE0EEEvST_,"axG",@progbits,_ZN7rocprim17ROCPRIM_400000_NS6detail17trampoline_kernelINS0_14default_configENS1_22reduce_config_selectorIbEEZNS1_11reduce_implILb1ES3_N6hipcub16HIPCUB_304000_NS22TransformInputIteratorIbN2at6native12_GLOBAL__N_19NonZeroOpIN3c107complexIdEEEEPKSG_lEEPiiNS8_6detail34convert_binary_result_type_wrapperINS8_3SumESK_iEEEE10hipError_tPvRmT1_T2_T3_mT4_P12ihipStream_tbEUlT_E0_NS1_11comp_targetILNS1_3genE4ELNS1_11target_archE910ELNS1_3gpuE8ELNS1_3repE0EEENS1_30default_config_static_selectorELNS0_4arch9wavefront6targetE0EEEvST_,comdat
	.globl	_ZN7rocprim17ROCPRIM_400000_NS6detail17trampoline_kernelINS0_14default_configENS1_22reduce_config_selectorIbEEZNS1_11reduce_implILb1ES3_N6hipcub16HIPCUB_304000_NS22TransformInputIteratorIbN2at6native12_GLOBAL__N_19NonZeroOpIN3c107complexIdEEEEPKSG_lEEPiiNS8_6detail34convert_binary_result_type_wrapperINS8_3SumESK_iEEEE10hipError_tPvRmT1_T2_T3_mT4_P12ihipStream_tbEUlT_E0_NS1_11comp_targetILNS1_3genE4ELNS1_11target_archE910ELNS1_3gpuE8ELNS1_3repE0EEENS1_30default_config_static_selectorELNS0_4arch9wavefront6targetE0EEEvST_ ; -- Begin function _ZN7rocprim17ROCPRIM_400000_NS6detail17trampoline_kernelINS0_14default_configENS1_22reduce_config_selectorIbEEZNS1_11reduce_implILb1ES3_N6hipcub16HIPCUB_304000_NS22TransformInputIteratorIbN2at6native12_GLOBAL__N_19NonZeroOpIN3c107complexIdEEEEPKSG_lEEPiiNS8_6detail34convert_binary_result_type_wrapperINS8_3SumESK_iEEEE10hipError_tPvRmT1_T2_T3_mT4_P12ihipStream_tbEUlT_E0_NS1_11comp_targetILNS1_3genE4ELNS1_11target_archE910ELNS1_3gpuE8ELNS1_3repE0EEENS1_30default_config_static_selectorELNS0_4arch9wavefront6targetE0EEEvST_
	.p2align	8
	.type	_ZN7rocprim17ROCPRIM_400000_NS6detail17trampoline_kernelINS0_14default_configENS1_22reduce_config_selectorIbEEZNS1_11reduce_implILb1ES3_N6hipcub16HIPCUB_304000_NS22TransformInputIteratorIbN2at6native12_GLOBAL__N_19NonZeroOpIN3c107complexIdEEEEPKSG_lEEPiiNS8_6detail34convert_binary_result_type_wrapperINS8_3SumESK_iEEEE10hipError_tPvRmT1_T2_T3_mT4_P12ihipStream_tbEUlT_E0_NS1_11comp_targetILNS1_3genE4ELNS1_11target_archE910ELNS1_3gpuE8ELNS1_3repE0EEENS1_30default_config_static_selectorELNS0_4arch9wavefront6targetE0EEEvST_,@function
_ZN7rocprim17ROCPRIM_400000_NS6detail17trampoline_kernelINS0_14default_configENS1_22reduce_config_selectorIbEEZNS1_11reduce_implILb1ES3_N6hipcub16HIPCUB_304000_NS22TransformInputIteratorIbN2at6native12_GLOBAL__N_19NonZeroOpIN3c107complexIdEEEEPKSG_lEEPiiNS8_6detail34convert_binary_result_type_wrapperINS8_3SumESK_iEEEE10hipError_tPvRmT1_T2_T3_mT4_P12ihipStream_tbEUlT_E0_NS1_11comp_targetILNS1_3genE4ELNS1_11target_archE910ELNS1_3gpuE8ELNS1_3repE0EEENS1_30default_config_static_selectorELNS0_4arch9wavefront6targetE0EEEvST_: ; @_ZN7rocprim17ROCPRIM_400000_NS6detail17trampoline_kernelINS0_14default_configENS1_22reduce_config_selectorIbEEZNS1_11reduce_implILb1ES3_N6hipcub16HIPCUB_304000_NS22TransformInputIteratorIbN2at6native12_GLOBAL__N_19NonZeroOpIN3c107complexIdEEEEPKSG_lEEPiiNS8_6detail34convert_binary_result_type_wrapperINS8_3SumESK_iEEEE10hipError_tPvRmT1_T2_T3_mT4_P12ihipStream_tbEUlT_E0_NS1_11comp_targetILNS1_3genE4ELNS1_11target_archE910ELNS1_3gpuE8ELNS1_3repE0EEENS1_30default_config_static_selectorELNS0_4arch9wavefront6targetE0EEEvST_
; %bb.0:
	.section	.rodata,"a",@progbits
	.p2align	6, 0x0
	.amdhsa_kernel _ZN7rocprim17ROCPRIM_400000_NS6detail17trampoline_kernelINS0_14default_configENS1_22reduce_config_selectorIbEEZNS1_11reduce_implILb1ES3_N6hipcub16HIPCUB_304000_NS22TransformInputIteratorIbN2at6native12_GLOBAL__N_19NonZeroOpIN3c107complexIdEEEEPKSG_lEEPiiNS8_6detail34convert_binary_result_type_wrapperINS8_3SumESK_iEEEE10hipError_tPvRmT1_T2_T3_mT4_P12ihipStream_tbEUlT_E0_NS1_11comp_targetILNS1_3genE4ELNS1_11target_archE910ELNS1_3gpuE8ELNS1_3repE0EEENS1_30default_config_static_selectorELNS0_4arch9wavefront6targetE0EEEvST_
		.amdhsa_group_segment_fixed_size 0
		.amdhsa_private_segment_fixed_size 0
		.amdhsa_kernarg_size 64
		.amdhsa_user_sgpr_count 15
		.amdhsa_user_sgpr_dispatch_ptr 0
		.amdhsa_user_sgpr_queue_ptr 0
		.amdhsa_user_sgpr_kernarg_segment_ptr 1
		.amdhsa_user_sgpr_dispatch_id 0
		.amdhsa_user_sgpr_private_segment_size 0
		.amdhsa_wavefront_size32 1
		.amdhsa_uses_dynamic_stack 0
		.amdhsa_enable_private_segment 0
		.amdhsa_system_sgpr_workgroup_id_x 1
		.amdhsa_system_sgpr_workgroup_id_y 0
		.amdhsa_system_sgpr_workgroup_id_z 0
		.amdhsa_system_sgpr_workgroup_info 0
		.amdhsa_system_vgpr_workitem_id 0
		.amdhsa_next_free_vgpr 1
		.amdhsa_next_free_sgpr 1
		.amdhsa_reserve_vcc 0
		.amdhsa_float_round_mode_32 0
		.amdhsa_float_round_mode_16_64 0
		.amdhsa_float_denorm_mode_32 3
		.amdhsa_float_denorm_mode_16_64 3
		.amdhsa_dx10_clamp 1
		.amdhsa_ieee_mode 1
		.amdhsa_fp16_overflow 0
		.amdhsa_workgroup_processor_mode 1
		.amdhsa_memory_ordered 1
		.amdhsa_forward_progress 0
		.amdhsa_shared_vgpr_count 0
		.amdhsa_exception_fp_ieee_invalid_op 0
		.amdhsa_exception_fp_denorm_src 0
		.amdhsa_exception_fp_ieee_div_zero 0
		.amdhsa_exception_fp_ieee_overflow 0
		.amdhsa_exception_fp_ieee_underflow 0
		.amdhsa_exception_fp_ieee_inexact 0
		.amdhsa_exception_int_div_zero 0
	.end_amdhsa_kernel
	.section	.text._ZN7rocprim17ROCPRIM_400000_NS6detail17trampoline_kernelINS0_14default_configENS1_22reduce_config_selectorIbEEZNS1_11reduce_implILb1ES3_N6hipcub16HIPCUB_304000_NS22TransformInputIteratorIbN2at6native12_GLOBAL__N_19NonZeroOpIN3c107complexIdEEEEPKSG_lEEPiiNS8_6detail34convert_binary_result_type_wrapperINS8_3SumESK_iEEEE10hipError_tPvRmT1_T2_T3_mT4_P12ihipStream_tbEUlT_E0_NS1_11comp_targetILNS1_3genE4ELNS1_11target_archE910ELNS1_3gpuE8ELNS1_3repE0EEENS1_30default_config_static_selectorELNS0_4arch9wavefront6targetE0EEEvST_,"axG",@progbits,_ZN7rocprim17ROCPRIM_400000_NS6detail17trampoline_kernelINS0_14default_configENS1_22reduce_config_selectorIbEEZNS1_11reduce_implILb1ES3_N6hipcub16HIPCUB_304000_NS22TransformInputIteratorIbN2at6native12_GLOBAL__N_19NonZeroOpIN3c107complexIdEEEEPKSG_lEEPiiNS8_6detail34convert_binary_result_type_wrapperINS8_3SumESK_iEEEE10hipError_tPvRmT1_T2_T3_mT4_P12ihipStream_tbEUlT_E0_NS1_11comp_targetILNS1_3genE4ELNS1_11target_archE910ELNS1_3gpuE8ELNS1_3repE0EEENS1_30default_config_static_selectorELNS0_4arch9wavefront6targetE0EEEvST_,comdat
.Lfunc_end510:
	.size	_ZN7rocprim17ROCPRIM_400000_NS6detail17trampoline_kernelINS0_14default_configENS1_22reduce_config_selectorIbEEZNS1_11reduce_implILb1ES3_N6hipcub16HIPCUB_304000_NS22TransformInputIteratorIbN2at6native12_GLOBAL__N_19NonZeroOpIN3c107complexIdEEEEPKSG_lEEPiiNS8_6detail34convert_binary_result_type_wrapperINS8_3SumESK_iEEEE10hipError_tPvRmT1_T2_T3_mT4_P12ihipStream_tbEUlT_E0_NS1_11comp_targetILNS1_3genE4ELNS1_11target_archE910ELNS1_3gpuE8ELNS1_3repE0EEENS1_30default_config_static_selectorELNS0_4arch9wavefront6targetE0EEEvST_, .Lfunc_end510-_ZN7rocprim17ROCPRIM_400000_NS6detail17trampoline_kernelINS0_14default_configENS1_22reduce_config_selectorIbEEZNS1_11reduce_implILb1ES3_N6hipcub16HIPCUB_304000_NS22TransformInputIteratorIbN2at6native12_GLOBAL__N_19NonZeroOpIN3c107complexIdEEEEPKSG_lEEPiiNS8_6detail34convert_binary_result_type_wrapperINS8_3SumESK_iEEEE10hipError_tPvRmT1_T2_T3_mT4_P12ihipStream_tbEUlT_E0_NS1_11comp_targetILNS1_3genE4ELNS1_11target_archE910ELNS1_3gpuE8ELNS1_3repE0EEENS1_30default_config_static_selectorELNS0_4arch9wavefront6targetE0EEEvST_
                                        ; -- End function
	.section	.AMDGPU.csdata,"",@progbits
; Kernel info:
; codeLenInByte = 0
; NumSgprs: 0
; NumVgprs: 0
; ScratchSize: 0
; MemoryBound: 0
; FloatMode: 240
; IeeeMode: 1
; LDSByteSize: 0 bytes/workgroup (compile time only)
; SGPRBlocks: 0
; VGPRBlocks: 0
; NumSGPRsForWavesPerEU: 1
; NumVGPRsForWavesPerEU: 1
; Occupancy: 16
; WaveLimiterHint : 0
; COMPUTE_PGM_RSRC2:SCRATCH_EN: 0
; COMPUTE_PGM_RSRC2:USER_SGPR: 15
; COMPUTE_PGM_RSRC2:TRAP_HANDLER: 0
; COMPUTE_PGM_RSRC2:TGID_X_EN: 1
; COMPUTE_PGM_RSRC2:TGID_Y_EN: 0
; COMPUTE_PGM_RSRC2:TGID_Z_EN: 0
; COMPUTE_PGM_RSRC2:TIDIG_COMP_CNT: 0
	.section	.text._ZN7rocprim17ROCPRIM_400000_NS6detail17trampoline_kernelINS0_14default_configENS1_22reduce_config_selectorIbEEZNS1_11reduce_implILb1ES3_N6hipcub16HIPCUB_304000_NS22TransformInputIteratorIbN2at6native12_GLOBAL__N_19NonZeroOpIN3c107complexIdEEEEPKSG_lEEPiiNS8_6detail34convert_binary_result_type_wrapperINS8_3SumESK_iEEEE10hipError_tPvRmT1_T2_T3_mT4_P12ihipStream_tbEUlT_E0_NS1_11comp_targetILNS1_3genE3ELNS1_11target_archE908ELNS1_3gpuE7ELNS1_3repE0EEENS1_30default_config_static_selectorELNS0_4arch9wavefront6targetE0EEEvST_,"axG",@progbits,_ZN7rocprim17ROCPRIM_400000_NS6detail17trampoline_kernelINS0_14default_configENS1_22reduce_config_selectorIbEEZNS1_11reduce_implILb1ES3_N6hipcub16HIPCUB_304000_NS22TransformInputIteratorIbN2at6native12_GLOBAL__N_19NonZeroOpIN3c107complexIdEEEEPKSG_lEEPiiNS8_6detail34convert_binary_result_type_wrapperINS8_3SumESK_iEEEE10hipError_tPvRmT1_T2_T3_mT4_P12ihipStream_tbEUlT_E0_NS1_11comp_targetILNS1_3genE3ELNS1_11target_archE908ELNS1_3gpuE7ELNS1_3repE0EEENS1_30default_config_static_selectorELNS0_4arch9wavefront6targetE0EEEvST_,comdat
	.globl	_ZN7rocprim17ROCPRIM_400000_NS6detail17trampoline_kernelINS0_14default_configENS1_22reduce_config_selectorIbEEZNS1_11reduce_implILb1ES3_N6hipcub16HIPCUB_304000_NS22TransformInputIteratorIbN2at6native12_GLOBAL__N_19NonZeroOpIN3c107complexIdEEEEPKSG_lEEPiiNS8_6detail34convert_binary_result_type_wrapperINS8_3SumESK_iEEEE10hipError_tPvRmT1_T2_T3_mT4_P12ihipStream_tbEUlT_E0_NS1_11comp_targetILNS1_3genE3ELNS1_11target_archE908ELNS1_3gpuE7ELNS1_3repE0EEENS1_30default_config_static_selectorELNS0_4arch9wavefront6targetE0EEEvST_ ; -- Begin function _ZN7rocprim17ROCPRIM_400000_NS6detail17trampoline_kernelINS0_14default_configENS1_22reduce_config_selectorIbEEZNS1_11reduce_implILb1ES3_N6hipcub16HIPCUB_304000_NS22TransformInputIteratorIbN2at6native12_GLOBAL__N_19NonZeroOpIN3c107complexIdEEEEPKSG_lEEPiiNS8_6detail34convert_binary_result_type_wrapperINS8_3SumESK_iEEEE10hipError_tPvRmT1_T2_T3_mT4_P12ihipStream_tbEUlT_E0_NS1_11comp_targetILNS1_3genE3ELNS1_11target_archE908ELNS1_3gpuE7ELNS1_3repE0EEENS1_30default_config_static_selectorELNS0_4arch9wavefront6targetE0EEEvST_
	.p2align	8
	.type	_ZN7rocprim17ROCPRIM_400000_NS6detail17trampoline_kernelINS0_14default_configENS1_22reduce_config_selectorIbEEZNS1_11reduce_implILb1ES3_N6hipcub16HIPCUB_304000_NS22TransformInputIteratorIbN2at6native12_GLOBAL__N_19NonZeroOpIN3c107complexIdEEEEPKSG_lEEPiiNS8_6detail34convert_binary_result_type_wrapperINS8_3SumESK_iEEEE10hipError_tPvRmT1_T2_T3_mT4_P12ihipStream_tbEUlT_E0_NS1_11comp_targetILNS1_3genE3ELNS1_11target_archE908ELNS1_3gpuE7ELNS1_3repE0EEENS1_30default_config_static_selectorELNS0_4arch9wavefront6targetE0EEEvST_,@function
_ZN7rocprim17ROCPRIM_400000_NS6detail17trampoline_kernelINS0_14default_configENS1_22reduce_config_selectorIbEEZNS1_11reduce_implILb1ES3_N6hipcub16HIPCUB_304000_NS22TransformInputIteratorIbN2at6native12_GLOBAL__N_19NonZeroOpIN3c107complexIdEEEEPKSG_lEEPiiNS8_6detail34convert_binary_result_type_wrapperINS8_3SumESK_iEEEE10hipError_tPvRmT1_T2_T3_mT4_P12ihipStream_tbEUlT_E0_NS1_11comp_targetILNS1_3genE3ELNS1_11target_archE908ELNS1_3gpuE7ELNS1_3repE0EEENS1_30default_config_static_selectorELNS0_4arch9wavefront6targetE0EEEvST_: ; @_ZN7rocprim17ROCPRIM_400000_NS6detail17trampoline_kernelINS0_14default_configENS1_22reduce_config_selectorIbEEZNS1_11reduce_implILb1ES3_N6hipcub16HIPCUB_304000_NS22TransformInputIteratorIbN2at6native12_GLOBAL__N_19NonZeroOpIN3c107complexIdEEEEPKSG_lEEPiiNS8_6detail34convert_binary_result_type_wrapperINS8_3SumESK_iEEEE10hipError_tPvRmT1_T2_T3_mT4_P12ihipStream_tbEUlT_E0_NS1_11comp_targetILNS1_3genE3ELNS1_11target_archE908ELNS1_3gpuE7ELNS1_3repE0EEENS1_30default_config_static_selectorELNS0_4arch9wavefront6targetE0EEEvST_
; %bb.0:
	.section	.rodata,"a",@progbits
	.p2align	6, 0x0
	.amdhsa_kernel _ZN7rocprim17ROCPRIM_400000_NS6detail17trampoline_kernelINS0_14default_configENS1_22reduce_config_selectorIbEEZNS1_11reduce_implILb1ES3_N6hipcub16HIPCUB_304000_NS22TransformInputIteratorIbN2at6native12_GLOBAL__N_19NonZeroOpIN3c107complexIdEEEEPKSG_lEEPiiNS8_6detail34convert_binary_result_type_wrapperINS8_3SumESK_iEEEE10hipError_tPvRmT1_T2_T3_mT4_P12ihipStream_tbEUlT_E0_NS1_11comp_targetILNS1_3genE3ELNS1_11target_archE908ELNS1_3gpuE7ELNS1_3repE0EEENS1_30default_config_static_selectorELNS0_4arch9wavefront6targetE0EEEvST_
		.amdhsa_group_segment_fixed_size 0
		.amdhsa_private_segment_fixed_size 0
		.amdhsa_kernarg_size 64
		.amdhsa_user_sgpr_count 15
		.amdhsa_user_sgpr_dispatch_ptr 0
		.amdhsa_user_sgpr_queue_ptr 0
		.amdhsa_user_sgpr_kernarg_segment_ptr 1
		.amdhsa_user_sgpr_dispatch_id 0
		.amdhsa_user_sgpr_private_segment_size 0
		.amdhsa_wavefront_size32 1
		.amdhsa_uses_dynamic_stack 0
		.amdhsa_enable_private_segment 0
		.amdhsa_system_sgpr_workgroup_id_x 1
		.amdhsa_system_sgpr_workgroup_id_y 0
		.amdhsa_system_sgpr_workgroup_id_z 0
		.amdhsa_system_sgpr_workgroup_info 0
		.amdhsa_system_vgpr_workitem_id 0
		.amdhsa_next_free_vgpr 1
		.amdhsa_next_free_sgpr 1
		.amdhsa_reserve_vcc 0
		.amdhsa_float_round_mode_32 0
		.amdhsa_float_round_mode_16_64 0
		.amdhsa_float_denorm_mode_32 3
		.amdhsa_float_denorm_mode_16_64 3
		.amdhsa_dx10_clamp 1
		.amdhsa_ieee_mode 1
		.amdhsa_fp16_overflow 0
		.amdhsa_workgroup_processor_mode 1
		.amdhsa_memory_ordered 1
		.amdhsa_forward_progress 0
		.amdhsa_shared_vgpr_count 0
		.amdhsa_exception_fp_ieee_invalid_op 0
		.amdhsa_exception_fp_denorm_src 0
		.amdhsa_exception_fp_ieee_div_zero 0
		.amdhsa_exception_fp_ieee_overflow 0
		.amdhsa_exception_fp_ieee_underflow 0
		.amdhsa_exception_fp_ieee_inexact 0
		.amdhsa_exception_int_div_zero 0
	.end_amdhsa_kernel
	.section	.text._ZN7rocprim17ROCPRIM_400000_NS6detail17trampoline_kernelINS0_14default_configENS1_22reduce_config_selectorIbEEZNS1_11reduce_implILb1ES3_N6hipcub16HIPCUB_304000_NS22TransformInputIteratorIbN2at6native12_GLOBAL__N_19NonZeroOpIN3c107complexIdEEEEPKSG_lEEPiiNS8_6detail34convert_binary_result_type_wrapperINS8_3SumESK_iEEEE10hipError_tPvRmT1_T2_T3_mT4_P12ihipStream_tbEUlT_E0_NS1_11comp_targetILNS1_3genE3ELNS1_11target_archE908ELNS1_3gpuE7ELNS1_3repE0EEENS1_30default_config_static_selectorELNS0_4arch9wavefront6targetE0EEEvST_,"axG",@progbits,_ZN7rocprim17ROCPRIM_400000_NS6detail17trampoline_kernelINS0_14default_configENS1_22reduce_config_selectorIbEEZNS1_11reduce_implILb1ES3_N6hipcub16HIPCUB_304000_NS22TransformInputIteratorIbN2at6native12_GLOBAL__N_19NonZeroOpIN3c107complexIdEEEEPKSG_lEEPiiNS8_6detail34convert_binary_result_type_wrapperINS8_3SumESK_iEEEE10hipError_tPvRmT1_T2_T3_mT4_P12ihipStream_tbEUlT_E0_NS1_11comp_targetILNS1_3genE3ELNS1_11target_archE908ELNS1_3gpuE7ELNS1_3repE0EEENS1_30default_config_static_selectorELNS0_4arch9wavefront6targetE0EEEvST_,comdat
.Lfunc_end511:
	.size	_ZN7rocprim17ROCPRIM_400000_NS6detail17trampoline_kernelINS0_14default_configENS1_22reduce_config_selectorIbEEZNS1_11reduce_implILb1ES3_N6hipcub16HIPCUB_304000_NS22TransformInputIteratorIbN2at6native12_GLOBAL__N_19NonZeroOpIN3c107complexIdEEEEPKSG_lEEPiiNS8_6detail34convert_binary_result_type_wrapperINS8_3SumESK_iEEEE10hipError_tPvRmT1_T2_T3_mT4_P12ihipStream_tbEUlT_E0_NS1_11comp_targetILNS1_3genE3ELNS1_11target_archE908ELNS1_3gpuE7ELNS1_3repE0EEENS1_30default_config_static_selectorELNS0_4arch9wavefront6targetE0EEEvST_, .Lfunc_end511-_ZN7rocprim17ROCPRIM_400000_NS6detail17trampoline_kernelINS0_14default_configENS1_22reduce_config_selectorIbEEZNS1_11reduce_implILb1ES3_N6hipcub16HIPCUB_304000_NS22TransformInputIteratorIbN2at6native12_GLOBAL__N_19NonZeroOpIN3c107complexIdEEEEPKSG_lEEPiiNS8_6detail34convert_binary_result_type_wrapperINS8_3SumESK_iEEEE10hipError_tPvRmT1_T2_T3_mT4_P12ihipStream_tbEUlT_E0_NS1_11comp_targetILNS1_3genE3ELNS1_11target_archE908ELNS1_3gpuE7ELNS1_3repE0EEENS1_30default_config_static_selectorELNS0_4arch9wavefront6targetE0EEEvST_
                                        ; -- End function
	.section	.AMDGPU.csdata,"",@progbits
; Kernel info:
; codeLenInByte = 0
; NumSgprs: 0
; NumVgprs: 0
; ScratchSize: 0
; MemoryBound: 0
; FloatMode: 240
; IeeeMode: 1
; LDSByteSize: 0 bytes/workgroup (compile time only)
; SGPRBlocks: 0
; VGPRBlocks: 0
; NumSGPRsForWavesPerEU: 1
; NumVGPRsForWavesPerEU: 1
; Occupancy: 16
; WaveLimiterHint : 0
; COMPUTE_PGM_RSRC2:SCRATCH_EN: 0
; COMPUTE_PGM_RSRC2:USER_SGPR: 15
; COMPUTE_PGM_RSRC2:TRAP_HANDLER: 0
; COMPUTE_PGM_RSRC2:TGID_X_EN: 1
; COMPUTE_PGM_RSRC2:TGID_Y_EN: 0
; COMPUTE_PGM_RSRC2:TGID_Z_EN: 0
; COMPUTE_PGM_RSRC2:TIDIG_COMP_CNT: 0
	.section	.text._ZN7rocprim17ROCPRIM_400000_NS6detail17trampoline_kernelINS0_14default_configENS1_22reduce_config_selectorIbEEZNS1_11reduce_implILb1ES3_N6hipcub16HIPCUB_304000_NS22TransformInputIteratorIbN2at6native12_GLOBAL__N_19NonZeroOpIN3c107complexIdEEEEPKSG_lEEPiiNS8_6detail34convert_binary_result_type_wrapperINS8_3SumESK_iEEEE10hipError_tPvRmT1_T2_T3_mT4_P12ihipStream_tbEUlT_E0_NS1_11comp_targetILNS1_3genE2ELNS1_11target_archE906ELNS1_3gpuE6ELNS1_3repE0EEENS1_30default_config_static_selectorELNS0_4arch9wavefront6targetE0EEEvST_,"axG",@progbits,_ZN7rocprim17ROCPRIM_400000_NS6detail17trampoline_kernelINS0_14default_configENS1_22reduce_config_selectorIbEEZNS1_11reduce_implILb1ES3_N6hipcub16HIPCUB_304000_NS22TransformInputIteratorIbN2at6native12_GLOBAL__N_19NonZeroOpIN3c107complexIdEEEEPKSG_lEEPiiNS8_6detail34convert_binary_result_type_wrapperINS8_3SumESK_iEEEE10hipError_tPvRmT1_T2_T3_mT4_P12ihipStream_tbEUlT_E0_NS1_11comp_targetILNS1_3genE2ELNS1_11target_archE906ELNS1_3gpuE6ELNS1_3repE0EEENS1_30default_config_static_selectorELNS0_4arch9wavefront6targetE0EEEvST_,comdat
	.globl	_ZN7rocprim17ROCPRIM_400000_NS6detail17trampoline_kernelINS0_14default_configENS1_22reduce_config_selectorIbEEZNS1_11reduce_implILb1ES3_N6hipcub16HIPCUB_304000_NS22TransformInputIteratorIbN2at6native12_GLOBAL__N_19NonZeroOpIN3c107complexIdEEEEPKSG_lEEPiiNS8_6detail34convert_binary_result_type_wrapperINS8_3SumESK_iEEEE10hipError_tPvRmT1_T2_T3_mT4_P12ihipStream_tbEUlT_E0_NS1_11comp_targetILNS1_3genE2ELNS1_11target_archE906ELNS1_3gpuE6ELNS1_3repE0EEENS1_30default_config_static_selectorELNS0_4arch9wavefront6targetE0EEEvST_ ; -- Begin function _ZN7rocprim17ROCPRIM_400000_NS6detail17trampoline_kernelINS0_14default_configENS1_22reduce_config_selectorIbEEZNS1_11reduce_implILb1ES3_N6hipcub16HIPCUB_304000_NS22TransformInputIteratorIbN2at6native12_GLOBAL__N_19NonZeroOpIN3c107complexIdEEEEPKSG_lEEPiiNS8_6detail34convert_binary_result_type_wrapperINS8_3SumESK_iEEEE10hipError_tPvRmT1_T2_T3_mT4_P12ihipStream_tbEUlT_E0_NS1_11comp_targetILNS1_3genE2ELNS1_11target_archE906ELNS1_3gpuE6ELNS1_3repE0EEENS1_30default_config_static_selectorELNS0_4arch9wavefront6targetE0EEEvST_
	.p2align	8
	.type	_ZN7rocprim17ROCPRIM_400000_NS6detail17trampoline_kernelINS0_14default_configENS1_22reduce_config_selectorIbEEZNS1_11reduce_implILb1ES3_N6hipcub16HIPCUB_304000_NS22TransformInputIteratorIbN2at6native12_GLOBAL__N_19NonZeroOpIN3c107complexIdEEEEPKSG_lEEPiiNS8_6detail34convert_binary_result_type_wrapperINS8_3SumESK_iEEEE10hipError_tPvRmT1_T2_T3_mT4_P12ihipStream_tbEUlT_E0_NS1_11comp_targetILNS1_3genE2ELNS1_11target_archE906ELNS1_3gpuE6ELNS1_3repE0EEENS1_30default_config_static_selectorELNS0_4arch9wavefront6targetE0EEEvST_,@function
_ZN7rocprim17ROCPRIM_400000_NS6detail17trampoline_kernelINS0_14default_configENS1_22reduce_config_selectorIbEEZNS1_11reduce_implILb1ES3_N6hipcub16HIPCUB_304000_NS22TransformInputIteratorIbN2at6native12_GLOBAL__N_19NonZeroOpIN3c107complexIdEEEEPKSG_lEEPiiNS8_6detail34convert_binary_result_type_wrapperINS8_3SumESK_iEEEE10hipError_tPvRmT1_T2_T3_mT4_P12ihipStream_tbEUlT_E0_NS1_11comp_targetILNS1_3genE2ELNS1_11target_archE906ELNS1_3gpuE6ELNS1_3repE0EEENS1_30default_config_static_selectorELNS0_4arch9wavefront6targetE0EEEvST_: ; @_ZN7rocprim17ROCPRIM_400000_NS6detail17trampoline_kernelINS0_14default_configENS1_22reduce_config_selectorIbEEZNS1_11reduce_implILb1ES3_N6hipcub16HIPCUB_304000_NS22TransformInputIteratorIbN2at6native12_GLOBAL__N_19NonZeroOpIN3c107complexIdEEEEPKSG_lEEPiiNS8_6detail34convert_binary_result_type_wrapperINS8_3SumESK_iEEEE10hipError_tPvRmT1_T2_T3_mT4_P12ihipStream_tbEUlT_E0_NS1_11comp_targetILNS1_3genE2ELNS1_11target_archE906ELNS1_3gpuE6ELNS1_3repE0EEENS1_30default_config_static_selectorELNS0_4arch9wavefront6targetE0EEEvST_
; %bb.0:
	.section	.rodata,"a",@progbits
	.p2align	6, 0x0
	.amdhsa_kernel _ZN7rocprim17ROCPRIM_400000_NS6detail17trampoline_kernelINS0_14default_configENS1_22reduce_config_selectorIbEEZNS1_11reduce_implILb1ES3_N6hipcub16HIPCUB_304000_NS22TransformInputIteratorIbN2at6native12_GLOBAL__N_19NonZeroOpIN3c107complexIdEEEEPKSG_lEEPiiNS8_6detail34convert_binary_result_type_wrapperINS8_3SumESK_iEEEE10hipError_tPvRmT1_T2_T3_mT4_P12ihipStream_tbEUlT_E0_NS1_11comp_targetILNS1_3genE2ELNS1_11target_archE906ELNS1_3gpuE6ELNS1_3repE0EEENS1_30default_config_static_selectorELNS0_4arch9wavefront6targetE0EEEvST_
		.amdhsa_group_segment_fixed_size 0
		.amdhsa_private_segment_fixed_size 0
		.amdhsa_kernarg_size 64
		.amdhsa_user_sgpr_count 15
		.amdhsa_user_sgpr_dispatch_ptr 0
		.amdhsa_user_sgpr_queue_ptr 0
		.amdhsa_user_sgpr_kernarg_segment_ptr 1
		.amdhsa_user_sgpr_dispatch_id 0
		.amdhsa_user_sgpr_private_segment_size 0
		.amdhsa_wavefront_size32 1
		.amdhsa_uses_dynamic_stack 0
		.amdhsa_enable_private_segment 0
		.amdhsa_system_sgpr_workgroup_id_x 1
		.amdhsa_system_sgpr_workgroup_id_y 0
		.amdhsa_system_sgpr_workgroup_id_z 0
		.amdhsa_system_sgpr_workgroup_info 0
		.amdhsa_system_vgpr_workitem_id 0
		.amdhsa_next_free_vgpr 1
		.amdhsa_next_free_sgpr 1
		.amdhsa_reserve_vcc 0
		.amdhsa_float_round_mode_32 0
		.amdhsa_float_round_mode_16_64 0
		.amdhsa_float_denorm_mode_32 3
		.amdhsa_float_denorm_mode_16_64 3
		.amdhsa_dx10_clamp 1
		.amdhsa_ieee_mode 1
		.amdhsa_fp16_overflow 0
		.amdhsa_workgroup_processor_mode 1
		.amdhsa_memory_ordered 1
		.amdhsa_forward_progress 0
		.amdhsa_shared_vgpr_count 0
		.amdhsa_exception_fp_ieee_invalid_op 0
		.amdhsa_exception_fp_denorm_src 0
		.amdhsa_exception_fp_ieee_div_zero 0
		.amdhsa_exception_fp_ieee_overflow 0
		.amdhsa_exception_fp_ieee_underflow 0
		.amdhsa_exception_fp_ieee_inexact 0
		.amdhsa_exception_int_div_zero 0
	.end_amdhsa_kernel
	.section	.text._ZN7rocprim17ROCPRIM_400000_NS6detail17trampoline_kernelINS0_14default_configENS1_22reduce_config_selectorIbEEZNS1_11reduce_implILb1ES3_N6hipcub16HIPCUB_304000_NS22TransformInputIteratorIbN2at6native12_GLOBAL__N_19NonZeroOpIN3c107complexIdEEEEPKSG_lEEPiiNS8_6detail34convert_binary_result_type_wrapperINS8_3SumESK_iEEEE10hipError_tPvRmT1_T2_T3_mT4_P12ihipStream_tbEUlT_E0_NS1_11comp_targetILNS1_3genE2ELNS1_11target_archE906ELNS1_3gpuE6ELNS1_3repE0EEENS1_30default_config_static_selectorELNS0_4arch9wavefront6targetE0EEEvST_,"axG",@progbits,_ZN7rocprim17ROCPRIM_400000_NS6detail17trampoline_kernelINS0_14default_configENS1_22reduce_config_selectorIbEEZNS1_11reduce_implILb1ES3_N6hipcub16HIPCUB_304000_NS22TransformInputIteratorIbN2at6native12_GLOBAL__N_19NonZeroOpIN3c107complexIdEEEEPKSG_lEEPiiNS8_6detail34convert_binary_result_type_wrapperINS8_3SumESK_iEEEE10hipError_tPvRmT1_T2_T3_mT4_P12ihipStream_tbEUlT_E0_NS1_11comp_targetILNS1_3genE2ELNS1_11target_archE906ELNS1_3gpuE6ELNS1_3repE0EEENS1_30default_config_static_selectorELNS0_4arch9wavefront6targetE0EEEvST_,comdat
.Lfunc_end512:
	.size	_ZN7rocprim17ROCPRIM_400000_NS6detail17trampoline_kernelINS0_14default_configENS1_22reduce_config_selectorIbEEZNS1_11reduce_implILb1ES3_N6hipcub16HIPCUB_304000_NS22TransformInputIteratorIbN2at6native12_GLOBAL__N_19NonZeroOpIN3c107complexIdEEEEPKSG_lEEPiiNS8_6detail34convert_binary_result_type_wrapperINS8_3SumESK_iEEEE10hipError_tPvRmT1_T2_T3_mT4_P12ihipStream_tbEUlT_E0_NS1_11comp_targetILNS1_3genE2ELNS1_11target_archE906ELNS1_3gpuE6ELNS1_3repE0EEENS1_30default_config_static_selectorELNS0_4arch9wavefront6targetE0EEEvST_, .Lfunc_end512-_ZN7rocprim17ROCPRIM_400000_NS6detail17trampoline_kernelINS0_14default_configENS1_22reduce_config_selectorIbEEZNS1_11reduce_implILb1ES3_N6hipcub16HIPCUB_304000_NS22TransformInputIteratorIbN2at6native12_GLOBAL__N_19NonZeroOpIN3c107complexIdEEEEPKSG_lEEPiiNS8_6detail34convert_binary_result_type_wrapperINS8_3SumESK_iEEEE10hipError_tPvRmT1_T2_T3_mT4_P12ihipStream_tbEUlT_E0_NS1_11comp_targetILNS1_3genE2ELNS1_11target_archE906ELNS1_3gpuE6ELNS1_3repE0EEENS1_30default_config_static_selectorELNS0_4arch9wavefront6targetE0EEEvST_
                                        ; -- End function
	.section	.AMDGPU.csdata,"",@progbits
; Kernel info:
; codeLenInByte = 0
; NumSgprs: 0
; NumVgprs: 0
; ScratchSize: 0
; MemoryBound: 0
; FloatMode: 240
; IeeeMode: 1
; LDSByteSize: 0 bytes/workgroup (compile time only)
; SGPRBlocks: 0
; VGPRBlocks: 0
; NumSGPRsForWavesPerEU: 1
; NumVGPRsForWavesPerEU: 1
; Occupancy: 16
; WaveLimiterHint : 0
; COMPUTE_PGM_RSRC2:SCRATCH_EN: 0
; COMPUTE_PGM_RSRC2:USER_SGPR: 15
; COMPUTE_PGM_RSRC2:TRAP_HANDLER: 0
; COMPUTE_PGM_RSRC2:TGID_X_EN: 1
; COMPUTE_PGM_RSRC2:TGID_Y_EN: 0
; COMPUTE_PGM_RSRC2:TGID_Z_EN: 0
; COMPUTE_PGM_RSRC2:TIDIG_COMP_CNT: 0
	.section	.text._ZN7rocprim17ROCPRIM_400000_NS6detail17trampoline_kernelINS0_14default_configENS1_22reduce_config_selectorIbEEZNS1_11reduce_implILb1ES3_N6hipcub16HIPCUB_304000_NS22TransformInputIteratorIbN2at6native12_GLOBAL__N_19NonZeroOpIN3c107complexIdEEEEPKSG_lEEPiiNS8_6detail34convert_binary_result_type_wrapperINS8_3SumESK_iEEEE10hipError_tPvRmT1_T2_T3_mT4_P12ihipStream_tbEUlT_E0_NS1_11comp_targetILNS1_3genE10ELNS1_11target_archE1201ELNS1_3gpuE5ELNS1_3repE0EEENS1_30default_config_static_selectorELNS0_4arch9wavefront6targetE0EEEvST_,"axG",@progbits,_ZN7rocprim17ROCPRIM_400000_NS6detail17trampoline_kernelINS0_14default_configENS1_22reduce_config_selectorIbEEZNS1_11reduce_implILb1ES3_N6hipcub16HIPCUB_304000_NS22TransformInputIteratorIbN2at6native12_GLOBAL__N_19NonZeroOpIN3c107complexIdEEEEPKSG_lEEPiiNS8_6detail34convert_binary_result_type_wrapperINS8_3SumESK_iEEEE10hipError_tPvRmT1_T2_T3_mT4_P12ihipStream_tbEUlT_E0_NS1_11comp_targetILNS1_3genE10ELNS1_11target_archE1201ELNS1_3gpuE5ELNS1_3repE0EEENS1_30default_config_static_selectorELNS0_4arch9wavefront6targetE0EEEvST_,comdat
	.globl	_ZN7rocprim17ROCPRIM_400000_NS6detail17trampoline_kernelINS0_14default_configENS1_22reduce_config_selectorIbEEZNS1_11reduce_implILb1ES3_N6hipcub16HIPCUB_304000_NS22TransformInputIteratorIbN2at6native12_GLOBAL__N_19NonZeroOpIN3c107complexIdEEEEPKSG_lEEPiiNS8_6detail34convert_binary_result_type_wrapperINS8_3SumESK_iEEEE10hipError_tPvRmT1_T2_T3_mT4_P12ihipStream_tbEUlT_E0_NS1_11comp_targetILNS1_3genE10ELNS1_11target_archE1201ELNS1_3gpuE5ELNS1_3repE0EEENS1_30default_config_static_selectorELNS0_4arch9wavefront6targetE0EEEvST_ ; -- Begin function _ZN7rocprim17ROCPRIM_400000_NS6detail17trampoline_kernelINS0_14default_configENS1_22reduce_config_selectorIbEEZNS1_11reduce_implILb1ES3_N6hipcub16HIPCUB_304000_NS22TransformInputIteratorIbN2at6native12_GLOBAL__N_19NonZeroOpIN3c107complexIdEEEEPKSG_lEEPiiNS8_6detail34convert_binary_result_type_wrapperINS8_3SumESK_iEEEE10hipError_tPvRmT1_T2_T3_mT4_P12ihipStream_tbEUlT_E0_NS1_11comp_targetILNS1_3genE10ELNS1_11target_archE1201ELNS1_3gpuE5ELNS1_3repE0EEENS1_30default_config_static_selectorELNS0_4arch9wavefront6targetE0EEEvST_
	.p2align	8
	.type	_ZN7rocprim17ROCPRIM_400000_NS6detail17trampoline_kernelINS0_14default_configENS1_22reduce_config_selectorIbEEZNS1_11reduce_implILb1ES3_N6hipcub16HIPCUB_304000_NS22TransformInputIteratorIbN2at6native12_GLOBAL__N_19NonZeroOpIN3c107complexIdEEEEPKSG_lEEPiiNS8_6detail34convert_binary_result_type_wrapperINS8_3SumESK_iEEEE10hipError_tPvRmT1_T2_T3_mT4_P12ihipStream_tbEUlT_E0_NS1_11comp_targetILNS1_3genE10ELNS1_11target_archE1201ELNS1_3gpuE5ELNS1_3repE0EEENS1_30default_config_static_selectorELNS0_4arch9wavefront6targetE0EEEvST_,@function
_ZN7rocprim17ROCPRIM_400000_NS6detail17trampoline_kernelINS0_14default_configENS1_22reduce_config_selectorIbEEZNS1_11reduce_implILb1ES3_N6hipcub16HIPCUB_304000_NS22TransformInputIteratorIbN2at6native12_GLOBAL__N_19NonZeroOpIN3c107complexIdEEEEPKSG_lEEPiiNS8_6detail34convert_binary_result_type_wrapperINS8_3SumESK_iEEEE10hipError_tPvRmT1_T2_T3_mT4_P12ihipStream_tbEUlT_E0_NS1_11comp_targetILNS1_3genE10ELNS1_11target_archE1201ELNS1_3gpuE5ELNS1_3repE0EEENS1_30default_config_static_selectorELNS0_4arch9wavefront6targetE0EEEvST_: ; @_ZN7rocprim17ROCPRIM_400000_NS6detail17trampoline_kernelINS0_14default_configENS1_22reduce_config_selectorIbEEZNS1_11reduce_implILb1ES3_N6hipcub16HIPCUB_304000_NS22TransformInputIteratorIbN2at6native12_GLOBAL__N_19NonZeroOpIN3c107complexIdEEEEPKSG_lEEPiiNS8_6detail34convert_binary_result_type_wrapperINS8_3SumESK_iEEEE10hipError_tPvRmT1_T2_T3_mT4_P12ihipStream_tbEUlT_E0_NS1_11comp_targetILNS1_3genE10ELNS1_11target_archE1201ELNS1_3gpuE5ELNS1_3repE0EEENS1_30default_config_static_selectorELNS0_4arch9wavefront6targetE0EEEvST_
; %bb.0:
	.section	.rodata,"a",@progbits
	.p2align	6, 0x0
	.amdhsa_kernel _ZN7rocprim17ROCPRIM_400000_NS6detail17trampoline_kernelINS0_14default_configENS1_22reduce_config_selectorIbEEZNS1_11reduce_implILb1ES3_N6hipcub16HIPCUB_304000_NS22TransformInputIteratorIbN2at6native12_GLOBAL__N_19NonZeroOpIN3c107complexIdEEEEPKSG_lEEPiiNS8_6detail34convert_binary_result_type_wrapperINS8_3SumESK_iEEEE10hipError_tPvRmT1_T2_T3_mT4_P12ihipStream_tbEUlT_E0_NS1_11comp_targetILNS1_3genE10ELNS1_11target_archE1201ELNS1_3gpuE5ELNS1_3repE0EEENS1_30default_config_static_selectorELNS0_4arch9wavefront6targetE0EEEvST_
		.amdhsa_group_segment_fixed_size 0
		.amdhsa_private_segment_fixed_size 0
		.amdhsa_kernarg_size 64
		.amdhsa_user_sgpr_count 15
		.amdhsa_user_sgpr_dispatch_ptr 0
		.amdhsa_user_sgpr_queue_ptr 0
		.amdhsa_user_sgpr_kernarg_segment_ptr 1
		.amdhsa_user_sgpr_dispatch_id 0
		.amdhsa_user_sgpr_private_segment_size 0
		.amdhsa_wavefront_size32 1
		.amdhsa_uses_dynamic_stack 0
		.amdhsa_enable_private_segment 0
		.amdhsa_system_sgpr_workgroup_id_x 1
		.amdhsa_system_sgpr_workgroup_id_y 0
		.amdhsa_system_sgpr_workgroup_id_z 0
		.amdhsa_system_sgpr_workgroup_info 0
		.amdhsa_system_vgpr_workitem_id 0
		.amdhsa_next_free_vgpr 1
		.amdhsa_next_free_sgpr 1
		.amdhsa_reserve_vcc 0
		.amdhsa_float_round_mode_32 0
		.amdhsa_float_round_mode_16_64 0
		.amdhsa_float_denorm_mode_32 3
		.amdhsa_float_denorm_mode_16_64 3
		.amdhsa_dx10_clamp 1
		.amdhsa_ieee_mode 1
		.amdhsa_fp16_overflow 0
		.amdhsa_workgroup_processor_mode 1
		.amdhsa_memory_ordered 1
		.amdhsa_forward_progress 0
		.amdhsa_shared_vgpr_count 0
		.amdhsa_exception_fp_ieee_invalid_op 0
		.amdhsa_exception_fp_denorm_src 0
		.amdhsa_exception_fp_ieee_div_zero 0
		.amdhsa_exception_fp_ieee_overflow 0
		.amdhsa_exception_fp_ieee_underflow 0
		.amdhsa_exception_fp_ieee_inexact 0
		.amdhsa_exception_int_div_zero 0
	.end_amdhsa_kernel
	.section	.text._ZN7rocprim17ROCPRIM_400000_NS6detail17trampoline_kernelINS0_14default_configENS1_22reduce_config_selectorIbEEZNS1_11reduce_implILb1ES3_N6hipcub16HIPCUB_304000_NS22TransformInputIteratorIbN2at6native12_GLOBAL__N_19NonZeroOpIN3c107complexIdEEEEPKSG_lEEPiiNS8_6detail34convert_binary_result_type_wrapperINS8_3SumESK_iEEEE10hipError_tPvRmT1_T2_T3_mT4_P12ihipStream_tbEUlT_E0_NS1_11comp_targetILNS1_3genE10ELNS1_11target_archE1201ELNS1_3gpuE5ELNS1_3repE0EEENS1_30default_config_static_selectorELNS0_4arch9wavefront6targetE0EEEvST_,"axG",@progbits,_ZN7rocprim17ROCPRIM_400000_NS6detail17trampoline_kernelINS0_14default_configENS1_22reduce_config_selectorIbEEZNS1_11reduce_implILb1ES3_N6hipcub16HIPCUB_304000_NS22TransformInputIteratorIbN2at6native12_GLOBAL__N_19NonZeroOpIN3c107complexIdEEEEPKSG_lEEPiiNS8_6detail34convert_binary_result_type_wrapperINS8_3SumESK_iEEEE10hipError_tPvRmT1_T2_T3_mT4_P12ihipStream_tbEUlT_E0_NS1_11comp_targetILNS1_3genE10ELNS1_11target_archE1201ELNS1_3gpuE5ELNS1_3repE0EEENS1_30default_config_static_selectorELNS0_4arch9wavefront6targetE0EEEvST_,comdat
.Lfunc_end513:
	.size	_ZN7rocprim17ROCPRIM_400000_NS6detail17trampoline_kernelINS0_14default_configENS1_22reduce_config_selectorIbEEZNS1_11reduce_implILb1ES3_N6hipcub16HIPCUB_304000_NS22TransformInputIteratorIbN2at6native12_GLOBAL__N_19NonZeroOpIN3c107complexIdEEEEPKSG_lEEPiiNS8_6detail34convert_binary_result_type_wrapperINS8_3SumESK_iEEEE10hipError_tPvRmT1_T2_T3_mT4_P12ihipStream_tbEUlT_E0_NS1_11comp_targetILNS1_3genE10ELNS1_11target_archE1201ELNS1_3gpuE5ELNS1_3repE0EEENS1_30default_config_static_selectorELNS0_4arch9wavefront6targetE0EEEvST_, .Lfunc_end513-_ZN7rocprim17ROCPRIM_400000_NS6detail17trampoline_kernelINS0_14default_configENS1_22reduce_config_selectorIbEEZNS1_11reduce_implILb1ES3_N6hipcub16HIPCUB_304000_NS22TransformInputIteratorIbN2at6native12_GLOBAL__N_19NonZeroOpIN3c107complexIdEEEEPKSG_lEEPiiNS8_6detail34convert_binary_result_type_wrapperINS8_3SumESK_iEEEE10hipError_tPvRmT1_T2_T3_mT4_P12ihipStream_tbEUlT_E0_NS1_11comp_targetILNS1_3genE10ELNS1_11target_archE1201ELNS1_3gpuE5ELNS1_3repE0EEENS1_30default_config_static_selectorELNS0_4arch9wavefront6targetE0EEEvST_
                                        ; -- End function
	.section	.AMDGPU.csdata,"",@progbits
; Kernel info:
; codeLenInByte = 0
; NumSgprs: 0
; NumVgprs: 0
; ScratchSize: 0
; MemoryBound: 0
; FloatMode: 240
; IeeeMode: 1
; LDSByteSize: 0 bytes/workgroup (compile time only)
; SGPRBlocks: 0
; VGPRBlocks: 0
; NumSGPRsForWavesPerEU: 1
; NumVGPRsForWavesPerEU: 1
; Occupancy: 16
; WaveLimiterHint : 0
; COMPUTE_PGM_RSRC2:SCRATCH_EN: 0
; COMPUTE_PGM_RSRC2:USER_SGPR: 15
; COMPUTE_PGM_RSRC2:TRAP_HANDLER: 0
; COMPUTE_PGM_RSRC2:TGID_X_EN: 1
; COMPUTE_PGM_RSRC2:TGID_Y_EN: 0
; COMPUTE_PGM_RSRC2:TGID_Z_EN: 0
; COMPUTE_PGM_RSRC2:TIDIG_COMP_CNT: 0
	.section	.text._ZN7rocprim17ROCPRIM_400000_NS6detail17trampoline_kernelINS0_14default_configENS1_22reduce_config_selectorIbEEZNS1_11reduce_implILb1ES3_N6hipcub16HIPCUB_304000_NS22TransformInputIteratorIbN2at6native12_GLOBAL__N_19NonZeroOpIN3c107complexIdEEEEPKSG_lEEPiiNS8_6detail34convert_binary_result_type_wrapperINS8_3SumESK_iEEEE10hipError_tPvRmT1_T2_T3_mT4_P12ihipStream_tbEUlT_E0_NS1_11comp_targetILNS1_3genE10ELNS1_11target_archE1200ELNS1_3gpuE4ELNS1_3repE0EEENS1_30default_config_static_selectorELNS0_4arch9wavefront6targetE0EEEvST_,"axG",@progbits,_ZN7rocprim17ROCPRIM_400000_NS6detail17trampoline_kernelINS0_14default_configENS1_22reduce_config_selectorIbEEZNS1_11reduce_implILb1ES3_N6hipcub16HIPCUB_304000_NS22TransformInputIteratorIbN2at6native12_GLOBAL__N_19NonZeroOpIN3c107complexIdEEEEPKSG_lEEPiiNS8_6detail34convert_binary_result_type_wrapperINS8_3SumESK_iEEEE10hipError_tPvRmT1_T2_T3_mT4_P12ihipStream_tbEUlT_E0_NS1_11comp_targetILNS1_3genE10ELNS1_11target_archE1200ELNS1_3gpuE4ELNS1_3repE0EEENS1_30default_config_static_selectorELNS0_4arch9wavefront6targetE0EEEvST_,comdat
	.globl	_ZN7rocprim17ROCPRIM_400000_NS6detail17trampoline_kernelINS0_14default_configENS1_22reduce_config_selectorIbEEZNS1_11reduce_implILb1ES3_N6hipcub16HIPCUB_304000_NS22TransformInputIteratorIbN2at6native12_GLOBAL__N_19NonZeroOpIN3c107complexIdEEEEPKSG_lEEPiiNS8_6detail34convert_binary_result_type_wrapperINS8_3SumESK_iEEEE10hipError_tPvRmT1_T2_T3_mT4_P12ihipStream_tbEUlT_E0_NS1_11comp_targetILNS1_3genE10ELNS1_11target_archE1200ELNS1_3gpuE4ELNS1_3repE0EEENS1_30default_config_static_selectorELNS0_4arch9wavefront6targetE0EEEvST_ ; -- Begin function _ZN7rocprim17ROCPRIM_400000_NS6detail17trampoline_kernelINS0_14default_configENS1_22reduce_config_selectorIbEEZNS1_11reduce_implILb1ES3_N6hipcub16HIPCUB_304000_NS22TransformInputIteratorIbN2at6native12_GLOBAL__N_19NonZeroOpIN3c107complexIdEEEEPKSG_lEEPiiNS8_6detail34convert_binary_result_type_wrapperINS8_3SumESK_iEEEE10hipError_tPvRmT1_T2_T3_mT4_P12ihipStream_tbEUlT_E0_NS1_11comp_targetILNS1_3genE10ELNS1_11target_archE1200ELNS1_3gpuE4ELNS1_3repE0EEENS1_30default_config_static_selectorELNS0_4arch9wavefront6targetE0EEEvST_
	.p2align	8
	.type	_ZN7rocprim17ROCPRIM_400000_NS6detail17trampoline_kernelINS0_14default_configENS1_22reduce_config_selectorIbEEZNS1_11reduce_implILb1ES3_N6hipcub16HIPCUB_304000_NS22TransformInputIteratorIbN2at6native12_GLOBAL__N_19NonZeroOpIN3c107complexIdEEEEPKSG_lEEPiiNS8_6detail34convert_binary_result_type_wrapperINS8_3SumESK_iEEEE10hipError_tPvRmT1_T2_T3_mT4_P12ihipStream_tbEUlT_E0_NS1_11comp_targetILNS1_3genE10ELNS1_11target_archE1200ELNS1_3gpuE4ELNS1_3repE0EEENS1_30default_config_static_selectorELNS0_4arch9wavefront6targetE0EEEvST_,@function
_ZN7rocprim17ROCPRIM_400000_NS6detail17trampoline_kernelINS0_14default_configENS1_22reduce_config_selectorIbEEZNS1_11reduce_implILb1ES3_N6hipcub16HIPCUB_304000_NS22TransformInputIteratorIbN2at6native12_GLOBAL__N_19NonZeroOpIN3c107complexIdEEEEPKSG_lEEPiiNS8_6detail34convert_binary_result_type_wrapperINS8_3SumESK_iEEEE10hipError_tPvRmT1_T2_T3_mT4_P12ihipStream_tbEUlT_E0_NS1_11comp_targetILNS1_3genE10ELNS1_11target_archE1200ELNS1_3gpuE4ELNS1_3repE0EEENS1_30default_config_static_selectorELNS0_4arch9wavefront6targetE0EEEvST_: ; @_ZN7rocprim17ROCPRIM_400000_NS6detail17trampoline_kernelINS0_14default_configENS1_22reduce_config_selectorIbEEZNS1_11reduce_implILb1ES3_N6hipcub16HIPCUB_304000_NS22TransformInputIteratorIbN2at6native12_GLOBAL__N_19NonZeroOpIN3c107complexIdEEEEPKSG_lEEPiiNS8_6detail34convert_binary_result_type_wrapperINS8_3SumESK_iEEEE10hipError_tPvRmT1_T2_T3_mT4_P12ihipStream_tbEUlT_E0_NS1_11comp_targetILNS1_3genE10ELNS1_11target_archE1200ELNS1_3gpuE4ELNS1_3repE0EEENS1_30default_config_static_selectorELNS0_4arch9wavefront6targetE0EEEvST_
; %bb.0:
	.section	.rodata,"a",@progbits
	.p2align	6, 0x0
	.amdhsa_kernel _ZN7rocprim17ROCPRIM_400000_NS6detail17trampoline_kernelINS0_14default_configENS1_22reduce_config_selectorIbEEZNS1_11reduce_implILb1ES3_N6hipcub16HIPCUB_304000_NS22TransformInputIteratorIbN2at6native12_GLOBAL__N_19NonZeroOpIN3c107complexIdEEEEPKSG_lEEPiiNS8_6detail34convert_binary_result_type_wrapperINS8_3SumESK_iEEEE10hipError_tPvRmT1_T2_T3_mT4_P12ihipStream_tbEUlT_E0_NS1_11comp_targetILNS1_3genE10ELNS1_11target_archE1200ELNS1_3gpuE4ELNS1_3repE0EEENS1_30default_config_static_selectorELNS0_4arch9wavefront6targetE0EEEvST_
		.amdhsa_group_segment_fixed_size 0
		.amdhsa_private_segment_fixed_size 0
		.amdhsa_kernarg_size 64
		.amdhsa_user_sgpr_count 15
		.amdhsa_user_sgpr_dispatch_ptr 0
		.amdhsa_user_sgpr_queue_ptr 0
		.amdhsa_user_sgpr_kernarg_segment_ptr 1
		.amdhsa_user_sgpr_dispatch_id 0
		.amdhsa_user_sgpr_private_segment_size 0
		.amdhsa_wavefront_size32 1
		.amdhsa_uses_dynamic_stack 0
		.amdhsa_enable_private_segment 0
		.amdhsa_system_sgpr_workgroup_id_x 1
		.amdhsa_system_sgpr_workgroup_id_y 0
		.amdhsa_system_sgpr_workgroup_id_z 0
		.amdhsa_system_sgpr_workgroup_info 0
		.amdhsa_system_vgpr_workitem_id 0
		.amdhsa_next_free_vgpr 1
		.amdhsa_next_free_sgpr 1
		.amdhsa_reserve_vcc 0
		.amdhsa_float_round_mode_32 0
		.amdhsa_float_round_mode_16_64 0
		.amdhsa_float_denorm_mode_32 3
		.amdhsa_float_denorm_mode_16_64 3
		.amdhsa_dx10_clamp 1
		.amdhsa_ieee_mode 1
		.amdhsa_fp16_overflow 0
		.amdhsa_workgroup_processor_mode 1
		.amdhsa_memory_ordered 1
		.amdhsa_forward_progress 0
		.amdhsa_shared_vgpr_count 0
		.amdhsa_exception_fp_ieee_invalid_op 0
		.amdhsa_exception_fp_denorm_src 0
		.amdhsa_exception_fp_ieee_div_zero 0
		.amdhsa_exception_fp_ieee_overflow 0
		.amdhsa_exception_fp_ieee_underflow 0
		.amdhsa_exception_fp_ieee_inexact 0
		.amdhsa_exception_int_div_zero 0
	.end_amdhsa_kernel
	.section	.text._ZN7rocprim17ROCPRIM_400000_NS6detail17trampoline_kernelINS0_14default_configENS1_22reduce_config_selectorIbEEZNS1_11reduce_implILb1ES3_N6hipcub16HIPCUB_304000_NS22TransformInputIteratorIbN2at6native12_GLOBAL__N_19NonZeroOpIN3c107complexIdEEEEPKSG_lEEPiiNS8_6detail34convert_binary_result_type_wrapperINS8_3SumESK_iEEEE10hipError_tPvRmT1_T2_T3_mT4_P12ihipStream_tbEUlT_E0_NS1_11comp_targetILNS1_3genE10ELNS1_11target_archE1200ELNS1_3gpuE4ELNS1_3repE0EEENS1_30default_config_static_selectorELNS0_4arch9wavefront6targetE0EEEvST_,"axG",@progbits,_ZN7rocprim17ROCPRIM_400000_NS6detail17trampoline_kernelINS0_14default_configENS1_22reduce_config_selectorIbEEZNS1_11reduce_implILb1ES3_N6hipcub16HIPCUB_304000_NS22TransformInputIteratorIbN2at6native12_GLOBAL__N_19NonZeroOpIN3c107complexIdEEEEPKSG_lEEPiiNS8_6detail34convert_binary_result_type_wrapperINS8_3SumESK_iEEEE10hipError_tPvRmT1_T2_T3_mT4_P12ihipStream_tbEUlT_E0_NS1_11comp_targetILNS1_3genE10ELNS1_11target_archE1200ELNS1_3gpuE4ELNS1_3repE0EEENS1_30default_config_static_selectorELNS0_4arch9wavefront6targetE0EEEvST_,comdat
.Lfunc_end514:
	.size	_ZN7rocprim17ROCPRIM_400000_NS6detail17trampoline_kernelINS0_14default_configENS1_22reduce_config_selectorIbEEZNS1_11reduce_implILb1ES3_N6hipcub16HIPCUB_304000_NS22TransformInputIteratorIbN2at6native12_GLOBAL__N_19NonZeroOpIN3c107complexIdEEEEPKSG_lEEPiiNS8_6detail34convert_binary_result_type_wrapperINS8_3SumESK_iEEEE10hipError_tPvRmT1_T2_T3_mT4_P12ihipStream_tbEUlT_E0_NS1_11comp_targetILNS1_3genE10ELNS1_11target_archE1200ELNS1_3gpuE4ELNS1_3repE0EEENS1_30default_config_static_selectorELNS0_4arch9wavefront6targetE0EEEvST_, .Lfunc_end514-_ZN7rocprim17ROCPRIM_400000_NS6detail17trampoline_kernelINS0_14default_configENS1_22reduce_config_selectorIbEEZNS1_11reduce_implILb1ES3_N6hipcub16HIPCUB_304000_NS22TransformInputIteratorIbN2at6native12_GLOBAL__N_19NonZeroOpIN3c107complexIdEEEEPKSG_lEEPiiNS8_6detail34convert_binary_result_type_wrapperINS8_3SumESK_iEEEE10hipError_tPvRmT1_T2_T3_mT4_P12ihipStream_tbEUlT_E0_NS1_11comp_targetILNS1_3genE10ELNS1_11target_archE1200ELNS1_3gpuE4ELNS1_3repE0EEENS1_30default_config_static_selectorELNS0_4arch9wavefront6targetE0EEEvST_
                                        ; -- End function
	.section	.AMDGPU.csdata,"",@progbits
; Kernel info:
; codeLenInByte = 0
; NumSgprs: 0
; NumVgprs: 0
; ScratchSize: 0
; MemoryBound: 0
; FloatMode: 240
; IeeeMode: 1
; LDSByteSize: 0 bytes/workgroup (compile time only)
; SGPRBlocks: 0
; VGPRBlocks: 0
; NumSGPRsForWavesPerEU: 1
; NumVGPRsForWavesPerEU: 1
; Occupancy: 16
; WaveLimiterHint : 0
; COMPUTE_PGM_RSRC2:SCRATCH_EN: 0
; COMPUTE_PGM_RSRC2:USER_SGPR: 15
; COMPUTE_PGM_RSRC2:TRAP_HANDLER: 0
; COMPUTE_PGM_RSRC2:TGID_X_EN: 1
; COMPUTE_PGM_RSRC2:TGID_Y_EN: 0
; COMPUTE_PGM_RSRC2:TGID_Z_EN: 0
; COMPUTE_PGM_RSRC2:TIDIG_COMP_CNT: 0
	.section	.text._ZN7rocprim17ROCPRIM_400000_NS6detail17trampoline_kernelINS0_14default_configENS1_22reduce_config_selectorIbEEZNS1_11reduce_implILb1ES3_N6hipcub16HIPCUB_304000_NS22TransformInputIteratorIbN2at6native12_GLOBAL__N_19NonZeroOpIN3c107complexIdEEEEPKSG_lEEPiiNS8_6detail34convert_binary_result_type_wrapperINS8_3SumESK_iEEEE10hipError_tPvRmT1_T2_T3_mT4_P12ihipStream_tbEUlT_E0_NS1_11comp_targetILNS1_3genE9ELNS1_11target_archE1100ELNS1_3gpuE3ELNS1_3repE0EEENS1_30default_config_static_selectorELNS0_4arch9wavefront6targetE0EEEvST_,"axG",@progbits,_ZN7rocprim17ROCPRIM_400000_NS6detail17trampoline_kernelINS0_14default_configENS1_22reduce_config_selectorIbEEZNS1_11reduce_implILb1ES3_N6hipcub16HIPCUB_304000_NS22TransformInputIteratorIbN2at6native12_GLOBAL__N_19NonZeroOpIN3c107complexIdEEEEPKSG_lEEPiiNS8_6detail34convert_binary_result_type_wrapperINS8_3SumESK_iEEEE10hipError_tPvRmT1_T2_T3_mT4_P12ihipStream_tbEUlT_E0_NS1_11comp_targetILNS1_3genE9ELNS1_11target_archE1100ELNS1_3gpuE3ELNS1_3repE0EEENS1_30default_config_static_selectorELNS0_4arch9wavefront6targetE0EEEvST_,comdat
	.globl	_ZN7rocprim17ROCPRIM_400000_NS6detail17trampoline_kernelINS0_14default_configENS1_22reduce_config_selectorIbEEZNS1_11reduce_implILb1ES3_N6hipcub16HIPCUB_304000_NS22TransformInputIteratorIbN2at6native12_GLOBAL__N_19NonZeroOpIN3c107complexIdEEEEPKSG_lEEPiiNS8_6detail34convert_binary_result_type_wrapperINS8_3SumESK_iEEEE10hipError_tPvRmT1_T2_T3_mT4_P12ihipStream_tbEUlT_E0_NS1_11comp_targetILNS1_3genE9ELNS1_11target_archE1100ELNS1_3gpuE3ELNS1_3repE0EEENS1_30default_config_static_selectorELNS0_4arch9wavefront6targetE0EEEvST_ ; -- Begin function _ZN7rocprim17ROCPRIM_400000_NS6detail17trampoline_kernelINS0_14default_configENS1_22reduce_config_selectorIbEEZNS1_11reduce_implILb1ES3_N6hipcub16HIPCUB_304000_NS22TransformInputIteratorIbN2at6native12_GLOBAL__N_19NonZeroOpIN3c107complexIdEEEEPKSG_lEEPiiNS8_6detail34convert_binary_result_type_wrapperINS8_3SumESK_iEEEE10hipError_tPvRmT1_T2_T3_mT4_P12ihipStream_tbEUlT_E0_NS1_11comp_targetILNS1_3genE9ELNS1_11target_archE1100ELNS1_3gpuE3ELNS1_3repE0EEENS1_30default_config_static_selectorELNS0_4arch9wavefront6targetE0EEEvST_
	.p2align	8
	.type	_ZN7rocprim17ROCPRIM_400000_NS6detail17trampoline_kernelINS0_14default_configENS1_22reduce_config_selectorIbEEZNS1_11reduce_implILb1ES3_N6hipcub16HIPCUB_304000_NS22TransformInputIteratorIbN2at6native12_GLOBAL__N_19NonZeroOpIN3c107complexIdEEEEPKSG_lEEPiiNS8_6detail34convert_binary_result_type_wrapperINS8_3SumESK_iEEEE10hipError_tPvRmT1_T2_T3_mT4_P12ihipStream_tbEUlT_E0_NS1_11comp_targetILNS1_3genE9ELNS1_11target_archE1100ELNS1_3gpuE3ELNS1_3repE0EEENS1_30default_config_static_selectorELNS0_4arch9wavefront6targetE0EEEvST_,@function
_ZN7rocprim17ROCPRIM_400000_NS6detail17trampoline_kernelINS0_14default_configENS1_22reduce_config_selectorIbEEZNS1_11reduce_implILb1ES3_N6hipcub16HIPCUB_304000_NS22TransformInputIteratorIbN2at6native12_GLOBAL__N_19NonZeroOpIN3c107complexIdEEEEPKSG_lEEPiiNS8_6detail34convert_binary_result_type_wrapperINS8_3SumESK_iEEEE10hipError_tPvRmT1_T2_T3_mT4_P12ihipStream_tbEUlT_E0_NS1_11comp_targetILNS1_3genE9ELNS1_11target_archE1100ELNS1_3gpuE3ELNS1_3repE0EEENS1_30default_config_static_selectorELNS0_4arch9wavefront6targetE0EEEvST_: ; @_ZN7rocprim17ROCPRIM_400000_NS6detail17trampoline_kernelINS0_14default_configENS1_22reduce_config_selectorIbEEZNS1_11reduce_implILb1ES3_N6hipcub16HIPCUB_304000_NS22TransformInputIteratorIbN2at6native12_GLOBAL__N_19NonZeroOpIN3c107complexIdEEEEPKSG_lEEPiiNS8_6detail34convert_binary_result_type_wrapperINS8_3SumESK_iEEEE10hipError_tPvRmT1_T2_T3_mT4_P12ihipStream_tbEUlT_E0_NS1_11comp_targetILNS1_3genE9ELNS1_11target_archE1100ELNS1_3gpuE3ELNS1_3repE0EEENS1_30default_config_static_selectorELNS0_4arch9wavefront6targetE0EEEvST_
; %bb.0:
	s_clause 0x2
	s_load_b256 s[36:43], s[0:1], 0x10
	s_load_b64 s[2:3], s[0:1], 0x0
	s_load_b64 s[44:45], s[0:1], 0x30
	s_mov_b32 s47, 0
	v_lshlrev_b32_e32 v18, 4, v0
	v_mbcnt_lo_u32_b32 v17, -1, 0
	s_mov_b32 s34, s15
	s_mov_b32 s35, s47
	s_waitcnt lgkmcnt(0)
	s_lshl_b64 s[4:5], s[36:37], 4
	s_delay_alu instid0(SALU_CYCLE_1) | instskip(SKIP_4) | instid1(SALU_CYCLE_1)
	s_add_u32 s6, s2, s4
	s_addc_u32 s7, s3, s5
	s_lshl_b32 s46, s15, 11
	s_lshr_b64 s[4:5], s[38:39], 11
	s_lshl_b64 s[2:3], s[46:47], 4
	s_add_u32 s36, s6, s2
	s_addc_u32 s37, s7, s3
	s_cmp_lg_u64 s[4:5], s[34:35]
	s_cbranch_scc0 .LBB515_6
; %bb.1:
	v_add_co_u32 v53, s2, s36, v18
	s_delay_alu instid0(VALU_DEP_1)
	v_add_co_ci_u32_e64 v54, null, s37, 0, s2
	s_clause 0x1
	global_load_b128 v[1:4], v18, s[36:37]
	global_load_b128 v[5:8], v18, s[36:37] offset:2048
	v_add_co_u32 v19, vcc_lo, 0x1000, v53
	v_add_co_ci_u32_e32 v20, vcc_lo, 0, v54, vcc_lo
	v_add_co_u32 v13, vcc_lo, v53, 0x2000
	v_add_co_ci_u32_e32 v14, vcc_lo, 0, v54, vcc_lo
	;; [unrolled: 2-line block ×3, first 2 shown]
	s_clause 0x1
	global_load_b128 v[9:12], v[13:14], off offset:-4096
	global_load_b128 v[13:16], v[13:14], off
	v_add_co_u32 v35, vcc_lo, 0x3000, v53
	v_add_co_ci_u32_e32 v36, vcc_lo, 0, v54, vcc_lo
	v_add_co_u32 v31, vcc_lo, v53, 0x4000
	v_add_co_ci_u32_e32 v32, vcc_lo, 0, v54, vcc_lo
	;; [unrolled: 2-line block ×3, first 2 shown]
	s_clause 0x5
	global_load_b128 v[19:22], v[19:20], off offset:2048
	global_load_b128 v[23:26], v[23:24], off offset:2048
	global_load_b128 v[27:30], v[31:32], off offset:-4096
	global_load_b128 v[31:34], v[31:32], off
	global_load_b128 v[35:38], v[35:36], off offset:2048
	global_load_b128 v[39:42], v[39:40], off offset:2048
	v_add_co_u32 v47, vcc_lo, v53, 0x6000
	v_add_co_ci_u32_e32 v48, vcc_lo, 0, v54, vcc_lo
	v_add_co_u32 v51, vcc_lo, 0x5000, v53
	v_add_co_ci_u32_e32 v52, vcc_lo, 0, v54, vcc_lo
	v_add_co_u32 v63, vcc_lo, 0x7000, v53
	s_clause 0x1
	global_load_b128 v[43:46], v[47:48], off offset:-4096
	global_load_b128 v[47:50], v[47:48], off
	v_add_co_ci_u32_e32 v64, vcc_lo, 0, v54, vcc_lo
	v_add_co_u32 v59, vcc_lo, 0x6000, v53
	v_add_co_ci_u32_e32 v60, vcc_lo, 0, v54, vcc_lo
	s_clause 0x3
	global_load_b128 v[51:54], v[51:52], off offset:2048
	global_load_b128 v[55:58], v[63:64], off
	global_load_b128 v[59:62], v[59:60], off offset:2048
	global_load_b128 v[63:66], v[63:64], off offset:2048
	s_waitcnt vmcnt(15)
	v_cmp_neq_f64_e32 vcc_lo, 0, v[1:2]
	v_cmp_neq_f64_e64 s2, 0, v[3:4]
	s_waitcnt vmcnt(14)
	v_cmp_neq_f64_e64 s5, 0, v[5:6]
	v_cmp_neq_f64_e64 s6, 0, v[7:8]
	s_waitcnt vmcnt(13)
	v_cmp_neq_f64_e64 s3, 0, v[9:10]
	;; [unrolled: 3-line block ×5, first 2 shown]
	v_cmp_neq_f64_e64 s12, 0, v[29:30]
	v_cmp_neq_f64_e64 s13, 0, v[23:24]
	;; [unrolled: 1-line block ×3, first 2 shown]
	s_waitcnt vmcnt(8)
	v_cmp_neq_f64_e64 s15, 0, v[31:32]
	v_cmp_neq_f64_e64 s16, 0, v[33:34]
	s_waitcnt vmcnt(7)
	v_cmp_neq_f64_e64 s17, 0, v[35:36]
	v_cmp_neq_f64_e64 s18, 0, v[37:38]
	;; [unrolled: 3-line block ×5, first 2 shown]
	s_or_b32 s2, vcc_lo, s2
	s_or_b32 vcc_lo, s5, s6
	s_waitcnt vmcnt(3)
	v_cmp_neq_f64_e64 s25, 0, v[51:52]
	v_cmp_neq_f64_e64 s26, 0, v[53:54]
	s_waitcnt vmcnt(2)
	v_cmp_neq_f64_e64 s27, 0, v[55:56]
	v_cmp_neq_f64_e64 s28, 0, v[57:58]
	;; [unrolled: 3-line block ×4, first 2 shown]
	v_cndmask_b32_e64 v1, 0, 1, s2
	s_or_b32 s2, s3, s4
	s_delay_alu instid0(SALU_CYCLE_1) | instskip(SKIP_1) | instid1(VALU_DEP_2)
	v_cndmask_b32_e64 v2, 0, 1, s2
	s_or_b32 s2, s7, s8
	v_add_co_ci_u32_e32 v1, vcc_lo, 0, v1, vcc_lo
	v_cndmask_b32_e64 v3, 0, 1, s2
	s_or_b32 vcc_lo, s9, s10
	s_delay_alu instid0(VALU_DEP_2) | instskip(SKIP_3) | instid1(VALU_DEP_2)
	v_add_co_ci_u32_e32 v1, vcc_lo, v1, v2, vcc_lo
	s_or_b32 s2, s11, s12
	s_or_b32 vcc_lo, s13, s14
	v_cndmask_b32_e64 v2, 0, 1, s2
	v_add_co_ci_u32_e32 v1, vcc_lo, v1, v3, vcc_lo
	s_or_b32 s2, s15, s16
	s_or_b32 vcc_lo, s17, s18
	v_cndmask_b32_e64 v3, 0, 1, s2
	s_delay_alu instid0(VALU_DEP_2) | instskip(SKIP_2) | instid1(SALU_CYCLE_1)
	v_add_co_ci_u32_e32 v1, vcc_lo, v1, v2, vcc_lo
	s_or_b32 vcc_lo, s21, s22
	s_or_b32 s2, s19, s20
	v_cndmask_b32_e64 v2, 0, 1, s2
	s_delay_alu instid0(VALU_DEP_2) | instskip(SKIP_3) | instid1(VALU_DEP_2)
	v_add_co_ci_u32_e32 v1, vcc_lo, v1, v3, vcc_lo
	s_or_b32 s2, s23, s24
	s_or_b32 vcc_lo, s25, s26
	v_cndmask_b32_e64 v3, 0, 1, s2
	v_add_co_ci_u32_e32 v1, vcc_lo, v1, v2, vcc_lo
	s_or_b32 s2, s27, s28
	s_or_b32 vcc_lo, s29, s30
	v_cndmask_b32_e64 v2, 0, 1, s2
	s_delay_alu instid0(VALU_DEP_2) | instskip(SKIP_3) | instid1(VALU_DEP_2)
	v_add_co_ci_u32_e32 v1, vcc_lo, v1, v3, vcc_lo
	s_or_b32 vcc_lo, s31, s33
	v_mov_b32_e32 v3, 0
	s_mov_b32 s2, exec_lo
	v_add_co_ci_u32_e32 v1, vcc_lo, v1, v2, vcc_lo
	s_delay_alu instid0(VALU_DEP_1) | instskip(NEXT) | instid1(VALU_DEP_1)
	v_mov_b32_dpp v2, v1 quad_perm:[1,0,3,2] row_mask:0xf bank_mask:0xf
	v_add_nc_u32_e32 v1, v1, v2
	s_delay_alu instid0(VALU_DEP_1) | instskip(NEXT) | instid1(VALU_DEP_1)
	v_mov_b32_dpp v2, v1 quad_perm:[2,3,0,1] row_mask:0xf bank_mask:0xf
	v_add_nc_u32_e32 v1, v1, v2
	s_delay_alu instid0(VALU_DEP_1) | instskip(NEXT) | instid1(VALU_DEP_1)
	v_mov_b32_dpp v2, v1 row_ror:4 row_mask:0xf bank_mask:0xf
	v_add_nc_u32_e32 v1, v1, v2
	s_delay_alu instid0(VALU_DEP_1) | instskip(NEXT) | instid1(VALU_DEP_1)
	v_mov_b32_dpp v2, v1 row_ror:8 row_mask:0xf bank_mask:0xf
	v_add_nc_u32_e32 v1, v1, v2
	ds_swizzle_b32 v2, v1 offset:swizzle(BROADCAST,32,15)
	s_waitcnt lgkmcnt(0)
	v_add_nc_u32_e32 v1, v1, v2
	ds_bpermute_b32 v1, v3, v1 offset:124
	v_cmpx_eq_u32_e32 0, v17
	s_cbranch_execz .LBB515_3
; %bb.2:
	v_lshrrev_b32_e32 v2, 3, v0
	s_delay_alu instid0(VALU_DEP_1)
	v_and_b32_e32 v2, 12, v2
	s_waitcnt lgkmcnt(0)
	ds_store_b32 v2, v1
.LBB515_3:
	s_or_b32 exec_lo, exec_lo, s2
	s_delay_alu instid0(SALU_CYCLE_1)
	s_mov_b32 s2, exec_lo
	s_waitcnt lgkmcnt(0)
	s_barrier
	buffer_gl0_inv
	v_cmpx_gt_u32_e32 32, v0
	s_cbranch_execz .LBB515_5
; %bb.4:
	v_and_b32_e32 v1, 3, v17
	s_delay_alu instid0(VALU_DEP_1) | instskip(SKIP_4) | instid1(VALU_DEP_2)
	v_lshlrev_b32_e32 v2, 2, v1
	v_cmp_ne_u32_e32 vcc_lo, 3, v1
	ds_load_b32 v2, v2
	v_add_co_ci_u32_e32 v3, vcc_lo, 0, v17, vcc_lo
	v_cmp_gt_u32_e32 vcc_lo, 2, v1
	v_lshlrev_b32_e32 v3, 2, v3
	v_cndmask_b32_e64 v1, 0, 1, vcc_lo
	s_delay_alu instid0(VALU_DEP_1) | instskip(NEXT) | instid1(VALU_DEP_1)
	v_lshlrev_b32_e32 v1, 1, v1
	v_add_lshl_u32 v1, v1, v17, 2
	s_waitcnt lgkmcnt(0)
	ds_bpermute_b32 v3, v3, v2
	s_waitcnt lgkmcnt(0)
	v_add_nc_u32_e32 v2, v3, v2
	ds_bpermute_b32 v1, v1, v2
	s_waitcnt lgkmcnt(0)
	v_add_nc_u32_e32 v1, v1, v2
.LBB515_5:
	s_or_b32 exec_lo, exec_lo, s2
	s_branch .LBB515_44
.LBB515_6:
                                        ; implicit-def: $vgpr1
	s_cbranch_execz .LBB515_44
; %bb.7:
	s_sub_i32 s18, s38, s46
	s_mov_b32 s3, exec_lo
                                        ; implicit-def: $vgpr1_vgpr2_vgpr3_vgpr4_vgpr5_vgpr6_vgpr7_vgpr8_vgpr9_vgpr10_vgpr11_vgpr12_vgpr13_vgpr14_vgpr15_vgpr16
	v_cmpx_gt_u32_e64 s18, v0
	s_cbranch_execz .LBB515_9
; %bb.8:
	global_load_b128 v[1:4], v18, s[36:37]
	s_waitcnt vmcnt(0)
	v_cmp_neq_f64_e32 vcc_lo, 0, v[1:2]
	v_cmp_neq_f64_e64 s2, 0, v[3:4]
	s_delay_alu instid0(VALU_DEP_1) | instskip(NEXT) | instid1(SALU_CYCLE_1)
	s_or_b32 s2, vcc_lo, s2
	v_cndmask_b32_e64 v1, 0, 1, s2
.LBB515_9:
	s_or_b32 exec_lo, exec_lo, s3
	v_or_b32_e32 v19, 0x80, v0
	s_delay_alu instid0(VALU_DEP_1)
	v_cmp_gt_u32_e32 vcc_lo, s18, v19
	s_and_saveexec_b32 s4, vcc_lo
	s_cbranch_execz .LBB515_11
; %bb.10:
	global_load_b128 v[18:21], v18, s[36:37] offset:2048
	s_waitcnt vmcnt(0)
	v_cmp_neq_f64_e64 s2, 0, v[18:19]
	v_cmp_neq_f64_e64 s3, 0, v[20:21]
	s_delay_alu instid0(VALU_DEP_1) | instskip(NEXT) | instid1(SALU_CYCLE_1)
	s_or_b32 s2, s2, s3
	v_cndmask_b32_e64 v2, 0, 1, s2
.LBB515_11:
	s_or_b32 exec_lo, exec_lo, s4
	v_or_b32_e32 v18, 0x100, v0
	s_delay_alu instid0(VALU_DEP_1) | instskip(NEXT) | instid1(VALU_DEP_1)
	v_cmp_gt_u32_e64 s2, s18, v18
	s_and_saveexec_b32 s5, s2
	s_cbranch_execz .LBB515_13
; %bb.12:
	v_lshlrev_b32_e32 v3, 4, v18
	global_load_b128 v[18:21], v3, s[36:37]
	s_waitcnt vmcnt(0)
	v_cmp_neq_f64_e64 s3, 0, v[18:19]
	v_cmp_neq_f64_e64 s4, 0, v[20:21]
	s_delay_alu instid0(VALU_DEP_1) | instskip(NEXT) | instid1(SALU_CYCLE_1)
	s_or_b32 s3, s3, s4
	v_cndmask_b32_e64 v3, 0, 1, s3
.LBB515_13:
	s_or_b32 exec_lo, exec_lo, s5
	v_or_b32_e32 v18, 0x180, v0
	s_delay_alu instid0(VALU_DEP_1) | instskip(NEXT) | instid1(VALU_DEP_1)
	v_cmp_gt_u32_e64 s3, s18, v18
	s_and_saveexec_b32 s6, s3
	s_cbranch_execz .LBB515_15
; %bb.14:
	v_lshlrev_b32_e32 v4, 4, v18
	global_load_b128 v[18:21], v4, s[36:37]
	s_waitcnt vmcnt(0)
	v_cmp_neq_f64_e64 s4, 0, v[18:19]
	v_cmp_neq_f64_e64 s5, 0, v[20:21]
	s_delay_alu instid0(VALU_DEP_1) | instskip(NEXT) | instid1(SALU_CYCLE_1)
	s_or_b32 s4, s4, s5
	v_cndmask_b32_e64 v4, 0, 1, s4
.LBB515_15:
	;; [unrolled: 16-line block ×14, first 2 shown]
	s_or_b32 exec_lo, exec_lo, s19
	v_cndmask_b32_e32 v2, 0, v2, vcc_lo
	v_cndmask_b32_e64 v3, 0, v3, s2
	v_cndmask_b32_e64 v4, 0, v4, s3
	v_cmp_ne_u32_e32 vcc_lo, 31, v17
	s_min_u32 s2, s18, 0x80
	v_add_nc_u32_e32 v1, v2, v1
	v_cndmask_b32_e64 v2, 0, v5, s4
	v_cndmask_b32_e64 v5, 0, v6, s5
	;; [unrolled: 1-line block ×3, first 2 shown]
	s_mov_b32 s3, exec_lo
	v_add3_u32 v1, v1, v3, v4
	v_cndmask_b32_e64 v3, 0, v7, s6
	v_cndmask_b32_e64 v4, 0, v8, s7
	s_delay_alu instid0(VALU_DEP_3) | instskip(SKIP_2) | instid1(VALU_DEP_3)
	v_add3_u32 v1, v1, v2, v5
	v_cndmask_b32_e64 v2, 0, v9, s8
	v_cndmask_b32_e64 v5, 0, v10, s9
	v_add3_u32 v1, v1, v3, v4
	v_cndmask_b32_e64 v3, 0, v11, s10
	v_cndmask_b32_e64 v4, 0, v12, s11
	s_delay_alu instid0(VALU_DEP_3) | instskip(SKIP_2) | instid1(VALU_DEP_3)
	v_add3_u32 v1, v1, v2, v5
	v_cndmask_b32_e64 v2, 0, v13, s12
	v_cndmask_b32_e64 v5, 0, v14, s13
	v_add3_u32 v1, v1, v3, v4
	v_cndmask_b32_e64 v3, 0, v16, s15
	v_add_co_ci_u32_e32 v4, vcc_lo, 0, v17, vcc_lo
	v_cmp_gt_u32_e32 vcc_lo, 30, v17
	s_delay_alu instid0(VALU_DEP_4) | instskip(NEXT) | instid1(VALU_DEP_3)
	v_add3_u32 v1, v1, v2, v5
	v_lshlrev_b32_e32 v2, 2, v4
	v_add_nc_u32_e32 v4, 1, v17
	v_cndmask_b32_e64 v5, 0, 1, vcc_lo
	s_delay_alu instid0(VALU_DEP_4) | instskip(SKIP_1) | instid1(VALU_DEP_3)
	v_add3_u32 v1, v1, v6, v3
	v_and_b32_e32 v3, 0x60, v0
	v_lshlrev_b32_e32 v5, 1, v5
	ds_bpermute_b32 v2, v2, v1
	v_sub_nc_u32_e64 v3, s2, v3 clamp
	s_delay_alu instid0(VALU_DEP_1) | instskip(SKIP_4) | instid1(VALU_DEP_2)
	v_cmp_lt_u32_e32 vcc_lo, v4, v3
	v_add_lshl_u32 v4, v5, v17, 2
	s_waitcnt lgkmcnt(0)
	v_dual_cndmask_b32 v2, 0, v2 :: v_dual_add_nc_u32 v5, 2, v17
	v_cmp_gt_u32_e32 vcc_lo, 28, v17
	v_add_nc_u32_e32 v1, v1, v2
	ds_bpermute_b32 v2, v4, v1
	v_cndmask_b32_e64 v4, 0, 1, vcc_lo
	v_cmp_lt_u32_e32 vcc_lo, v5, v3
	v_add_nc_u32_e32 v5, 4, v17
	s_delay_alu instid0(VALU_DEP_3) | instskip(NEXT) | instid1(VALU_DEP_1)
	v_lshlrev_b32_e32 v4, 2, v4
	v_add_lshl_u32 v4, v4, v17, 2
	s_waitcnt lgkmcnt(0)
	v_cndmask_b32_e32 v2, 0, v2, vcc_lo
	v_cmp_gt_u32_e32 vcc_lo, 24, v17
	s_delay_alu instid0(VALU_DEP_2) | instskip(SKIP_4) | instid1(VALU_DEP_3)
	v_add_nc_u32_e32 v1, v1, v2
	ds_bpermute_b32 v2, v4, v1
	v_cndmask_b32_e64 v4, 0, 1, vcc_lo
	v_cmp_lt_u32_e32 vcc_lo, v5, v3
	v_add_nc_u32_e32 v5, 8, v17
	v_lshlrev_b32_e32 v4, 3, v4
	s_delay_alu instid0(VALU_DEP_1) | instskip(SKIP_3) | instid1(VALU_DEP_2)
	v_add_lshl_u32 v4, v4, v17, 2
	s_waitcnt lgkmcnt(0)
	v_cndmask_b32_e32 v2, 0, v2, vcc_lo
	v_cmp_gt_u32_e32 vcc_lo, 16, v17
	v_add_nc_u32_e32 v1, v1, v2
	ds_bpermute_b32 v2, v4, v1
	v_cndmask_b32_e64 v4, 0, 1, vcc_lo
	v_cmp_lt_u32_e32 vcc_lo, v5, v3
	s_delay_alu instid0(VALU_DEP_2) | instskip(NEXT) | instid1(VALU_DEP_1)
	v_lshlrev_b32_e32 v4, 4, v4
	v_add_lshl_u32 v4, v4, v17, 2
	s_waitcnt lgkmcnt(0)
	v_cndmask_b32_e32 v2, 0, v2, vcc_lo
	s_delay_alu instid0(VALU_DEP_1) | instskip(SKIP_2) | instid1(VALU_DEP_1)
	v_add_nc_u32_e32 v1, v1, v2
	ds_bpermute_b32 v2, v4, v1
	v_add_nc_u32_e32 v4, 16, v17
	v_cmp_lt_u32_e32 vcc_lo, v4, v3
	s_waitcnt lgkmcnt(0)
	v_cndmask_b32_e32 v2, 0, v2, vcc_lo
	s_delay_alu instid0(VALU_DEP_1)
	v_add_nc_u32_e32 v1, v1, v2
	v_cmpx_eq_u32_e32 0, v17
	s_cbranch_execz .LBB515_41
; %bb.40:
	v_lshrrev_b32_e32 v2, 3, v0
	s_delay_alu instid0(VALU_DEP_1)
	v_and_b32_e32 v2, 12, v2
	ds_store_b32 v2, v1 offset:16
.LBB515_41:
	s_or_b32 exec_lo, exec_lo, s3
	s_delay_alu instid0(SALU_CYCLE_1)
	s_mov_b32 s3, exec_lo
	s_waitcnt lgkmcnt(0)
	s_barrier
	buffer_gl0_inv
	v_cmpx_gt_u32_e32 4, v0
	s_cbranch_execz .LBB515_43
; %bb.42:
	v_lshlrev_b32_e32 v1, 2, v17
	v_and_b32_e32 v2, 3, v17
	s_add_i32 s2, s2, 31
	s_delay_alu instid0(SALU_CYCLE_1)
	s_lshr_b32 s2, s2, 5
	ds_load_b32 v1, v1 offset:16
	v_cmp_ne_u32_e32 vcc_lo, 3, v2
	v_add_nc_u32_e32 v4, 1, v2
	v_add_co_ci_u32_e32 v3, vcc_lo, 0, v17, vcc_lo
	v_cmp_gt_u32_e32 vcc_lo, 2, v2
	s_delay_alu instid0(VALU_DEP_2) | instskip(SKIP_2) | instid1(VALU_DEP_2)
	v_lshlrev_b32_e32 v3, 2, v3
	v_cndmask_b32_e64 v5, 0, 1, vcc_lo
	v_cmp_gt_u32_e32 vcc_lo, s2, v4
	v_lshlrev_b32_e32 v4, 1, v5
	s_waitcnt lgkmcnt(0)
	ds_bpermute_b32 v3, v3, v1
	s_waitcnt lgkmcnt(0)
	v_dual_cndmask_b32 v3, 0, v3 :: v_dual_add_nc_u32 v2, 2, v2
	s_delay_alu instid0(VALU_DEP_1) | instskip(SKIP_1) | instid1(VALU_DEP_3)
	v_add_nc_u32_e32 v1, v3, v1
	v_add_lshl_u32 v3, v4, v17, 2
	v_cmp_gt_u32_e32 vcc_lo, s2, v2
	ds_bpermute_b32 v3, v3, v1
	s_waitcnt lgkmcnt(0)
	v_cndmask_b32_e32 v2, 0, v3, vcc_lo
	s_delay_alu instid0(VALU_DEP_1)
	v_add_nc_u32_e32 v1, v1, v2
.LBB515_43:
	s_or_b32 exec_lo, exec_lo, s3
.LBB515_44:
	s_load_b32 s0, s[0:1], 0x38
	s_mov_b32 s1, exec_lo
	v_cmpx_eq_u32_e32 0, v0
	s_cbranch_execz .LBB515_46
; %bb.45:
	s_mul_i32 s1, s44, s43
	s_mul_hi_u32 s2, s44, s42
	s_mul_i32 s3, s45, s42
	s_add_i32 s1, s2, s1
	s_mul_i32 s2, s44, s42
	s_add_i32 s3, s1, s3
	s_delay_alu instid0(SALU_CYCLE_1) | instskip(NEXT) | instid1(SALU_CYCLE_1)
	s_lshl_b64 s[2:3], s[2:3], 2
	s_add_u32 s2, s40, s2
	s_addc_u32 s3, s41, s3
	s_cmp_eq_u64 s[38:39], 0
	s_cselect_b32 s1, -1, 0
	s_waitcnt lgkmcnt(0)
	v_cndmask_b32_e64 v0, v1, s0, s1
	s_lshl_b64 s[0:1], s[34:35], 2
	v_mov_b32_e32 v1, 0
	s_add_u32 s0, s2, s0
	s_addc_u32 s1, s3, s1
	global_store_b32 v1, v0, s[0:1]
.LBB515_46:
	s_nop 0
	s_sendmsg sendmsg(MSG_DEALLOC_VGPRS)
	s_endpgm
	.section	.rodata,"a",@progbits
	.p2align	6, 0x0
	.amdhsa_kernel _ZN7rocprim17ROCPRIM_400000_NS6detail17trampoline_kernelINS0_14default_configENS1_22reduce_config_selectorIbEEZNS1_11reduce_implILb1ES3_N6hipcub16HIPCUB_304000_NS22TransformInputIteratorIbN2at6native12_GLOBAL__N_19NonZeroOpIN3c107complexIdEEEEPKSG_lEEPiiNS8_6detail34convert_binary_result_type_wrapperINS8_3SumESK_iEEEE10hipError_tPvRmT1_T2_T3_mT4_P12ihipStream_tbEUlT_E0_NS1_11comp_targetILNS1_3genE9ELNS1_11target_archE1100ELNS1_3gpuE3ELNS1_3repE0EEENS1_30default_config_static_selectorELNS0_4arch9wavefront6targetE0EEEvST_
		.amdhsa_group_segment_fixed_size 32
		.amdhsa_private_segment_fixed_size 0
		.amdhsa_kernarg_size 64
		.amdhsa_user_sgpr_count 15
		.amdhsa_user_sgpr_dispatch_ptr 0
		.amdhsa_user_sgpr_queue_ptr 0
		.amdhsa_user_sgpr_kernarg_segment_ptr 1
		.amdhsa_user_sgpr_dispatch_id 0
		.amdhsa_user_sgpr_private_segment_size 0
		.amdhsa_wavefront_size32 1
		.amdhsa_uses_dynamic_stack 0
		.amdhsa_enable_private_segment 0
		.amdhsa_system_sgpr_workgroup_id_x 1
		.amdhsa_system_sgpr_workgroup_id_y 0
		.amdhsa_system_sgpr_workgroup_id_z 0
		.amdhsa_system_sgpr_workgroup_info 0
		.amdhsa_system_vgpr_workitem_id 0
		.amdhsa_next_free_vgpr 67
		.amdhsa_next_free_sgpr 48
		.amdhsa_reserve_vcc 1
		.amdhsa_float_round_mode_32 0
		.amdhsa_float_round_mode_16_64 0
		.amdhsa_float_denorm_mode_32 3
		.amdhsa_float_denorm_mode_16_64 3
		.amdhsa_dx10_clamp 1
		.amdhsa_ieee_mode 1
		.amdhsa_fp16_overflow 0
		.amdhsa_workgroup_processor_mode 1
		.amdhsa_memory_ordered 1
		.amdhsa_forward_progress 0
		.amdhsa_shared_vgpr_count 0
		.amdhsa_exception_fp_ieee_invalid_op 0
		.amdhsa_exception_fp_denorm_src 0
		.amdhsa_exception_fp_ieee_div_zero 0
		.amdhsa_exception_fp_ieee_overflow 0
		.amdhsa_exception_fp_ieee_underflow 0
		.amdhsa_exception_fp_ieee_inexact 0
		.amdhsa_exception_int_div_zero 0
	.end_amdhsa_kernel
	.section	.text._ZN7rocprim17ROCPRIM_400000_NS6detail17trampoline_kernelINS0_14default_configENS1_22reduce_config_selectorIbEEZNS1_11reduce_implILb1ES3_N6hipcub16HIPCUB_304000_NS22TransformInputIteratorIbN2at6native12_GLOBAL__N_19NonZeroOpIN3c107complexIdEEEEPKSG_lEEPiiNS8_6detail34convert_binary_result_type_wrapperINS8_3SumESK_iEEEE10hipError_tPvRmT1_T2_T3_mT4_P12ihipStream_tbEUlT_E0_NS1_11comp_targetILNS1_3genE9ELNS1_11target_archE1100ELNS1_3gpuE3ELNS1_3repE0EEENS1_30default_config_static_selectorELNS0_4arch9wavefront6targetE0EEEvST_,"axG",@progbits,_ZN7rocprim17ROCPRIM_400000_NS6detail17trampoline_kernelINS0_14default_configENS1_22reduce_config_selectorIbEEZNS1_11reduce_implILb1ES3_N6hipcub16HIPCUB_304000_NS22TransformInputIteratorIbN2at6native12_GLOBAL__N_19NonZeroOpIN3c107complexIdEEEEPKSG_lEEPiiNS8_6detail34convert_binary_result_type_wrapperINS8_3SumESK_iEEEE10hipError_tPvRmT1_T2_T3_mT4_P12ihipStream_tbEUlT_E0_NS1_11comp_targetILNS1_3genE9ELNS1_11target_archE1100ELNS1_3gpuE3ELNS1_3repE0EEENS1_30default_config_static_selectorELNS0_4arch9wavefront6targetE0EEEvST_,comdat
.Lfunc_end515:
	.size	_ZN7rocprim17ROCPRIM_400000_NS6detail17trampoline_kernelINS0_14default_configENS1_22reduce_config_selectorIbEEZNS1_11reduce_implILb1ES3_N6hipcub16HIPCUB_304000_NS22TransformInputIteratorIbN2at6native12_GLOBAL__N_19NonZeroOpIN3c107complexIdEEEEPKSG_lEEPiiNS8_6detail34convert_binary_result_type_wrapperINS8_3SumESK_iEEEE10hipError_tPvRmT1_T2_T3_mT4_P12ihipStream_tbEUlT_E0_NS1_11comp_targetILNS1_3genE9ELNS1_11target_archE1100ELNS1_3gpuE3ELNS1_3repE0EEENS1_30default_config_static_selectorELNS0_4arch9wavefront6targetE0EEEvST_, .Lfunc_end515-_ZN7rocprim17ROCPRIM_400000_NS6detail17trampoline_kernelINS0_14default_configENS1_22reduce_config_selectorIbEEZNS1_11reduce_implILb1ES3_N6hipcub16HIPCUB_304000_NS22TransformInputIteratorIbN2at6native12_GLOBAL__N_19NonZeroOpIN3c107complexIdEEEEPKSG_lEEPiiNS8_6detail34convert_binary_result_type_wrapperINS8_3SumESK_iEEEE10hipError_tPvRmT1_T2_T3_mT4_P12ihipStream_tbEUlT_E0_NS1_11comp_targetILNS1_3genE9ELNS1_11target_archE1100ELNS1_3gpuE3ELNS1_3repE0EEENS1_30default_config_static_selectorELNS0_4arch9wavefront6targetE0EEEvST_
                                        ; -- End function
	.section	.AMDGPU.csdata,"",@progbits
; Kernel info:
; codeLenInByte = 3264
; NumSgprs: 50
; NumVgprs: 67
; ScratchSize: 0
; MemoryBound: 0
; FloatMode: 240
; IeeeMode: 1
; LDSByteSize: 32 bytes/workgroup (compile time only)
; SGPRBlocks: 6
; VGPRBlocks: 8
; NumSGPRsForWavesPerEU: 50
; NumVGPRsForWavesPerEU: 67
; Occupancy: 16
; WaveLimiterHint : 1
; COMPUTE_PGM_RSRC2:SCRATCH_EN: 0
; COMPUTE_PGM_RSRC2:USER_SGPR: 15
; COMPUTE_PGM_RSRC2:TRAP_HANDLER: 0
; COMPUTE_PGM_RSRC2:TGID_X_EN: 1
; COMPUTE_PGM_RSRC2:TGID_Y_EN: 0
; COMPUTE_PGM_RSRC2:TGID_Z_EN: 0
; COMPUTE_PGM_RSRC2:TIDIG_COMP_CNT: 0
	.section	.text._ZN7rocprim17ROCPRIM_400000_NS6detail17trampoline_kernelINS0_14default_configENS1_22reduce_config_selectorIbEEZNS1_11reduce_implILb1ES3_N6hipcub16HIPCUB_304000_NS22TransformInputIteratorIbN2at6native12_GLOBAL__N_19NonZeroOpIN3c107complexIdEEEEPKSG_lEEPiiNS8_6detail34convert_binary_result_type_wrapperINS8_3SumESK_iEEEE10hipError_tPvRmT1_T2_T3_mT4_P12ihipStream_tbEUlT_E0_NS1_11comp_targetILNS1_3genE8ELNS1_11target_archE1030ELNS1_3gpuE2ELNS1_3repE0EEENS1_30default_config_static_selectorELNS0_4arch9wavefront6targetE0EEEvST_,"axG",@progbits,_ZN7rocprim17ROCPRIM_400000_NS6detail17trampoline_kernelINS0_14default_configENS1_22reduce_config_selectorIbEEZNS1_11reduce_implILb1ES3_N6hipcub16HIPCUB_304000_NS22TransformInputIteratorIbN2at6native12_GLOBAL__N_19NonZeroOpIN3c107complexIdEEEEPKSG_lEEPiiNS8_6detail34convert_binary_result_type_wrapperINS8_3SumESK_iEEEE10hipError_tPvRmT1_T2_T3_mT4_P12ihipStream_tbEUlT_E0_NS1_11comp_targetILNS1_3genE8ELNS1_11target_archE1030ELNS1_3gpuE2ELNS1_3repE0EEENS1_30default_config_static_selectorELNS0_4arch9wavefront6targetE0EEEvST_,comdat
	.globl	_ZN7rocprim17ROCPRIM_400000_NS6detail17trampoline_kernelINS0_14default_configENS1_22reduce_config_selectorIbEEZNS1_11reduce_implILb1ES3_N6hipcub16HIPCUB_304000_NS22TransformInputIteratorIbN2at6native12_GLOBAL__N_19NonZeroOpIN3c107complexIdEEEEPKSG_lEEPiiNS8_6detail34convert_binary_result_type_wrapperINS8_3SumESK_iEEEE10hipError_tPvRmT1_T2_T3_mT4_P12ihipStream_tbEUlT_E0_NS1_11comp_targetILNS1_3genE8ELNS1_11target_archE1030ELNS1_3gpuE2ELNS1_3repE0EEENS1_30default_config_static_selectorELNS0_4arch9wavefront6targetE0EEEvST_ ; -- Begin function _ZN7rocprim17ROCPRIM_400000_NS6detail17trampoline_kernelINS0_14default_configENS1_22reduce_config_selectorIbEEZNS1_11reduce_implILb1ES3_N6hipcub16HIPCUB_304000_NS22TransformInputIteratorIbN2at6native12_GLOBAL__N_19NonZeroOpIN3c107complexIdEEEEPKSG_lEEPiiNS8_6detail34convert_binary_result_type_wrapperINS8_3SumESK_iEEEE10hipError_tPvRmT1_T2_T3_mT4_P12ihipStream_tbEUlT_E0_NS1_11comp_targetILNS1_3genE8ELNS1_11target_archE1030ELNS1_3gpuE2ELNS1_3repE0EEENS1_30default_config_static_selectorELNS0_4arch9wavefront6targetE0EEEvST_
	.p2align	8
	.type	_ZN7rocprim17ROCPRIM_400000_NS6detail17trampoline_kernelINS0_14default_configENS1_22reduce_config_selectorIbEEZNS1_11reduce_implILb1ES3_N6hipcub16HIPCUB_304000_NS22TransformInputIteratorIbN2at6native12_GLOBAL__N_19NonZeroOpIN3c107complexIdEEEEPKSG_lEEPiiNS8_6detail34convert_binary_result_type_wrapperINS8_3SumESK_iEEEE10hipError_tPvRmT1_T2_T3_mT4_P12ihipStream_tbEUlT_E0_NS1_11comp_targetILNS1_3genE8ELNS1_11target_archE1030ELNS1_3gpuE2ELNS1_3repE0EEENS1_30default_config_static_selectorELNS0_4arch9wavefront6targetE0EEEvST_,@function
_ZN7rocprim17ROCPRIM_400000_NS6detail17trampoline_kernelINS0_14default_configENS1_22reduce_config_selectorIbEEZNS1_11reduce_implILb1ES3_N6hipcub16HIPCUB_304000_NS22TransformInputIteratorIbN2at6native12_GLOBAL__N_19NonZeroOpIN3c107complexIdEEEEPKSG_lEEPiiNS8_6detail34convert_binary_result_type_wrapperINS8_3SumESK_iEEEE10hipError_tPvRmT1_T2_T3_mT4_P12ihipStream_tbEUlT_E0_NS1_11comp_targetILNS1_3genE8ELNS1_11target_archE1030ELNS1_3gpuE2ELNS1_3repE0EEENS1_30default_config_static_selectorELNS0_4arch9wavefront6targetE0EEEvST_: ; @_ZN7rocprim17ROCPRIM_400000_NS6detail17trampoline_kernelINS0_14default_configENS1_22reduce_config_selectorIbEEZNS1_11reduce_implILb1ES3_N6hipcub16HIPCUB_304000_NS22TransformInputIteratorIbN2at6native12_GLOBAL__N_19NonZeroOpIN3c107complexIdEEEEPKSG_lEEPiiNS8_6detail34convert_binary_result_type_wrapperINS8_3SumESK_iEEEE10hipError_tPvRmT1_T2_T3_mT4_P12ihipStream_tbEUlT_E0_NS1_11comp_targetILNS1_3genE8ELNS1_11target_archE1030ELNS1_3gpuE2ELNS1_3repE0EEENS1_30default_config_static_selectorELNS0_4arch9wavefront6targetE0EEEvST_
; %bb.0:
	.section	.rodata,"a",@progbits
	.p2align	6, 0x0
	.amdhsa_kernel _ZN7rocprim17ROCPRIM_400000_NS6detail17trampoline_kernelINS0_14default_configENS1_22reduce_config_selectorIbEEZNS1_11reduce_implILb1ES3_N6hipcub16HIPCUB_304000_NS22TransformInputIteratorIbN2at6native12_GLOBAL__N_19NonZeroOpIN3c107complexIdEEEEPKSG_lEEPiiNS8_6detail34convert_binary_result_type_wrapperINS8_3SumESK_iEEEE10hipError_tPvRmT1_T2_T3_mT4_P12ihipStream_tbEUlT_E0_NS1_11comp_targetILNS1_3genE8ELNS1_11target_archE1030ELNS1_3gpuE2ELNS1_3repE0EEENS1_30default_config_static_selectorELNS0_4arch9wavefront6targetE0EEEvST_
		.amdhsa_group_segment_fixed_size 0
		.amdhsa_private_segment_fixed_size 0
		.amdhsa_kernarg_size 64
		.amdhsa_user_sgpr_count 15
		.amdhsa_user_sgpr_dispatch_ptr 0
		.amdhsa_user_sgpr_queue_ptr 0
		.amdhsa_user_sgpr_kernarg_segment_ptr 1
		.amdhsa_user_sgpr_dispatch_id 0
		.amdhsa_user_sgpr_private_segment_size 0
		.amdhsa_wavefront_size32 1
		.amdhsa_uses_dynamic_stack 0
		.amdhsa_enable_private_segment 0
		.amdhsa_system_sgpr_workgroup_id_x 1
		.amdhsa_system_sgpr_workgroup_id_y 0
		.amdhsa_system_sgpr_workgroup_id_z 0
		.amdhsa_system_sgpr_workgroup_info 0
		.amdhsa_system_vgpr_workitem_id 0
		.amdhsa_next_free_vgpr 1
		.amdhsa_next_free_sgpr 1
		.amdhsa_reserve_vcc 0
		.amdhsa_float_round_mode_32 0
		.amdhsa_float_round_mode_16_64 0
		.amdhsa_float_denorm_mode_32 3
		.amdhsa_float_denorm_mode_16_64 3
		.amdhsa_dx10_clamp 1
		.amdhsa_ieee_mode 1
		.amdhsa_fp16_overflow 0
		.amdhsa_workgroup_processor_mode 1
		.amdhsa_memory_ordered 1
		.amdhsa_forward_progress 0
		.amdhsa_shared_vgpr_count 0
		.amdhsa_exception_fp_ieee_invalid_op 0
		.amdhsa_exception_fp_denorm_src 0
		.amdhsa_exception_fp_ieee_div_zero 0
		.amdhsa_exception_fp_ieee_overflow 0
		.amdhsa_exception_fp_ieee_underflow 0
		.amdhsa_exception_fp_ieee_inexact 0
		.amdhsa_exception_int_div_zero 0
	.end_amdhsa_kernel
	.section	.text._ZN7rocprim17ROCPRIM_400000_NS6detail17trampoline_kernelINS0_14default_configENS1_22reduce_config_selectorIbEEZNS1_11reduce_implILb1ES3_N6hipcub16HIPCUB_304000_NS22TransformInputIteratorIbN2at6native12_GLOBAL__N_19NonZeroOpIN3c107complexIdEEEEPKSG_lEEPiiNS8_6detail34convert_binary_result_type_wrapperINS8_3SumESK_iEEEE10hipError_tPvRmT1_T2_T3_mT4_P12ihipStream_tbEUlT_E0_NS1_11comp_targetILNS1_3genE8ELNS1_11target_archE1030ELNS1_3gpuE2ELNS1_3repE0EEENS1_30default_config_static_selectorELNS0_4arch9wavefront6targetE0EEEvST_,"axG",@progbits,_ZN7rocprim17ROCPRIM_400000_NS6detail17trampoline_kernelINS0_14default_configENS1_22reduce_config_selectorIbEEZNS1_11reduce_implILb1ES3_N6hipcub16HIPCUB_304000_NS22TransformInputIteratorIbN2at6native12_GLOBAL__N_19NonZeroOpIN3c107complexIdEEEEPKSG_lEEPiiNS8_6detail34convert_binary_result_type_wrapperINS8_3SumESK_iEEEE10hipError_tPvRmT1_T2_T3_mT4_P12ihipStream_tbEUlT_E0_NS1_11comp_targetILNS1_3genE8ELNS1_11target_archE1030ELNS1_3gpuE2ELNS1_3repE0EEENS1_30default_config_static_selectorELNS0_4arch9wavefront6targetE0EEEvST_,comdat
.Lfunc_end516:
	.size	_ZN7rocprim17ROCPRIM_400000_NS6detail17trampoline_kernelINS0_14default_configENS1_22reduce_config_selectorIbEEZNS1_11reduce_implILb1ES3_N6hipcub16HIPCUB_304000_NS22TransformInputIteratorIbN2at6native12_GLOBAL__N_19NonZeroOpIN3c107complexIdEEEEPKSG_lEEPiiNS8_6detail34convert_binary_result_type_wrapperINS8_3SumESK_iEEEE10hipError_tPvRmT1_T2_T3_mT4_P12ihipStream_tbEUlT_E0_NS1_11comp_targetILNS1_3genE8ELNS1_11target_archE1030ELNS1_3gpuE2ELNS1_3repE0EEENS1_30default_config_static_selectorELNS0_4arch9wavefront6targetE0EEEvST_, .Lfunc_end516-_ZN7rocprim17ROCPRIM_400000_NS6detail17trampoline_kernelINS0_14default_configENS1_22reduce_config_selectorIbEEZNS1_11reduce_implILb1ES3_N6hipcub16HIPCUB_304000_NS22TransformInputIteratorIbN2at6native12_GLOBAL__N_19NonZeroOpIN3c107complexIdEEEEPKSG_lEEPiiNS8_6detail34convert_binary_result_type_wrapperINS8_3SumESK_iEEEE10hipError_tPvRmT1_T2_T3_mT4_P12ihipStream_tbEUlT_E0_NS1_11comp_targetILNS1_3genE8ELNS1_11target_archE1030ELNS1_3gpuE2ELNS1_3repE0EEENS1_30default_config_static_selectorELNS0_4arch9wavefront6targetE0EEEvST_
                                        ; -- End function
	.section	.AMDGPU.csdata,"",@progbits
; Kernel info:
; codeLenInByte = 0
; NumSgprs: 0
; NumVgprs: 0
; ScratchSize: 0
; MemoryBound: 0
; FloatMode: 240
; IeeeMode: 1
; LDSByteSize: 0 bytes/workgroup (compile time only)
; SGPRBlocks: 0
; VGPRBlocks: 0
; NumSGPRsForWavesPerEU: 1
; NumVGPRsForWavesPerEU: 1
; Occupancy: 16
; WaveLimiterHint : 0
; COMPUTE_PGM_RSRC2:SCRATCH_EN: 0
; COMPUTE_PGM_RSRC2:USER_SGPR: 15
; COMPUTE_PGM_RSRC2:TRAP_HANDLER: 0
; COMPUTE_PGM_RSRC2:TGID_X_EN: 1
; COMPUTE_PGM_RSRC2:TGID_Y_EN: 0
; COMPUTE_PGM_RSRC2:TGID_Z_EN: 0
; COMPUTE_PGM_RSRC2:TIDIG_COMP_CNT: 0
	.section	.text._ZN7rocprim17ROCPRIM_400000_NS6detail17trampoline_kernelINS0_14default_configENS1_22reduce_config_selectorIbEEZNS1_11reduce_implILb1ES3_N6hipcub16HIPCUB_304000_NS22TransformInputIteratorIbN2at6native12_GLOBAL__N_19NonZeroOpIN3c107complexIdEEEEPKSG_lEEPiiNS8_6detail34convert_binary_result_type_wrapperINS8_3SumESK_iEEEE10hipError_tPvRmT1_T2_T3_mT4_P12ihipStream_tbEUlT_E1_NS1_11comp_targetILNS1_3genE0ELNS1_11target_archE4294967295ELNS1_3gpuE0ELNS1_3repE0EEENS1_30default_config_static_selectorELNS0_4arch9wavefront6targetE0EEEvST_,"axG",@progbits,_ZN7rocprim17ROCPRIM_400000_NS6detail17trampoline_kernelINS0_14default_configENS1_22reduce_config_selectorIbEEZNS1_11reduce_implILb1ES3_N6hipcub16HIPCUB_304000_NS22TransformInputIteratorIbN2at6native12_GLOBAL__N_19NonZeroOpIN3c107complexIdEEEEPKSG_lEEPiiNS8_6detail34convert_binary_result_type_wrapperINS8_3SumESK_iEEEE10hipError_tPvRmT1_T2_T3_mT4_P12ihipStream_tbEUlT_E1_NS1_11comp_targetILNS1_3genE0ELNS1_11target_archE4294967295ELNS1_3gpuE0ELNS1_3repE0EEENS1_30default_config_static_selectorELNS0_4arch9wavefront6targetE0EEEvST_,comdat
	.globl	_ZN7rocprim17ROCPRIM_400000_NS6detail17trampoline_kernelINS0_14default_configENS1_22reduce_config_selectorIbEEZNS1_11reduce_implILb1ES3_N6hipcub16HIPCUB_304000_NS22TransformInputIteratorIbN2at6native12_GLOBAL__N_19NonZeroOpIN3c107complexIdEEEEPKSG_lEEPiiNS8_6detail34convert_binary_result_type_wrapperINS8_3SumESK_iEEEE10hipError_tPvRmT1_T2_T3_mT4_P12ihipStream_tbEUlT_E1_NS1_11comp_targetILNS1_3genE0ELNS1_11target_archE4294967295ELNS1_3gpuE0ELNS1_3repE0EEENS1_30default_config_static_selectorELNS0_4arch9wavefront6targetE0EEEvST_ ; -- Begin function _ZN7rocprim17ROCPRIM_400000_NS6detail17trampoline_kernelINS0_14default_configENS1_22reduce_config_selectorIbEEZNS1_11reduce_implILb1ES3_N6hipcub16HIPCUB_304000_NS22TransformInputIteratorIbN2at6native12_GLOBAL__N_19NonZeroOpIN3c107complexIdEEEEPKSG_lEEPiiNS8_6detail34convert_binary_result_type_wrapperINS8_3SumESK_iEEEE10hipError_tPvRmT1_T2_T3_mT4_P12ihipStream_tbEUlT_E1_NS1_11comp_targetILNS1_3genE0ELNS1_11target_archE4294967295ELNS1_3gpuE0ELNS1_3repE0EEENS1_30default_config_static_selectorELNS0_4arch9wavefront6targetE0EEEvST_
	.p2align	8
	.type	_ZN7rocprim17ROCPRIM_400000_NS6detail17trampoline_kernelINS0_14default_configENS1_22reduce_config_selectorIbEEZNS1_11reduce_implILb1ES3_N6hipcub16HIPCUB_304000_NS22TransformInputIteratorIbN2at6native12_GLOBAL__N_19NonZeroOpIN3c107complexIdEEEEPKSG_lEEPiiNS8_6detail34convert_binary_result_type_wrapperINS8_3SumESK_iEEEE10hipError_tPvRmT1_T2_T3_mT4_P12ihipStream_tbEUlT_E1_NS1_11comp_targetILNS1_3genE0ELNS1_11target_archE4294967295ELNS1_3gpuE0ELNS1_3repE0EEENS1_30default_config_static_selectorELNS0_4arch9wavefront6targetE0EEEvST_,@function
_ZN7rocprim17ROCPRIM_400000_NS6detail17trampoline_kernelINS0_14default_configENS1_22reduce_config_selectorIbEEZNS1_11reduce_implILb1ES3_N6hipcub16HIPCUB_304000_NS22TransformInputIteratorIbN2at6native12_GLOBAL__N_19NonZeroOpIN3c107complexIdEEEEPKSG_lEEPiiNS8_6detail34convert_binary_result_type_wrapperINS8_3SumESK_iEEEE10hipError_tPvRmT1_T2_T3_mT4_P12ihipStream_tbEUlT_E1_NS1_11comp_targetILNS1_3genE0ELNS1_11target_archE4294967295ELNS1_3gpuE0ELNS1_3repE0EEENS1_30default_config_static_selectorELNS0_4arch9wavefront6targetE0EEEvST_: ; @_ZN7rocprim17ROCPRIM_400000_NS6detail17trampoline_kernelINS0_14default_configENS1_22reduce_config_selectorIbEEZNS1_11reduce_implILb1ES3_N6hipcub16HIPCUB_304000_NS22TransformInputIteratorIbN2at6native12_GLOBAL__N_19NonZeroOpIN3c107complexIdEEEEPKSG_lEEPiiNS8_6detail34convert_binary_result_type_wrapperINS8_3SumESK_iEEEE10hipError_tPvRmT1_T2_T3_mT4_P12ihipStream_tbEUlT_E1_NS1_11comp_targetILNS1_3genE0ELNS1_11target_archE4294967295ELNS1_3gpuE0ELNS1_3repE0EEENS1_30default_config_static_selectorELNS0_4arch9wavefront6targetE0EEEvST_
; %bb.0:
	.section	.rodata,"a",@progbits
	.p2align	6, 0x0
	.amdhsa_kernel _ZN7rocprim17ROCPRIM_400000_NS6detail17trampoline_kernelINS0_14default_configENS1_22reduce_config_selectorIbEEZNS1_11reduce_implILb1ES3_N6hipcub16HIPCUB_304000_NS22TransformInputIteratorIbN2at6native12_GLOBAL__N_19NonZeroOpIN3c107complexIdEEEEPKSG_lEEPiiNS8_6detail34convert_binary_result_type_wrapperINS8_3SumESK_iEEEE10hipError_tPvRmT1_T2_T3_mT4_P12ihipStream_tbEUlT_E1_NS1_11comp_targetILNS1_3genE0ELNS1_11target_archE4294967295ELNS1_3gpuE0ELNS1_3repE0EEENS1_30default_config_static_selectorELNS0_4arch9wavefront6targetE0EEEvST_
		.amdhsa_group_segment_fixed_size 0
		.amdhsa_private_segment_fixed_size 0
		.amdhsa_kernarg_size 48
		.amdhsa_user_sgpr_count 15
		.amdhsa_user_sgpr_dispatch_ptr 0
		.amdhsa_user_sgpr_queue_ptr 0
		.amdhsa_user_sgpr_kernarg_segment_ptr 1
		.amdhsa_user_sgpr_dispatch_id 0
		.amdhsa_user_sgpr_private_segment_size 0
		.amdhsa_wavefront_size32 1
		.amdhsa_uses_dynamic_stack 0
		.amdhsa_enable_private_segment 0
		.amdhsa_system_sgpr_workgroup_id_x 1
		.amdhsa_system_sgpr_workgroup_id_y 0
		.amdhsa_system_sgpr_workgroup_id_z 0
		.amdhsa_system_sgpr_workgroup_info 0
		.amdhsa_system_vgpr_workitem_id 0
		.amdhsa_next_free_vgpr 1
		.amdhsa_next_free_sgpr 1
		.amdhsa_reserve_vcc 0
		.amdhsa_float_round_mode_32 0
		.amdhsa_float_round_mode_16_64 0
		.amdhsa_float_denorm_mode_32 3
		.amdhsa_float_denorm_mode_16_64 3
		.amdhsa_dx10_clamp 1
		.amdhsa_ieee_mode 1
		.amdhsa_fp16_overflow 0
		.amdhsa_workgroup_processor_mode 1
		.amdhsa_memory_ordered 1
		.amdhsa_forward_progress 0
		.amdhsa_shared_vgpr_count 0
		.amdhsa_exception_fp_ieee_invalid_op 0
		.amdhsa_exception_fp_denorm_src 0
		.amdhsa_exception_fp_ieee_div_zero 0
		.amdhsa_exception_fp_ieee_overflow 0
		.amdhsa_exception_fp_ieee_underflow 0
		.amdhsa_exception_fp_ieee_inexact 0
		.amdhsa_exception_int_div_zero 0
	.end_amdhsa_kernel
	.section	.text._ZN7rocprim17ROCPRIM_400000_NS6detail17trampoline_kernelINS0_14default_configENS1_22reduce_config_selectorIbEEZNS1_11reduce_implILb1ES3_N6hipcub16HIPCUB_304000_NS22TransformInputIteratorIbN2at6native12_GLOBAL__N_19NonZeroOpIN3c107complexIdEEEEPKSG_lEEPiiNS8_6detail34convert_binary_result_type_wrapperINS8_3SumESK_iEEEE10hipError_tPvRmT1_T2_T3_mT4_P12ihipStream_tbEUlT_E1_NS1_11comp_targetILNS1_3genE0ELNS1_11target_archE4294967295ELNS1_3gpuE0ELNS1_3repE0EEENS1_30default_config_static_selectorELNS0_4arch9wavefront6targetE0EEEvST_,"axG",@progbits,_ZN7rocprim17ROCPRIM_400000_NS6detail17trampoline_kernelINS0_14default_configENS1_22reduce_config_selectorIbEEZNS1_11reduce_implILb1ES3_N6hipcub16HIPCUB_304000_NS22TransformInputIteratorIbN2at6native12_GLOBAL__N_19NonZeroOpIN3c107complexIdEEEEPKSG_lEEPiiNS8_6detail34convert_binary_result_type_wrapperINS8_3SumESK_iEEEE10hipError_tPvRmT1_T2_T3_mT4_P12ihipStream_tbEUlT_E1_NS1_11comp_targetILNS1_3genE0ELNS1_11target_archE4294967295ELNS1_3gpuE0ELNS1_3repE0EEENS1_30default_config_static_selectorELNS0_4arch9wavefront6targetE0EEEvST_,comdat
.Lfunc_end517:
	.size	_ZN7rocprim17ROCPRIM_400000_NS6detail17trampoline_kernelINS0_14default_configENS1_22reduce_config_selectorIbEEZNS1_11reduce_implILb1ES3_N6hipcub16HIPCUB_304000_NS22TransformInputIteratorIbN2at6native12_GLOBAL__N_19NonZeroOpIN3c107complexIdEEEEPKSG_lEEPiiNS8_6detail34convert_binary_result_type_wrapperINS8_3SumESK_iEEEE10hipError_tPvRmT1_T2_T3_mT4_P12ihipStream_tbEUlT_E1_NS1_11comp_targetILNS1_3genE0ELNS1_11target_archE4294967295ELNS1_3gpuE0ELNS1_3repE0EEENS1_30default_config_static_selectorELNS0_4arch9wavefront6targetE0EEEvST_, .Lfunc_end517-_ZN7rocprim17ROCPRIM_400000_NS6detail17trampoline_kernelINS0_14default_configENS1_22reduce_config_selectorIbEEZNS1_11reduce_implILb1ES3_N6hipcub16HIPCUB_304000_NS22TransformInputIteratorIbN2at6native12_GLOBAL__N_19NonZeroOpIN3c107complexIdEEEEPKSG_lEEPiiNS8_6detail34convert_binary_result_type_wrapperINS8_3SumESK_iEEEE10hipError_tPvRmT1_T2_T3_mT4_P12ihipStream_tbEUlT_E1_NS1_11comp_targetILNS1_3genE0ELNS1_11target_archE4294967295ELNS1_3gpuE0ELNS1_3repE0EEENS1_30default_config_static_selectorELNS0_4arch9wavefront6targetE0EEEvST_
                                        ; -- End function
	.section	.AMDGPU.csdata,"",@progbits
; Kernel info:
; codeLenInByte = 0
; NumSgprs: 0
; NumVgprs: 0
; ScratchSize: 0
; MemoryBound: 0
; FloatMode: 240
; IeeeMode: 1
; LDSByteSize: 0 bytes/workgroup (compile time only)
; SGPRBlocks: 0
; VGPRBlocks: 0
; NumSGPRsForWavesPerEU: 1
; NumVGPRsForWavesPerEU: 1
; Occupancy: 16
; WaveLimiterHint : 0
; COMPUTE_PGM_RSRC2:SCRATCH_EN: 0
; COMPUTE_PGM_RSRC2:USER_SGPR: 15
; COMPUTE_PGM_RSRC2:TRAP_HANDLER: 0
; COMPUTE_PGM_RSRC2:TGID_X_EN: 1
; COMPUTE_PGM_RSRC2:TGID_Y_EN: 0
; COMPUTE_PGM_RSRC2:TGID_Z_EN: 0
; COMPUTE_PGM_RSRC2:TIDIG_COMP_CNT: 0
	.section	.text._ZN7rocprim17ROCPRIM_400000_NS6detail17trampoline_kernelINS0_14default_configENS1_22reduce_config_selectorIbEEZNS1_11reduce_implILb1ES3_N6hipcub16HIPCUB_304000_NS22TransformInputIteratorIbN2at6native12_GLOBAL__N_19NonZeroOpIN3c107complexIdEEEEPKSG_lEEPiiNS8_6detail34convert_binary_result_type_wrapperINS8_3SumESK_iEEEE10hipError_tPvRmT1_T2_T3_mT4_P12ihipStream_tbEUlT_E1_NS1_11comp_targetILNS1_3genE5ELNS1_11target_archE942ELNS1_3gpuE9ELNS1_3repE0EEENS1_30default_config_static_selectorELNS0_4arch9wavefront6targetE0EEEvST_,"axG",@progbits,_ZN7rocprim17ROCPRIM_400000_NS6detail17trampoline_kernelINS0_14default_configENS1_22reduce_config_selectorIbEEZNS1_11reduce_implILb1ES3_N6hipcub16HIPCUB_304000_NS22TransformInputIteratorIbN2at6native12_GLOBAL__N_19NonZeroOpIN3c107complexIdEEEEPKSG_lEEPiiNS8_6detail34convert_binary_result_type_wrapperINS8_3SumESK_iEEEE10hipError_tPvRmT1_T2_T3_mT4_P12ihipStream_tbEUlT_E1_NS1_11comp_targetILNS1_3genE5ELNS1_11target_archE942ELNS1_3gpuE9ELNS1_3repE0EEENS1_30default_config_static_selectorELNS0_4arch9wavefront6targetE0EEEvST_,comdat
	.globl	_ZN7rocprim17ROCPRIM_400000_NS6detail17trampoline_kernelINS0_14default_configENS1_22reduce_config_selectorIbEEZNS1_11reduce_implILb1ES3_N6hipcub16HIPCUB_304000_NS22TransformInputIteratorIbN2at6native12_GLOBAL__N_19NonZeroOpIN3c107complexIdEEEEPKSG_lEEPiiNS8_6detail34convert_binary_result_type_wrapperINS8_3SumESK_iEEEE10hipError_tPvRmT1_T2_T3_mT4_P12ihipStream_tbEUlT_E1_NS1_11comp_targetILNS1_3genE5ELNS1_11target_archE942ELNS1_3gpuE9ELNS1_3repE0EEENS1_30default_config_static_selectorELNS0_4arch9wavefront6targetE0EEEvST_ ; -- Begin function _ZN7rocprim17ROCPRIM_400000_NS6detail17trampoline_kernelINS0_14default_configENS1_22reduce_config_selectorIbEEZNS1_11reduce_implILb1ES3_N6hipcub16HIPCUB_304000_NS22TransformInputIteratorIbN2at6native12_GLOBAL__N_19NonZeroOpIN3c107complexIdEEEEPKSG_lEEPiiNS8_6detail34convert_binary_result_type_wrapperINS8_3SumESK_iEEEE10hipError_tPvRmT1_T2_T3_mT4_P12ihipStream_tbEUlT_E1_NS1_11comp_targetILNS1_3genE5ELNS1_11target_archE942ELNS1_3gpuE9ELNS1_3repE0EEENS1_30default_config_static_selectorELNS0_4arch9wavefront6targetE0EEEvST_
	.p2align	8
	.type	_ZN7rocprim17ROCPRIM_400000_NS6detail17trampoline_kernelINS0_14default_configENS1_22reduce_config_selectorIbEEZNS1_11reduce_implILb1ES3_N6hipcub16HIPCUB_304000_NS22TransformInputIteratorIbN2at6native12_GLOBAL__N_19NonZeroOpIN3c107complexIdEEEEPKSG_lEEPiiNS8_6detail34convert_binary_result_type_wrapperINS8_3SumESK_iEEEE10hipError_tPvRmT1_T2_T3_mT4_P12ihipStream_tbEUlT_E1_NS1_11comp_targetILNS1_3genE5ELNS1_11target_archE942ELNS1_3gpuE9ELNS1_3repE0EEENS1_30default_config_static_selectorELNS0_4arch9wavefront6targetE0EEEvST_,@function
_ZN7rocprim17ROCPRIM_400000_NS6detail17trampoline_kernelINS0_14default_configENS1_22reduce_config_selectorIbEEZNS1_11reduce_implILb1ES3_N6hipcub16HIPCUB_304000_NS22TransformInputIteratorIbN2at6native12_GLOBAL__N_19NonZeroOpIN3c107complexIdEEEEPKSG_lEEPiiNS8_6detail34convert_binary_result_type_wrapperINS8_3SumESK_iEEEE10hipError_tPvRmT1_T2_T3_mT4_P12ihipStream_tbEUlT_E1_NS1_11comp_targetILNS1_3genE5ELNS1_11target_archE942ELNS1_3gpuE9ELNS1_3repE0EEENS1_30default_config_static_selectorELNS0_4arch9wavefront6targetE0EEEvST_: ; @_ZN7rocprim17ROCPRIM_400000_NS6detail17trampoline_kernelINS0_14default_configENS1_22reduce_config_selectorIbEEZNS1_11reduce_implILb1ES3_N6hipcub16HIPCUB_304000_NS22TransformInputIteratorIbN2at6native12_GLOBAL__N_19NonZeroOpIN3c107complexIdEEEEPKSG_lEEPiiNS8_6detail34convert_binary_result_type_wrapperINS8_3SumESK_iEEEE10hipError_tPvRmT1_T2_T3_mT4_P12ihipStream_tbEUlT_E1_NS1_11comp_targetILNS1_3genE5ELNS1_11target_archE942ELNS1_3gpuE9ELNS1_3repE0EEENS1_30default_config_static_selectorELNS0_4arch9wavefront6targetE0EEEvST_
; %bb.0:
	.section	.rodata,"a",@progbits
	.p2align	6, 0x0
	.amdhsa_kernel _ZN7rocprim17ROCPRIM_400000_NS6detail17trampoline_kernelINS0_14default_configENS1_22reduce_config_selectorIbEEZNS1_11reduce_implILb1ES3_N6hipcub16HIPCUB_304000_NS22TransformInputIteratorIbN2at6native12_GLOBAL__N_19NonZeroOpIN3c107complexIdEEEEPKSG_lEEPiiNS8_6detail34convert_binary_result_type_wrapperINS8_3SumESK_iEEEE10hipError_tPvRmT1_T2_T3_mT4_P12ihipStream_tbEUlT_E1_NS1_11comp_targetILNS1_3genE5ELNS1_11target_archE942ELNS1_3gpuE9ELNS1_3repE0EEENS1_30default_config_static_selectorELNS0_4arch9wavefront6targetE0EEEvST_
		.amdhsa_group_segment_fixed_size 0
		.amdhsa_private_segment_fixed_size 0
		.amdhsa_kernarg_size 48
		.amdhsa_user_sgpr_count 15
		.amdhsa_user_sgpr_dispatch_ptr 0
		.amdhsa_user_sgpr_queue_ptr 0
		.amdhsa_user_sgpr_kernarg_segment_ptr 1
		.amdhsa_user_sgpr_dispatch_id 0
		.amdhsa_user_sgpr_private_segment_size 0
		.amdhsa_wavefront_size32 1
		.amdhsa_uses_dynamic_stack 0
		.amdhsa_enable_private_segment 0
		.amdhsa_system_sgpr_workgroup_id_x 1
		.amdhsa_system_sgpr_workgroup_id_y 0
		.amdhsa_system_sgpr_workgroup_id_z 0
		.amdhsa_system_sgpr_workgroup_info 0
		.amdhsa_system_vgpr_workitem_id 0
		.amdhsa_next_free_vgpr 1
		.amdhsa_next_free_sgpr 1
		.amdhsa_reserve_vcc 0
		.amdhsa_float_round_mode_32 0
		.amdhsa_float_round_mode_16_64 0
		.amdhsa_float_denorm_mode_32 3
		.amdhsa_float_denorm_mode_16_64 3
		.amdhsa_dx10_clamp 1
		.amdhsa_ieee_mode 1
		.amdhsa_fp16_overflow 0
		.amdhsa_workgroup_processor_mode 1
		.amdhsa_memory_ordered 1
		.amdhsa_forward_progress 0
		.amdhsa_shared_vgpr_count 0
		.amdhsa_exception_fp_ieee_invalid_op 0
		.amdhsa_exception_fp_denorm_src 0
		.amdhsa_exception_fp_ieee_div_zero 0
		.amdhsa_exception_fp_ieee_overflow 0
		.amdhsa_exception_fp_ieee_underflow 0
		.amdhsa_exception_fp_ieee_inexact 0
		.amdhsa_exception_int_div_zero 0
	.end_amdhsa_kernel
	.section	.text._ZN7rocprim17ROCPRIM_400000_NS6detail17trampoline_kernelINS0_14default_configENS1_22reduce_config_selectorIbEEZNS1_11reduce_implILb1ES3_N6hipcub16HIPCUB_304000_NS22TransformInputIteratorIbN2at6native12_GLOBAL__N_19NonZeroOpIN3c107complexIdEEEEPKSG_lEEPiiNS8_6detail34convert_binary_result_type_wrapperINS8_3SumESK_iEEEE10hipError_tPvRmT1_T2_T3_mT4_P12ihipStream_tbEUlT_E1_NS1_11comp_targetILNS1_3genE5ELNS1_11target_archE942ELNS1_3gpuE9ELNS1_3repE0EEENS1_30default_config_static_selectorELNS0_4arch9wavefront6targetE0EEEvST_,"axG",@progbits,_ZN7rocprim17ROCPRIM_400000_NS6detail17trampoline_kernelINS0_14default_configENS1_22reduce_config_selectorIbEEZNS1_11reduce_implILb1ES3_N6hipcub16HIPCUB_304000_NS22TransformInputIteratorIbN2at6native12_GLOBAL__N_19NonZeroOpIN3c107complexIdEEEEPKSG_lEEPiiNS8_6detail34convert_binary_result_type_wrapperINS8_3SumESK_iEEEE10hipError_tPvRmT1_T2_T3_mT4_P12ihipStream_tbEUlT_E1_NS1_11comp_targetILNS1_3genE5ELNS1_11target_archE942ELNS1_3gpuE9ELNS1_3repE0EEENS1_30default_config_static_selectorELNS0_4arch9wavefront6targetE0EEEvST_,comdat
.Lfunc_end518:
	.size	_ZN7rocprim17ROCPRIM_400000_NS6detail17trampoline_kernelINS0_14default_configENS1_22reduce_config_selectorIbEEZNS1_11reduce_implILb1ES3_N6hipcub16HIPCUB_304000_NS22TransformInputIteratorIbN2at6native12_GLOBAL__N_19NonZeroOpIN3c107complexIdEEEEPKSG_lEEPiiNS8_6detail34convert_binary_result_type_wrapperINS8_3SumESK_iEEEE10hipError_tPvRmT1_T2_T3_mT4_P12ihipStream_tbEUlT_E1_NS1_11comp_targetILNS1_3genE5ELNS1_11target_archE942ELNS1_3gpuE9ELNS1_3repE0EEENS1_30default_config_static_selectorELNS0_4arch9wavefront6targetE0EEEvST_, .Lfunc_end518-_ZN7rocprim17ROCPRIM_400000_NS6detail17trampoline_kernelINS0_14default_configENS1_22reduce_config_selectorIbEEZNS1_11reduce_implILb1ES3_N6hipcub16HIPCUB_304000_NS22TransformInputIteratorIbN2at6native12_GLOBAL__N_19NonZeroOpIN3c107complexIdEEEEPKSG_lEEPiiNS8_6detail34convert_binary_result_type_wrapperINS8_3SumESK_iEEEE10hipError_tPvRmT1_T2_T3_mT4_P12ihipStream_tbEUlT_E1_NS1_11comp_targetILNS1_3genE5ELNS1_11target_archE942ELNS1_3gpuE9ELNS1_3repE0EEENS1_30default_config_static_selectorELNS0_4arch9wavefront6targetE0EEEvST_
                                        ; -- End function
	.section	.AMDGPU.csdata,"",@progbits
; Kernel info:
; codeLenInByte = 0
; NumSgprs: 0
; NumVgprs: 0
; ScratchSize: 0
; MemoryBound: 0
; FloatMode: 240
; IeeeMode: 1
; LDSByteSize: 0 bytes/workgroup (compile time only)
; SGPRBlocks: 0
; VGPRBlocks: 0
; NumSGPRsForWavesPerEU: 1
; NumVGPRsForWavesPerEU: 1
; Occupancy: 16
; WaveLimiterHint : 0
; COMPUTE_PGM_RSRC2:SCRATCH_EN: 0
; COMPUTE_PGM_RSRC2:USER_SGPR: 15
; COMPUTE_PGM_RSRC2:TRAP_HANDLER: 0
; COMPUTE_PGM_RSRC2:TGID_X_EN: 1
; COMPUTE_PGM_RSRC2:TGID_Y_EN: 0
; COMPUTE_PGM_RSRC2:TGID_Z_EN: 0
; COMPUTE_PGM_RSRC2:TIDIG_COMP_CNT: 0
	.section	.text._ZN7rocprim17ROCPRIM_400000_NS6detail17trampoline_kernelINS0_14default_configENS1_22reduce_config_selectorIbEEZNS1_11reduce_implILb1ES3_N6hipcub16HIPCUB_304000_NS22TransformInputIteratorIbN2at6native12_GLOBAL__N_19NonZeroOpIN3c107complexIdEEEEPKSG_lEEPiiNS8_6detail34convert_binary_result_type_wrapperINS8_3SumESK_iEEEE10hipError_tPvRmT1_T2_T3_mT4_P12ihipStream_tbEUlT_E1_NS1_11comp_targetILNS1_3genE4ELNS1_11target_archE910ELNS1_3gpuE8ELNS1_3repE0EEENS1_30default_config_static_selectorELNS0_4arch9wavefront6targetE0EEEvST_,"axG",@progbits,_ZN7rocprim17ROCPRIM_400000_NS6detail17trampoline_kernelINS0_14default_configENS1_22reduce_config_selectorIbEEZNS1_11reduce_implILb1ES3_N6hipcub16HIPCUB_304000_NS22TransformInputIteratorIbN2at6native12_GLOBAL__N_19NonZeroOpIN3c107complexIdEEEEPKSG_lEEPiiNS8_6detail34convert_binary_result_type_wrapperINS8_3SumESK_iEEEE10hipError_tPvRmT1_T2_T3_mT4_P12ihipStream_tbEUlT_E1_NS1_11comp_targetILNS1_3genE4ELNS1_11target_archE910ELNS1_3gpuE8ELNS1_3repE0EEENS1_30default_config_static_selectorELNS0_4arch9wavefront6targetE0EEEvST_,comdat
	.globl	_ZN7rocprim17ROCPRIM_400000_NS6detail17trampoline_kernelINS0_14default_configENS1_22reduce_config_selectorIbEEZNS1_11reduce_implILb1ES3_N6hipcub16HIPCUB_304000_NS22TransformInputIteratorIbN2at6native12_GLOBAL__N_19NonZeroOpIN3c107complexIdEEEEPKSG_lEEPiiNS8_6detail34convert_binary_result_type_wrapperINS8_3SumESK_iEEEE10hipError_tPvRmT1_T2_T3_mT4_P12ihipStream_tbEUlT_E1_NS1_11comp_targetILNS1_3genE4ELNS1_11target_archE910ELNS1_3gpuE8ELNS1_3repE0EEENS1_30default_config_static_selectorELNS0_4arch9wavefront6targetE0EEEvST_ ; -- Begin function _ZN7rocprim17ROCPRIM_400000_NS6detail17trampoline_kernelINS0_14default_configENS1_22reduce_config_selectorIbEEZNS1_11reduce_implILb1ES3_N6hipcub16HIPCUB_304000_NS22TransformInputIteratorIbN2at6native12_GLOBAL__N_19NonZeroOpIN3c107complexIdEEEEPKSG_lEEPiiNS8_6detail34convert_binary_result_type_wrapperINS8_3SumESK_iEEEE10hipError_tPvRmT1_T2_T3_mT4_P12ihipStream_tbEUlT_E1_NS1_11comp_targetILNS1_3genE4ELNS1_11target_archE910ELNS1_3gpuE8ELNS1_3repE0EEENS1_30default_config_static_selectorELNS0_4arch9wavefront6targetE0EEEvST_
	.p2align	8
	.type	_ZN7rocprim17ROCPRIM_400000_NS6detail17trampoline_kernelINS0_14default_configENS1_22reduce_config_selectorIbEEZNS1_11reduce_implILb1ES3_N6hipcub16HIPCUB_304000_NS22TransformInputIteratorIbN2at6native12_GLOBAL__N_19NonZeroOpIN3c107complexIdEEEEPKSG_lEEPiiNS8_6detail34convert_binary_result_type_wrapperINS8_3SumESK_iEEEE10hipError_tPvRmT1_T2_T3_mT4_P12ihipStream_tbEUlT_E1_NS1_11comp_targetILNS1_3genE4ELNS1_11target_archE910ELNS1_3gpuE8ELNS1_3repE0EEENS1_30default_config_static_selectorELNS0_4arch9wavefront6targetE0EEEvST_,@function
_ZN7rocprim17ROCPRIM_400000_NS6detail17trampoline_kernelINS0_14default_configENS1_22reduce_config_selectorIbEEZNS1_11reduce_implILb1ES3_N6hipcub16HIPCUB_304000_NS22TransformInputIteratorIbN2at6native12_GLOBAL__N_19NonZeroOpIN3c107complexIdEEEEPKSG_lEEPiiNS8_6detail34convert_binary_result_type_wrapperINS8_3SumESK_iEEEE10hipError_tPvRmT1_T2_T3_mT4_P12ihipStream_tbEUlT_E1_NS1_11comp_targetILNS1_3genE4ELNS1_11target_archE910ELNS1_3gpuE8ELNS1_3repE0EEENS1_30default_config_static_selectorELNS0_4arch9wavefront6targetE0EEEvST_: ; @_ZN7rocprim17ROCPRIM_400000_NS6detail17trampoline_kernelINS0_14default_configENS1_22reduce_config_selectorIbEEZNS1_11reduce_implILb1ES3_N6hipcub16HIPCUB_304000_NS22TransformInputIteratorIbN2at6native12_GLOBAL__N_19NonZeroOpIN3c107complexIdEEEEPKSG_lEEPiiNS8_6detail34convert_binary_result_type_wrapperINS8_3SumESK_iEEEE10hipError_tPvRmT1_T2_T3_mT4_P12ihipStream_tbEUlT_E1_NS1_11comp_targetILNS1_3genE4ELNS1_11target_archE910ELNS1_3gpuE8ELNS1_3repE0EEENS1_30default_config_static_selectorELNS0_4arch9wavefront6targetE0EEEvST_
; %bb.0:
	.section	.rodata,"a",@progbits
	.p2align	6, 0x0
	.amdhsa_kernel _ZN7rocprim17ROCPRIM_400000_NS6detail17trampoline_kernelINS0_14default_configENS1_22reduce_config_selectorIbEEZNS1_11reduce_implILb1ES3_N6hipcub16HIPCUB_304000_NS22TransformInputIteratorIbN2at6native12_GLOBAL__N_19NonZeroOpIN3c107complexIdEEEEPKSG_lEEPiiNS8_6detail34convert_binary_result_type_wrapperINS8_3SumESK_iEEEE10hipError_tPvRmT1_T2_T3_mT4_P12ihipStream_tbEUlT_E1_NS1_11comp_targetILNS1_3genE4ELNS1_11target_archE910ELNS1_3gpuE8ELNS1_3repE0EEENS1_30default_config_static_selectorELNS0_4arch9wavefront6targetE0EEEvST_
		.amdhsa_group_segment_fixed_size 0
		.amdhsa_private_segment_fixed_size 0
		.amdhsa_kernarg_size 48
		.amdhsa_user_sgpr_count 15
		.amdhsa_user_sgpr_dispatch_ptr 0
		.amdhsa_user_sgpr_queue_ptr 0
		.amdhsa_user_sgpr_kernarg_segment_ptr 1
		.amdhsa_user_sgpr_dispatch_id 0
		.amdhsa_user_sgpr_private_segment_size 0
		.amdhsa_wavefront_size32 1
		.amdhsa_uses_dynamic_stack 0
		.amdhsa_enable_private_segment 0
		.amdhsa_system_sgpr_workgroup_id_x 1
		.amdhsa_system_sgpr_workgroup_id_y 0
		.amdhsa_system_sgpr_workgroup_id_z 0
		.amdhsa_system_sgpr_workgroup_info 0
		.amdhsa_system_vgpr_workitem_id 0
		.amdhsa_next_free_vgpr 1
		.amdhsa_next_free_sgpr 1
		.amdhsa_reserve_vcc 0
		.amdhsa_float_round_mode_32 0
		.amdhsa_float_round_mode_16_64 0
		.amdhsa_float_denorm_mode_32 3
		.amdhsa_float_denorm_mode_16_64 3
		.amdhsa_dx10_clamp 1
		.amdhsa_ieee_mode 1
		.amdhsa_fp16_overflow 0
		.amdhsa_workgroup_processor_mode 1
		.amdhsa_memory_ordered 1
		.amdhsa_forward_progress 0
		.amdhsa_shared_vgpr_count 0
		.amdhsa_exception_fp_ieee_invalid_op 0
		.amdhsa_exception_fp_denorm_src 0
		.amdhsa_exception_fp_ieee_div_zero 0
		.amdhsa_exception_fp_ieee_overflow 0
		.amdhsa_exception_fp_ieee_underflow 0
		.amdhsa_exception_fp_ieee_inexact 0
		.amdhsa_exception_int_div_zero 0
	.end_amdhsa_kernel
	.section	.text._ZN7rocprim17ROCPRIM_400000_NS6detail17trampoline_kernelINS0_14default_configENS1_22reduce_config_selectorIbEEZNS1_11reduce_implILb1ES3_N6hipcub16HIPCUB_304000_NS22TransformInputIteratorIbN2at6native12_GLOBAL__N_19NonZeroOpIN3c107complexIdEEEEPKSG_lEEPiiNS8_6detail34convert_binary_result_type_wrapperINS8_3SumESK_iEEEE10hipError_tPvRmT1_T2_T3_mT4_P12ihipStream_tbEUlT_E1_NS1_11comp_targetILNS1_3genE4ELNS1_11target_archE910ELNS1_3gpuE8ELNS1_3repE0EEENS1_30default_config_static_selectorELNS0_4arch9wavefront6targetE0EEEvST_,"axG",@progbits,_ZN7rocprim17ROCPRIM_400000_NS6detail17trampoline_kernelINS0_14default_configENS1_22reduce_config_selectorIbEEZNS1_11reduce_implILb1ES3_N6hipcub16HIPCUB_304000_NS22TransformInputIteratorIbN2at6native12_GLOBAL__N_19NonZeroOpIN3c107complexIdEEEEPKSG_lEEPiiNS8_6detail34convert_binary_result_type_wrapperINS8_3SumESK_iEEEE10hipError_tPvRmT1_T2_T3_mT4_P12ihipStream_tbEUlT_E1_NS1_11comp_targetILNS1_3genE4ELNS1_11target_archE910ELNS1_3gpuE8ELNS1_3repE0EEENS1_30default_config_static_selectorELNS0_4arch9wavefront6targetE0EEEvST_,comdat
.Lfunc_end519:
	.size	_ZN7rocprim17ROCPRIM_400000_NS6detail17trampoline_kernelINS0_14default_configENS1_22reduce_config_selectorIbEEZNS1_11reduce_implILb1ES3_N6hipcub16HIPCUB_304000_NS22TransformInputIteratorIbN2at6native12_GLOBAL__N_19NonZeroOpIN3c107complexIdEEEEPKSG_lEEPiiNS8_6detail34convert_binary_result_type_wrapperINS8_3SumESK_iEEEE10hipError_tPvRmT1_T2_T3_mT4_P12ihipStream_tbEUlT_E1_NS1_11comp_targetILNS1_3genE4ELNS1_11target_archE910ELNS1_3gpuE8ELNS1_3repE0EEENS1_30default_config_static_selectorELNS0_4arch9wavefront6targetE0EEEvST_, .Lfunc_end519-_ZN7rocprim17ROCPRIM_400000_NS6detail17trampoline_kernelINS0_14default_configENS1_22reduce_config_selectorIbEEZNS1_11reduce_implILb1ES3_N6hipcub16HIPCUB_304000_NS22TransformInputIteratorIbN2at6native12_GLOBAL__N_19NonZeroOpIN3c107complexIdEEEEPKSG_lEEPiiNS8_6detail34convert_binary_result_type_wrapperINS8_3SumESK_iEEEE10hipError_tPvRmT1_T2_T3_mT4_P12ihipStream_tbEUlT_E1_NS1_11comp_targetILNS1_3genE4ELNS1_11target_archE910ELNS1_3gpuE8ELNS1_3repE0EEENS1_30default_config_static_selectorELNS0_4arch9wavefront6targetE0EEEvST_
                                        ; -- End function
	.section	.AMDGPU.csdata,"",@progbits
; Kernel info:
; codeLenInByte = 0
; NumSgprs: 0
; NumVgprs: 0
; ScratchSize: 0
; MemoryBound: 0
; FloatMode: 240
; IeeeMode: 1
; LDSByteSize: 0 bytes/workgroup (compile time only)
; SGPRBlocks: 0
; VGPRBlocks: 0
; NumSGPRsForWavesPerEU: 1
; NumVGPRsForWavesPerEU: 1
; Occupancy: 16
; WaveLimiterHint : 0
; COMPUTE_PGM_RSRC2:SCRATCH_EN: 0
; COMPUTE_PGM_RSRC2:USER_SGPR: 15
; COMPUTE_PGM_RSRC2:TRAP_HANDLER: 0
; COMPUTE_PGM_RSRC2:TGID_X_EN: 1
; COMPUTE_PGM_RSRC2:TGID_Y_EN: 0
; COMPUTE_PGM_RSRC2:TGID_Z_EN: 0
; COMPUTE_PGM_RSRC2:TIDIG_COMP_CNT: 0
	.section	.text._ZN7rocprim17ROCPRIM_400000_NS6detail17trampoline_kernelINS0_14default_configENS1_22reduce_config_selectorIbEEZNS1_11reduce_implILb1ES3_N6hipcub16HIPCUB_304000_NS22TransformInputIteratorIbN2at6native12_GLOBAL__N_19NonZeroOpIN3c107complexIdEEEEPKSG_lEEPiiNS8_6detail34convert_binary_result_type_wrapperINS8_3SumESK_iEEEE10hipError_tPvRmT1_T2_T3_mT4_P12ihipStream_tbEUlT_E1_NS1_11comp_targetILNS1_3genE3ELNS1_11target_archE908ELNS1_3gpuE7ELNS1_3repE0EEENS1_30default_config_static_selectorELNS0_4arch9wavefront6targetE0EEEvST_,"axG",@progbits,_ZN7rocprim17ROCPRIM_400000_NS6detail17trampoline_kernelINS0_14default_configENS1_22reduce_config_selectorIbEEZNS1_11reduce_implILb1ES3_N6hipcub16HIPCUB_304000_NS22TransformInputIteratorIbN2at6native12_GLOBAL__N_19NonZeroOpIN3c107complexIdEEEEPKSG_lEEPiiNS8_6detail34convert_binary_result_type_wrapperINS8_3SumESK_iEEEE10hipError_tPvRmT1_T2_T3_mT4_P12ihipStream_tbEUlT_E1_NS1_11comp_targetILNS1_3genE3ELNS1_11target_archE908ELNS1_3gpuE7ELNS1_3repE0EEENS1_30default_config_static_selectorELNS0_4arch9wavefront6targetE0EEEvST_,comdat
	.globl	_ZN7rocprim17ROCPRIM_400000_NS6detail17trampoline_kernelINS0_14default_configENS1_22reduce_config_selectorIbEEZNS1_11reduce_implILb1ES3_N6hipcub16HIPCUB_304000_NS22TransformInputIteratorIbN2at6native12_GLOBAL__N_19NonZeroOpIN3c107complexIdEEEEPKSG_lEEPiiNS8_6detail34convert_binary_result_type_wrapperINS8_3SumESK_iEEEE10hipError_tPvRmT1_T2_T3_mT4_P12ihipStream_tbEUlT_E1_NS1_11comp_targetILNS1_3genE3ELNS1_11target_archE908ELNS1_3gpuE7ELNS1_3repE0EEENS1_30default_config_static_selectorELNS0_4arch9wavefront6targetE0EEEvST_ ; -- Begin function _ZN7rocprim17ROCPRIM_400000_NS6detail17trampoline_kernelINS0_14default_configENS1_22reduce_config_selectorIbEEZNS1_11reduce_implILb1ES3_N6hipcub16HIPCUB_304000_NS22TransformInputIteratorIbN2at6native12_GLOBAL__N_19NonZeroOpIN3c107complexIdEEEEPKSG_lEEPiiNS8_6detail34convert_binary_result_type_wrapperINS8_3SumESK_iEEEE10hipError_tPvRmT1_T2_T3_mT4_P12ihipStream_tbEUlT_E1_NS1_11comp_targetILNS1_3genE3ELNS1_11target_archE908ELNS1_3gpuE7ELNS1_3repE0EEENS1_30default_config_static_selectorELNS0_4arch9wavefront6targetE0EEEvST_
	.p2align	8
	.type	_ZN7rocprim17ROCPRIM_400000_NS6detail17trampoline_kernelINS0_14default_configENS1_22reduce_config_selectorIbEEZNS1_11reduce_implILb1ES3_N6hipcub16HIPCUB_304000_NS22TransformInputIteratorIbN2at6native12_GLOBAL__N_19NonZeroOpIN3c107complexIdEEEEPKSG_lEEPiiNS8_6detail34convert_binary_result_type_wrapperINS8_3SumESK_iEEEE10hipError_tPvRmT1_T2_T3_mT4_P12ihipStream_tbEUlT_E1_NS1_11comp_targetILNS1_3genE3ELNS1_11target_archE908ELNS1_3gpuE7ELNS1_3repE0EEENS1_30default_config_static_selectorELNS0_4arch9wavefront6targetE0EEEvST_,@function
_ZN7rocprim17ROCPRIM_400000_NS6detail17trampoline_kernelINS0_14default_configENS1_22reduce_config_selectorIbEEZNS1_11reduce_implILb1ES3_N6hipcub16HIPCUB_304000_NS22TransformInputIteratorIbN2at6native12_GLOBAL__N_19NonZeroOpIN3c107complexIdEEEEPKSG_lEEPiiNS8_6detail34convert_binary_result_type_wrapperINS8_3SumESK_iEEEE10hipError_tPvRmT1_T2_T3_mT4_P12ihipStream_tbEUlT_E1_NS1_11comp_targetILNS1_3genE3ELNS1_11target_archE908ELNS1_3gpuE7ELNS1_3repE0EEENS1_30default_config_static_selectorELNS0_4arch9wavefront6targetE0EEEvST_: ; @_ZN7rocprim17ROCPRIM_400000_NS6detail17trampoline_kernelINS0_14default_configENS1_22reduce_config_selectorIbEEZNS1_11reduce_implILb1ES3_N6hipcub16HIPCUB_304000_NS22TransformInputIteratorIbN2at6native12_GLOBAL__N_19NonZeroOpIN3c107complexIdEEEEPKSG_lEEPiiNS8_6detail34convert_binary_result_type_wrapperINS8_3SumESK_iEEEE10hipError_tPvRmT1_T2_T3_mT4_P12ihipStream_tbEUlT_E1_NS1_11comp_targetILNS1_3genE3ELNS1_11target_archE908ELNS1_3gpuE7ELNS1_3repE0EEENS1_30default_config_static_selectorELNS0_4arch9wavefront6targetE0EEEvST_
; %bb.0:
	.section	.rodata,"a",@progbits
	.p2align	6, 0x0
	.amdhsa_kernel _ZN7rocprim17ROCPRIM_400000_NS6detail17trampoline_kernelINS0_14default_configENS1_22reduce_config_selectorIbEEZNS1_11reduce_implILb1ES3_N6hipcub16HIPCUB_304000_NS22TransformInputIteratorIbN2at6native12_GLOBAL__N_19NonZeroOpIN3c107complexIdEEEEPKSG_lEEPiiNS8_6detail34convert_binary_result_type_wrapperINS8_3SumESK_iEEEE10hipError_tPvRmT1_T2_T3_mT4_P12ihipStream_tbEUlT_E1_NS1_11comp_targetILNS1_3genE3ELNS1_11target_archE908ELNS1_3gpuE7ELNS1_3repE0EEENS1_30default_config_static_selectorELNS0_4arch9wavefront6targetE0EEEvST_
		.amdhsa_group_segment_fixed_size 0
		.amdhsa_private_segment_fixed_size 0
		.amdhsa_kernarg_size 48
		.amdhsa_user_sgpr_count 15
		.amdhsa_user_sgpr_dispatch_ptr 0
		.amdhsa_user_sgpr_queue_ptr 0
		.amdhsa_user_sgpr_kernarg_segment_ptr 1
		.amdhsa_user_sgpr_dispatch_id 0
		.amdhsa_user_sgpr_private_segment_size 0
		.amdhsa_wavefront_size32 1
		.amdhsa_uses_dynamic_stack 0
		.amdhsa_enable_private_segment 0
		.amdhsa_system_sgpr_workgroup_id_x 1
		.amdhsa_system_sgpr_workgroup_id_y 0
		.amdhsa_system_sgpr_workgroup_id_z 0
		.amdhsa_system_sgpr_workgroup_info 0
		.amdhsa_system_vgpr_workitem_id 0
		.amdhsa_next_free_vgpr 1
		.amdhsa_next_free_sgpr 1
		.amdhsa_reserve_vcc 0
		.amdhsa_float_round_mode_32 0
		.amdhsa_float_round_mode_16_64 0
		.amdhsa_float_denorm_mode_32 3
		.amdhsa_float_denorm_mode_16_64 3
		.amdhsa_dx10_clamp 1
		.amdhsa_ieee_mode 1
		.amdhsa_fp16_overflow 0
		.amdhsa_workgroup_processor_mode 1
		.amdhsa_memory_ordered 1
		.amdhsa_forward_progress 0
		.amdhsa_shared_vgpr_count 0
		.amdhsa_exception_fp_ieee_invalid_op 0
		.amdhsa_exception_fp_denorm_src 0
		.amdhsa_exception_fp_ieee_div_zero 0
		.amdhsa_exception_fp_ieee_overflow 0
		.amdhsa_exception_fp_ieee_underflow 0
		.amdhsa_exception_fp_ieee_inexact 0
		.amdhsa_exception_int_div_zero 0
	.end_amdhsa_kernel
	.section	.text._ZN7rocprim17ROCPRIM_400000_NS6detail17trampoline_kernelINS0_14default_configENS1_22reduce_config_selectorIbEEZNS1_11reduce_implILb1ES3_N6hipcub16HIPCUB_304000_NS22TransformInputIteratorIbN2at6native12_GLOBAL__N_19NonZeroOpIN3c107complexIdEEEEPKSG_lEEPiiNS8_6detail34convert_binary_result_type_wrapperINS8_3SumESK_iEEEE10hipError_tPvRmT1_T2_T3_mT4_P12ihipStream_tbEUlT_E1_NS1_11comp_targetILNS1_3genE3ELNS1_11target_archE908ELNS1_3gpuE7ELNS1_3repE0EEENS1_30default_config_static_selectorELNS0_4arch9wavefront6targetE0EEEvST_,"axG",@progbits,_ZN7rocprim17ROCPRIM_400000_NS6detail17trampoline_kernelINS0_14default_configENS1_22reduce_config_selectorIbEEZNS1_11reduce_implILb1ES3_N6hipcub16HIPCUB_304000_NS22TransformInputIteratorIbN2at6native12_GLOBAL__N_19NonZeroOpIN3c107complexIdEEEEPKSG_lEEPiiNS8_6detail34convert_binary_result_type_wrapperINS8_3SumESK_iEEEE10hipError_tPvRmT1_T2_T3_mT4_P12ihipStream_tbEUlT_E1_NS1_11comp_targetILNS1_3genE3ELNS1_11target_archE908ELNS1_3gpuE7ELNS1_3repE0EEENS1_30default_config_static_selectorELNS0_4arch9wavefront6targetE0EEEvST_,comdat
.Lfunc_end520:
	.size	_ZN7rocprim17ROCPRIM_400000_NS6detail17trampoline_kernelINS0_14default_configENS1_22reduce_config_selectorIbEEZNS1_11reduce_implILb1ES3_N6hipcub16HIPCUB_304000_NS22TransformInputIteratorIbN2at6native12_GLOBAL__N_19NonZeroOpIN3c107complexIdEEEEPKSG_lEEPiiNS8_6detail34convert_binary_result_type_wrapperINS8_3SumESK_iEEEE10hipError_tPvRmT1_T2_T3_mT4_P12ihipStream_tbEUlT_E1_NS1_11comp_targetILNS1_3genE3ELNS1_11target_archE908ELNS1_3gpuE7ELNS1_3repE0EEENS1_30default_config_static_selectorELNS0_4arch9wavefront6targetE0EEEvST_, .Lfunc_end520-_ZN7rocprim17ROCPRIM_400000_NS6detail17trampoline_kernelINS0_14default_configENS1_22reduce_config_selectorIbEEZNS1_11reduce_implILb1ES3_N6hipcub16HIPCUB_304000_NS22TransformInputIteratorIbN2at6native12_GLOBAL__N_19NonZeroOpIN3c107complexIdEEEEPKSG_lEEPiiNS8_6detail34convert_binary_result_type_wrapperINS8_3SumESK_iEEEE10hipError_tPvRmT1_T2_T3_mT4_P12ihipStream_tbEUlT_E1_NS1_11comp_targetILNS1_3genE3ELNS1_11target_archE908ELNS1_3gpuE7ELNS1_3repE0EEENS1_30default_config_static_selectorELNS0_4arch9wavefront6targetE0EEEvST_
                                        ; -- End function
	.section	.AMDGPU.csdata,"",@progbits
; Kernel info:
; codeLenInByte = 0
; NumSgprs: 0
; NumVgprs: 0
; ScratchSize: 0
; MemoryBound: 0
; FloatMode: 240
; IeeeMode: 1
; LDSByteSize: 0 bytes/workgroup (compile time only)
; SGPRBlocks: 0
; VGPRBlocks: 0
; NumSGPRsForWavesPerEU: 1
; NumVGPRsForWavesPerEU: 1
; Occupancy: 16
; WaveLimiterHint : 0
; COMPUTE_PGM_RSRC2:SCRATCH_EN: 0
; COMPUTE_PGM_RSRC2:USER_SGPR: 15
; COMPUTE_PGM_RSRC2:TRAP_HANDLER: 0
; COMPUTE_PGM_RSRC2:TGID_X_EN: 1
; COMPUTE_PGM_RSRC2:TGID_Y_EN: 0
; COMPUTE_PGM_RSRC2:TGID_Z_EN: 0
; COMPUTE_PGM_RSRC2:TIDIG_COMP_CNT: 0
	.section	.text._ZN7rocprim17ROCPRIM_400000_NS6detail17trampoline_kernelINS0_14default_configENS1_22reduce_config_selectorIbEEZNS1_11reduce_implILb1ES3_N6hipcub16HIPCUB_304000_NS22TransformInputIteratorIbN2at6native12_GLOBAL__N_19NonZeroOpIN3c107complexIdEEEEPKSG_lEEPiiNS8_6detail34convert_binary_result_type_wrapperINS8_3SumESK_iEEEE10hipError_tPvRmT1_T2_T3_mT4_P12ihipStream_tbEUlT_E1_NS1_11comp_targetILNS1_3genE2ELNS1_11target_archE906ELNS1_3gpuE6ELNS1_3repE0EEENS1_30default_config_static_selectorELNS0_4arch9wavefront6targetE0EEEvST_,"axG",@progbits,_ZN7rocprim17ROCPRIM_400000_NS6detail17trampoline_kernelINS0_14default_configENS1_22reduce_config_selectorIbEEZNS1_11reduce_implILb1ES3_N6hipcub16HIPCUB_304000_NS22TransformInputIteratorIbN2at6native12_GLOBAL__N_19NonZeroOpIN3c107complexIdEEEEPKSG_lEEPiiNS8_6detail34convert_binary_result_type_wrapperINS8_3SumESK_iEEEE10hipError_tPvRmT1_T2_T3_mT4_P12ihipStream_tbEUlT_E1_NS1_11comp_targetILNS1_3genE2ELNS1_11target_archE906ELNS1_3gpuE6ELNS1_3repE0EEENS1_30default_config_static_selectorELNS0_4arch9wavefront6targetE0EEEvST_,comdat
	.globl	_ZN7rocprim17ROCPRIM_400000_NS6detail17trampoline_kernelINS0_14default_configENS1_22reduce_config_selectorIbEEZNS1_11reduce_implILb1ES3_N6hipcub16HIPCUB_304000_NS22TransformInputIteratorIbN2at6native12_GLOBAL__N_19NonZeroOpIN3c107complexIdEEEEPKSG_lEEPiiNS8_6detail34convert_binary_result_type_wrapperINS8_3SumESK_iEEEE10hipError_tPvRmT1_T2_T3_mT4_P12ihipStream_tbEUlT_E1_NS1_11comp_targetILNS1_3genE2ELNS1_11target_archE906ELNS1_3gpuE6ELNS1_3repE0EEENS1_30default_config_static_selectorELNS0_4arch9wavefront6targetE0EEEvST_ ; -- Begin function _ZN7rocprim17ROCPRIM_400000_NS6detail17trampoline_kernelINS0_14default_configENS1_22reduce_config_selectorIbEEZNS1_11reduce_implILb1ES3_N6hipcub16HIPCUB_304000_NS22TransformInputIteratorIbN2at6native12_GLOBAL__N_19NonZeroOpIN3c107complexIdEEEEPKSG_lEEPiiNS8_6detail34convert_binary_result_type_wrapperINS8_3SumESK_iEEEE10hipError_tPvRmT1_T2_T3_mT4_P12ihipStream_tbEUlT_E1_NS1_11comp_targetILNS1_3genE2ELNS1_11target_archE906ELNS1_3gpuE6ELNS1_3repE0EEENS1_30default_config_static_selectorELNS0_4arch9wavefront6targetE0EEEvST_
	.p2align	8
	.type	_ZN7rocprim17ROCPRIM_400000_NS6detail17trampoline_kernelINS0_14default_configENS1_22reduce_config_selectorIbEEZNS1_11reduce_implILb1ES3_N6hipcub16HIPCUB_304000_NS22TransformInputIteratorIbN2at6native12_GLOBAL__N_19NonZeroOpIN3c107complexIdEEEEPKSG_lEEPiiNS8_6detail34convert_binary_result_type_wrapperINS8_3SumESK_iEEEE10hipError_tPvRmT1_T2_T3_mT4_P12ihipStream_tbEUlT_E1_NS1_11comp_targetILNS1_3genE2ELNS1_11target_archE906ELNS1_3gpuE6ELNS1_3repE0EEENS1_30default_config_static_selectorELNS0_4arch9wavefront6targetE0EEEvST_,@function
_ZN7rocprim17ROCPRIM_400000_NS6detail17trampoline_kernelINS0_14default_configENS1_22reduce_config_selectorIbEEZNS1_11reduce_implILb1ES3_N6hipcub16HIPCUB_304000_NS22TransformInputIteratorIbN2at6native12_GLOBAL__N_19NonZeroOpIN3c107complexIdEEEEPKSG_lEEPiiNS8_6detail34convert_binary_result_type_wrapperINS8_3SumESK_iEEEE10hipError_tPvRmT1_T2_T3_mT4_P12ihipStream_tbEUlT_E1_NS1_11comp_targetILNS1_3genE2ELNS1_11target_archE906ELNS1_3gpuE6ELNS1_3repE0EEENS1_30default_config_static_selectorELNS0_4arch9wavefront6targetE0EEEvST_: ; @_ZN7rocprim17ROCPRIM_400000_NS6detail17trampoline_kernelINS0_14default_configENS1_22reduce_config_selectorIbEEZNS1_11reduce_implILb1ES3_N6hipcub16HIPCUB_304000_NS22TransformInputIteratorIbN2at6native12_GLOBAL__N_19NonZeroOpIN3c107complexIdEEEEPKSG_lEEPiiNS8_6detail34convert_binary_result_type_wrapperINS8_3SumESK_iEEEE10hipError_tPvRmT1_T2_T3_mT4_P12ihipStream_tbEUlT_E1_NS1_11comp_targetILNS1_3genE2ELNS1_11target_archE906ELNS1_3gpuE6ELNS1_3repE0EEENS1_30default_config_static_selectorELNS0_4arch9wavefront6targetE0EEEvST_
; %bb.0:
	.section	.rodata,"a",@progbits
	.p2align	6, 0x0
	.amdhsa_kernel _ZN7rocprim17ROCPRIM_400000_NS6detail17trampoline_kernelINS0_14default_configENS1_22reduce_config_selectorIbEEZNS1_11reduce_implILb1ES3_N6hipcub16HIPCUB_304000_NS22TransformInputIteratorIbN2at6native12_GLOBAL__N_19NonZeroOpIN3c107complexIdEEEEPKSG_lEEPiiNS8_6detail34convert_binary_result_type_wrapperINS8_3SumESK_iEEEE10hipError_tPvRmT1_T2_T3_mT4_P12ihipStream_tbEUlT_E1_NS1_11comp_targetILNS1_3genE2ELNS1_11target_archE906ELNS1_3gpuE6ELNS1_3repE0EEENS1_30default_config_static_selectorELNS0_4arch9wavefront6targetE0EEEvST_
		.amdhsa_group_segment_fixed_size 0
		.amdhsa_private_segment_fixed_size 0
		.amdhsa_kernarg_size 48
		.amdhsa_user_sgpr_count 15
		.amdhsa_user_sgpr_dispatch_ptr 0
		.amdhsa_user_sgpr_queue_ptr 0
		.amdhsa_user_sgpr_kernarg_segment_ptr 1
		.amdhsa_user_sgpr_dispatch_id 0
		.amdhsa_user_sgpr_private_segment_size 0
		.amdhsa_wavefront_size32 1
		.amdhsa_uses_dynamic_stack 0
		.amdhsa_enable_private_segment 0
		.amdhsa_system_sgpr_workgroup_id_x 1
		.amdhsa_system_sgpr_workgroup_id_y 0
		.amdhsa_system_sgpr_workgroup_id_z 0
		.amdhsa_system_sgpr_workgroup_info 0
		.amdhsa_system_vgpr_workitem_id 0
		.amdhsa_next_free_vgpr 1
		.amdhsa_next_free_sgpr 1
		.amdhsa_reserve_vcc 0
		.amdhsa_float_round_mode_32 0
		.amdhsa_float_round_mode_16_64 0
		.amdhsa_float_denorm_mode_32 3
		.amdhsa_float_denorm_mode_16_64 3
		.amdhsa_dx10_clamp 1
		.amdhsa_ieee_mode 1
		.amdhsa_fp16_overflow 0
		.amdhsa_workgroup_processor_mode 1
		.amdhsa_memory_ordered 1
		.amdhsa_forward_progress 0
		.amdhsa_shared_vgpr_count 0
		.amdhsa_exception_fp_ieee_invalid_op 0
		.amdhsa_exception_fp_denorm_src 0
		.amdhsa_exception_fp_ieee_div_zero 0
		.amdhsa_exception_fp_ieee_overflow 0
		.amdhsa_exception_fp_ieee_underflow 0
		.amdhsa_exception_fp_ieee_inexact 0
		.amdhsa_exception_int_div_zero 0
	.end_amdhsa_kernel
	.section	.text._ZN7rocprim17ROCPRIM_400000_NS6detail17trampoline_kernelINS0_14default_configENS1_22reduce_config_selectorIbEEZNS1_11reduce_implILb1ES3_N6hipcub16HIPCUB_304000_NS22TransformInputIteratorIbN2at6native12_GLOBAL__N_19NonZeroOpIN3c107complexIdEEEEPKSG_lEEPiiNS8_6detail34convert_binary_result_type_wrapperINS8_3SumESK_iEEEE10hipError_tPvRmT1_T2_T3_mT4_P12ihipStream_tbEUlT_E1_NS1_11comp_targetILNS1_3genE2ELNS1_11target_archE906ELNS1_3gpuE6ELNS1_3repE0EEENS1_30default_config_static_selectorELNS0_4arch9wavefront6targetE0EEEvST_,"axG",@progbits,_ZN7rocprim17ROCPRIM_400000_NS6detail17trampoline_kernelINS0_14default_configENS1_22reduce_config_selectorIbEEZNS1_11reduce_implILb1ES3_N6hipcub16HIPCUB_304000_NS22TransformInputIteratorIbN2at6native12_GLOBAL__N_19NonZeroOpIN3c107complexIdEEEEPKSG_lEEPiiNS8_6detail34convert_binary_result_type_wrapperINS8_3SumESK_iEEEE10hipError_tPvRmT1_T2_T3_mT4_P12ihipStream_tbEUlT_E1_NS1_11comp_targetILNS1_3genE2ELNS1_11target_archE906ELNS1_3gpuE6ELNS1_3repE0EEENS1_30default_config_static_selectorELNS0_4arch9wavefront6targetE0EEEvST_,comdat
.Lfunc_end521:
	.size	_ZN7rocprim17ROCPRIM_400000_NS6detail17trampoline_kernelINS0_14default_configENS1_22reduce_config_selectorIbEEZNS1_11reduce_implILb1ES3_N6hipcub16HIPCUB_304000_NS22TransformInputIteratorIbN2at6native12_GLOBAL__N_19NonZeroOpIN3c107complexIdEEEEPKSG_lEEPiiNS8_6detail34convert_binary_result_type_wrapperINS8_3SumESK_iEEEE10hipError_tPvRmT1_T2_T3_mT4_P12ihipStream_tbEUlT_E1_NS1_11comp_targetILNS1_3genE2ELNS1_11target_archE906ELNS1_3gpuE6ELNS1_3repE0EEENS1_30default_config_static_selectorELNS0_4arch9wavefront6targetE0EEEvST_, .Lfunc_end521-_ZN7rocprim17ROCPRIM_400000_NS6detail17trampoline_kernelINS0_14default_configENS1_22reduce_config_selectorIbEEZNS1_11reduce_implILb1ES3_N6hipcub16HIPCUB_304000_NS22TransformInputIteratorIbN2at6native12_GLOBAL__N_19NonZeroOpIN3c107complexIdEEEEPKSG_lEEPiiNS8_6detail34convert_binary_result_type_wrapperINS8_3SumESK_iEEEE10hipError_tPvRmT1_T2_T3_mT4_P12ihipStream_tbEUlT_E1_NS1_11comp_targetILNS1_3genE2ELNS1_11target_archE906ELNS1_3gpuE6ELNS1_3repE0EEENS1_30default_config_static_selectorELNS0_4arch9wavefront6targetE0EEEvST_
                                        ; -- End function
	.section	.AMDGPU.csdata,"",@progbits
; Kernel info:
; codeLenInByte = 0
; NumSgprs: 0
; NumVgprs: 0
; ScratchSize: 0
; MemoryBound: 0
; FloatMode: 240
; IeeeMode: 1
; LDSByteSize: 0 bytes/workgroup (compile time only)
; SGPRBlocks: 0
; VGPRBlocks: 0
; NumSGPRsForWavesPerEU: 1
; NumVGPRsForWavesPerEU: 1
; Occupancy: 16
; WaveLimiterHint : 0
; COMPUTE_PGM_RSRC2:SCRATCH_EN: 0
; COMPUTE_PGM_RSRC2:USER_SGPR: 15
; COMPUTE_PGM_RSRC2:TRAP_HANDLER: 0
; COMPUTE_PGM_RSRC2:TGID_X_EN: 1
; COMPUTE_PGM_RSRC2:TGID_Y_EN: 0
; COMPUTE_PGM_RSRC2:TGID_Z_EN: 0
; COMPUTE_PGM_RSRC2:TIDIG_COMP_CNT: 0
	.section	.text._ZN7rocprim17ROCPRIM_400000_NS6detail17trampoline_kernelINS0_14default_configENS1_22reduce_config_selectorIbEEZNS1_11reduce_implILb1ES3_N6hipcub16HIPCUB_304000_NS22TransformInputIteratorIbN2at6native12_GLOBAL__N_19NonZeroOpIN3c107complexIdEEEEPKSG_lEEPiiNS8_6detail34convert_binary_result_type_wrapperINS8_3SumESK_iEEEE10hipError_tPvRmT1_T2_T3_mT4_P12ihipStream_tbEUlT_E1_NS1_11comp_targetILNS1_3genE10ELNS1_11target_archE1201ELNS1_3gpuE5ELNS1_3repE0EEENS1_30default_config_static_selectorELNS0_4arch9wavefront6targetE0EEEvST_,"axG",@progbits,_ZN7rocprim17ROCPRIM_400000_NS6detail17trampoline_kernelINS0_14default_configENS1_22reduce_config_selectorIbEEZNS1_11reduce_implILb1ES3_N6hipcub16HIPCUB_304000_NS22TransformInputIteratorIbN2at6native12_GLOBAL__N_19NonZeroOpIN3c107complexIdEEEEPKSG_lEEPiiNS8_6detail34convert_binary_result_type_wrapperINS8_3SumESK_iEEEE10hipError_tPvRmT1_T2_T3_mT4_P12ihipStream_tbEUlT_E1_NS1_11comp_targetILNS1_3genE10ELNS1_11target_archE1201ELNS1_3gpuE5ELNS1_3repE0EEENS1_30default_config_static_selectorELNS0_4arch9wavefront6targetE0EEEvST_,comdat
	.globl	_ZN7rocprim17ROCPRIM_400000_NS6detail17trampoline_kernelINS0_14default_configENS1_22reduce_config_selectorIbEEZNS1_11reduce_implILb1ES3_N6hipcub16HIPCUB_304000_NS22TransformInputIteratorIbN2at6native12_GLOBAL__N_19NonZeroOpIN3c107complexIdEEEEPKSG_lEEPiiNS8_6detail34convert_binary_result_type_wrapperINS8_3SumESK_iEEEE10hipError_tPvRmT1_T2_T3_mT4_P12ihipStream_tbEUlT_E1_NS1_11comp_targetILNS1_3genE10ELNS1_11target_archE1201ELNS1_3gpuE5ELNS1_3repE0EEENS1_30default_config_static_selectorELNS0_4arch9wavefront6targetE0EEEvST_ ; -- Begin function _ZN7rocprim17ROCPRIM_400000_NS6detail17trampoline_kernelINS0_14default_configENS1_22reduce_config_selectorIbEEZNS1_11reduce_implILb1ES3_N6hipcub16HIPCUB_304000_NS22TransformInputIteratorIbN2at6native12_GLOBAL__N_19NonZeroOpIN3c107complexIdEEEEPKSG_lEEPiiNS8_6detail34convert_binary_result_type_wrapperINS8_3SumESK_iEEEE10hipError_tPvRmT1_T2_T3_mT4_P12ihipStream_tbEUlT_E1_NS1_11comp_targetILNS1_3genE10ELNS1_11target_archE1201ELNS1_3gpuE5ELNS1_3repE0EEENS1_30default_config_static_selectorELNS0_4arch9wavefront6targetE0EEEvST_
	.p2align	8
	.type	_ZN7rocprim17ROCPRIM_400000_NS6detail17trampoline_kernelINS0_14default_configENS1_22reduce_config_selectorIbEEZNS1_11reduce_implILb1ES3_N6hipcub16HIPCUB_304000_NS22TransformInputIteratorIbN2at6native12_GLOBAL__N_19NonZeroOpIN3c107complexIdEEEEPKSG_lEEPiiNS8_6detail34convert_binary_result_type_wrapperINS8_3SumESK_iEEEE10hipError_tPvRmT1_T2_T3_mT4_P12ihipStream_tbEUlT_E1_NS1_11comp_targetILNS1_3genE10ELNS1_11target_archE1201ELNS1_3gpuE5ELNS1_3repE0EEENS1_30default_config_static_selectorELNS0_4arch9wavefront6targetE0EEEvST_,@function
_ZN7rocprim17ROCPRIM_400000_NS6detail17trampoline_kernelINS0_14default_configENS1_22reduce_config_selectorIbEEZNS1_11reduce_implILb1ES3_N6hipcub16HIPCUB_304000_NS22TransformInputIteratorIbN2at6native12_GLOBAL__N_19NonZeroOpIN3c107complexIdEEEEPKSG_lEEPiiNS8_6detail34convert_binary_result_type_wrapperINS8_3SumESK_iEEEE10hipError_tPvRmT1_T2_T3_mT4_P12ihipStream_tbEUlT_E1_NS1_11comp_targetILNS1_3genE10ELNS1_11target_archE1201ELNS1_3gpuE5ELNS1_3repE0EEENS1_30default_config_static_selectorELNS0_4arch9wavefront6targetE0EEEvST_: ; @_ZN7rocprim17ROCPRIM_400000_NS6detail17trampoline_kernelINS0_14default_configENS1_22reduce_config_selectorIbEEZNS1_11reduce_implILb1ES3_N6hipcub16HIPCUB_304000_NS22TransformInputIteratorIbN2at6native12_GLOBAL__N_19NonZeroOpIN3c107complexIdEEEEPKSG_lEEPiiNS8_6detail34convert_binary_result_type_wrapperINS8_3SumESK_iEEEE10hipError_tPvRmT1_T2_T3_mT4_P12ihipStream_tbEUlT_E1_NS1_11comp_targetILNS1_3genE10ELNS1_11target_archE1201ELNS1_3gpuE5ELNS1_3repE0EEENS1_30default_config_static_selectorELNS0_4arch9wavefront6targetE0EEEvST_
; %bb.0:
	.section	.rodata,"a",@progbits
	.p2align	6, 0x0
	.amdhsa_kernel _ZN7rocprim17ROCPRIM_400000_NS6detail17trampoline_kernelINS0_14default_configENS1_22reduce_config_selectorIbEEZNS1_11reduce_implILb1ES3_N6hipcub16HIPCUB_304000_NS22TransformInputIteratorIbN2at6native12_GLOBAL__N_19NonZeroOpIN3c107complexIdEEEEPKSG_lEEPiiNS8_6detail34convert_binary_result_type_wrapperINS8_3SumESK_iEEEE10hipError_tPvRmT1_T2_T3_mT4_P12ihipStream_tbEUlT_E1_NS1_11comp_targetILNS1_3genE10ELNS1_11target_archE1201ELNS1_3gpuE5ELNS1_3repE0EEENS1_30default_config_static_selectorELNS0_4arch9wavefront6targetE0EEEvST_
		.amdhsa_group_segment_fixed_size 0
		.amdhsa_private_segment_fixed_size 0
		.amdhsa_kernarg_size 48
		.amdhsa_user_sgpr_count 15
		.amdhsa_user_sgpr_dispatch_ptr 0
		.amdhsa_user_sgpr_queue_ptr 0
		.amdhsa_user_sgpr_kernarg_segment_ptr 1
		.amdhsa_user_sgpr_dispatch_id 0
		.amdhsa_user_sgpr_private_segment_size 0
		.amdhsa_wavefront_size32 1
		.amdhsa_uses_dynamic_stack 0
		.amdhsa_enable_private_segment 0
		.amdhsa_system_sgpr_workgroup_id_x 1
		.amdhsa_system_sgpr_workgroup_id_y 0
		.amdhsa_system_sgpr_workgroup_id_z 0
		.amdhsa_system_sgpr_workgroup_info 0
		.amdhsa_system_vgpr_workitem_id 0
		.amdhsa_next_free_vgpr 1
		.amdhsa_next_free_sgpr 1
		.amdhsa_reserve_vcc 0
		.amdhsa_float_round_mode_32 0
		.amdhsa_float_round_mode_16_64 0
		.amdhsa_float_denorm_mode_32 3
		.amdhsa_float_denorm_mode_16_64 3
		.amdhsa_dx10_clamp 1
		.amdhsa_ieee_mode 1
		.amdhsa_fp16_overflow 0
		.amdhsa_workgroup_processor_mode 1
		.amdhsa_memory_ordered 1
		.amdhsa_forward_progress 0
		.amdhsa_shared_vgpr_count 0
		.amdhsa_exception_fp_ieee_invalid_op 0
		.amdhsa_exception_fp_denorm_src 0
		.amdhsa_exception_fp_ieee_div_zero 0
		.amdhsa_exception_fp_ieee_overflow 0
		.amdhsa_exception_fp_ieee_underflow 0
		.amdhsa_exception_fp_ieee_inexact 0
		.amdhsa_exception_int_div_zero 0
	.end_amdhsa_kernel
	.section	.text._ZN7rocprim17ROCPRIM_400000_NS6detail17trampoline_kernelINS0_14default_configENS1_22reduce_config_selectorIbEEZNS1_11reduce_implILb1ES3_N6hipcub16HIPCUB_304000_NS22TransformInputIteratorIbN2at6native12_GLOBAL__N_19NonZeroOpIN3c107complexIdEEEEPKSG_lEEPiiNS8_6detail34convert_binary_result_type_wrapperINS8_3SumESK_iEEEE10hipError_tPvRmT1_T2_T3_mT4_P12ihipStream_tbEUlT_E1_NS1_11comp_targetILNS1_3genE10ELNS1_11target_archE1201ELNS1_3gpuE5ELNS1_3repE0EEENS1_30default_config_static_selectorELNS0_4arch9wavefront6targetE0EEEvST_,"axG",@progbits,_ZN7rocprim17ROCPRIM_400000_NS6detail17trampoline_kernelINS0_14default_configENS1_22reduce_config_selectorIbEEZNS1_11reduce_implILb1ES3_N6hipcub16HIPCUB_304000_NS22TransformInputIteratorIbN2at6native12_GLOBAL__N_19NonZeroOpIN3c107complexIdEEEEPKSG_lEEPiiNS8_6detail34convert_binary_result_type_wrapperINS8_3SumESK_iEEEE10hipError_tPvRmT1_T2_T3_mT4_P12ihipStream_tbEUlT_E1_NS1_11comp_targetILNS1_3genE10ELNS1_11target_archE1201ELNS1_3gpuE5ELNS1_3repE0EEENS1_30default_config_static_selectorELNS0_4arch9wavefront6targetE0EEEvST_,comdat
.Lfunc_end522:
	.size	_ZN7rocprim17ROCPRIM_400000_NS6detail17trampoline_kernelINS0_14default_configENS1_22reduce_config_selectorIbEEZNS1_11reduce_implILb1ES3_N6hipcub16HIPCUB_304000_NS22TransformInputIteratorIbN2at6native12_GLOBAL__N_19NonZeroOpIN3c107complexIdEEEEPKSG_lEEPiiNS8_6detail34convert_binary_result_type_wrapperINS8_3SumESK_iEEEE10hipError_tPvRmT1_T2_T3_mT4_P12ihipStream_tbEUlT_E1_NS1_11comp_targetILNS1_3genE10ELNS1_11target_archE1201ELNS1_3gpuE5ELNS1_3repE0EEENS1_30default_config_static_selectorELNS0_4arch9wavefront6targetE0EEEvST_, .Lfunc_end522-_ZN7rocprim17ROCPRIM_400000_NS6detail17trampoline_kernelINS0_14default_configENS1_22reduce_config_selectorIbEEZNS1_11reduce_implILb1ES3_N6hipcub16HIPCUB_304000_NS22TransformInputIteratorIbN2at6native12_GLOBAL__N_19NonZeroOpIN3c107complexIdEEEEPKSG_lEEPiiNS8_6detail34convert_binary_result_type_wrapperINS8_3SumESK_iEEEE10hipError_tPvRmT1_T2_T3_mT4_P12ihipStream_tbEUlT_E1_NS1_11comp_targetILNS1_3genE10ELNS1_11target_archE1201ELNS1_3gpuE5ELNS1_3repE0EEENS1_30default_config_static_selectorELNS0_4arch9wavefront6targetE0EEEvST_
                                        ; -- End function
	.section	.AMDGPU.csdata,"",@progbits
; Kernel info:
; codeLenInByte = 0
; NumSgprs: 0
; NumVgprs: 0
; ScratchSize: 0
; MemoryBound: 0
; FloatMode: 240
; IeeeMode: 1
; LDSByteSize: 0 bytes/workgroup (compile time only)
; SGPRBlocks: 0
; VGPRBlocks: 0
; NumSGPRsForWavesPerEU: 1
; NumVGPRsForWavesPerEU: 1
; Occupancy: 16
; WaveLimiterHint : 0
; COMPUTE_PGM_RSRC2:SCRATCH_EN: 0
; COMPUTE_PGM_RSRC2:USER_SGPR: 15
; COMPUTE_PGM_RSRC2:TRAP_HANDLER: 0
; COMPUTE_PGM_RSRC2:TGID_X_EN: 1
; COMPUTE_PGM_RSRC2:TGID_Y_EN: 0
; COMPUTE_PGM_RSRC2:TGID_Z_EN: 0
; COMPUTE_PGM_RSRC2:TIDIG_COMP_CNT: 0
	.section	.text._ZN7rocprim17ROCPRIM_400000_NS6detail17trampoline_kernelINS0_14default_configENS1_22reduce_config_selectorIbEEZNS1_11reduce_implILb1ES3_N6hipcub16HIPCUB_304000_NS22TransformInputIteratorIbN2at6native12_GLOBAL__N_19NonZeroOpIN3c107complexIdEEEEPKSG_lEEPiiNS8_6detail34convert_binary_result_type_wrapperINS8_3SumESK_iEEEE10hipError_tPvRmT1_T2_T3_mT4_P12ihipStream_tbEUlT_E1_NS1_11comp_targetILNS1_3genE10ELNS1_11target_archE1200ELNS1_3gpuE4ELNS1_3repE0EEENS1_30default_config_static_selectorELNS0_4arch9wavefront6targetE0EEEvST_,"axG",@progbits,_ZN7rocprim17ROCPRIM_400000_NS6detail17trampoline_kernelINS0_14default_configENS1_22reduce_config_selectorIbEEZNS1_11reduce_implILb1ES3_N6hipcub16HIPCUB_304000_NS22TransformInputIteratorIbN2at6native12_GLOBAL__N_19NonZeroOpIN3c107complexIdEEEEPKSG_lEEPiiNS8_6detail34convert_binary_result_type_wrapperINS8_3SumESK_iEEEE10hipError_tPvRmT1_T2_T3_mT4_P12ihipStream_tbEUlT_E1_NS1_11comp_targetILNS1_3genE10ELNS1_11target_archE1200ELNS1_3gpuE4ELNS1_3repE0EEENS1_30default_config_static_selectorELNS0_4arch9wavefront6targetE0EEEvST_,comdat
	.globl	_ZN7rocprim17ROCPRIM_400000_NS6detail17trampoline_kernelINS0_14default_configENS1_22reduce_config_selectorIbEEZNS1_11reduce_implILb1ES3_N6hipcub16HIPCUB_304000_NS22TransformInputIteratorIbN2at6native12_GLOBAL__N_19NonZeroOpIN3c107complexIdEEEEPKSG_lEEPiiNS8_6detail34convert_binary_result_type_wrapperINS8_3SumESK_iEEEE10hipError_tPvRmT1_T2_T3_mT4_P12ihipStream_tbEUlT_E1_NS1_11comp_targetILNS1_3genE10ELNS1_11target_archE1200ELNS1_3gpuE4ELNS1_3repE0EEENS1_30default_config_static_selectorELNS0_4arch9wavefront6targetE0EEEvST_ ; -- Begin function _ZN7rocprim17ROCPRIM_400000_NS6detail17trampoline_kernelINS0_14default_configENS1_22reduce_config_selectorIbEEZNS1_11reduce_implILb1ES3_N6hipcub16HIPCUB_304000_NS22TransformInputIteratorIbN2at6native12_GLOBAL__N_19NonZeroOpIN3c107complexIdEEEEPKSG_lEEPiiNS8_6detail34convert_binary_result_type_wrapperINS8_3SumESK_iEEEE10hipError_tPvRmT1_T2_T3_mT4_P12ihipStream_tbEUlT_E1_NS1_11comp_targetILNS1_3genE10ELNS1_11target_archE1200ELNS1_3gpuE4ELNS1_3repE0EEENS1_30default_config_static_selectorELNS0_4arch9wavefront6targetE0EEEvST_
	.p2align	8
	.type	_ZN7rocprim17ROCPRIM_400000_NS6detail17trampoline_kernelINS0_14default_configENS1_22reduce_config_selectorIbEEZNS1_11reduce_implILb1ES3_N6hipcub16HIPCUB_304000_NS22TransformInputIteratorIbN2at6native12_GLOBAL__N_19NonZeroOpIN3c107complexIdEEEEPKSG_lEEPiiNS8_6detail34convert_binary_result_type_wrapperINS8_3SumESK_iEEEE10hipError_tPvRmT1_T2_T3_mT4_P12ihipStream_tbEUlT_E1_NS1_11comp_targetILNS1_3genE10ELNS1_11target_archE1200ELNS1_3gpuE4ELNS1_3repE0EEENS1_30default_config_static_selectorELNS0_4arch9wavefront6targetE0EEEvST_,@function
_ZN7rocprim17ROCPRIM_400000_NS6detail17trampoline_kernelINS0_14default_configENS1_22reduce_config_selectorIbEEZNS1_11reduce_implILb1ES3_N6hipcub16HIPCUB_304000_NS22TransformInputIteratorIbN2at6native12_GLOBAL__N_19NonZeroOpIN3c107complexIdEEEEPKSG_lEEPiiNS8_6detail34convert_binary_result_type_wrapperINS8_3SumESK_iEEEE10hipError_tPvRmT1_T2_T3_mT4_P12ihipStream_tbEUlT_E1_NS1_11comp_targetILNS1_3genE10ELNS1_11target_archE1200ELNS1_3gpuE4ELNS1_3repE0EEENS1_30default_config_static_selectorELNS0_4arch9wavefront6targetE0EEEvST_: ; @_ZN7rocprim17ROCPRIM_400000_NS6detail17trampoline_kernelINS0_14default_configENS1_22reduce_config_selectorIbEEZNS1_11reduce_implILb1ES3_N6hipcub16HIPCUB_304000_NS22TransformInputIteratorIbN2at6native12_GLOBAL__N_19NonZeroOpIN3c107complexIdEEEEPKSG_lEEPiiNS8_6detail34convert_binary_result_type_wrapperINS8_3SumESK_iEEEE10hipError_tPvRmT1_T2_T3_mT4_P12ihipStream_tbEUlT_E1_NS1_11comp_targetILNS1_3genE10ELNS1_11target_archE1200ELNS1_3gpuE4ELNS1_3repE0EEENS1_30default_config_static_selectorELNS0_4arch9wavefront6targetE0EEEvST_
; %bb.0:
	.section	.rodata,"a",@progbits
	.p2align	6, 0x0
	.amdhsa_kernel _ZN7rocprim17ROCPRIM_400000_NS6detail17trampoline_kernelINS0_14default_configENS1_22reduce_config_selectorIbEEZNS1_11reduce_implILb1ES3_N6hipcub16HIPCUB_304000_NS22TransformInputIteratorIbN2at6native12_GLOBAL__N_19NonZeroOpIN3c107complexIdEEEEPKSG_lEEPiiNS8_6detail34convert_binary_result_type_wrapperINS8_3SumESK_iEEEE10hipError_tPvRmT1_T2_T3_mT4_P12ihipStream_tbEUlT_E1_NS1_11comp_targetILNS1_3genE10ELNS1_11target_archE1200ELNS1_3gpuE4ELNS1_3repE0EEENS1_30default_config_static_selectorELNS0_4arch9wavefront6targetE0EEEvST_
		.amdhsa_group_segment_fixed_size 0
		.amdhsa_private_segment_fixed_size 0
		.amdhsa_kernarg_size 48
		.amdhsa_user_sgpr_count 15
		.amdhsa_user_sgpr_dispatch_ptr 0
		.amdhsa_user_sgpr_queue_ptr 0
		.amdhsa_user_sgpr_kernarg_segment_ptr 1
		.amdhsa_user_sgpr_dispatch_id 0
		.amdhsa_user_sgpr_private_segment_size 0
		.amdhsa_wavefront_size32 1
		.amdhsa_uses_dynamic_stack 0
		.amdhsa_enable_private_segment 0
		.amdhsa_system_sgpr_workgroup_id_x 1
		.amdhsa_system_sgpr_workgroup_id_y 0
		.amdhsa_system_sgpr_workgroup_id_z 0
		.amdhsa_system_sgpr_workgroup_info 0
		.amdhsa_system_vgpr_workitem_id 0
		.amdhsa_next_free_vgpr 1
		.amdhsa_next_free_sgpr 1
		.amdhsa_reserve_vcc 0
		.amdhsa_float_round_mode_32 0
		.amdhsa_float_round_mode_16_64 0
		.amdhsa_float_denorm_mode_32 3
		.amdhsa_float_denorm_mode_16_64 3
		.amdhsa_dx10_clamp 1
		.amdhsa_ieee_mode 1
		.amdhsa_fp16_overflow 0
		.amdhsa_workgroup_processor_mode 1
		.amdhsa_memory_ordered 1
		.amdhsa_forward_progress 0
		.amdhsa_shared_vgpr_count 0
		.amdhsa_exception_fp_ieee_invalid_op 0
		.amdhsa_exception_fp_denorm_src 0
		.amdhsa_exception_fp_ieee_div_zero 0
		.amdhsa_exception_fp_ieee_overflow 0
		.amdhsa_exception_fp_ieee_underflow 0
		.amdhsa_exception_fp_ieee_inexact 0
		.amdhsa_exception_int_div_zero 0
	.end_amdhsa_kernel
	.section	.text._ZN7rocprim17ROCPRIM_400000_NS6detail17trampoline_kernelINS0_14default_configENS1_22reduce_config_selectorIbEEZNS1_11reduce_implILb1ES3_N6hipcub16HIPCUB_304000_NS22TransformInputIteratorIbN2at6native12_GLOBAL__N_19NonZeroOpIN3c107complexIdEEEEPKSG_lEEPiiNS8_6detail34convert_binary_result_type_wrapperINS8_3SumESK_iEEEE10hipError_tPvRmT1_T2_T3_mT4_P12ihipStream_tbEUlT_E1_NS1_11comp_targetILNS1_3genE10ELNS1_11target_archE1200ELNS1_3gpuE4ELNS1_3repE0EEENS1_30default_config_static_selectorELNS0_4arch9wavefront6targetE0EEEvST_,"axG",@progbits,_ZN7rocprim17ROCPRIM_400000_NS6detail17trampoline_kernelINS0_14default_configENS1_22reduce_config_selectorIbEEZNS1_11reduce_implILb1ES3_N6hipcub16HIPCUB_304000_NS22TransformInputIteratorIbN2at6native12_GLOBAL__N_19NonZeroOpIN3c107complexIdEEEEPKSG_lEEPiiNS8_6detail34convert_binary_result_type_wrapperINS8_3SumESK_iEEEE10hipError_tPvRmT1_T2_T3_mT4_P12ihipStream_tbEUlT_E1_NS1_11comp_targetILNS1_3genE10ELNS1_11target_archE1200ELNS1_3gpuE4ELNS1_3repE0EEENS1_30default_config_static_selectorELNS0_4arch9wavefront6targetE0EEEvST_,comdat
.Lfunc_end523:
	.size	_ZN7rocprim17ROCPRIM_400000_NS6detail17trampoline_kernelINS0_14default_configENS1_22reduce_config_selectorIbEEZNS1_11reduce_implILb1ES3_N6hipcub16HIPCUB_304000_NS22TransformInputIteratorIbN2at6native12_GLOBAL__N_19NonZeroOpIN3c107complexIdEEEEPKSG_lEEPiiNS8_6detail34convert_binary_result_type_wrapperINS8_3SumESK_iEEEE10hipError_tPvRmT1_T2_T3_mT4_P12ihipStream_tbEUlT_E1_NS1_11comp_targetILNS1_3genE10ELNS1_11target_archE1200ELNS1_3gpuE4ELNS1_3repE0EEENS1_30default_config_static_selectorELNS0_4arch9wavefront6targetE0EEEvST_, .Lfunc_end523-_ZN7rocprim17ROCPRIM_400000_NS6detail17trampoline_kernelINS0_14default_configENS1_22reduce_config_selectorIbEEZNS1_11reduce_implILb1ES3_N6hipcub16HIPCUB_304000_NS22TransformInputIteratorIbN2at6native12_GLOBAL__N_19NonZeroOpIN3c107complexIdEEEEPKSG_lEEPiiNS8_6detail34convert_binary_result_type_wrapperINS8_3SumESK_iEEEE10hipError_tPvRmT1_T2_T3_mT4_P12ihipStream_tbEUlT_E1_NS1_11comp_targetILNS1_3genE10ELNS1_11target_archE1200ELNS1_3gpuE4ELNS1_3repE0EEENS1_30default_config_static_selectorELNS0_4arch9wavefront6targetE0EEEvST_
                                        ; -- End function
	.section	.AMDGPU.csdata,"",@progbits
; Kernel info:
; codeLenInByte = 0
; NumSgprs: 0
; NumVgprs: 0
; ScratchSize: 0
; MemoryBound: 0
; FloatMode: 240
; IeeeMode: 1
; LDSByteSize: 0 bytes/workgroup (compile time only)
; SGPRBlocks: 0
; VGPRBlocks: 0
; NumSGPRsForWavesPerEU: 1
; NumVGPRsForWavesPerEU: 1
; Occupancy: 16
; WaveLimiterHint : 0
; COMPUTE_PGM_RSRC2:SCRATCH_EN: 0
; COMPUTE_PGM_RSRC2:USER_SGPR: 15
; COMPUTE_PGM_RSRC2:TRAP_HANDLER: 0
; COMPUTE_PGM_RSRC2:TGID_X_EN: 1
; COMPUTE_PGM_RSRC2:TGID_Y_EN: 0
; COMPUTE_PGM_RSRC2:TGID_Z_EN: 0
; COMPUTE_PGM_RSRC2:TIDIG_COMP_CNT: 0
	.section	.text._ZN7rocprim17ROCPRIM_400000_NS6detail17trampoline_kernelINS0_14default_configENS1_22reduce_config_selectorIbEEZNS1_11reduce_implILb1ES3_N6hipcub16HIPCUB_304000_NS22TransformInputIteratorIbN2at6native12_GLOBAL__N_19NonZeroOpIN3c107complexIdEEEEPKSG_lEEPiiNS8_6detail34convert_binary_result_type_wrapperINS8_3SumESK_iEEEE10hipError_tPvRmT1_T2_T3_mT4_P12ihipStream_tbEUlT_E1_NS1_11comp_targetILNS1_3genE9ELNS1_11target_archE1100ELNS1_3gpuE3ELNS1_3repE0EEENS1_30default_config_static_selectorELNS0_4arch9wavefront6targetE0EEEvST_,"axG",@progbits,_ZN7rocprim17ROCPRIM_400000_NS6detail17trampoline_kernelINS0_14default_configENS1_22reduce_config_selectorIbEEZNS1_11reduce_implILb1ES3_N6hipcub16HIPCUB_304000_NS22TransformInputIteratorIbN2at6native12_GLOBAL__N_19NonZeroOpIN3c107complexIdEEEEPKSG_lEEPiiNS8_6detail34convert_binary_result_type_wrapperINS8_3SumESK_iEEEE10hipError_tPvRmT1_T2_T3_mT4_P12ihipStream_tbEUlT_E1_NS1_11comp_targetILNS1_3genE9ELNS1_11target_archE1100ELNS1_3gpuE3ELNS1_3repE0EEENS1_30default_config_static_selectorELNS0_4arch9wavefront6targetE0EEEvST_,comdat
	.globl	_ZN7rocprim17ROCPRIM_400000_NS6detail17trampoline_kernelINS0_14default_configENS1_22reduce_config_selectorIbEEZNS1_11reduce_implILb1ES3_N6hipcub16HIPCUB_304000_NS22TransformInputIteratorIbN2at6native12_GLOBAL__N_19NonZeroOpIN3c107complexIdEEEEPKSG_lEEPiiNS8_6detail34convert_binary_result_type_wrapperINS8_3SumESK_iEEEE10hipError_tPvRmT1_T2_T3_mT4_P12ihipStream_tbEUlT_E1_NS1_11comp_targetILNS1_3genE9ELNS1_11target_archE1100ELNS1_3gpuE3ELNS1_3repE0EEENS1_30default_config_static_selectorELNS0_4arch9wavefront6targetE0EEEvST_ ; -- Begin function _ZN7rocprim17ROCPRIM_400000_NS6detail17trampoline_kernelINS0_14default_configENS1_22reduce_config_selectorIbEEZNS1_11reduce_implILb1ES3_N6hipcub16HIPCUB_304000_NS22TransformInputIteratorIbN2at6native12_GLOBAL__N_19NonZeroOpIN3c107complexIdEEEEPKSG_lEEPiiNS8_6detail34convert_binary_result_type_wrapperINS8_3SumESK_iEEEE10hipError_tPvRmT1_T2_T3_mT4_P12ihipStream_tbEUlT_E1_NS1_11comp_targetILNS1_3genE9ELNS1_11target_archE1100ELNS1_3gpuE3ELNS1_3repE0EEENS1_30default_config_static_selectorELNS0_4arch9wavefront6targetE0EEEvST_
	.p2align	8
	.type	_ZN7rocprim17ROCPRIM_400000_NS6detail17trampoline_kernelINS0_14default_configENS1_22reduce_config_selectorIbEEZNS1_11reduce_implILb1ES3_N6hipcub16HIPCUB_304000_NS22TransformInputIteratorIbN2at6native12_GLOBAL__N_19NonZeroOpIN3c107complexIdEEEEPKSG_lEEPiiNS8_6detail34convert_binary_result_type_wrapperINS8_3SumESK_iEEEE10hipError_tPvRmT1_T2_T3_mT4_P12ihipStream_tbEUlT_E1_NS1_11comp_targetILNS1_3genE9ELNS1_11target_archE1100ELNS1_3gpuE3ELNS1_3repE0EEENS1_30default_config_static_selectorELNS0_4arch9wavefront6targetE0EEEvST_,@function
_ZN7rocprim17ROCPRIM_400000_NS6detail17trampoline_kernelINS0_14default_configENS1_22reduce_config_selectorIbEEZNS1_11reduce_implILb1ES3_N6hipcub16HIPCUB_304000_NS22TransformInputIteratorIbN2at6native12_GLOBAL__N_19NonZeroOpIN3c107complexIdEEEEPKSG_lEEPiiNS8_6detail34convert_binary_result_type_wrapperINS8_3SumESK_iEEEE10hipError_tPvRmT1_T2_T3_mT4_P12ihipStream_tbEUlT_E1_NS1_11comp_targetILNS1_3genE9ELNS1_11target_archE1100ELNS1_3gpuE3ELNS1_3repE0EEENS1_30default_config_static_selectorELNS0_4arch9wavefront6targetE0EEEvST_: ; @_ZN7rocprim17ROCPRIM_400000_NS6detail17trampoline_kernelINS0_14default_configENS1_22reduce_config_selectorIbEEZNS1_11reduce_implILb1ES3_N6hipcub16HIPCUB_304000_NS22TransformInputIteratorIbN2at6native12_GLOBAL__N_19NonZeroOpIN3c107complexIdEEEEPKSG_lEEPiiNS8_6detail34convert_binary_result_type_wrapperINS8_3SumESK_iEEEE10hipError_tPvRmT1_T2_T3_mT4_P12ihipStream_tbEUlT_E1_NS1_11comp_targetILNS1_3genE9ELNS1_11target_archE1100ELNS1_3gpuE3ELNS1_3repE0EEENS1_30default_config_static_selectorELNS0_4arch9wavefront6targetE0EEEvST_
; %bb.0:
	s_clause 0x2
	s_load_b32 s104, s[0:1], 0x4
	s_load_b64 s[98:99], s[0:1], 0x8
	s_load_b128 s[56:59], s[0:1], 0x18
	s_mov_b32 s102, s15
	s_waitcnt lgkmcnt(0)
	s_cmp_lt_i32 s104, 16
	s_cbranch_scc1 .LBB524_12
; %bb.1:
	s_cmp_gt_i32 s104, 63
	s_cbranch_scc0 .LBB524_13
; %bb.2:
	s_cmpk_gt_i32 s104, 0x7f
	s_cbranch_scc0 .LBB524_22
; %bb.3:
	s_cmpk_eq_i32 s104, 0x80
	s_mov_b32 s6, 0
	s_cbranch_scc0 .LBB524_23
; %bb.4:
	s_mov_b32 s103, 0
	s_lshl_b32 s8, s102, 14
	s_mov_b32 s9, s103
	s_lshr_b64 s[4:5], s[56:57], 14
	s_lshl_b64 s[2:3], s[8:9], 4
	s_delay_alu instid0(SALU_CYCLE_1)
	s_add_u32 s72, s98, s2
	s_addc_u32 s73, s99, s3
	s_cmp_lg_u64 s[4:5], s[102:103]
	s_cbranch_scc0 .LBB524_34
; %bb.5:
	v_lshlrev_b32_e32 v9, 4, v0
                                        ; implicit-def: $vgpr147 : SGPR spill to VGPR lane
	s_clause 0x1
	global_load_b128 v[1:4], v9, s[72:73]
	global_load_b128 v[5:8], v9, s[72:73] offset:2048
	v_add_co_u32 v49, s2, s72, v9
	s_delay_alu instid0(VALU_DEP_1) | instskip(SKIP_1) | instid1(VALU_DEP_3)
	v_add_co_ci_u32_e64 v50, null, s73, 0, s2
	v_writelane_b32 v147, s8, 0
	v_add_co_u32 v9, vcc_lo, v49, 0x2000
	s_delay_alu instid0(VALU_DEP_3)
	v_add_co_ci_u32_e32 v10, vcc_lo, 0, v50, vcc_lo
	v_add_co_u32 v15, vcc_lo, 0x1000, v49
	v_add_co_ci_u32_e32 v16, vcc_lo, 0, v50, vcc_lo
	global_load_b128 v[11:14], v[9:10], off offset:-4096
	v_writelane_b32 v147, s9, 1
	s_waitcnt vmcnt(2)
	v_cmp_neq_f64_e64 s35, 0, v[1:2]
	v_cmp_neq_f64_e64 s38, 0, v[3:4]
	s_clause 0x1
	global_load_b128 v[1:4], v[15:16], off offset:2048
	global_load_b128 v[15:18], v[9:10], off
	s_waitcnt vmcnt(3)
	v_cmp_neq_f64_e32 vcc_lo, 0, v[5:6]
	v_add_co_u32 v5, s3, 0x2000, v49
	s_delay_alu instid0(VALU_DEP_1)
	v_add_co_ci_u32_e64 v6, s3, 0, v50, s3
	v_cmp_neq_f64_e64 s9, 0, v[7:8]
	v_add_co_u32 v9, s5, 0x3000, v49
	global_load_b128 v[5:8], v[5:6], off offset:2048
	v_add_co_ci_u32_e64 v10, s5, 0, v50, s5
	s_waitcnt vmcnt(3)
	v_cmp_neq_f64_e64 s47, 0, v[13:14]
	v_add_co_u32 v13, s4, v49, 0x4000
	s_delay_alu instid0(VALU_DEP_1) | instskip(SKIP_3) | instid1(VALU_DEP_1)
	v_add_co_ci_u32_e64 v14, s4, 0, v50, s4
	v_cmp_neq_f64_e64 s3, 0, v[11:12]
	s_or_b32 s10, s35, s38
	s_or_b32 vcc_lo, vcc_lo, s9
	s_or_b32 s3, s3, s47
	s_waitcnt vmcnt(2)
	v_cmp_neq_f64_e64 s4, 0, v[1:2]
	v_cmp_neq_f64_e64 s46, 0, v[3:4]
	global_load_b128 v[1:4], v[13:14], off offset:-4096
	s_waitcnt vmcnt(2)
	v_cmp_neq_f64_e64 s48, 0, v[15:16]
	s_clause 0x1
	global_load_b128 v[9:12], v[9:10], off offset:2048
	global_load_b128 v[13:16], v[13:14], off
	v_cmp_neq_f64_e64 s13, 0, v[17:18]
	s_waitcnt vmcnt(3)
	v_cmp_neq_f64_e64 s15, 0, v[5:6]
	v_add_co_u32 v5, s5, 0x4000, v49
	s_delay_alu instid0(VALU_DEP_1)
	v_add_co_ci_u32_e64 v6, s5, 0, v50, s5
	v_cmp_neq_f64_e64 s16, 0, v[7:8]
	v_add_co_u32 v17, s5, v49, 0x6000
	global_load_b128 v[5:8], v[5:6], off offset:2048
	v_add_co_ci_u32_e64 v18, s5, 0, v50, s5
	s_waitcnt vmcnt(3)
	v_cmp_neq_f64_e64 s19, 0, v[1:2]
	s_waitcnt vmcnt(2)
	v_cmp_neq_f64_e64 s20, 0, v[9:10]
	v_add_co_u32 v9, s5, 0x5000, v49
	s_delay_alu instid0(VALU_DEP_1)
	v_add_co_ci_u32_e64 v10, s5, 0, v50, s5
	v_cmp_neq_f64_e64 s21, 0, v[3:4]
	global_load_b128 v[1:4], v[17:18], off offset:-4096
	v_cmp_neq_f64_e64 s22, 0, v[11:12]
	s_waitcnt vmcnt(2)
	v_cmp_neq_f64_e64 s2, 0, v[13:14]
	v_cmp_neq_f64_e64 s24, 0, v[15:16]
	s_clause 0x1
	global_load_b128 v[9:12], v[9:10], off offset:2048
	global_load_b128 v[13:16], v[17:18], off
	v_add_co_u32 v17, s7, v49, 0x8000
	s_delay_alu instid0(VALU_DEP_1) | instskip(SKIP_3) | instid1(VALU_DEP_1)
	v_add_co_ci_u32_e64 v18, s7, 0, v50, s7
	s_waitcnt vmcnt(3)
	v_cmp_neq_f64_e64 s5, 0, v[5:6]
	v_add_co_u32 v5, s6, 0x6000, v49
	v_add_co_ci_u32_e64 v6, s6, 0, v50, s6
	v_cmp_neq_f64_e64 s14, 0, v[7:8]
	global_load_b128 v[5:8], v[5:6], off offset:2048
	s_or_b32 s2, s2, s24
	s_or_b32 s5, s5, s14
	s_waitcnt vmcnt(3)
	v_cmp_neq_f64_e64 s6, 0, v[1:2]
	v_cmp_neq_f64_e64 s18, 0, v[3:4]
	global_load_b128 v[1:4], v[17:18], off offset:-4096
	s_waitcnt vmcnt(3)
	v_cmp_neq_f64_e64 s7, 0, v[9:10]
	s_waitcnt vmcnt(2)
	v_cmp_neq_f64_e64 s27, 0, v[13:14]
	v_cmp_neq_f64_e64 s28, 0, v[15:16]
	s_waitcnt vmcnt(1)
	v_cmp_neq_f64_e64 s25, 0, v[5:6]
	v_cmp_neq_f64_e64 s50, 0, v[7:8]
	s_or_b32 s6, s6, s18
	v_writelane_b32 v147, s7, 2
	v_cmp_neq_f64_e64 s7, 0, v[11:12]
	s_delay_alu instid0(VALU_DEP_1) | instskip(SKIP_1) | instid1(VALU_DEP_1)
	v_writelane_b32 v147, s7, 3
	v_add_co_u32 v9, s7, 0x7000, v49
	v_add_co_ci_u32_e64 v10, s7, 0, v50, s7
	s_clause 0x1
	global_load_b128 v[9:12], v[9:10], off offset:2048
	global_load_b128 v[13:16], v[17:18], off
	v_add_co_u32 v5, s7, 0x8000, v49
	s_delay_alu instid0(VALU_DEP_1) | instskip(SKIP_1) | instid1(VALU_DEP_1)
	v_add_co_ci_u32_e64 v6, s7, 0, v50, s7
	v_add_co_u32 v17, s7, v49, 0xa000
	v_add_co_ci_u32_e64 v18, s7, 0, v50, s7
	global_load_b128 v[5:8], v[5:6], off offset:2048
	s_waitcnt vmcnt(3)
	v_cmp_neq_f64_e64 s34, 0, v[1:2]
	v_cmp_neq_f64_e64 s8, 0, v[3:4]
	global_load_b128 v[1:4], v[17:18], off offset:-4096
	s_or_b32 s8, s34, s8
	s_waitcnt vmcnt(3)
	v_cmp_neq_f64_e64 s29, 0, v[9:10]
	v_add_co_u32 v9, s7, 0x9000, v49
	s_delay_alu instid0(VALU_DEP_1)
	v_add_co_ci_u32_e64 v10, s7, 0, v50, s7
	v_cmp_neq_f64_e64 s30, 0, v[11:12]
	s_waitcnt vmcnt(2)
	v_cmp_neq_f64_e64 s31, 0, v[13:14]
	v_cmp_neq_f64_e64 s33, 0, v[15:16]
	s_clause 0x1
	global_load_b128 v[9:12], v[9:10], off offset:2048
	global_load_b128 v[13:16], v[17:18], off
	s_waitcnt vmcnt(3)
	v_cmp_neq_f64_e64 s36, 0, v[5:6]
	v_add_co_u32 v5, s7, 0xa000, v49
	s_delay_alu instid0(VALU_DEP_1)
	v_add_co_ci_u32_e64 v6, s7, 0, v50, s7
	v_cmp_neq_f64_e64 s37, 0, v[7:8]
	v_add_co_u32 v17, s7, v49, 0xc000
	global_load_b128 v[5:8], v[5:6], off offset:2048
	v_add_co_ci_u32_e64 v18, s7, 0, v50, s7
	s_waitcnt vmcnt(3)
	v_cmp_neq_f64_e64 s23, 0, v[1:2]
	v_cmp_neq_f64_e64 s40, 0, v[3:4]
	global_load_b128 v[1:4], v[17:18], off offset:-4096
	s_waitcnt vmcnt(3)
	v_cmp_neq_f64_e64 s39, 0, v[9:10]
	v_add_co_u32 v9, s7, 0xb000, v49
	s_delay_alu instid0(VALU_DEP_1)
	v_add_co_ci_u32_e64 v10, s7, 0, v50, s7
	v_cmp_neq_f64_e64 s12, 0, v[11:12]
	s_waitcnt vmcnt(2)
	v_cmp_neq_f64_e64 s26, 0, v[13:14]
	v_cmp_neq_f64_e64 s43, 0, v[15:16]
	s_clause 0x1
	global_load_b128 v[9:12], v[9:10], off offset:2048
	global_load_b128 v[13:16], v[17:18], off
	s_waitcnt vmcnt(3)
	v_cmp_neq_f64_e64 s44, 0, v[5:6]
	v_add_co_u32 v5, s7, 0xc000, v49
	s_delay_alu instid0(VALU_DEP_1)
	v_add_co_ci_u32_e64 v6, s7, 0, v50, s7
	v_cmp_neq_f64_e64 s45, 0, v[7:8]
	v_add_co_u32 v17, s7, v49, 0xe000
	global_load_b128 v[5:8], v[5:6], off offset:2048
	v_add_co_ci_u32_e64 v18, s7, 0, v50, s7
	s_or_b32 s12, s39, s12
	s_waitcnt vmcnt(3)
	v_cmp_neq_f64_e64 s78, 0, v[1:2]
	v_cmp_neq_f64_e64 s81, 0, v[3:4]
	global_load_b128 v[1:4], v[17:18], off offset:-4096
	s_waitcnt vmcnt(3)
	v_cmp_neq_f64_e64 s79, 0, v[9:10]
	v_add_co_u32 v9, s7, 0xd000, v49
	s_delay_alu instid0(VALU_DEP_1)
	v_add_co_ci_u32_e64 v10, s7, 0, v50, s7
	v_cmp_neq_f64_e64 s82, 0, v[11:12]
	s_waitcnt vmcnt(2)
	v_cmp_neq_f64_e64 s84, 0, v[13:14]
	v_cmp_neq_f64_e64 s85, 0, v[15:16]
	s_clause 0x1
	global_load_b128 v[9:12], v[9:10], off offset:2048
	global_load_b128 v[13:16], v[17:18], off
	s_waitcnt vmcnt(3)
	v_cmp_neq_f64_e64 s76, 0, v[5:6]
	v_add_co_u32 v5, s7, 0xe000, v49
	s_delay_alu instid0(VALU_DEP_1)
	v_add_co_ci_u32_e64 v6, s7, 0, v50, s7
	v_cmp_neq_f64_e64 s77, 0, v[7:8]
	v_add_co_u32 v17, s7, v49, 0x10000
	global_load_b128 v[5:8], v[5:6], off offset:2048
	v_add_co_ci_u32_e64 v18, s7, 0, v50, s7
	s_waitcnt vmcnt(3)
	v_cmp_neq_f64_e64 s41, 0, v[1:2]
	v_cmp_neq_f64_e64 s74, 0, v[3:4]
	global_load_b128 v[1:4], v[17:18], off offset:-4096
	s_waitcnt vmcnt(3)
	v_cmp_neq_f64_e64 s42, 0, v[9:10]
	v_add_co_u32 v9, s7, 0xf000, v49
	s_delay_alu instid0(VALU_DEP_1)
	v_add_co_ci_u32_e64 v10, s7, 0, v50, s7
	v_cmp_neq_f64_e64 s75, 0, v[11:12]
	s_waitcnt vmcnt(2)
	v_cmp_neq_f64_e64 s80, 0, v[13:14]
	v_cmp_neq_f64_e64 s83, 0, v[15:16]
	s_clause 0x1
	global_load_b128 v[9:12], v[9:10], off offset:2048
	global_load_b128 v[13:16], v[17:18], off
	s_waitcnt vmcnt(3)
	v_cmp_neq_f64_e64 s69, 0, v[5:6]
	v_add_co_u32 v5, s7, 0x10000, v49
	s_delay_alu instid0(VALU_DEP_1)
	v_add_co_ci_u32_e64 v6, s7, 0, v50, s7
	v_cmp_neq_f64_e64 s71, 0, v[7:8]
	v_add_co_u32 v17, s7, v49, 0x12000
	global_load_b128 v[5:8], v[5:6], off offset:2048
	v_add_co_ci_u32_e64 v18, s7, 0, v50, s7
	;; [unrolled: 25-line block ×3, first 2 shown]
	s_or_b32 s63, s61, s63
	s_waitcnt vmcnt(3)
	v_cmp_neq_f64_e64 s56, 0, v[1:2]
	v_cmp_neq_f64_e64 s58, 0, v[3:4]
	global_load_b128 v[1:4], v[17:18], off offset:-4096
	s_or_b32 s58, s56, s58
	s_waitcnt vmcnt(3)
	v_cmp_neq_f64_e64 s57, 0, v[9:10]
	v_add_co_u32 v9, s7, 0x13000, v49
	s_delay_alu instid0(VALU_DEP_1)
	v_add_co_ci_u32_e64 v10, s7, 0, v50, s7
	v_cmp_neq_f64_e64 s59, 0, v[11:12]
	s_waitcnt vmcnt(2)
	v_cmp_neq_f64_e64 s60, 0, v[13:14]
	v_cmp_neq_f64_e64 s62, 0, v[15:16]
	s_clause 0x1
	global_load_b128 v[9:12], v[9:10], off offset:2048
	global_load_b128 v[13:16], v[17:18], off
	s_waitcnt vmcnt(3)
	v_cmp_neq_f64_e64 s53, 0, v[5:6]
	v_add_co_u32 v5, s7, 0x14000, v49
	s_delay_alu instid0(VALU_DEP_1)
	v_add_co_ci_u32_e64 v6, s7, 0, v50, s7
	v_cmp_neq_f64_e64 s55, 0, v[7:8]
	global_load_b128 v[17:20], v[5:6], off offset:2048
	s_or_b32 s57, s57, s59
	s_or_b32 s60, s60, s62
	;; [unrolled: 1-line block ×3, first 2 shown]
	s_waitcnt vmcnt(3)
	v_cmp_neq_f64_e64 s7, 0, v[1:2]
	s_delay_alu instid0(VALU_DEP_1) | instskip(SKIP_1) | instid1(VALU_DEP_1)
	v_writelane_b32 v147, s7, 4
	v_cmp_neq_f64_e64 s7, 0, v[3:4]
	v_writelane_b32 v147, s7, 5
	v_add_co_u32 v1, s7, v49, 0x16000
	s_delay_alu instid0(VALU_DEP_1)
	v_add_co_ci_u32_e64 v2, s7, 0, v50, s7
	global_load_b128 v[5:8], v[1:2], off offset:-4096
	s_waitcnt vmcnt(3)
	v_cmp_neq_f64_e64 s7, 0, v[9:10]
	v_cmp_neq_f64_e64 s51, 0, v[11:12]
	s_waitcnt vmcnt(2)
	v_cmp_neq_f64_e64 s52, 0, v[13:14]
	v_cmp_neq_f64_e64 s54, 0, v[15:16]
	s_delay_alu instid0(VALU_DEP_4) | instskip(SKIP_1) | instid1(VALU_DEP_1)
	v_writelane_b32 v147, s7, 6
	v_add_co_u32 v3, s7, 0x15000, v49
	v_add_co_ci_u32_e64 v4, s7, 0, v50, s7
	s_waitcnt vmcnt(1)
	v_cmp_neq_f64_e64 s7, 0, v[17:18]
	s_clause 0x1
	global_load_b128 v[9:12], v[3:4], off offset:2048
	global_load_b128 v[1:4], v[1:2], off
	s_or_b32 s54, s52, s54
	v_writelane_b32 v147, s7, 7
	v_cmp_neq_f64_e64 s7, 0, v[19:20]
	s_delay_alu instid0(VALU_DEP_1) | instskip(SKIP_1) | instid1(VALU_DEP_1)
	v_writelane_b32 v147, s7, 8
	v_add_co_u32 v13, s7, 0x16000, v49
	v_add_co_ci_u32_e64 v14, s7, 0, v50, s7
	v_add_co_u32 v17, s7, v49, 0x18000
	s_delay_alu instid0(VALU_DEP_1)
	v_add_co_ci_u32_e64 v18, s7, 0, v50, s7
	global_load_b128 v[13:16], v[13:14], off offset:2048
	s_waitcnt vmcnt(3)
	v_cmp_neq_f64_e64 s86, 0, v[5:6]
	v_cmp_neq_f64_e64 s88, 0, v[7:8]
	global_load_b128 v[5:8], v[17:18], off offset:-4096
	s_waitcnt vmcnt(3)
	v_cmp_neq_f64_e64 s87, 0, v[9:10]
	v_add_co_u32 v9, s7, 0x17000, v49
	s_delay_alu instid0(VALU_DEP_1)
	v_add_co_ci_u32_e64 v10, s7, 0, v50, s7
	v_cmp_neq_f64_e64 s89, 0, v[11:12]
	s_waitcnt vmcnt(2)
	v_cmp_neq_f64_e64 s90, 0, v[1:2]
	v_cmp_neq_f64_e64 s91, 0, v[3:4]
	s_clause 0x1
	global_load_b128 v[1:4], v[9:10], off offset:2048
	global_load_b128 v[9:12], v[17:18], off
	v_add_co_u32 v59, s7, v49, 0x1a000
	s_delay_alu instid0(VALU_DEP_1) | instskip(SKIP_3) | instid1(VALU_DEP_1)
	v_add_co_ci_u32_e64 v60, s7, 0, v50, s7
	s_waitcnt vmcnt(3)
	v_cmp_neq_f64_e64 s94, 0, v[13:14]
	v_add_co_u32 v13, s7, 0x18000, v49
	v_add_co_ci_u32_e64 v14, s7, 0, v50, s7
	v_add_co_u32 v63, s7, 0x19000, v49
	s_delay_alu instid0(VALU_DEP_1)
	v_add_co_ci_u32_e64 v64, s7, 0, v50, s7
	s_clause 0x2
	global_load_b128 v[51:54], v[13:14], off offset:2048
	global_load_b128 v[55:58], v[59:60], off offset:-4096
	global_load_b128 v[59:62], v[59:60], off
	v_add_co_u32 v65, s7, 0x1a000, v49
	s_delay_alu instid0(VALU_DEP_1) | instskip(SKIP_1) | instid1(VALU_DEP_1)
	v_add_co_ci_u32_e64 v66, s7, 0, v50, s7
	v_add_co_u32 v67, s7, 0x1b000, v49
	v_add_co_ci_u32_e64 v68, s7, 0, v50, s7
	v_add_co_u32 v69, s7, v49, 0x1c000
	s_delay_alu instid0(VALU_DEP_1) | instskip(SKIP_1) | instid1(VALU_DEP_1)
	v_add_co_ci_u32_e64 v70, s7, 0, v50, s7
	v_add_co_u32 v71, s7, 0x1c000, v49
	v_add_co_ci_u32_e64 v72, s7, 0, v50, s7
	;; [unrolled: 5-line block ×24, first 2 shown]
	v_cmp_neq_f64_e64 s95, 0, v[15:16]
	v_add_co_u32 v15, s7, 0x3a000, v49
	s_delay_alu instid0(VALU_DEP_1)
	v_add_co_ci_u32_e64 v16, s7, 0, v50, s7
	s_waitcnt vmcnt(5)
	v_cmp_neq_f64_e64 s93, 0, v[7:8]
	v_cmp_neq_f64_e64 s92, 0, v[5:6]
	s_waitcnt vmcnt(4)
	v_cmp_neq_f64_e64 s97, 0, v[3:4]
	s_waitcnt vmcnt(3)
	v_cmp_neq_f64_e64 s99, 0, v[11:12]
	v_add_co_u32 v11, s7, 0x3b000, v49
	s_delay_alu instid0(VALU_DEP_1) | instskip(SKIP_1) | instid1(VALU_DEP_1)
	v_add_co_ci_u32_e64 v12, s7, 0, v50, s7
	v_add_co_u32 v13, s7, v49, 0x3c000
	v_add_co_ci_u32_e64 v14, s7, 0, v50, s7
	v_cmp_neq_f64_e64 s98, 0, v[9:10]
	v_add_co_u32 v9, s7, 0x3c000, v49
	s_delay_alu instid0(VALU_DEP_1) | instskip(SKIP_1) | instid1(VALU_DEP_1)
	v_add_co_ci_u32_e64 v10, s7, 0, v50, s7
	v_add_co_u32 v7, s7, 0x3d000, v49
	v_add_co_ci_u32_e64 v8, s7, 0, v50, s7
	v_add_co_u32 v5, s7, v49, 0x3e000
	s_delay_alu instid0(VALU_DEP_1) | instskip(SKIP_1) | instid1(VALU_DEP_1)
	v_add_co_ci_u32_e64 v6, s7, 0, v50, s7
	v_add_co_u32 v3, s7, 0x3e000, v49
	v_add_co_ci_u32_e64 v4, s7, 0, v50, s7
	v_cmp_neq_f64_e64 s96, 0, v[1:2]
	v_add_co_u32 v1, s7, 0x3f000, v49
	s_delay_alu instid0(VALU_DEP_1) | instskip(SKIP_3) | instid1(VALU_DEP_2)
	v_add_co_ci_u32_e64 v2, s7, 0, v50, s7
	v_cndmask_b32_e64 v49, 0, 1, s10
	v_cndmask_b32_e64 v50, 0, 1, s3
	s_or_b32 s3, s48, s13
	v_add_co_ci_u32_e32 v49, vcc_lo, 0, v49, vcc_lo
	s_or_b32 vcc_lo, s4, s46
	s_delay_alu instid0(VALU_DEP_1) | instskip(SKIP_3) | instid1(VALU_DEP_1)
	v_add_co_ci_u32_e32 v49, vcc_lo, v49, v50, vcc_lo
	v_cndmask_b32_e64 v50, 0, 1, s3
	s_or_b32 vcc_lo, s15, s16
	s_or_b32 s3, s19, s21
	v_add_co_ci_u32_e32 v49, vcc_lo, v49, v50, vcc_lo
	v_cndmask_b32_e64 v50, 0, 1, s3
	s_or_b32 vcc_lo, s20, s22
	s_or_b32 s20, s36, s37
	s_waitcnt vmcnt(1)
	v_cmp_neq_f64_e64 s7, 0, v[55:56]
	v_cmp_neq_f64_e64 s17, 0, v[57:58]
	s_waitcnt vmcnt(0)
	v_cmp_neq_f64_e64 s10, 0, v[59:60]
	v_cmp_neq_f64_e64 vcc_hi, 0, v[61:62]
	s_clause 0x1
	global_load_b128 v[55:58], v[69:70], off offset:-4096
	global_load_b128 v[59:62], v[69:70], off
	s_or_b32 s7, s7, s17
	s_waitcnt vmcnt(1)
	v_cmp_neq_f64_e64 s11, 0, v[55:56]
	v_cmp_neq_f64_e64 s9, 0, v[57:58]
	s_waitcnt vmcnt(0)
	v_cmp_neq_f64_e64 s100, 0, v[59:60]
	v_cmp_neq_f64_e64 s101, 0, v[61:62]
	s_clause 0x1
	global_load_b128 v[55:58], v[75:76], off offset:-4096
	global_load_b128 v[59:62], v[75:76], off
	s_or_b32 s9, s11, s9
	s_waitcnt vmcnt(1)
	v_cmp_neq_f64_e64 s38, 0, v[55:56]
	v_cmp_neq_f64_e64 s35, 0, v[57:58]
	s_waitcnt vmcnt(0)
	v_cmp_neq_f64_e64 s47, 0, v[59:60]
	v_cmp_neq_f64_e64 s46, 0, v[61:62]
	s_clause 0x1
	global_load_b128 v[55:58], v[77:78], off offset:-4096
	global_load_b128 v[59:62], v[77:78], off
	s_waitcnt vmcnt(1)
	v_cmp_neq_f64_e64 s48, 0, v[57:58]
	s_waitcnt vmcnt(0)
	v_cmp_neq_f64_e64 s3, 0, v[59:60]
	v_add_co_ci_u32_e32 v57, vcc_lo, v49, v50, vcc_lo
	v_cmp_neq_f64_e64 s49, 0, v[55:56]
	v_cmp_neq_f64_e32 vcc_lo, 0, v[53:54]
	v_cndmask_b32_e64 v58, 0, 1, s2
	s_delay_alu instid0(VALU_DEP_1) | instskip(SKIP_3) | instid1(VALU_DEP_1)
	v_add_co_ci_u32_e64 v57, s5, v57, v58, s5
	v_cndmask_b32_e64 v58, 0, 1, s6
	v_writelane_b32 v147, s3, 9
	v_cmp_neq_f64_e64 s3, 0, v[61:62]
	v_writelane_b32 v147, s3, 10
	v_cmp_neq_f64_e64 s3, 0, v[51:52]
	s_clause 0x1
	global_load_b128 v[49:52], v[63:64], off offset:2048
	global_load_b128 v[53:56], v[65:66], off offset:2048
	v_readlane_b32 s6, v147, 2
	v_readlane_b32 s13, v147, 3
	s_delay_alu instid0(VALU_DEP_1) | instskip(SKIP_3) | instid1(SALU_CYCLE_1)
	s_or_b32 s6, s6, s13
	s_or_b32 s13, s31, s33
	v_add_co_ci_u32_e64 v57, s6, v57, v58, s6
	s_or_b32 s6, s27, s28
	v_cndmask_b32_e64 v58, 0, 1, s6
	s_or_b32 s6, s25, s50
	s_delay_alu instid0(VALU_DEP_1) | instid1(SALU_CYCLE_1)
	v_add_co_ci_u32_e64 v57, s6, v57, v58, s6
	v_cndmask_b32_e64 v58, 0, 1, s8
	s_or_b32 s8, s29, s30
	s_delay_alu instid0(VALU_DEP_1) | instid1(SALU_CYCLE_1)
	v_add_co_ci_u32_e64 v57, s8, v57, v58, s8
	v_cndmask_b32_e64 v58, 0, 1, s13
	s_delay_alu instid0(VALU_DEP_1)
	v_add_co_ci_u32_e64 v61, s20, v57, v58, s20
	s_or_b32 s20, s23, s40
	s_or_b32 s40, s84, s85
	s_or_b32 vcc_lo, s3, vcc_lo
	s_waitcnt vmcnt(1)
	v_cmp_neq_f64_e64 s4, 0, v[49:50]
	v_cmp_neq_f64_e64 s2, 0, v[51:52]
	s_waitcnt vmcnt(0)
	v_cmp_neq_f64_e64 s24, 0, v[53:54]
	v_cmp_neq_f64_e64 s5, 0, v[55:56]
	s_clause 0x1
	global_load_b128 v[49:52], v[67:68], off offset:2048
	global_load_b128 v[53:56], v[71:72], off offset:2048
	s_or_b32 s4, s4, s2
	s_or_b32 s24, s24, s5
	s_waitcnt vmcnt(1)
	v_cmp_neq_f64_e64 s21, 0, v[49:50]
	v_cmp_neq_f64_e64 s22, 0, v[51:52]
	s_waitcnt vmcnt(0)
	v_cmp_neq_f64_e64 s15, 0, v[53:54]
	v_cmp_neq_f64_e64 s16, 0, v[55:56]
	s_clause 0x1
	global_load_b128 v[49:52], v[73:74], off offset:2048
	global_load_b128 v[53:56], v[79:80], off offset:2048
	s_or_b32 s21, s21, s22
	s_or_b32 s15, s15, s16
	;; [unrolled: 11-line block ×3, first 2 shown]
	s_waitcnt vmcnt(1)
	v_cmp_neq_f64_e64 s25, 0, v[49:50]
	s_waitcnt vmcnt(0)
	v_cmp_neq_f64_e64 s8, 0, v[53:54]
	v_cmp_neq_f64_e64 s27, 0, v[51:52]
	s_delay_alu instid0(VALU_DEP_2)
	v_writelane_b32 v147, s8, 11
	v_cmp_neq_f64_e64 s8, 0, v[55:56]
	s_clause 0x1
	global_load_b128 v[49:52], v[87:88], off offset:-4096
	global_load_b128 v[53:56], v[87:88], off
	s_or_b32 s27, s25, s27
	s_waitcnt vmcnt(1)
	v_cmp_neq_f64_e64 s13, 0, v[49:50]
	s_waitcnt vmcnt(0)
	v_cmp_neq_f64_e64 s30, 0, v[53:54]
	v_cmp_neq_f64_e64 s33, 0, v[55:56]
	s_delay_alu instid0(VALU_DEP_3)
	v_writelane_b32 v147, s13, 12
	v_cmp_neq_f64_e64 s13, 0, v[51:52]
	s_clause 0x1
	global_load_b128 v[49:52], v[85:86], off offset:2048
	global_load_b128 v[57:60], v[89:90], off offset:2048
	s_or_b32 s30, s30, s33
	s_waitcnt vmcnt(1)
	v_cmp_neq_f64_e64 s29, 0, v[49:50]
	v_cndmask_b32_e64 v49, 0, 1, s20
	v_cmp_neq_f64_e64 s31, 0, v[51:52]
	s_waitcnt vmcnt(0)
	v_cmp_neq_f64_e64 s34, 0, v[57:58]
	v_cmp_neq_f64_e64 s37, 0, v[59:60]
	v_add_co_ci_u32_e64 v61, s12, v61, v49, s12
	s_clause 0x1
	global_load_b128 v[49:52], v[93:94], off offset:-4096
	global_load_b128 v[53:56], v[93:94], off
	s_or_b32 s12, s26, s43
	s_delay_alu instid0(SALU_CYCLE_1) | instskip(SKIP_2) | instid1(VALU_DEP_1)
	v_cndmask_b32_e64 v57, 0, 1, s12
	s_or_b32 s12, s44, s45
	s_or_b32 s44, s64, s66
	v_add_co_ci_u32_e64 v61, s12, v61, v57, s12
	s_or_b32 s12, s78, s81
	s_or_b32 s31, s29, s31
	s_waitcnt vmcnt(1)
	v_cmp_neq_f64_e64 s20, 0, v[49:50]
	v_cmp_neq_f64_e64 s23, 0, v[51:52]
	s_clause 0x1
	global_load_b128 v[49:52], v[91:92], off offset:2048
	global_load_b128 v[57:60], v[95:96], off offset:2048
	s_waitcnt vmcnt(2)
	v_cmp_neq_f64_e64 s26, 0, v[53:54]
	v_cmp_neq_f64_e64 s28, 0, v[55:56]
	s_or_b32 s20, s20, s23
	s_delay_alu instid0(VALU_DEP_1)
	s_or_b32 s26, s26, s28
	s_waitcnt vmcnt(1)
	v_cmp_neq_f64_e64 s36, 0, v[49:50]
	v_cndmask_b32_e64 v49, 0, 1, s12
	s_or_b32 s12, s79, s82
	v_cmp_neq_f64_e64 s39, 0, v[51:52]
	s_waitcnt vmcnt(0)
	v_cmp_neq_f64_e64 s50, 0, v[57:58]
	v_cndmask_b32_e64 v57, 0, 1, s40
	v_add_co_ci_u32_e64 v61, s12, v61, v49, s12
	s_clause 0x1
	global_load_b128 v[49:52], v[99:100], off offset:-4096
	global_load_b128 v[53:56], v[99:100], off
	s_or_b32 s40, s76, s77
	v_cmp_neq_f64_e64 s12, 0, v[59:60]
	v_add_co_ci_u32_e64 v61, s40, v61, v57, s40
	s_or_b32 s40, s41, s74
	s_or_b32 s41, s69, s71
	;; [unrolled: 1-line block ×8, first 2 shown]
	s_delay_alu instid0(VALU_DEP_2)
	s_or_b32 s12, s50, s12
	s_waitcnt vmcnt(1)
	v_cmp_neq_f64_e64 s45, 0, v[49:50]
	v_cmp_neq_f64_e64 s77, 0, v[51:52]
	s_clause 0x1
	global_load_b128 v[49:52], v[97:98], off offset:2048
	global_load_b128 v[57:60], v[101:102], off offset:2048
	s_waitcnt vmcnt(2)
	v_cmp_neq_f64_e64 s79, 0, v[53:54]
	s_or_b32 s45, s45, s77
	s_waitcnt vmcnt(1)
	v_cmp_neq_f64_e64 s76, 0, v[49:50]
	v_cndmask_b32_e64 v49, 0, 1, s40
	s_or_b32 s40, s42, s75
	v_cmp_neq_f64_e64 s74, 0, v[51:52]
	v_cmp_neq_f64_e64 s75, 0, v[55:56]
	s_waitcnt vmcnt(0)
	v_cmp_neq_f64_e64 s78, 0, v[59:60]
	v_add_co_ci_u32_e64 v61, s40, v61, v49, s40
	s_clause 0x1
	global_load_b128 v[49:52], v[103:104], off offset:-4096
	global_load_b128 v[53:56], v[103:104], off
	v_cmp_neq_f64_e64 s40, 0, v[57:58]
	s_or_b32 s74, s76, s74
	s_delay_alu instid0(VALU_DEP_1) | instskip(SKIP_1) | instid1(SALU_CYCLE_1)
	v_writelane_b32 v147, s40, 13
	s_or_b32 s40, s80, s83
	v_cndmask_b32_e64 v57, 0, 1, s40
	s_delay_alu instid0(VALU_DEP_2) | instskip(SKIP_2) | instid1(VALU_DEP_4)
	v_readlane_b32 s62, v147, 4
	v_readlane_b32 s69, v147, 5
	;; [unrolled: 1-line block ×3, first 2 shown]
	v_add_co_ci_u32_e64 v61, s41, v61, v57, s41
	v_readlane_b32 s80, v147, 8
	s_delay_alu instid0(VALU_DEP_4) | instskip(SKIP_1) | instid1(VALU_DEP_2)
	s_or_b32 s69, s62, s69
	v_readlane_b32 s11, v147, 10
	s_or_b32 s80, s71, s80
	s_waitcnt vmcnt(1)
	v_cmp_neq_f64_e64 s40, 0, v[49:50]
	v_cmp_neq_f64_e64 s42, 0, v[51:52]
	s_clause 0x1
	global_load_b128 v[49:52], v[105:106], off offset:2048
	global_load_b128 v[57:60], v[107:108], off offset:2048
	s_waitcnt vmcnt(2)
	v_cmp_neq_f64_e64 s66, 0, v[53:54]
	s_or_b32 s40, s40, s42
	s_waitcnt vmcnt(1)
	v_cmp_neq_f64_e64 s41, 0, v[49:50]
	v_cndmask_b32_e64 v49, 0, 1, s44
	s_or_b32 s44, s65, s67
	v_cmp_neq_f64_e64 s43, 0, v[51:52]
	v_cmp_neq_f64_e64 s65, 0, v[55:56]
	s_or_b32 s67, s68, s70
	v_add_co_ci_u32_e64 v61, s44, v61, v49, s44
	s_clause 0x1
	global_load_b128 v[49:52], v[109:110], off offset:-4096
	global_load_b128 v[53:56], v[109:110], off
	s_waitcnt vmcnt(2)
	v_cmp_neq_f64_e64 s44, 0, v[57:58]
	v_cndmask_b32_e64 v57, 0, 1, s67
	v_cmp_neq_f64_e64 s64, 0, v[59:60]
	v_readlane_b32 s70, v147, 6
	s_delay_alu instid0(VALU_DEP_3) | instskip(NEXT) | instid1(VALU_DEP_2)
	v_add_co_ci_u32_e64 v61, s63, v61, v57, s63
	s_or_b32 s51, s70, s51
	s_or_b32 s41, s41, s43
	;; [unrolled: 1-line block ×3, first 2 shown]
	s_waitcnt vmcnt(1)
	v_cmp_neq_f64_e64 s67, 0, v[49:50]
	v_cmp_neq_f64_e64 s61, 0, v[51:52]
	s_clause 0x1
	global_load_b128 v[49:52], v[111:112], off offset:2048
	global_load_b128 v[57:60], v[113:114], off offset:2048
	s_waitcnt vmcnt(2)
	v_cmp_neq_f64_e64 s68, 0, v[53:54]
	v_cmp_neq_f64_e64 s59, 0, v[55:56]
	s_waitcnt vmcnt(1)
	v_cmp_neq_f64_e64 s63, 0, v[49:50]
	v_cndmask_b32_e64 v49, 0, 1, s58
	v_cmp_neq_f64_e64 s56, 0, v[51:52]
	s_waitcnt vmcnt(0)
	v_cmp_neq_f64_e64 s58, 0, v[59:60]
	s_delay_alu instid0(VALU_DEP_3)
	v_add_co_ci_u32_e64 v61, s57, v61, v49, s57
	s_clause 0x1
	global_load_b128 v[49:52], v[117:118], off offset:-4096
	global_load_b128 v[53:56], v[117:118], off
	v_cmp_neq_f64_e64 s57, 0, v[57:58]
	v_cndmask_b32_e64 v57, 0, 1, s60
	s_delay_alu instid0(VALU_DEP_1)
	v_add_co_ci_u32_e64 v61, s55, v61, v57, s55
	s_waitcnt vmcnt(1)
	v_cmp_neq_f64_e64 s60, 0, v[49:50]
	v_cmp_neq_f64_e64 s53, 0, v[51:52]
	s_clause 0x1
	global_load_b128 v[49:52], v[115:116], off offset:2048
	global_load_b128 v[57:60], v[119:120], off offset:2048
	s_waitcnt vmcnt(2)
	v_cmp_neq_f64_e64 s70, 0, v[55:56]
	s_waitcnt vmcnt(1)
	v_cmp_neq_f64_e64 s55, 0, v[49:50]
	v_cndmask_b32_e64 v49, 0, 1, s69
	v_cmp_neq_f64_e64 s62, 0, v[51:52]
	v_cmp_neq_f64_e64 s69, 0, v[53:54]
	s_waitcnt vmcnt(0)
	v_cmp_neq_f64_e64 s52, 0, v[59:60]
	v_add_co_ci_u32_e64 v61, s51, v61, v49, s51
	s_clause 0x1
	global_load_b128 v[49:52], v[123:124], off offset:-4096
	global_load_b128 v[53:56], v[123:124], off
	v_cmp_neq_f64_e64 s51, 0, v[57:58]
	v_cndmask_b32_e64 v57, 0, 1, s54
	s_delay_alu instid0(VALU_DEP_1)
	v_add_co_ci_u32_e64 v61, s80, v61, v57, s80
	s_waitcnt vmcnt(1)
	v_cmp_neq_f64_e64 s54, 0, v[49:50]
	v_cmp_neq_f64_e64 s71, 0, v[51:52]
	s_clause 0x1
	global_load_b128 v[49:52], v[121:122], off offset:2048
	global_load_b128 v[57:60], v[125:126], off offset:2048
	s_waitcnt vmcnt(2)
	v_cmp_neq_f64_e64 s84, 0, v[53:54]
	v_cmp_neq_f64_e64 s85, 0, v[55:56]
	s_waitcnt vmcnt(1)
	v_cmp_neq_f64_e64 s80, 0, v[49:50]
	v_cndmask_b32_e64 v49, 0, 1, s82
	s_or_b32 s82, s87, s89
	v_cmp_neq_f64_e64 s81, 0, v[51:52]
	s_waitcnt vmcnt(0)
	v_cmp_neq_f64_e64 s83, 0, v[59:60]
	v_add_co_ci_u32_e64 v61, s82, v61, v49, s82
	s_clause 0x1
	global_load_b128 v[49:52], v[127:128], off offset:-4096
	global_load_b128 v[53:56], v[127:128], off
	v_cmp_neq_f64_e64 s82, 0, v[57:58]
	v_cndmask_b32_e64 v57, 0, 1, s86
	s_waitcnt vmcnt(1)
	v_cmp_neq_f64_e64 s86, 0, v[49:50]
	v_cmp_neq_f64_e64 s87, 0, v[51:52]
	s_delay_alu instid0(VALU_DEP_3)
	v_add_co_ci_u32_e64 v51, s88, v61, v57, s88
	s_clause 0x1
	global_load_b128 v[47:50], v[47:48], off offset:2048
	global_load_b128 v[57:60], v[45:46], off offset:2048
	v_cndmask_b32_e64 v45, 0, 1, s90
	s_or_b32 s90, s96, s97
	s_waitcnt vmcnt(2)
	v_cmp_neq_f64_e64 s92, 0, v[53:54]
	v_cndmask_b32_e64 v54, 0, 1, s94
	v_cmp_neq_f64_e64 s93, 0, v[55:56]
	v_add_co_ci_u32_e64 v53, s90, v51, v45, s90
	s_delay_alu instid0(VALU_DEP_1)
	v_add_co_ci_u32_e32 v53, vcc_lo, v53, v54, vcc_lo
	s_waitcnt vmcnt(1)
	v_cmp_neq_f64_e64 s88, 0, v[47:48]
	v_cmp_neq_f64_e64 s89, 0, v[49:50]
	s_clause 0x1
	global_load_b128 v[45:48], v[43:44], off offset:-4096
	global_load_b128 v[49:52], v[43:44], off
	s_waitcnt vmcnt(2)
	v_cmp_neq_f64_e64 s90, 0, v[57:58]
	v_cmp_neq_f64_e64 s91, 0, v[59:60]
	s_waitcnt vmcnt(1)
	v_cmp_neq_f64_e64 s94, 0, v[45:46]
	v_cmp_neq_f64_e64 s95, 0, v[47:48]
	s_waitcnt vmcnt(0)
	v_cmp_neq_f64_e32 vcc_lo, 0, v[49:50]
	s_clause 0x1
	global_load_b128 v[43:46], v[41:42], off offset:-4096
	global_load_b128 v[47:50], v[41:42], off
	v_cmp_neq_f64_e64 s3, 0, v[51:52]
	v_cndmask_b32_e64 v51, 0, 1, s7
	s_delay_alu instid0(VALU_DEP_1) | instskip(SKIP_2) | instid1(VALU_DEP_3)
	v_add_co_ci_u32_e64 v51, s4, v53, v51, s4
	s_or_b32 s4, s10, vcc_hi
	s_or_b32 s10, s47, s46
	s_or_b32 s3, vcc_lo, s3
	s_waitcnt vmcnt(1)
	v_cmp_neq_f64_e64 s7, 0, v[43:44]
	v_cmp_neq_f64_e64 s2, 0, v[45:46]
	s_clause 0x1
	global_load_b128 v[39:42], v[39:40], off offset:2048
	global_load_b128 v[43:46], v[37:38], off offset:2048
	v_cndmask_b32_e64 v37, 0, 1, s4
	s_waitcnt vmcnt(2)
	v_cmp_neq_f64_e64 s4, 0, v[47:48]
	v_cmp_neq_f64_e64 s5, 0, v[49:50]
	s_delay_alu instid0(VALU_DEP_3)
	v_add_co_ci_u32_e64 v47, s24, v51, v37, s24
	s_or_b32 s2, s7, s2
	s_waitcnt vmcnt(1)
	v_cmp_neq_f64_e64 s17, 0, v[39:40]
	v_cmp_neq_f64_e64 s96, 0, v[41:42]
	s_waitcnt vmcnt(0)
	v_cmp_neq_f64_e64 s24, 0, v[43:44]
	s_clause 0x1
	global_load_b128 v[37:40], v[35:36], off offset:-4096
	global_load_b128 v[41:44], v[35:36], off
	v_cmp_neq_f64_e64 s97, 0, v[45:46]
	v_cndmask_b32_e64 v45, 0, 1, s9
	s_or_b32 s9, s100, s101
	s_delay_alu instid0(VALU_DEP_1)
	v_add_co_ci_u32_e64 v45, s21, v47, v45, s21
	s_or_b32 vcc_lo, s17, s96
	s_waitcnt vmcnt(1)
	v_cmp_neq_f64_e64 s98, 0, v[37:38]
	v_cmp_neq_f64_e64 s99, 0, v[39:40]
	s_clause 0x1
	global_load_b128 v[33:36], v[33:34], off offset:2048
	global_load_b128 v[37:40], v[29:30], off offset:2048
	s_waitcnt vmcnt(2)
	v_cmp_neq_f64_e64 s21, 0, v[41:42]
	v_cndmask_b32_e64 v41, 0, 1, s9
	s_or_b32 s9, s38, s35
	v_cmp_neq_f64_e64 s22, 0, v[43:44]
	s_delay_alu instid0(VALU_DEP_2)
	v_add_co_ci_u32_e64 v41, s15, v45, v41, s15
	s_waitcnt vmcnt(1)
	v_cmp_neq_f64_e64 s100, 0, v[33:34]
	v_cmp_neq_f64_e64 s101, 0, v[35:36]
	s_clause 0x1
	global_load_b128 v[33:36], v[31:32], off offset:-4096
	global_load_b128 v[29:32], v[31:32], off
	s_waitcnt vmcnt(2)
	v_cmp_neq_f64_e64 s19, 0, v[39:40]
	s_waitcnt vmcnt(1)
	v_cmp_neq_f64_e64 s16, 0, v[33:34]
	v_cndmask_b32_e64 v33, 0, 1, s9
	v_cmp_neq_f64_e64 s35, 0, v[35:36]
	s_waitcnt vmcnt(0)
	v_cmp_neq_f64_e64 s9, 0, v[29:30]
	v_cmp_neq_f64_e64 s15, 0, v[31:32]
	v_cndmask_b32_e64 v36, 0, 1, s10
	v_add_co_ci_u32_e64 v35, s18, v41, v33, s18
	s_clause 0x1
	global_load_b128 v[27:30], v[27:28], off offset:2048
	global_load_b128 v[31:34], v[25:26], off offset:2048
	s_or_b32 s10, s49, s48
	v_cmp_neq_f64_e64 s18, 0, v[37:38]
	v_add_co_ci_u32_e64 v35, s14, v35, v36, s14
	s_waitcnt vmcnt(1)
	v_cmp_neq_f64_e64 s38, 0, v[27:28]
	v_cmp_neq_f64_e64 s6, 0, v[29:30]
	s_clause 0x1
	global_load_b128 v[23:26], v[23:24], off offset:2048
	global_load_b128 v[27:30], v[21:22], off offset:2048
	s_waitcnt vmcnt(2)
	v_cmp_neq_f64_e64 s14, 0, v[31:32]
	v_cndmask_b32_e64 v31, 0, 1, s10
	v_readlane_b32 s10, v147, 9
	v_cmp_neq_f64_e64 s46, 0, v[33:34]
	s_delay_alu instid0(VALU_DEP_3) | instskip(NEXT) | instid1(VALU_DEP_3)
	v_add_co_ci_u32_e64 v31, s27, v35, v31, s27
	s_or_b32 s10, s10, s11
	v_readlane_b32 s11, v147, 12
	s_delay_alu instid0(VALU_DEP_1)
	s_or_b32 s13, s11, s13
	s_waitcnt vmcnt(1)
	v_cmp_neq_f64_e64 s47, 0, v[23:24]
	v_cmp_neq_f64_e64 s25, 0, v[25:26]
	s_waitcnt vmcnt(0)
	v_cmp_neq_f64_e64 s27, 0, v[27:28]
	s_clause 0x1
	global_load_b128 v[21:24], v[19:20], off offset:-4096
	global_load_b128 v[25:28], v[19:20], off
	v_cmp_neq_f64_e64 s48, 0, v[29:30]
	v_cndmask_b32_e64 v29, 0, 1, s10
	v_readlane_b32 s10, v147, 11
	s_delay_alu instid0(VALU_DEP_1)
	s_or_b32 s10, s10, s8
	s_delay_alu instid0(VALU_DEP_2) | instid1(SALU_CYCLE_1)
	v_add_co_ci_u32_e64 v29, s10, v31, v29, s10
	s_waitcnt vmcnt(1)
	v_cmp_neq_f64_e64 s49, 0, v[21:22]
	v_cmp_neq_f64_e64 s8, 0, v[23:24]
	s_clause 0x1
	global_load_b128 v[17:20], v[17:18], off offset:2048
	global_load_b128 v[21:24], v[15:16], off offset:2048
	v_cndmask_b32_e64 v15, 0, 1, s13
	v_cndmask_b32_e64 v16, 0, 1, s30
	s_or_b32 s30, s34, s37
	s_waitcnt vmcnt(2)
	v_cmp_neq_f64_e64 s13, 0, v[25:26]
	v_cmp_neq_f64_e64 s29, 0, v[27:28]
	v_add_co_ci_u32_e64 v15, s31, v29, v15, s31
	s_delay_alu instid0(VALU_DEP_1)
	v_add_co_ci_u32_e64 v25, s30, v15, v16, s30
	s_waitcnt vmcnt(1)
	v_cmp_neq_f64_e64 s10, 0, v[17:18]
	v_cmp_neq_f64_e64 s11, 0, v[19:20]
	s_waitcnt vmcnt(0)
	v_cmp_neq_f64_e64 s30, 0, v[21:22]
	s_clause 0x1
	global_load_b128 v[15:18], v[13:14], off offset:-4096
	global_load_b128 v[19:22], v[13:14], off
	v_cmp_neq_f64_e64 s31, 0, v[23:24]
	s_waitcnt vmcnt(1)
	v_cmp_neq_f64_e64 s33, 0, v[15:16]
	v_cmp_neq_f64_e64 s34, 0, v[17:18]
	s_clause 0x1
	global_load_b128 v[11:14], v[11:12], off offset:2048
	global_load_b128 v[15:18], v[9:10], off offset:2048
	v_cndmask_b32_e64 v9, 0, 1, s20
	s_waitcnt vmcnt(2)
	v_cmp_neq_f64_e64 s36, 0, v[21:22]
	v_cndmask_b32_e64 v22, 0, 1, s45
	s_delay_alu instid0(VALU_DEP_3) | instskip(SKIP_2) | instid1(VALU_DEP_1)
	v_add_co_ci_u32_e64 v23, s23, v25, v9, s23
	v_cmp_neq_f64_e64 s23, 0, v[19:20]
	v_cndmask_b32_e64 v19, 0, 1, s26
	v_add_co_ci_u32_e64 v21, s12, v23, v19, s12
	s_waitcnt vmcnt(1)
	v_cmp_neq_f64_e64 s37, 0, v[11:12]
	global_load_b128 v[9:12], v[5:6], off offset:-4096
	v_cmp_neq_f64_e64 s20, 0, v[13:14]
	s_waitcnt vmcnt(1)
	v_cmp_neq_f64_e64 s26, 0, v[15:16]
	s_clause 0x1
	global_load_b128 v[13:16], v[7:8], off offset:2048
	global_load_b128 v[5:8], v[5:6], off
	v_cmp_neq_f64_e64 s28, 0, v[17:18]
	global_load_b128 v[17:20], v[3:4], off offset:2048
	s_waitcnt vmcnt(3)
	v_cmp_neq_f64_e64 s12, 0, v[9:10]
	v_cmp_neq_f64_e64 s39, 0, v[11:12]
	s_clause 0x1
	global_load_b128 v[9:12], v[1:2], off
	global_load_b128 v[1:4], v[1:2], off offset:2048
	s_waitcnt vmcnt(4)
	v_cmp_neq_f64_e64 s45, 0, v[13:14]
	v_add_co_ci_u32_e64 v13, s74, v21, v22, s74
	v_cmp_neq_f64_e64 s50, 0, v[15:16]
	s_or_b32 s74, s79, s75
	v_cndmask_b32_e64 v15, 0, 1, s40
	s_waitcnt vmcnt(3)
	v_cmp_neq_f64_e64 s40, 0, v[5:6]
	v_cndmask_b32_e64 v5, 0, 1, s65
	v_readlane_b32 s65, v147, 13
	v_cndmask_b32_e64 v14, 0, 1, s74
	v_cmp_neq_f64_e64 s42, 0, v[7:8]
	s_waitcnt vmcnt(2)
	v_cmp_neq_f64_e64 s66, 0, v[19:20]
	s_or_b32 s65, s65, s78
	s_delay_alu instid0(SALU_CYCLE_1) | instskip(SKIP_1) | instid1(VALU_DEP_2)
	v_add_co_ci_u32_e64 v6, s65, v13, v14, s65
	v_cmp_neq_f64_e64 s65, 0, v[17:18]
	v_add_co_ci_u32_e64 v6, s41, v6, v15, s41
	s_or_b32 s41, s67, s61
	s_delay_alu instid0(SALU_CYCLE_1)
	v_cndmask_b32_e64 v7, 0, 1, s41
	s_or_b32 s41, s44, s64
	s_delay_alu instid0(VALU_DEP_2) | instid1(SALU_CYCLE_1)
	v_add_co_ci_u32_e64 v5, s41, v6, v5, s41
	s_or_b32 s41, s68, s59
	s_delay_alu instid0(SALU_CYCLE_1)
	v_cndmask_b32_e64 v6, 0, 1, s41
	s_or_b32 s41, s63, s56
	s_delay_alu instid0(VALU_DEP_2) | instid1(SALU_CYCLE_1)
	;; [unrolled: 6-line block ×9, first 2 shown]
	v_add_co_ci_u32_e64 v5, s41, v5, v6, s41
	v_cndmask_b32_e64 v6, 0, 1, s3
	s_or_b32 s3, s9, s15
	s_delay_alu instid0(VALU_DEP_2) | instskip(SKIP_3) | instid1(VALU_DEP_2)
	v_add_co_ci_u32_e32 v5, vcc_lo, v5, v7, vcc_lo
	s_or_b32 vcc_lo, s24, s97
	v_cndmask_b32_e64 v7, 0, 1, s2
	s_or_b32 s2, s4, s5
	v_add_co_ci_u32_e32 v5, vcc_lo, v5, v6, vcc_lo
	s_or_b32 vcc_lo, s100, s101
	v_cndmask_b32_e64 v6, 0, 1, s2
	s_or_b32 s2, s98, s99
	s_delay_alu instid0(VALU_DEP_2) | instskip(SKIP_3) | instid1(VALU_DEP_2)
	v_add_co_ci_u32_e32 v5, vcc_lo, v5, v7, vcc_lo
	s_or_b32 vcc_lo, s18, s19
	v_cndmask_b32_e64 v7, 0, 1, s2
	s_or_b32 s2, s21, s22
	v_add_co_ci_u32_e32 v5, vcc_lo, v5, v6, vcc_lo
	s_or_b32 vcc_lo, s38, s6
	v_cndmask_b32_e64 v6, 0, 1, s2
	s_or_b32 s2, s16, s35
	s_delay_alu instid0(VALU_DEP_2) | instskip(SKIP_3) | instid1(VALU_DEP_2)
	v_add_co_ci_u32_e32 v5, vcc_lo, v5, v7, vcc_lo
	v_cndmask_b32_e64 v7, 0, 1, s2
	s_or_b32 s2, s14, s46
	s_or_b32 s4, s47, s25
	v_add_co_ci_u32_e64 v5, s2, v5, v6, s2
	v_cndmask_b32_e64 v6, 0, 1, s3
	s_or_b32 s5, s49, s8
	s_waitcnt vmcnt(1)
	v_cmp_neq_f64_e32 vcc_lo, 0, v[9:10]
	v_cmp_neq_f64_e64 s2, 0, v[11:12]
	s_waitcnt vmcnt(0)
	v_cmp_neq_f64_e64 s3, 0, v[1:2]
	v_add_co_ci_u32_e64 v1, s4, v5, v7, s4
	v_cmp_neq_f64_e64 s4, 0, v[3:4]
	v_cndmask_b32_e64 v2, 0, 1, s5
	s_or_b32 s5, s27, s48
	s_delay_alu instid0(VALU_DEP_3) | instid1(SALU_CYCLE_1)
	v_add_co_ci_u32_e64 v1, s5, v1, v6, s5
	s_or_b32 s5, s13, s29
	s_delay_alu instid0(SALU_CYCLE_1)
	v_cndmask_b32_e64 v3, 0, 1, s5
	s_or_b32 s5, s10, s11
	s_delay_alu instid0(VALU_DEP_2) | instid1(SALU_CYCLE_1)
	v_add_co_ci_u32_e64 v1, s5, v1, v2, s5
	s_or_b32 s5, s33, s34
	s_delay_alu instid0(SALU_CYCLE_1)
	v_cndmask_b32_e64 v2, 0, 1, s5
	s_or_b32 s5, s30, s31
	s_delay_alu instid0(VALU_DEP_2) | instid1(SALU_CYCLE_1)
	;; [unrolled: 6-line block ×4, first 2 shown]
	v_add_co_ci_u32_e64 v1, s5, v1, v3, s5
	s_or_b32 s5, s40, s42
	s_or_b32 s2, vcc_lo, s2
	v_cndmask_b32_e64 v3, 0, 1, s5
	s_or_b32 s5, s45, s50
	s_or_b32 vcc_lo, s65, s66
	v_add_co_ci_u32_e64 v1, s5, v1, v2, s5
	v_cndmask_b32_e64 v2, 0, 1, s2
	s_mov_b32 s2, exec_lo
	s_delay_alu instid0(VALU_DEP_2) | instskip(SKIP_2) | instid1(VALU_DEP_2)
	v_add_co_ci_u32_e32 v1, vcc_lo, v1, v3, vcc_lo
	s_or_b32 vcc_lo, s3, s4
	v_mov_b32_e32 v3, 0
	v_add_co_ci_u32_e32 v1, vcc_lo, v1, v2, vcc_lo
	s_delay_alu instid0(VALU_DEP_1) | instskip(NEXT) | instid1(VALU_DEP_1)
	v_mov_b32_dpp v2, v1 quad_perm:[1,0,3,2] row_mask:0xf bank_mask:0xf
	v_add_nc_u32_e32 v1, v1, v2
	s_delay_alu instid0(VALU_DEP_1) | instskip(NEXT) | instid1(VALU_DEP_1)
	v_mov_b32_dpp v2, v1 quad_perm:[2,3,0,1] row_mask:0xf bank_mask:0xf
	v_add_nc_u32_e32 v1, v1, v2
	s_delay_alu instid0(VALU_DEP_1) | instskip(NEXT) | instid1(VALU_DEP_1)
	v_mov_b32_dpp v2, v1 row_ror:4 row_mask:0xf bank_mask:0xf
	v_add_nc_u32_e32 v1, v1, v2
	s_delay_alu instid0(VALU_DEP_1) | instskip(NEXT) | instid1(VALU_DEP_1)
	v_mov_b32_dpp v2, v1 row_ror:8 row_mask:0xf bank_mask:0xf
	v_add_nc_u32_e32 v1, v1, v2
	ds_swizzle_b32 v2, v1 offset:swizzle(BROADCAST,32,15)
	s_waitcnt lgkmcnt(0)
	v_add_nc_u32_e32 v1, v1, v2
	v_mbcnt_lo_u32_b32 v2, -1, 0
	ds_bpermute_b32 v1, v3, v1 offset:124
	v_cmpx_eq_u32_e32 0, v2
	s_cbranch_execz .LBB524_7
; %bb.6:
	v_lshrrev_b32_e32 v3, 3, v0
	s_delay_alu instid0(VALU_DEP_1)
	v_and_b32_e32 v3, 12, v3
	s_waitcnt lgkmcnt(0)
	ds_store_b32 v3, v1
.LBB524_7:
	s_or_b32 exec_lo, exec_lo, s2
	s_delay_alu instid0(SALU_CYCLE_1)
	s_mov_b32 s2, exec_lo
	s_waitcnt lgkmcnt(0)
	s_barrier
	buffer_gl0_inv
	v_cmpx_gt_u32_e32 32, v0
	s_cbranch_execz .LBB524_9
; %bb.8:
	v_and_b32_e32 v1, 3, v2
	s_delay_alu instid0(VALU_DEP_1) | instskip(SKIP_4) | instid1(VALU_DEP_2)
	v_lshlrev_b32_e32 v3, 2, v1
	v_cmp_ne_u32_e32 vcc_lo, 3, v1
	ds_load_b32 v3, v3
	v_add_co_ci_u32_e32 v4, vcc_lo, 0, v2, vcc_lo
	v_cmp_gt_u32_e32 vcc_lo, 2, v1
	v_lshlrev_b32_e32 v4, 2, v4
	v_cndmask_b32_e64 v1, 0, 1, vcc_lo
	s_delay_alu instid0(VALU_DEP_1) | instskip(NEXT) | instid1(VALU_DEP_1)
	v_lshlrev_b32_e32 v1, 1, v1
	v_add_lshl_u32 v1, v1, v2, 2
	s_waitcnt lgkmcnt(0)
	ds_bpermute_b32 v4, v4, v3
	s_waitcnt lgkmcnt(0)
	v_add_nc_u32_e32 v3, v4, v3
	ds_bpermute_b32 v1, v1, v3
	s_waitcnt lgkmcnt(0)
	v_add_nc_u32_e32 v1, v1, v3
.LBB524_9:
	s_or_b32 exec_lo, exec_lo, s2
	s_clause 0x1
	s_load_b128 s[56:59], s[0:1], 0x18
	s_load_b64 s[98:99], s[0:1], 0x8
	v_readlane_b32 s8, v147, 0
	s_mov_b32 s6, 0
	v_readlane_b32 s9, v147, 1
.LBB524_10:
	v_cmp_eq_u32_e64 s2, 0, v0
	s_and_b32 vcc_lo, exec_lo, s6
	s_cbranch_vccnz .LBB524_24
.LBB524_11:
	s_branch .LBB524_512
.LBB524_12:
	s_mov_b32 s2, 0
                                        ; implicit-def: $vgpr1
	s_cbranch_execz .LBB524_623
	s_branch .LBB524_513
.LBB524_13:
	s_mov_b32 s2, 0
                                        ; implicit-def: $vgpr1
	s_cbranch_execz .LBB524_512
; %bb.14:
	s_cmp_gt_i32 s104, 31
	s_cbranch_scc0 .LBB524_31
; %bb.15:
	s_cmp_eq_u32 s104, 32
	s_cbranch_scc0 .LBB524_32
; %bb.16:
	s_mov_b32 s103, 0
	s_lshl_b32 s54, s102, 12
	s_mov_b32 s55, s103
	s_waitcnt lgkmcnt(0)
	s_lshr_b64 s[4:5], s[56:57], 12
	s_lshl_b64 s[2:3], s[54:55], 4
	s_delay_alu instid0(SALU_CYCLE_1)
	s_add_u32 s52, s98, s2
	s_addc_u32 s53, s99, s3
	s_cmp_lg_u64 s[4:5], s[102:103]
	s_cbranch_scc0 .LBB524_296
; %bb.17:
	v_lshlrev_b32_e32 v7, 4, v0
	s_delay_alu instid0(VALU_DEP_1) | instskip(NEXT) | instid1(VALU_DEP_1)
	v_add_co_u32 v5, s2, s52, v7
	v_add_co_ci_u32_e64 v6, null, s53, 0, s2
	s_clause 0x1
	global_load_b128 v[1:4], v7, s[52:53]
	global_load_b128 v[7:10], v7, s[52:53] offset:2048
	v_add_co_u32 v15, vcc_lo, v5, 0x2000
	v_add_co_ci_u32_e32 v16, vcc_lo, 0, v6, vcc_lo
	v_add_co_u32 v19, vcc_lo, 0x1000, v5
	v_add_co_ci_u32_e32 v20, vcc_lo, 0, v6, vcc_lo
	;; [unrolled: 2-line block ×6, first 2 shown]
	v_add_co_u32 v43, vcc_lo, 0x5000, v5
	s_clause 0x1
	global_load_b128 v[11:14], v[15:16], off offset:-4096
	global_load_b128 v[15:18], v[15:16], off
	v_add_co_ci_u32_e32 v44, vcc_lo, 0, v6, vcc_lo
	v_add_co_u32 v51, vcc_lo, v5, 0x6000
	v_add_co_ci_u32_e32 v52, vcc_lo, 0, v6, vcc_lo
	v_add_co_u32 v63, vcc_lo, 0x6000, v5
	;; [unrolled: 2-line block ×3, first 2 shown]
	s_clause 0x5
	global_load_b128 v[19:22], v[19:20], off offset:2048
	global_load_b128 v[23:26], v[23:24], off offset:2048
	global_load_b128 v[27:30], v[31:32], off offset:-4096
	global_load_b128 v[31:34], v[31:32], off
	global_load_b128 v[35:38], v[35:36], off offset:2048
	global_load_b128 v[39:42], v[39:40], off offset:2048
	v_add_co_ci_u32_e32 v68, vcc_lo, 0, v6, vcc_lo
	v_add_co_u32 v59, vcc_lo, v5, 0x8000
	v_add_co_ci_u32_e32 v60, vcc_lo, 0, v6, vcc_lo
	s_clause 0x6
	global_load_b128 v[43:46], v[43:44], off offset:2048
	global_load_b128 v[47:50], v[51:52], off offset:-4096
	global_load_b128 v[51:54], v[51:52], off
	global_load_b128 v[55:58], v[59:60], off offset:-4096
	global_load_b128 v[59:62], v[59:60], off
	global_load_b128 v[63:66], v[63:64], off offset:2048
	global_load_b128 v[67:70], v[67:68], off offset:2048
	v_add_co_u32 v71, vcc_lo, 0x8000, v5
	v_add_co_ci_u32_e32 v72, vcc_lo, 0, v6, vcc_lo
	v_add_co_u32 v75, vcc_lo, 0x9000, v5
	v_add_co_ci_u32_e32 v76, vcc_lo, 0, v6, vcc_lo
	;; [unrolled: 2-line block ×3, first 2 shown]
	v_add_co_u32 v87, vcc_lo, 0xa000, v5
	s_clause 0x3
	global_load_b128 v[71:74], v[71:72], off offset:2048
	global_load_b128 v[75:78], v[75:76], off offset:2048
	global_load_b128 v[79:82], v[83:84], off offset:-4096
	global_load_b128 v[83:86], v[83:84], off
	v_add_co_ci_u32_e32 v88, vcc_lo, 0, v6, vcc_lo
	v_add_co_u32 v99, vcc_lo, v5, 0xc000
	v_add_co_ci_u32_e32 v100, vcc_lo, 0, v6, vcc_lo
	v_add_co_u32 v95, vcc_lo, 0xb000, v5
	;; [unrolled: 2-line block ×3, first 2 shown]
	s_clause 0x3
	global_load_b128 v[87:90], v[87:88], off offset:2048
	global_load_b128 v[91:94], v[99:100], off offset:-4096
	global_load_b128 v[95:98], v[95:96], off offset:2048
	global_load_b128 v[99:102], v[99:100], off
	v_add_co_ci_u32_e32 v104, vcc_lo, 0, v6, vcc_lo
	v_add_co_u32 v115, vcc_lo, v5, 0xe000
	v_add_co_ci_u32_e32 v116, vcc_lo, 0, v6, vcc_lo
	v_add_co_u32 v111, vcc_lo, 0xd000, v5
	v_add_co_ci_u32_e32 v112, vcc_lo, 0, v6, vcc_lo
	s_clause 0x2
	global_load_b128 v[103:106], v[103:104], off offset:2048
	global_load_b128 v[107:110], v[115:116], off offset:-4096
	global_load_b128 v[111:114], v[111:112], off offset:2048
	v_add_co_u32 v119, vcc_lo, 0xe000, v5
	v_add_co_ci_u32_e32 v120, vcc_lo, 0, v6, vcc_lo
	global_load_b128 v[115:118], v[115:116], off
	v_add_co_u32 v5, vcc_lo, 0xf000, v5
	v_add_co_ci_u32_e32 v6, vcc_lo, 0, v6, vcc_lo
	s_clause 0x2
	global_load_b128 v[119:122], v[119:120], off offset:2048
	global_load_b128 v[123:126], v[5:6], off
	global_load_b128 v[127:130], v[5:6], off offset:2048
	s_waitcnt vmcnt(31)
	v_cmp_neq_f64_e32 vcc_lo, 0, v[1:2]
	v_cmp_neq_f64_e64 s2, 0, v[3:4]
	s_waitcnt vmcnt(30)
	v_cmp_neq_f64_e64 s3, 0, v[7:8]
	v_cmp_neq_f64_e64 s4, 0, v[9:10]
	s_waitcnt vmcnt(29)
	v_cmp_neq_f64_e64 s5, 0, v[11:12]
	;; [unrolled: 3-line block ×11, first 2 shown]
	v_cmp_neq_f64_e64 s27, 0, v[57:58]
	v_cmp_neq_f64_e64 s19, 0, v[39:40]
	;; [unrolled: 1-line block ×3, first 2 shown]
	s_waitcnt vmcnt(17)
	v_cmp_neq_f64_e64 s28, 0, v[59:60]
	v_cmp_neq_f64_e64 s29, 0, v[61:62]
	;; [unrolled: 1-line block ×4, first 2 shown]
	s_waitcnt vmcnt(16)
	v_cmp_neq_f64_e64 s31, 0, v[63:64]
	v_cmp_neq_f64_e64 s33, 0, v[65:66]
	s_or_b32 s2, vcc_lo, s2
	s_waitcnt vmcnt(15)
	v_cmp_neq_f64_e64 s34, 0, v[67:68]
	v_cmp_neq_f64_e64 s35, 0, v[69:70]
	v_cndmask_b32_e64 v1, 0, 1, s2
	s_or_b32 vcc_lo, s3, s4
	s_waitcnt vmcnt(12)
	v_cmp_neq_f64_e64 s38, 0, v[79:80]
	v_cmp_neq_f64_e64 s39, 0, v[81:82]
	s_or_b32 s2, s5, s6
	v_cmp_neq_f64_e64 s36, 0, v[71:72]
	v_cmp_neq_f64_e64 s37, 0, v[73:74]
	v_cndmask_b32_e64 v2, 0, 1, s2
	v_add_co_ci_u32_e32 v1, vcc_lo, 0, v1, vcc_lo
	s_waitcnt vmcnt(11)
	v_cmp_neq_f64_e64 s42, 0, v[83:84]
	v_cmp_neq_f64_e64 s43, 0, v[85:86]
	s_or_b32 s2, s9, s10
	s_or_b32 s3, s7, s8
	v_cmp_neq_f64_e64 s40, 0, v[75:76]
	v_cmp_neq_f64_e64 s41, 0, v[77:78]
	v_cndmask_b32_e64 v3, 0, 1, s2
	v_add_co_ci_u32_e64 v1, s3, v1, v2, s3
	s_waitcnt vmcnt(9)
	v_cmp_neq_f64_e64 s46, 0, v[91:92]
	v_cmp_neq_f64_e64 s47, 0, v[93:94]
	s_or_b32 s2, s13, s14
	s_or_b32 s5, s11, s12
	v_cmp_neq_f64_e64 s44, 0, v[87:88]
	v_cmp_neq_f64_e64 s45, 0, v[89:90]
	v_cndmask_b32_e64 v4, 0, 1, s2
	s_or_b32 s2, s17, s18
	v_add_co_ci_u32_e64 v1, s5, v1, v3, s5
	v_cndmask_b32_e64 v5, 0, 1, s2
	s_or_b32 s2, s21, s22
	s_waitcnt vmcnt(7)
	v_cmp_neq_f64_e64 s50, 0, v[99:100]
	v_cmp_neq_f64_e64 s51, 0, v[101:102]
	s_or_b32 s7, s15, s16
	v_cndmask_b32_e64 v6, 0, 1, s2
	s_or_b32 s2, s24, s25
	v_cmp_neq_f64_e64 s48, 0, v[95:96]
	v_cmp_neq_f64_e64 s49, 0, v[97:98]
	v_add_co_ci_u32_e64 v1, s7, v1, v4, s7
	v_cndmask_b32_e64 v7, 0, 1, s2
	s_or_b32 s2, s26, s27
	s_or_b32 s9, s19, s20
	v_cndmask_b32_e64 v8, 0, 1, s2
	s_or_b32 s2, s28, s29
	s_waitcnt vmcnt(6)
	v_cmp_neq_f64_e32 vcc_lo, 0, v[103:104]
	v_cndmask_b32_e64 v9, 0, 1, s2
	v_cmp_neq_f64_e64 s2, 0, v[105:106]
	s_waitcnt vmcnt(5)
	v_cmp_neq_f64_e64 s3, 0, v[107:108]
	v_cmp_neq_f64_e64 s4, 0, v[109:110]
	v_add_co_ci_u32_e64 v1, s9, v1, v5, s9
	s_or_b32 s11, s23, s30
	s_waitcnt vmcnt(4)
	v_cmp_neq_f64_e64 s5, 0, v[111:112]
	v_cmp_neq_f64_e64 s6, 0, v[113:114]
	s_waitcnt vmcnt(3)
	v_cmp_neq_f64_e64 s7, 0, v[115:116]
	v_cmp_neq_f64_e64 s8, 0, v[117:118]
	v_add_co_ci_u32_e64 v1, s11, v1, v6, s11
	s_or_b32 s13, s31, s33
	s_waitcnt vmcnt(2)
	v_cmp_neq_f64_e64 s9, 0, v[119:120]
	;; [unrolled: 8-line block ×3, first 2 shown]
	v_cmp_neq_f64_e64 s14, 0, v[129:130]
	v_add_co_ci_u32_e64 v1, s15, v1, v8, s15
	s_or_b32 s15, s38, s39
	s_delay_alu instid0(SALU_CYCLE_1)
	v_cndmask_b32_e64 v2, 0, 1, s15
	s_or_b32 s15, s36, s37
	s_delay_alu instid0(VALU_DEP_2) | instid1(SALU_CYCLE_1)
	v_add_co_ci_u32_e64 v1, s15, v1, v9, s15
	s_or_b32 s15, s42, s43
	s_delay_alu instid0(SALU_CYCLE_1)
	v_cndmask_b32_e64 v3, 0, 1, s15
	s_or_b32 s15, s40, s41
	s_delay_alu instid0(VALU_DEP_2) | instid1(SALU_CYCLE_1)
	v_add_co_ci_u32_e64 v1, s15, v1, v2, s15
	s_or_b32 s15, s46, s47
	s_or_b32 vcc_lo, vcc_lo, s2
	v_cndmask_b32_e64 v2, 0, 1, s15
	s_or_b32 s15, s44, s45
	s_or_b32 s3, s3, s4
	v_add_co_ci_u32_e64 v1, s15, v1, v3, s15
	s_or_b32 s15, s50, s51
	s_delay_alu instid0(SALU_CYCLE_1) | instskip(SKIP_4) | instid1(VALU_DEP_2)
	v_cndmask_b32_e64 v3, 0, 1, s15
	s_or_b32 s15, s48, s49
	s_or_b32 s2, s7, s8
	v_add_co_ci_u32_e64 v1, s15, v1, v2, s15
	v_cndmask_b32_e64 v2, 0, 1, s3
	v_add_co_ci_u32_e32 v1, vcc_lo, v1, v3, vcc_lo
	s_or_b32 vcc_lo, s5, s6
	v_cndmask_b32_e64 v3, 0, 1, s2
	s_or_b32 s2, s11, s12
	s_delay_alu instid0(VALU_DEP_2) | instskip(SKIP_3) | instid1(VALU_DEP_2)
	v_add_co_ci_u32_e32 v1, vcc_lo, v1, v2, vcc_lo
	s_or_b32 vcc_lo, s9, s10
	v_cndmask_b32_e64 v2, 0, 1, s2
	s_mov_b32 s2, exec_lo
	v_add_co_ci_u32_e32 v1, vcc_lo, v1, v3, vcc_lo
	s_or_b32 vcc_lo, s13, s14
	v_mov_b32_e32 v3, 0
	s_delay_alu instid0(VALU_DEP_2) | instskip(NEXT) | instid1(VALU_DEP_1)
	v_add_co_ci_u32_e32 v1, vcc_lo, v1, v2, vcc_lo
	v_mov_b32_dpp v2, v1 quad_perm:[1,0,3,2] row_mask:0xf bank_mask:0xf
	s_delay_alu instid0(VALU_DEP_1) | instskip(NEXT) | instid1(VALU_DEP_1)
	v_add_nc_u32_e32 v1, v1, v2
	v_mov_b32_dpp v2, v1 quad_perm:[2,3,0,1] row_mask:0xf bank_mask:0xf
	s_delay_alu instid0(VALU_DEP_1) | instskip(NEXT) | instid1(VALU_DEP_1)
	v_add_nc_u32_e32 v1, v1, v2
	v_mov_b32_dpp v2, v1 row_ror:4 row_mask:0xf bank_mask:0xf
	s_delay_alu instid0(VALU_DEP_1) | instskip(NEXT) | instid1(VALU_DEP_1)
	v_add_nc_u32_e32 v1, v1, v2
	v_mov_b32_dpp v2, v1 row_ror:8 row_mask:0xf bank_mask:0xf
	s_delay_alu instid0(VALU_DEP_1)
	v_add_nc_u32_e32 v1, v1, v2
	ds_swizzle_b32 v2, v1 offset:swizzle(BROADCAST,32,15)
	s_waitcnt lgkmcnt(0)
	v_add_nc_u32_e32 v1, v1, v2
	v_mbcnt_lo_u32_b32 v2, -1, 0
	ds_bpermute_b32 v1, v3, v1 offset:124
	v_cmpx_eq_u32_e32 0, v2
	s_cbranch_execz .LBB524_19
; %bb.18:
	v_lshrrev_b32_e32 v3, 3, v0
	s_delay_alu instid0(VALU_DEP_1)
	v_and_b32_e32 v3, 12, v3
	s_waitcnt lgkmcnt(0)
	ds_store_b32 v3, v1 offset:64
.LBB524_19:
	s_or_b32 exec_lo, exec_lo, s2
	s_delay_alu instid0(SALU_CYCLE_1)
	s_mov_b32 s2, exec_lo
	s_waitcnt lgkmcnt(0)
	s_barrier
	buffer_gl0_inv
	v_cmpx_gt_u32_e32 32, v0
	s_cbranch_execz .LBB524_21
; %bb.20:
	v_and_b32_e32 v1, 3, v2
	s_delay_alu instid0(VALU_DEP_1) | instskip(SKIP_4) | instid1(VALU_DEP_2)
	v_lshlrev_b32_e32 v3, 2, v1
	v_cmp_ne_u32_e32 vcc_lo, 3, v1
	ds_load_b32 v3, v3 offset:64
	v_add_co_ci_u32_e32 v4, vcc_lo, 0, v2, vcc_lo
	v_cmp_gt_u32_e32 vcc_lo, 2, v1
	v_lshlrev_b32_e32 v4, 2, v4
	v_cndmask_b32_e64 v1, 0, 1, vcc_lo
	s_delay_alu instid0(VALU_DEP_1) | instskip(NEXT) | instid1(VALU_DEP_1)
	v_lshlrev_b32_e32 v1, 1, v1
	v_add_lshl_u32 v1, v1, v2, 2
	s_waitcnt lgkmcnt(0)
	ds_bpermute_b32 v4, v4, v3
	s_waitcnt lgkmcnt(0)
	v_add_nc_u32_e32 v3, v4, v3
	ds_bpermute_b32 v1, v1, v3
	s_waitcnt lgkmcnt(0)
	v_add_nc_u32_e32 v1, v1, v3
.LBB524_21:
	s_or_b32 exec_lo, exec_lo, s2
	s_mov_b32 s2, 0
	s_branch .LBB524_297
.LBB524_22:
	s_mov_b32 s6, -1
.LBB524_23:
	s_mov_b32 s2, 0
                                        ; implicit-def: $vgpr1
	s_and_b32 vcc_lo, exec_lo, s6
	s_cbranch_vccz .LBB524_11
.LBB524_24:
	s_cmp_eq_u32 s104, 64
	s_cbranch_scc0 .LBB524_33
; %bb.25:
	s_mov_b32 s103, 0
	s_lshl_b32 s96, s102, 13
	s_mov_b32 s97, s103
	s_waitcnt lgkmcnt(0)
	s_lshr_b64 s[4:5], s[56:57], 13
	s_lshl_b64 s[2:3], s[96:97], 4
	s_delay_alu instid0(SALU_CYCLE_1)
	s_add_u32 s94, s98, s2
	s_addc_u32 s95, s99, s3
	s_cmp_lg_u64 s[4:5], s[102:103]
	s_cbranch_scc0 .LBB524_376
; %bb.26:
	v_lshlrev_b32_e32 v1, 4, v0
	s_delay_alu instid0(VALU_DEP_1) | instskip(NEXT) | instid1(VALU_DEP_1)
	v_add_co_u32 v121, s2, s94, v1
	v_add_co_ci_u32_e64 v122, null, s95, 0, s2
	s_clause 0x1
	global_load_b128 v[37:40], v1, s[94:95]
	global_load_b128 v[21:24], v1, s[94:95] offset:2048
	v_add_co_u32 v9, vcc_lo, v121, 0x2000
	v_add_co_ci_u32_e32 v10, vcc_lo, 0, v122, vcc_lo
	v_add_co_u32 v1, vcc_lo, 0x1000, v121
	v_add_co_ci_u32_e32 v2, vcc_lo, 0, v122, vcc_lo
	;; [unrolled: 2-line block ×3, first 2 shown]
	s_clause 0x1
	global_load_b128 v[5:8], v[9:10], off offset:-4096
	global_load_b128 v[1:4], v[1:2], off offset:2048
	v_add_co_u32 v29, vcc_lo, v121, 0x4000
	v_add_co_ci_u32_e32 v30, vcc_lo, 0, v122, vcc_lo
	s_clause 0x1
	global_load_b128 v[17:20], v[9:10], off
	global_load_b128 v[9:12], v[11:12], off offset:2048
	v_add_co_u32 v25, vcc_lo, 0x3000, v121
	v_add_co_ci_u32_e32 v26, vcc_lo, 0, v122, vcc_lo
	v_add_co_u32 v33, vcc_lo, 0x4000, v121
	global_load_b128 v[13:16], v[29:30], off offset:-4096
	v_add_co_ci_u32_e32 v34, vcc_lo, 0, v122, vcc_lo
	s_clause 0x1
	global_load_b128 v[25:28], v[25:26], off offset:2048
	global_load_b128 v[29:32], v[29:30], off
	v_add_co_u32 v35, vcc_lo, v121, 0x6000
	v_add_co_ci_u32_e32 v36, vcc_lo, 0, v122, vcc_lo
	global_load_b128 v[49:52], v[33:34], off offset:2048
	v_add_co_u32 v33, vcc_lo, 0x5000, v121
	v_add_co_ci_u32_e32 v34, vcc_lo, 0, v122, vcc_lo
	s_clause 0x2
	global_load_b128 v[53:56], v[35:36], off offset:-4096
	global_load_b128 v[73:76], v[33:34], off offset:2048
	global_load_b128 v[113:116], v[35:36], off
	v_add_co_u32 v33, vcc_lo, 0x6000, v121
	v_add_co_ci_u32_e32 v34, vcc_lo, 0, v122, vcc_lo
	v_add_co_u32 v143, s5, v121, 0x16000
	s_delay_alu instid0(VALU_DEP_1)
	v_add_co_ci_u32_e64 v144, s5, 0, v122, s5
	global_load_b128 v[97:100], v[33:34], off offset:2048
	v_add_co_u32 v33, vcc_lo, v121, 0x8000
	v_add_co_ci_u32_e32 v34, vcc_lo, 0, v122, vcc_lo
	v_add_co_u32 v35, vcc_lo, 0x7000, v121
	v_add_co_ci_u32_e32 v36, vcc_lo, 0, v122, vcc_lo
	s_clause 0x2
	global_load_b128 v[85:88], v[33:34], off offset:-4096
	global_load_b128 v[117:120], v[35:36], off offset:2048
	global_load_b128 v[69:72], v[33:34], off
	v_add_co_u32 v33, vcc_lo, 0x8000, v121
	v_add_co_ci_u32_e32 v34, vcc_lo, 0, v122, vcc_lo
	v_add_co_u32 v41, vcc_lo, v121, 0xa000
	v_add_co_ci_u32_e32 v42, vcc_lo, 0, v122, vcc_lo
	global_load_b128 v[57:60], v[33:34], off offset:2048
	v_add_co_u32 v33, vcc_lo, 0x9000, v121
	v_add_co_ci_u32_e32 v34, vcc_lo, 0, v122, vcc_lo
	s_clause 0x1
	global_load_b128 v[61:64], v[41:42], off offset:-4096
	global_load_b128 v[33:36], v[33:34], off offset:2048
	v_add_co_u32 v43, vcc_lo, 0xa000, v121
	v_add_co_ci_u32_e32 v44, vcc_lo, 0, v122, vcc_lo
	global_load_b128 v[45:48], v[41:42], off
	v_add_co_u32 v41, vcc_lo, v121, 0xc000
	v_add_co_ci_u32_e32 v42, vcc_lo, 0, v122, vcc_lo
	s_clause 0x1
	global_load_b128 v[101:104], v[43:44], off offset:2048
	global_load_b128 v[105:108], v[41:42], off offset:-4096
	v_add_co_u32 v43, vcc_lo, 0xb000, v121
	v_add_co_ci_u32_e32 v44, vcc_lo, 0, v122, vcc_lo
	v_add_co_u32 v77, vcc_lo, 0xc000, v121
	v_add_co_ci_u32_e32 v78, vcc_lo, 0, v122, vcc_lo
	s_clause 0x1
	global_load_b128 v[65:68], v[43:44], off offset:2048
	global_load_b128 v[41:44], v[41:42], off
	v_add_co_u32 v93, vcc_lo, v121, 0xe000
	v_add_co_ci_u32_e32 v94, vcc_lo, 0, v122, vcc_lo
	v_add_co_u32 v89, vcc_lo, 0xd000, v121
	v_add_co_ci_u32_e32 v90, vcc_lo, 0, v122, vcc_lo
	s_clause 0x1
	global_load_b128 v[77:80], v[77:78], off offset:2048
	global_load_b128 v[81:84], v[93:94], off offset:-4096
	v_add_co_u32 v95, vcc_lo, 0xe000, v121
	global_load_b128 v[89:92], v[89:90], off offset:2048
	v_add_co_ci_u32_e32 v96, vcc_lo, 0, v122, vcc_lo
	s_clause 0x1
	global_load_b128 v[109:112], v[93:94], off
	global_load_b128 v[93:96], v[95:96], off offset:2048
	v_add_co_u32 v123, vcc_lo, v121, 0x10000
	v_add_co_ci_u32_e32 v124, vcc_lo, 0, v122, vcc_lo
	v_add_co_u32 v125, vcc_lo, 0xf000, v121
	v_add_co_ci_u32_e32 v126, vcc_lo, 0, v122, vcc_lo
	v_add_co_u32 v127, vcc_lo, 0x10000, v121
	v_add_co_ci_u32_e32 v128, vcc_lo, 0, v122, vcc_lo
	v_add_co_u32 v129, vcc_lo, v121, 0x12000
	v_add_co_ci_u32_e32 v130, vcc_lo, 0, v122, vcc_lo
	v_add_co_u32 v131, vcc_lo, 0x11000, v121
	v_add_co_ci_u32_e32 v132, vcc_lo, 0, v122, vcc_lo
	v_add_co_u32 v133, vcc_lo, 0x12000, v121
	v_add_co_ci_u32_e32 v134, vcc_lo, 0, v122, vcc_lo
	v_add_co_u32 v145, s5, v121, 0x18000
	v_add_co_u32 v135, vcc_lo, v121, 0x14000
	v_add_co_u32 v139, s3, 0x14000, v121
	v_add_co_ci_u32_e64 v146, s5, 0, v122, s5
	v_add_co_ci_u32_e32 v136, vcc_lo, 0, v122, vcc_lo
	v_add_co_ci_u32_e64 v140, s3, 0, v122, s3
	v_add_co_u32 v137, vcc_lo, 0x13000, v121
	v_add_co_u32 v141, s3, 0x15000, v121
	v_add_co_ci_u32_e32 v138, vcc_lo, 0, v122, vcc_lo
	v_add_co_ci_u32_e64 v142, s3, 0, v122, s3
	s_waitcnt vmcnt(29)
	v_cmp_neq_f64_e32 vcc_lo, 0, v[37:38]
	v_cmp_neq_f64_e64 s2, 0, v[39:40]
	s_waitcnt vmcnt(28)
	v_cmp_neq_f64_e64 s3, 0, v[21:22]
	v_cmp_neq_f64_e64 s4, 0, v[23:24]
	s_waitcnt vmcnt(27)
	v_cmp_neq_f64_e64 s15, 0, v[5:6]
	;; [unrolled: 3-line block ×3, first 2 shown]
	v_cmp_neq_f64_e64 s6, 0, v[3:4]
	s_clause 0x1
	global_load_b128 v[1:4], v[123:124], off offset:-4096
	global_load_b128 v[5:8], v[123:124], off
	s_waitcnt vmcnt(27)
	v_cmp_neq_f64_e64 s19, 0, v[17:18]
	v_cmp_neq_f64_e64 s20, 0, v[19:20]
	s_clause 0x1
	global_load_b128 v[17:20], v[125:126], off offset:2048
	global_load_b128 v[21:24], v[127:128], off offset:2048
	s_waitcnt vmcnt(28)
	v_cmp_neq_f64_e64 s7, 0, v[9:10]
	v_cmp_neq_f64_e64 s8, 0, v[11:12]
	s_clause 0x1
	global_load_b128 v[9:12], v[129:130], off offset:-4096
	global_load_b128 v[37:40], v[129:130], off
	s_waitcnt vmcnt(29)
	v_cmp_neq_f64_e64 s21, 0, v[13:14]
	v_cmp_neq_f64_e64 s22, 0, v[15:16]
	s_clause 0x1
	global_load_b128 v[13:16], v[131:132], off offset:2048
	global_load_b128 v[123:126], v[133:134], off offset:2048
	s_waitcnt vmcnt(30)
	v_cmp_neq_f64_e64 s9, 0, v[25:26]
	v_cmp_neq_f64_e64 s10, 0, v[27:28]
	s_waitcnt vmcnt(29)
	v_cmp_neq_f64_e64 s25, 0, v[29:30]
	v_cmp_neq_f64_e64 s26, 0, v[31:32]
	s_clause 0x1
	global_load_b128 v[25:28], v[135:136], off offset:-4096
	global_load_b128 v[29:32], v[135:136], off
	s_waitcnt vmcnt(30)
	v_cmp_neq_f64_e64 s11, 0, v[49:50]
	global_load_b128 v[127:130], v[137:138], off offset:2048
	v_cmp_neq_f64_e64 s12, 0, v[51:52]
	s_clause 0x1
	global_load_b128 v[49:52], v[139:140], off offset:2048
	global_load_b128 v[131:134], v[141:142], off offset:2048
	s_waitcnt vmcnt(32)
	v_cmp_neq_f64_e64 s27, 0, v[53:54]
	v_cmp_neq_f64_e64 s28, 0, v[55:56]
	global_load_b128 v[53:56], v[143:144], off offset:-4096
	s_waitcnt vmcnt(32)
	v_cmp_neq_f64_e64 s13, 0, v[73:74]
	v_cmp_neq_f64_e64 s14, 0, v[75:76]
	global_load_b128 v[73:76], v[143:144], off
	s_waitcnt vmcnt(32)
	v_cmp_neq_f64_e64 s29, 0, v[113:114]
	v_cmp_neq_f64_e64 s30, 0, v[115:116]
	s_clause 0x1
	global_load_b128 v[113:116], v[145:146], off offset:-4096
	global_load_b128 v[135:138], v[145:146], off
	s_or_b32 s2, vcc_lo, s2
	s_or_b32 s3, s3, s4
	s_waitcnt vmcnt(33)
	v_cmp_neq_f64_e64 s17, 0, v[97:98]
	v_add_co_u32 v97, s23, 0x16000, v121
	s_delay_alu instid0(VALU_DEP_1) | instskip(SKIP_2) | instid1(VALU_DEP_1)
	v_add_co_ci_u32_e64 v98, s23, 0, v122, s23
	v_cmp_neq_f64_e64 s18, 0, v[99:100]
	v_add_co_u32 v99, s23, 0x17000, v121
	v_add_co_ci_u32_e64 v100, s23, 0, v122, s23
	v_add_co_u32 v139, s23, 0x18000, v121
	s_delay_alu instid0(VALU_DEP_1) | instskip(SKIP_3) | instid1(VALU_DEP_1)
	v_add_co_ci_u32_e64 v140, s23, 0, v122, s23
	s_waitcnt vmcnt(31)
	v_cmp_neq_f64_e64 s23, 0, v[117:118]
	v_add_co_u32 v117, s34, 0x19000, v121
	v_add_co_ci_u32_e64 v118, s34, 0, v122, s34
	s_waitcnt vmcnt(30)
	v_cmp_neq_f64_e64 s36, 0, v[69:70]
	v_add_co_u32 v69, s34, v121, 0x1a000
	v_cmp_neq_f64_e64 s31, 0, v[85:86]
	v_cmp_neq_f64_e64 s33, 0, v[87:88]
	global_load_b128 v[85:88], v[97:98], off offset:2048
	v_add_co_ci_u32_e64 v70, s34, 0, v122, s34
	v_cmp_neq_f64_e64 s24, 0, v[119:120]
	v_add_co_u32 v119, s34, 0x1a000, v121
	s_waitcnt vmcnt(29)
	v_cmp_neq_f64_e64 s42, 0, v[61:62]
	v_cmp_neq_f64_e64 s43, 0, v[63:64]
	s_clause 0x1
	global_load_b128 v[61:64], v[69:70], off offset:-4096
	global_load_b128 v[97:100], v[99:100], off offset:2048
	v_add_co_ci_u32_e64 v120, s34, 0, v122, s34
	v_cmp_neq_f64_e64 s34, 0, v[57:58]
	v_cmp_neq_f64_e64 s35, 0, v[59:60]
	global_load_b128 v[57:60], v[139:140], off offset:2048
	v_add_co_u32 v139, s38, v121, 0x1c000
	s_delay_alu instid0(VALU_DEP_1)
	v_add_co_ci_u32_e64 v140, s38, 0, v122, s38
	v_cmp_neq_f64_e64 s37, 0, v[71:72]
	s_waitcnt vmcnt(31)
	v_cmp_neq_f64_e64 s38, 0, v[33:34]
	v_cmp_neq_f64_e64 s39, 0, v[35:36]
	s_clause 0x1
	global_load_b128 v[33:36], v[117:118], off offset:2048
	global_load_b128 v[69:72], v[69:70], off
	v_add_co_u32 v117, s40, 0x1b000, v121
	s_delay_alu instid0(VALU_DEP_1)
	v_add_co_ci_u32_e64 v118, s40, 0, v122, s40
	s_waitcnt vmcnt(32)
	v_cmp_neq_f64_e64 s46, 0, v[45:46]
	v_cmp_neq_f64_e64 s47, 0, v[47:48]
	global_load_b128 v[45:48], v[119:120], off offset:2048
	s_waitcnt vmcnt(31)
	v_cmp_neq_f64_e64 s50, 0, v[105:106]
	v_cmp_neq_f64_e64 s51, 0, v[107:108]
	global_load_b128 v[105:108], v[117:118], off offset:2048
	v_add_co_u32 v119, s44, 0x1c000, v121
	v_cmp_neq_f64_e64 s40, 0, v[101:102]
	v_cmp_neq_f64_e64 s41, 0, v[103:104]
	global_load_b128 v[101:104], v[139:140], off offset:-4096
	v_add_co_ci_u32_e64 v120, s44, 0, v122, s44
	v_add_co_u32 v117, s48, v121, 0x1e000
	s_delay_alu instid0(VALU_DEP_1)
	v_add_co_ci_u32_e64 v118, s48, 0, v122, s48
	s_waitcnt vmcnt(32)
	v_cmp_neq_f64_e64 s44, 0, v[65:66]
	v_cmp_neq_f64_e64 s45, 0, v[67:68]
	global_load_b128 v[65:68], v[139:140], off
	s_waitcnt vmcnt(32)
	v_cmp_neq_f64_e64 s52, 0, v[41:42]
	v_cmp_neq_f64_e64 s53, 0, v[43:44]
	global_load_b128 v[41:44], v[119:120], off offset:2048
	v_add_co_u32 v119, s48, 0x1d000, v121
	s_delay_alu instid0(VALU_DEP_1)
	v_add_co_ci_u32_e64 v120, s48, 0, v122, s48
	s_waitcnt vmcnt(32)
	v_cmp_neq_f64_e64 s48, 0, v[77:78]
	v_cmp_neq_f64_e64 s49, 0, v[79:80]
	global_load_b128 v[77:80], v[117:118], off offset:-4096
	s_waitcnt vmcnt(32)
	v_cmp_neq_f64_e64 s54, 0, v[81:82]
	v_cmp_neq_f64_e64 s55, 0, v[83:84]
	global_load_b128 v[81:84], v[119:120], off offset:2048
	v_add_co_u32 v119, s56, 0x1e000, v121
	v_add_co_u32 v121, s58, 0x1f000, v121
	v_add_co_ci_u32_e64 v120, s56, 0, v122, s56
	s_waitcnt vmcnt(32)
	v_cmp_neq_f64_e64 s56, 0, v[89:90]
	v_cmp_neq_f64_e64 s57, 0, v[91:92]
	global_load_b128 v[89:92], v[117:118], off
	v_add_co_ci_u32_e64 v122, s58, 0, v122, s58
	global_load_b128 v[117:120], v[119:120], off offset:2048
	s_waitcnt vmcnt(33)
	v_cmp_neq_f64_e64 s58, 0, v[109:110]
	v_cmp_neq_f64_e64 s59, 0, v[111:112]
	global_load_b128 v[109:112], v[121:122], off
	s_waitcnt vmcnt(33)
	v_cmp_neq_f64_e64 s60, 0, v[93:94]
	v_cmp_neq_f64_e64 s61, 0, v[95:96]
	global_load_b128 v[93:96], v[121:122], off offset:2048
	s_waitcnt vmcnt(33)
	v_cmp_neq_f64_e64 s62, 0, v[1:2]
	v_cmp_neq_f64_e64 s63, 0, v[3:4]
	s_waitcnt vmcnt(32)
	v_cmp_neq_f64_e64 s66, 0, v[5:6]
	v_cmp_neq_f64_e64 s67, 0, v[7:8]
	v_cndmask_b32_e64 v1, 0, 1, s2
	s_or_b32 s2, s15, s16
	s_waitcnt vmcnt(29)
	v_cmp_neq_f64_e64 s70, 0, v[9:10]
	v_cmp_neq_f64_e64 s71, 0, v[11:12]
	s_waitcnt vmcnt(28)
	v_cmp_neq_f64_e64 s74, 0, v[37:38]
	v_cmp_neq_f64_e64 s75, 0, v[39:40]
	v_cndmask_b32_e64 v2, 0, 1, s2
	s_or_b32 s2, s19, s20
	s_waitcnt vmcnt(27)
	v_cmp_neq_f64_e64 s72, 0, v[13:14]
	v_cndmask_b32_e64 v3, 0, 1, s2
	s_or_b32 s2, s21, s22
	v_cmp_neq_f64_e64 s73, 0, v[15:16]
	s_waitcnt vmcnt(25)
	v_cmp_neq_f64_e64 s78, 0, v[25:26]
	v_cmp_neq_f64_e64 s79, 0, v[27:28]
	s_waitcnt vmcnt(24)
	v_cmp_neq_f64_e64 s82, 0, v[29:30]
	v_cmp_neq_f64_e64 s83, 0, v[31:32]
	v_cndmask_b32_e64 v4, 0, 1, s2
	s_or_b32 s2, s25, s26
	v_cmp_neq_f64_e64 s64, 0, v[17:18]
	v_cndmask_b32_e64 v5, 0, 1, s2
	s_or_b32 s2, s27, s28
	s_waitcnt vmcnt(20)
	v_cmp_neq_f64_e64 s86, 0, v[53:54]
	v_cndmask_b32_e64 v6, 0, 1, s2
	s_or_b32 s2, s29, s30
	v_cmp_neq_f64_e64 s87, 0, v[55:56]
	v_cndmask_b32_e64 v7, 0, 1, s2
	s_or_b32 s2, s31, s33
	s_waitcnt vmcnt(19)
	;; [unrolled: 7-line block ×3, first 2 shown]
	v_cmp_neq_f64_e64 s92, 0, v[113:114]
	v_cndmask_b32_e64 v10, 0, 1, s2
	s_or_b32 s2, s46, s47
	v_cmp_neq_f64_e32 vcc_lo, 0, v[115:116]
	v_cndmask_b32_e64 v11, 0, 1, s2
	s_or_b32 s2, s50, s51
	v_cmp_neq_f64_e64 s65, 0, v[19:20]
	v_cndmask_b32_e64 v12, 0, 1, s2
	s_or_b32 s2, s52, s53
	s_waitcnt vmcnt(17)
	v_cmp_neq_f64_e64 s15, 0, v[137:138]
	v_cndmask_b32_e64 v13, 0, 1, s2
	s_or_b32 s2, s54, s55
	v_add_co_ci_u32_e64 v1, s3, 0, v1, s3
	v_cndmask_b32_e64 v14, 0, 1, s2
	s_or_b32 s2, s58, s59
	v_cmp_neq_f64_e64 s68, 0, v[21:22]
	v_cndmask_b32_e64 v15, 0, 1, s2
	s_or_b32 s2, s62, s63
	s_or_b32 s3, s78, s79
	v_cndmask_b32_e64 v16, 0, 1, s2
	s_or_b32 s2, s66, s67
	v_cndmask_b32_e64 v20, 0, 1, s3
	v_cndmask_b32_e64 v17, 0, 1, s2
	s_or_b32 s2, s70, s71
	s_or_b32 s3, s5, s6
	v_cndmask_b32_e64 v18, 0, 1, s2
	s_or_b32 s2, s74, s75
	v_add_co_ci_u32_e64 v1, s3, v1, v2, s3
	v_cndmask_b32_e64 v19, 0, 1, s2
	v_cmp_neq_f64_e64 s2, 0, v[135:136]
	s_or_b32 s3, s82, s83
	s_or_b32 s5, s13, s14
	v_cndmask_b32_e64 v2, 0, 1, s3
	s_or_b32 s3, s7, s8
	s_or_b32 s6, s23, s24
	v_add_co_ci_u32_e64 v1, s3, v1, v3, s3
	s_or_b32 s3, s86, s87
	v_cmp_neq_f64_e64 s69, 0, v[23:24]
	v_cndmask_b32_e64 v3, 0, 1, s3
	s_or_b32 s3, s9, s10
	s_or_b32 s7, s38, s39
	v_add_co_ci_u32_e64 v1, s3, v1, v4, s3
	s_or_b32 s3, s90, s91
	s_or_b32 s9, s40, s41
	v_cndmask_b32_e64 v4, 0, 1, s3
	s_or_b32 s3, s11, s12
	v_cmp_neq_f64_e64 s76, 0, v[123:124]
	v_add_co_ci_u32_e64 v1, s3, v1, v5, s3
	v_cmp_neq_f64_e64 s77, 0, v[125:126]
	s_or_b32 s11, s44, s45
	v_cmp_neq_f64_e64 s80, 0, v[127:128]
	s_delay_alu instid0(VALU_DEP_3) | instskip(SKIP_3) | instid1(VALU_DEP_2)
	v_add_co_ci_u32_e64 v1, s5, v1, v6, s5
	s_or_b32 s5, s92, vcc_lo
	s_or_b32 vcc_lo, s17, s18
	v_cmp_neq_f64_e64 s81, 0, v[129:130]
	v_add_co_ci_u32_e32 v1, vcc_lo, v1, v7, vcc_lo
	s_or_b32 s13, s48, s49
	v_cmp_neq_f64_e64 s84, 0, v[49:50]
	v_cmp_neq_f64_e64 s85, 0, v[51:52]
	s_delay_alu instid0(VALU_DEP_3)
	v_add_co_ci_u32_e64 v1, s6, v1, v8, s6
	v_cmp_neq_f64_e64 s88, 0, v[131:132]
	s_or_b32 s2, s2, s15
	s_or_b32 s15, s56, s57
	v_cndmask_b32_e64 v6, 0, 1, s2
	s_or_b32 s2, s34, s35
	v_cmp_neq_f64_e64 s89, 0, v[133:134]
	v_add_co_ci_u32_e64 v1, s2, v1, v9, s2
	s_or_b32 s17, s60, s61
	s_waitcnt vmcnt(16)
	v_cmp_neq_f64_e64 s3, 0, v[85:86]
	v_cmp_neq_f64_e64 s4, 0, v[87:88]
	v_add_co_ci_u32_e64 v1, s7, v1, v10, s7
	s_or_b32 s19, s64, s65
	v_cndmask_b32_e64 v5, 0, 1, s5
	s_waitcnt vmcnt(14)
	v_cmp_neq_f64_e32 vcc_lo, 0, v[97:98]
	v_add_co_ci_u32_e64 v1, s9, v1, v11, s9
	v_cmp_neq_f64_e64 s5, 0, v[99:100]
	s_or_b32 s21, s68, s69
	s_waitcnt vmcnt(13)
	v_cmp_neq_f64_e64 s2, 0, v[57:58]
	v_add_co_ci_u32_e64 v1, s11, v1, v12, s11
	v_cmp_neq_f64_e64 s6, 0, v[59:60]
	v_cmp_neq_f64_e64 s7, 0, v[61:62]
	v_cmp_neq_f64_e64 s8, 0, v[63:64]
	s_delay_alu instid0(VALU_DEP_4)
	v_add_co_ci_u32_e64 v1, s13, v1, v13, s13
	s_or_b32 s23, s72, s73
	s_waitcnt vmcnt(12)
	v_cmp_neq_f64_e64 s9, 0, v[33:34]
	v_cmp_neq_f64_e64 s10, 0, v[35:36]
	v_add_co_ci_u32_e64 v1, s15, v1, v14, s15
	s_waitcnt vmcnt(11)
	v_cmp_neq_f64_e64 s11, 0, v[69:70]
	v_cmp_neq_f64_e64 s12, 0, v[71:72]
	s_or_b32 s25, s76, s77
	v_add_co_ci_u32_e64 v1, s17, v1, v15, s17
	s_waitcnt vmcnt(10)
	v_cmp_neq_f64_e64 s13, 0, v[45:46]
	v_cmp_neq_f64_e64 s14, 0, v[47:48]
	s_waitcnt vmcnt(8)
	v_cmp_neq_f64_e64 s15, 0, v[101:102]
	v_add_co_ci_u32_e64 v1, s19, v1, v16, s19
	v_cmp_neq_f64_e64 s16, 0, v[103:104]
	s_or_b32 s27, s80, s81
	v_cmp_neq_f64_e64 s17, 0, v[105:106]
	s_delay_alu instid0(VALU_DEP_3)
	v_add_co_ci_u32_e64 v1, s21, v1, v17, s21
	v_cmp_neq_f64_e64 s18, 0, v[107:108]
	s_waitcnt vmcnt(7)
	v_cmp_neq_f64_e64 s19, 0, v[65:66]
	v_cmp_neq_f64_e64 s20, 0, v[67:68]
	v_add_co_ci_u32_e64 v1, s23, v1, v18, s23
	s_or_b32 s29, s84, s85
	s_waitcnt vmcnt(6)
	v_cmp_neq_f64_e64 s21, 0, v[41:42]
	v_cmp_neq_f64_e64 s22, 0, v[43:44]
	v_add_co_ci_u32_e64 v1, s25, v1, v19, s25
	s_waitcnt vmcnt(5)
	v_cmp_neq_f64_e64 s23, 0, v[77:78]
	v_cmp_neq_f64_e64 s24, 0, v[79:80]
	s_or_b32 s31, s88, s89
	v_add_co_ci_u32_e64 v1, s27, v1, v20, s27
	s_waitcnt vmcnt(4)
	v_cmp_neq_f64_e64 s25, 0, v[81:82]
	v_cmp_neq_f64_e64 s26, 0, v[83:84]
	s_waitcnt vmcnt(3)
	v_cmp_neq_f64_e64 s27, 0, v[89:90]
	v_add_co_ci_u32_e64 v1, s29, v1, v2, s29
	v_cmp_neq_f64_e64 s28, 0, v[91:92]
	s_or_b32 s3, s3, s4
	s_waitcnt vmcnt(2)
	v_cmp_neq_f64_e64 s29, 0, v[117:118]
	v_add_co_ci_u32_e64 v1, s31, v1, v3, s31
	v_cmp_neq_f64_e64 s30, 0, v[119:120]
	s_waitcnt vmcnt(1)
	v_cmp_neq_f64_e64 s31, 0, v[109:110]
	v_cmp_neq_f64_e64 s33, 0, v[111:112]
	v_add_co_ci_u32_e64 v1, s3, v1, v4, s3
	s_or_b32 vcc_lo, vcc_lo, s5
	s_waitcnt vmcnt(0)
	v_cmp_neq_f64_e64 s3, 0, v[93:94]
	v_cmp_neq_f64_e64 s4, 0, v[95:96]
	v_add_co_ci_u32_e32 v1, vcc_lo, v1, v5, vcc_lo
	s_or_b32 s5, s7, s8
	s_or_b32 vcc_lo, s2, s6
	v_cndmask_b32_e64 v2, 0, 1, s5
	s_delay_alu instid0(VALU_DEP_2) | instskip(SKIP_3) | instid1(VALU_DEP_2)
	v_add_co_ci_u32_e32 v1, vcc_lo, v1, v6, vcc_lo
	s_or_b32 s2, s11, s12
	s_or_b32 vcc_lo, s9, s10
	v_cndmask_b32_e64 v3, 0, 1, s2
	v_add_co_ci_u32_e32 v1, vcc_lo, v1, v2, vcc_lo
	s_or_b32 s2, s15, s16
	s_or_b32 vcc_lo, s13, s14
	v_cndmask_b32_e64 v2, 0, 1, s2
	s_delay_alu instid0(VALU_DEP_2) | instskip(SKIP_3) | instid1(VALU_DEP_2)
	v_add_co_ci_u32_e32 v1, vcc_lo, v1, v3, vcc_lo
	s_or_b32 s2, s19, s20
	s_or_b32 vcc_lo, s17, s18
	v_cndmask_b32_e64 v3, 0, 1, s2
	;; [unrolled: 9-line block ×3, first 2 shown]
	v_add_co_ci_u32_e32 v1, vcc_lo, v1, v2, vcc_lo
	s_or_b32 s2, s31, s33
	s_or_b32 vcc_lo, s29, s30
	v_cndmask_b32_e64 v2, 0, 1, s2
	s_delay_alu instid0(VALU_DEP_2) | instskip(SKIP_3) | instid1(VALU_DEP_2)
	v_add_co_ci_u32_e32 v1, vcc_lo, v1, v3, vcc_lo
	s_or_b32 vcc_lo, s3, s4
	v_mov_b32_e32 v3, 0
	s_mov_b32 s2, exec_lo
	v_add_co_ci_u32_e32 v1, vcc_lo, v1, v2, vcc_lo
	s_delay_alu instid0(VALU_DEP_1) | instskip(NEXT) | instid1(VALU_DEP_1)
	v_mov_b32_dpp v2, v1 quad_perm:[1,0,3,2] row_mask:0xf bank_mask:0xf
	v_add_nc_u32_e32 v1, v1, v2
	s_delay_alu instid0(VALU_DEP_1) | instskip(NEXT) | instid1(VALU_DEP_1)
	v_mov_b32_dpp v2, v1 quad_perm:[2,3,0,1] row_mask:0xf bank_mask:0xf
	v_add_nc_u32_e32 v1, v1, v2
	s_delay_alu instid0(VALU_DEP_1) | instskip(NEXT) | instid1(VALU_DEP_1)
	v_mov_b32_dpp v2, v1 row_ror:4 row_mask:0xf bank_mask:0xf
	v_add_nc_u32_e32 v1, v1, v2
	s_delay_alu instid0(VALU_DEP_1) | instskip(NEXT) | instid1(VALU_DEP_1)
	v_mov_b32_dpp v2, v1 row_ror:8 row_mask:0xf bank_mask:0xf
	v_add_nc_u32_e32 v1, v1, v2
	ds_swizzle_b32 v2, v1 offset:swizzle(BROADCAST,32,15)
	s_waitcnt lgkmcnt(0)
	v_add_nc_u32_e32 v1, v1, v2
	v_mbcnt_lo_u32_b32 v2, -1, 0
	ds_bpermute_b32 v1, v3, v1 offset:124
	v_cmpx_eq_u32_e32 0, v2
	s_cbranch_execz .LBB524_28
; %bb.27:
	v_lshrrev_b32_e32 v3, 3, v0
	s_delay_alu instid0(VALU_DEP_1)
	v_and_b32_e32 v3, 12, v3
	s_waitcnt lgkmcnt(0)
	ds_store_b32 v3, v1 offset:96
.LBB524_28:
	s_or_b32 exec_lo, exec_lo, s2
	s_delay_alu instid0(SALU_CYCLE_1)
	s_mov_b32 s2, exec_lo
	s_waitcnt lgkmcnt(0)
	s_barrier
	buffer_gl0_inv
	v_cmpx_gt_u32_e32 32, v0
	s_cbranch_execz .LBB524_30
; %bb.29:
	v_and_b32_e32 v1, 3, v2
	s_delay_alu instid0(VALU_DEP_1) | instskip(SKIP_4) | instid1(VALU_DEP_2)
	v_lshlrev_b32_e32 v3, 2, v1
	v_cmp_ne_u32_e32 vcc_lo, 3, v1
	ds_load_b32 v3, v3 offset:96
	v_add_co_ci_u32_e32 v4, vcc_lo, 0, v2, vcc_lo
	v_cmp_gt_u32_e32 vcc_lo, 2, v1
	v_lshlrev_b32_e32 v4, 2, v4
	v_cndmask_b32_e64 v1, 0, 1, vcc_lo
	s_delay_alu instid0(VALU_DEP_1) | instskip(NEXT) | instid1(VALU_DEP_1)
	v_lshlrev_b32_e32 v1, 1, v1
	v_add_lshl_u32 v1, v1, v2, 2
	s_waitcnt lgkmcnt(0)
	ds_bpermute_b32 v4, v4, v3
	s_waitcnt lgkmcnt(0)
	v_add_nc_u32_e32 v3, v4, v3
	ds_bpermute_b32 v1, v1, v3
	s_waitcnt lgkmcnt(0)
	v_add_nc_u32_e32 v1, v1, v3
.LBB524_30:
	s_or_b32 exec_lo, exec_lo, s2
	s_load_b128 s[56:59], s[0:1], 0x18
	s_mov_b32 s2, 0
	s_branch .LBB524_377
.LBB524_31:
                                        ; implicit-def: $vgpr1
	s_cbranch_execz .LBB524_512
	s_branch .LBB524_368
.LBB524_32:
                                        ; implicit-def: $vgpr1
	s_branch .LBB524_512
.LBB524_33:
                                        ; implicit-def: $vgpr1
	s_branch .LBB524_512
.LBB524_34:
                                        ; implicit-def: $vgpr1
	s_cbranch_execz .LBB524_10
; %bb.35:
	s_waitcnt lgkmcnt(0)
	s_sub_i32 s3, s56, s8
	s_mov_b32 s4, exec_lo
                                        ; implicit-def: $vgpr1
	v_cmpx_gt_u32_e64 s3, v0
	s_cbranch_execz .LBB524_37
; %bb.36:
	v_lshlrev_b32_e32 v1, 4, v0
	global_load_b128 v[1:4], v1, s[72:73]
	s_waitcnt vmcnt(0)
	v_cmp_neq_f64_e32 vcc_lo, 0, v[1:2]
	v_cmp_neq_f64_e64 s2, 0, v[3:4]
	s_delay_alu instid0(VALU_DEP_1) | instskip(NEXT) | instid1(SALU_CYCLE_1)
	s_or_b32 s2, vcc_lo, s2
	v_cndmask_b32_e64 v1, 0, 1, s2
.LBB524_37:
	s_or_b32 exec_lo, exec_lo, s4
	v_or_b32_e32 v3, 0x80, v0
	v_mov_b32_e32 v2, 0
	s_delay_alu instid0(VALU_DEP_2)
	v_cmp_gt_u32_e32 vcc_lo, s3, v3
	v_mov_b32_e32 v3, 0
	s_and_saveexec_b32 s4, vcc_lo
	s_cbranch_execz .LBB524_39
; %bb.38:
	v_lshlrev_b32_e32 v3, 4, v0
	global_load_b128 v[3:6], v3, s[72:73] offset:2048
	s_waitcnt vmcnt(0)
	v_cmp_neq_f64_e32 vcc_lo, 0, v[3:4]
	v_cmp_neq_f64_e64 s2, 0, v[5:6]
	s_delay_alu instid0(VALU_DEP_1) | instskip(NEXT) | instid1(SALU_CYCLE_1)
	s_or_b32 s2, vcc_lo, s2
	v_cndmask_b32_e64 v3, 0, 1, s2
.LBB524_39:
	s_or_b32 exec_lo, exec_lo, s4
	v_or_b32_e32 v4, 0x100, v0
	s_mov_b32 s4, exec_lo
	s_delay_alu instid0(VALU_DEP_1)
	v_cmpx_gt_u32_e64 s3, v4
	s_cbranch_execz .LBB524_41
; %bb.40:
	v_lshlrev_b32_e32 v2, 4, v4
	global_load_b128 v[4:7], v2, s[72:73]
	s_waitcnt vmcnt(0)
	v_cmp_neq_f64_e32 vcc_lo, 0, v[4:5]
	v_cmp_neq_f64_e64 s2, 0, v[6:7]
	s_delay_alu instid0(VALU_DEP_1) | instskip(NEXT) | instid1(SALU_CYCLE_1)
	s_or_b32 s2, vcc_lo, s2
	v_cndmask_b32_e64 v2, 0, 1, s2
.LBB524_41:
	s_or_b32 exec_lo, exec_lo, s4
	v_or_b32_e32 v6, 0x180, v0
	v_dual_mov_b32 v4, 0 :: v_dual_mov_b32 v5, 0
	s_mov_b32 s4, exec_lo
	s_delay_alu instid0(VALU_DEP_2)
	v_cmpx_gt_u32_e64 s3, v6
	s_cbranch_execz .LBB524_43
; %bb.42:
	v_lshlrev_b32_e32 v5, 4, v6
	global_load_b128 v[5:8], v5, s[72:73]
	s_waitcnt vmcnt(0)
	v_cmp_neq_f64_e32 vcc_lo, 0, v[5:6]
	v_cmp_neq_f64_e64 s2, 0, v[7:8]
	s_delay_alu instid0(VALU_DEP_1) | instskip(NEXT) | instid1(SALU_CYCLE_1)
	s_or_b32 s2, vcc_lo, s2
	v_cndmask_b32_e64 v5, 0, 1, s2
.LBB524_43:
	s_or_b32 exec_lo, exec_lo, s4
	v_or_b32_e32 v6, 0x200, v0
	s_mov_b32 s4, exec_lo
	s_delay_alu instid0(VALU_DEP_1)
	v_cmpx_gt_u32_e64 s3, v6
	s_cbranch_execz .LBB524_45
; %bb.44:
	v_lshlrev_b32_e32 v4, 4, v6
	global_load_b128 v[6:9], v4, s[72:73]
	s_waitcnt vmcnt(0)
	v_cmp_neq_f64_e32 vcc_lo, 0, v[6:7]
	v_cmp_neq_f64_e64 s2, 0, v[8:9]
	s_delay_alu instid0(VALU_DEP_1) | instskip(NEXT) | instid1(SALU_CYCLE_1)
	s_or_b32 s2, vcc_lo, s2
	v_cndmask_b32_e64 v4, 0, 1, s2
.LBB524_45:
	s_or_b32 exec_lo, exec_lo, s4
	v_or_b32_e32 v8, 0x280, v0
	v_dual_mov_b32 v6, 0 :: v_dual_mov_b32 v7, 0
	s_mov_b32 s4, exec_lo
	s_delay_alu instid0(VALU_DEP_2)
	v_cmpx_gt_u32_e64 s3, v8
	s_cbranch_execz .LBB524_47
; %bb.46:
	v_lshlrev_b32_e32 v7, 4, v8
	global_load_b128 v[7:10], v7, s[72:73]
	s_waitcnt vmcnt(0)
	v_cmp_neq_f64_e32 vcc_lo, 0, v[7:8]
	v_cmp_neq_f64_e64 s2, 0, v[9:10]
	s_delay_alu instid0(VALU_DEP_1) | instskip(NEXT) | instid1(SALU_CYCLE_1)
	s_or_b32 s2, vcc_lo, s2
	v_cndmask_b32_e64 v7, 0, 1, s2
.LBB524_47:
	;; [unrolled: 33-line block ×62, first 2 shown]
	s_or_b32 exec_lo, exec_lo, s4
	v_or_b32_e32 v128, 0x3f00, v0
	s_mov_b32 s4, exec_lo
	s_delay_alu instid0(VALU_DEP_1)
	v_cmpx_gt_u32_e64 s3, v128
	s_cbranch_execz .LBB524_289
; %bb.288:
	v_lshlrev_b32_e32 v126, 4, v128
	global_load_b128 v[128:131], v126, s[72:73]
	s_waitcnt vmcnt(0)
	v_cmp_neq_f64_e32 vcc_lo, 0, v[128:129]
	v_cmp_neq_f64_e64 s2, 0, v[130:131]
	s_delay_alu instid0(VALU_DEP_1) | instskip(NEXT) | instid1(SALU_CYCLE_1)
	s_or_b32 s2, vcc_lo, s2
	v_cndmask_b32_e64 v126, 0, 1, s2
.LBB524_289:
	s_or_b32 exec_lo, exec_lo, s4
	v_or_b32_e32 v129, 0x3f80, v0
	v_mov_b32_e32 v128, 0
	s_mov_b32 s4, exec_lo
	s_delay_alu instid0(VALU_DEP_2)
	v_cmpx_gt_u32_e64 s3, v129
	s_cbranch_execz .LBB524_291
; %bb.290:
	v_lshlrev_b32_e32 v128, 4, v129
	global_load_b128 v[128:131], v128, s[72:73]
	s_waitcnt vmcnt(0)
	v_cmp_neq_f64_e32 vcc_lo, 0, v[128:129]
	v_cmp_neq_f64_e64 s2, 0, v[130:131]
	s_delay_alu instid0(VALU_DEP_1) | instskip(NEXT) | instid1(SALU_CYCLE_1)
	s_or_b32 s2, vcc_lo, s2
	v_cndmask_b32_e64 v128, 0, 1, s2
.LBB524_291:
	s_or_b32 exec_lo, exec_lo, s4
	v_add_nc_u32_e32 v1, v3, v1
	s_min_u32 s2, s3, 0x80
	s_mov_b32 s3, exec_lo
	s_delay_alu instid0(VALU_DEP_1) | instskip(SKIP_1) | instid1(VALU_DEP_2)
	v_add3_u32 v1, v1, v2, v5
	v_mbcnt_lo_u32_b32 v2, -1, 0
	v_add3_u32 v1, v1, v4, v7
	s_delay_alu instid0(VALU_DEP_2) | instskip(NEXT) | instid1(VALU_DEP_2)
	v_cmp_ne_u32_e32 vcc_lo, 31, v2
	v_add3_u32 v1, v1, v6, v9
	v_add_co_ci_u32_e32 v3, vcc_lo, 0, v2, vcc_lo
	v_cmp_gt_u32_e32 vcc_lo, 30, v2
	v_add_nc_u32_e32 v6, 1, v2
	s_delay_alu instid0(VALU_DEP_4) | instskip(NEXT) | instid1(VALU_DEP_4)
	v_add3_u32 v1, v1, v8, v11
	v_lshlrev_b32_e32 v3, 2, v3
	v_cndmask_b32_e64 v5, 0, 1, vcc_lo
	s_delay_alu instid0(VALU_DEP_3) | instskip(NEXT) | instid1(VALU_DEP_2)
	v_add3_u32 v1, v1, v10, v13
	v_lshlrev_b32_e32 v5, 1, v5
	s_delay_alu instid0(VALU_DEP_2) | instskip(NEXT) | instid1(VALU_DEP_2)
	v_add3_u32 v1, v1, v12, v15
	v_add_lshl_u32 v5, v5, v2, 2
	s_delay_alu instid0(VALU_DEP_2) | instskip(NEXT) | instid1(VALU_DEP_1)
	v_add3_u32 v1, v1, v14, v17
	v_add3_u32 v1, v1, v16, v19
	s_delay_alu instid0(VALU_DEP_1) | instskip(NEXT) | instid1(VALU_DEP_1)
	v_add3_u32 v1, v1, v18, v21
	v_add3_u32 v1, v1, v20, v23
	s_delay_alu instid0(VALU_DEP_1) | instskip(NEXT) | instid1(VALU_DEP_1)
	;; [unrolled: 3-line block ×27, first 2 shown]
	v_add3_u32 v1, v1, v122, v125
	v_add3_u32 v1, v1, v124, v127
	s_delay_alu instid0(VALU_DEP_1) | instskip(SKIP_2) | instid1(VALU_DEP_1)
	v_add3_u32 v1, v1, v126, v128
	ds_bpermute_b32 v3, v3, v1
	v_and_b32_e32 v4, 0x60, v0
	v_sub_nc_u32_e64 v4, s2, v4 clamp
	s_delay_alu instid0(VALU_DEP_1) | instskip(SKIP_3) | instid1(VALU_DEP_2)
	v_cmp_lt_u32_e32 vcc_lo, v6, v4
	s_waitcnt lgkmcnt(0)
	v_dual_cndmask_b32 v3, 0, v3 :: v_dual_add_nc_u32 v6, 2, v2
	v_cmp_gt_u32_e32 vcc_lo, 28, v2
	v_add_nc_u32_e32 v1, v3, v1
	ds_bpermute_b32 v3, v5, v1
	v_cndmask_b32_e64 v5, 0, 1, vcc_lo
	v_cmp_lt_u32_e32 vcc_lo, v6, v4
	v_add_nc_u32_e32 v6, 4, v2
	s_delay_alu instid0(VALU_DEP_3) | instskip(NEXT) | instid1(VALU_DEP_1)
	v_lshlrev_b32_e32 v5, 2, v5
	v_add_lshl_u32 v5, v5, v2, 2
	s_waitcnt lgkmcnt(0)
	v_cndmask_b32_e32 v3, 0, v3, vcc_lo
	v_cmp_gt_u32_e32 vcc_lo, 24, v2
	s_delay_alu instid0(VALU_DEP_2) | instskip(SKIP_4) | instid1(VALU_DEP_3)
	v_add_nc_u32_e32 v1, v1, v3
	ds_bpermute_b32 v3, v5, v1
	v_cndmask_b32_e64 v5, 0, 1, vcc_lo
	v_cmp_lt_u32_e32 vcc_lo, v6, v4
	v_add_nc_u32_e32 v6, 8, v2
	v_lshlrev_b32_e32 v5, 3, v5
	s_delay_alu instid0(VALU_DEP_1) | instskip(SKIP_3) | instid1(VALU_DEP_2)
	v_add_lshl_u32 v5, v5, v2, 2
	s_waitcnt lgkmcnt(0)
	v_cndmask_b32_e32 v3, 0, v3, vcc_lo
	v_cmp_gt_u32_e32 vcc_lo, 16, v2
	v_add_nc_u32_e32 v1, v1, v3
	ds_bpermute_b32 v3, v5, v1
	v_cndmask_b32_e64 v5, 0, 1, vcc_lo
	v_cmp_lt_u32_e32 vcc_lo, v6, v4
	s_delay_alu instid0(VALU_DEP_2) | instskip(NEXT) | instid1(VALU_DEP_1)
	v_lshlrev_b32_e32 v5, 4, v5
	v_add_lshl_u32 v5, v5, v2, 2
	s_waitcnt lgkmcnt(0)
	v_cndmask_b32_e32 v3, 0, v3, vcc_lo
	s_delay_alu instid0(VALU_DEP_1) | instskip(SKIP_2) | instid1(VALU_DEP_1)
	v_add_nc_u32_e32 v1, v1, v3
	ds_bpermute_b32 v3, v5, v1
	v_add_nc_u32_e32 v5, 16, v2
	v_cmp_lt_u32_e32 vcc_lo, v5, v4
	s_waitcnt lgkmcnt(0)
	v_cndmask_b32_e32 v3, 0, v3, vcc_lo
	s_delay_alu instid0(VALU_DEP_1)
	v_add_nc_u32_e32 v1, v1, v3
	v_cmpx_eq_u32_e32 0, v2
	s_cbranch_execz .LBB524_293
; %bb.292:
	v_lshrrev_b32_e32 v3, 3, v0
	s_delay_alu instid0(VALU_DEP_1)
	v_and_b32_e32 v3, 12, v3
	ds_store_b32 v3, v1 offset:128
.LBB524_293:
	s_or_b32 exec_lo, exec_lo, s3
	s_delay_alu instid0(SALU_CYCLE_1)
	s_mov_b32 s3, exec_lo
	s_waitcnt lgkmcnt(0)
	s_barrier
	buffer_gl0_inv
	v_cmpx_gt_u32_e32 4, v0
	s_cbranch_execz .LBB524_295
; %bb.294:
	v_and_b32_e32 v3, 3, v2
	s_add_i32 s2, s2, 31
	s_delay_alu instid0(SALU_CYCLE_1) | instskip(NEXT) | instid1(VALU_DEP_1)
	s_lshr_b32 s2, s2, 5
	v_cmp_ne_u32_e32 vcc_lo, 3, v3
	v_add_nc_u32_e32 v5, 1, v3
	v_add_co_ci_u32_e32 v4, vcc_lo, 0, v2, vcc_lo
	v_cmp_gt_u32_e32 vcc_lo, 2, v3
	v_add_nc_u32_e32 v3, 2, v3
	s_delay_alu instid0(VALU_DEP_3) | instskip(SKIP_3) | instid1(VALU_DEP_3)
	v_lshlrev_b32_e32 v4, 2, v4
	v_cndmask_b32_e64 v6, 0, 1, vcc_lo
	v_cmp_gt_u32_e32 vcc_lo, s2, v5
	v_lshlrev_b32_e32 v1, 2, v2
	v_lshlrev_b32_e32 v5, 1, v6
	ds_load_b32 v1, v1 offset:128
	v_add_lshl_u32 v2, v5, v2, 2
	s_waitcnt lgkmcnt(0)
	ds_bpermute_b32 v4, v4, v1
	s_waitcnt lgkmcnt(0)
	v_cndmask_b32_e32 v4, 0, v4, vcc_lo
	v_cmp_gt_u32_e32 vcc_lo, s2, v3
	s_delay_alu instid0(VALU_DEP_2) | instskip(SKIP_3) | instid1(VALU_DEP_1)
	v_add_nc_u32_e32 v1, v4, v1
	ds_bpermute_b32 v2, v2, v1
	s_waitcnt lgkmcnt(0)
	v_cndmask_b32_e32 v2, 0, v2, vcc_lo
	v_add_nc_u32_e32 v1, v1, v2
.LBB524_295:
	s_or_b32 exec_lo, exec_lo, s3
	v_cmp_eq_u32_e64 s2, 0, v0
	s_and_b32 vcc_lo, exec_lo, s6
	s_cbranch_vccnz .LBB524_24
	s_branch .LBB524_11
.LBB524_296:
	s_mov_b32 s2, -1
                                        ; implicit-def: $vgpr1
.LBB524_297:
	s_delay_alu instid0(SALU_CYCLE_1)
	s_and_b32 vcc_lo, exec_lo, s2
	s_cbranch_vccz .LBB524_367
; %bb.298:
	s_sub_i32 s3, s56, s54
	s_mov_b32 s4, exec_lo
                                        ; implicit-def: $vgpr1
	v_cmpx_gt_u32_e64 s3, v0
	s_cbranch_execz .LBB524_300
; %bb.299:
	v_lshlrev_b32_e32 v1, 4, v0
	global_load_b128 v[1:4], v1, s[52:53]
	s_waitcnt vmcnt(0)
	v_cmp_neq_f64_e32 vcc_lo, 0, v[1:2]
	v_cmp_neq_f64_e64 s2, 0, v[3:4]
	s_delay_alu instid0(VALU_DEP_1) | instskip(NEXT) | instid1(SALU_CYCLE_1)
	s_or_b32 s2, vcc_lo, s2
	v_cndmask_b32_e64 v1, 0, 1, s2
.LBB524_300:
	s_or_b32 exec_lo, exec_lo, s4
	v_or_b32_e32 v3, 0x80, v0
	v_mov_b32_e32 v2, 0
	s_delay_alu instid0(VALU_DEP_2)
	v_cmp_gt_u32_e32 vcc_lo, s3, v3
	v_mov_b32_e32 v3, 0
	s_and_saveexec_b32 s4, vcc_lo
	s_cbranch_execz .LBB524_302
; %bb.301:
	v_lshlrev_b32_e32 v3, 4, v0
	global_load_b128 v[3:6], v3, s[52:53] offset:2048
	s_waitcnt vmcnt(0)
	v_cmp_neq_f64_e32 vcc_lo, 0, v[3:4]
	v_cmp_neq_f64_e64 s2, 0, v[5:6]
	s_delay_alu instid0(VALU_DEP_1) | instskip(NEXT) | instid1(SALU_CYCLE_1)
	s_or_b32 s2, vcc_lo, s2
	v_cndmask_b32_e64 v3, 0, 1, s2
.LBB524_302:
	s_or_b32 exec_lo, exec_lo, s4
	v_or_b32_e32 v4, 0x100, v0
	s_mov_b32 s4, exec_lo
	s_delay_alu instid0(VALU_DEP_1)
	v_cmpx_gt_u32_e64 s3, v4
	s_cbranch_execz .LBB524_304
; %bb.303:
	v_lshlrev_b32_e32 v2, 4, v4
	global_load_b128 v[4:7], v2, s[52:53]
	s_waitcnt vmcnt(0)
	v_cmp_neq_f64_e32 vcc_lo, 0, v[4:5]
	v_cmp_neq_f64_e64 s2, 0, v[6:7]
	s_delay_alu instid0(VALU_DEP_1) | instskip(NEXT) | instid1(SALU_CYCLE_1)
	s_or_b32 s2, vcc_lo, s2
	v_cndmask_b32_e64 v2, 0, 1, s2
.LBB524_304:
	s_or_b32 exec_lo, exec_lo, s4
	v_or_b32_e32 v6, 0x180, v0
	v_dual_mov_b32 v4, 0 :: v_dual_mov_b32 v5, 0
	s_mov_b32 s4, exec_lo
	s_delay_alu instid0(VALU_DEP_2)
	v_cmpx_gt_u32_e64 s3, v6
	s_cbranch_execz .LBB524_306
; %bb.305:
	v_lshlrev_b32_e32 v5, 4, v6
	global_load_b128 v[5:8], v5, s[52:53]
	s_waitcnt vmcnt(0)
	v_cmp_neq_f64_e32 vcc_lo, 0, v[5:6]
	v_cmp_neq_f64_e64 s2, 0, v[7:8]
	s_delay_alu instid0(VALU_DEP_1) | instskip(NEXT) | instid1(SALU_CYCLE_1)
	s_or_b32 s2, vcc_lo, s2
	v_cndmask_b32_e64 v5, 0, 1, s2
.LBB524_306:
	s_or_b32 exec_lo, exec_lo, s4
	v_or_b32_e32 v6, 0x200, v0
	s_mov_b32 s4, exec_lo
	s_delay_alu instid0(VALU_DEP_1)
	v_cmpx_gt_u32_e64 s3, v6
	s_cbranch_execz .LBB524_308
; %bb.307:
	v_lshlrev_b32_e32 v4, 4, v6
	global_load_b128 v[6:9], v4, s[52:53]
	s_waitcnt vmcnt(0)
	v_cmp_neq_f64_e32 vcc_lo, 0, v[6:7]
	v_cmp_neq_f64_e64 s2, 0, v[8:9]
	s_delay_alu instid0(VALU_DEP_1) | instskip(NEXT) | instid1(SALU_CYCLE_1)
	s_or_b32 s2, vcc_lo, s2
	v_cndmask_b32_e64 v4, 0, 1, s2
.LBB524_308:
	s_or_b32 exec_lo, exec_lo, s4
	v_or_b32_e32 v8, 0x280, v0
	v_dual_mov_b32 v6, 0 :: v_dual_mov_b32 v7, 0
	s_mov_b32 s4, exec_lo
	s_delay_alu instid0(VALU_DEP_2)
	v_cmpx_gt_u32_e64 s3, v8
	s_cbranch_execz .LBB524_310
; %bb.309:
	v_lshlrev_b32_e32 v7, 4, v8
	global_load_b128 v[7:10], v7, s[52:53]
	s_waitcnt vmcnt(0)
	v_cmp_neq_f64_e32 vcc_lo, 0, v[7:8]
	v_cmp_neq_f64_e64 s2, 0, v[9:10]
	s_delay_alu instid0(VALU_DEP_1) | instskip(NEXT) | instid1(SALU_CYCLE_1)
	s_or_b32 s2, vcc_lo, s2
	v_cndmask_b32_e64 v7, 0, 1, s2
.LBB524_310:
	;; [unrolled: 33-line block ×14, first 2 shown]
	s_or_b32 exec_lo, exec_lo, s4
	v_or_b32_e32 v32, 0xf00, v0
	s_mov_b32 s4, exec_lo
	s_delay_alu instid0(VALU_DEP_1)
	v_cmpx_gt_u32_e64 s3, v32
	s_cbranch_execz .LBB524_360
; %bb.359:
	v_lshlrev_b32_e32 v30, 4, v32
	global_load_b128 v[32:35], v30, s[52:53]
	s_waitcnt vmcnt(0)
	v_cmp_neq_f64_e32 vcc_lo, 0, v[32:33]
	v_cmp_neq_f64_e64 s2, 0, v[34:35]
	s_delay_alu instid0(VALU_DEP_1) | instskip(NEXT) | instid1(SALU_CYCLE_1)
	s_or_b32 s2, vcc_lo, s2
	v_cndmask_b32_e64 v30, 0, 1, s2
.LBB524_360:
	s_or_b32 exec_lo, exec_lo, s4
	v_or_b32_e32 v33, 0xf80, v0
	v_mov_b32_e32 v32, 0
	s_mov_b32 s4, exec_lo
	s_delay_alu instid0(VALU_DEP_2)
	v_cmpx_gt_u32_e64 s3, v33
	s_cbranch_execz .LBB524_362
; %bb.361:
	v_lshlrev_b32_e32 v32, 4, v33
	global_load_b128 v[32:35], v32, s[52:53]
	s_waitcnt vmcnt(0)
	v_cmp_neq_f64_e32 vcc_lo, 0, v[32:33]
	v_cmp_neq_f64_e64 s2, 0, v[34:35]
	s_delay_alu instid0(VALU_DEP_1) | instskip(NEXT) | instid1(SALU_CYCLE_1)
	s_or_b32 s2, vcc_lo, s2
	v_cndmask_b32_e64 v32, 0, 1, s2
.LBB524_362:
	s_or_b32 exec_lo, exec_lo, s4
	v_add_nc_u32_e32 v1, v3, v1
	s_min_u32 s2, s3, 0x80
	s_mov_b32 s3, exec_lo
	s_delay_alu instid0(VALU_DEP_1) | instskip(SKIP_1) | instid1(VALU_DEP_2)
	v_add3_u32 v1, v1, v2, v5
	v_mbcnt_lo_u32_b32 v2, -1, 0
	v_add3_u32 v1, v1, v4, v7
	s_delay_alu instid0(VALU_DEP_2) | instskip(NEXT) | instid1(VALU_DEP_2)
	v_cmp_ne_u32_e32 vcc_lo, 31, v2
	v_add3_u32 v1, v1, v6, v9
	v_add_co_ci_u32_e32 v3, vcc_lo, 0, v2, vcc_lo
	v_cmp_gt_u32_e32 vcc_lo, 30, v2
	v_add_nc_u32_e32 v6, 1, v2
	s_delay_alu instid0(VALU_DEP_4) | instskip(NEXT) | instid1(VALU_DEP_4)
	v_add3_u32 v1, v1, v8, v11
	v_lshlrev_b32_e32 v3, 2, v3
	v_cndmask_b32_e64 v5, 0, 1, vcc_lo
	s_delay_alu instid0(VALU_DEP_3) | instskip(NEXT) | instid1(VALU_DEP_2)
	v_add3_u32 v1, v1, v10, v13
	v_lshlrev_b32_e32 v5, 1, v5
	s_delay_alu instid0(VALU_DEP_2) | instskip(NEXT) | instid1(VALU_DEP_2)
	v_add3_u32 v1, v1, v12, v15
	v_add_lshl_u32 v5, v5, v2, 2
	s_delay_alu instid0(VALU_DEP_2) | instskip(NEXT) | instid1(VALU_DEP_1)
	v_add3_u32 v1, v1, v14, v17
	v_add3_u32 v1, v1, v16, v19
	s_delay_alu instid0(VALU_DEP_1) | instskip(NEXT) | instid1(VALU_DEP_1)
	v_add3_u32 v1, v1, v18, v21
	v_add3_u32 v1, v1, v20, v23
	s_delay_alu instid0(VALU_DEP_1) | instskip(NEXT) | instid1(VALU_DEP_1)
	v_add3_u32 v1, v1, v22, v25
	v_add3_u32 v1, v1, v24, v27
	s_delay_alu instid0(VALU_DEP_1) | instskip(NEXT) | instid1(VALU_DEP_1)
	v_add3_u32 v1, v1, v26, v29
	v_add3_u32 v1, v1, v28, v31
	s_delay_alu instid0(VALU_DEP_1) | instskip(SKIP_2) | instid1(VALU_DEP_1)
	v_add3_u32 v1, v1, v30, v32
	ds_bpermute_b32 v3, v3, v1
	v_and_b32_e32 v4, 0x60, v0
	v_sub_nc_u32_e64 v4, s2, v4 clamp
	s_delay_alu instid0(VALU_DEP_1) | instskip(SKIP_3) | instid1(VALU_DEP_2)
	v_cmp_lt_u32_e32 vcc_lo, v6, v4
	s_waitcnt lgkmcnt(0)
	v_dual_cndmask_b32 v3, 0, v3 :: v_dual_add_nc_u32 v6, 2, v2
	v_cmp_gt_u32_e32 vcc_lo, 28, v2
	v_add_nc_u32_e32 v1, v3, v1
	ds_bpermute_b32 v3, v5, v1
	v_cndmask_b32_e64 v5, 0, 1, vcc_lo
	v_cmp_lt_u32_e32 vcc_lo, v6, v4
	v_add_nc_u32_e32 v6, 4, v2
	s_delay_alu instid0(VALU_DEP_3) | instskip(NEXT) | instid1(VALU_DEP_1)
	v_lshlrev_b32_e32 v5, 2, v5
	v_add_lshl_u32 v5, v5, v2, 2
	s_waitcnt lgkmcnt(0)
	v_cndmask_b32_e32 v3, 0, v3, vcc_lo
	v_cmp_gt_u32_e32 vcc_lo, 24, v2
	s_delay_alu instid0(VALU_DEP_2) | instskip(SKIP_4) | instid1(VALU_DEP_3)
	v_add_nc_u32_e32 v1, v1, v3
	ds_bpermute_b32 v3, v5, v1
	v_cndmask_b32_e64 v5, 0, 1, vcc_lo
	v_cmp_lt_u32_e32 vcc_lo, v6, v4
	v_add_nc_u32_e32 v6, 8, v2
	v_lshlrev_b32_e32 v5, 3, v5
	s_delay_alu instid0(VALU_DEP_1) | instskip(SKIP_3) | instid1(VALU_DEP_2)
	v_add_lshl_u32 v5, v5, v2, 2
	s_waitcnt lgkmcnt(0)
	v_cndmask_b32_e32 v3, 0, v3, vcc_lo
	v_cmp_gt_u32_e32 vcc_lo, 16, v2
	v_add_nc_u32_e32 v1, v1, v3
	ds_bpermute_b32 v3, v5, v1
	v_cndmask_b32_e64 v5, 0, 1, vcc_lo
	v_cmp_lt_u32_e32 vcc_lo, v6, v4
	s_delay_alu instid0(VALU_DEP_2) | instskip(NEXT) | instid1(VALU_DEP_1)
	v_lshlrev_b32_e32 v5, 4, v5
	v_add_lshl_u32 v5, v5, v2, 2
	s_waitcnt lgkmcnt(0)
	v_cndmask_b32_e32 v3, 0, v3, vcc_lo
	s_delay_alu instid0(VALU_DEP_1) | instskip(SKIP_2) | instid1(VALU_DEP_1)
	v_add_nc_u32_e32 v1, v1, v3
	ds_bpermute_b32 v3, v5, v1
	v_add_nc_u32_e32 v5, 16, v2
	v_cmp_lt_u32_e32 vcc_lo, v5, v4
	s_waitcnt lgkmcnt(0)
	v_cndmask_b32_e32 v3, 0, v3, vcc_lo
	s_delay_alu instid0(VALU_DEP_1)
	v_add_nc_u32_e32 v1, v1, v3
	v_cmpx_eq_u32_e32 0, v2
	s_cbranch_execz .LBB524_364
; %bb.363:
	v_lshrrev_b32_e32 v3, 3, v0
	s_delay_alu instid0(VALU_DEP_1)
	v_and_b32_e32 v3, 12, v3
	ds_store_b32 v3, v1 offset:128
.LBB524_364:
	s_or_b32 exec_lo, exec_lo, s3
	s_delay_alu instid0(SALU_CYCLE_1)
	s_mov_b32 s3, exec_lo
	s_waitcnt lgkmcnt(0)
	s_barrier
	buffer_gl0_inv
	v_cmpx_gt_u32_e32 4, v0
	s_cbranch_execz .LBB524_366
; %bb.365:
	v_and_b32_e32 v3, 3, v2
	s_add_i32 s2, s2, 31
	s_delay_alu instid0(SALU_CYCLE_1) | instskip(NEXT) | instid1(VALU_DEP_1)
	s_lshr_b32 s2, s2, 5
	v_cmp_ne_u32_e32 vcc_lo, 3, v3
	v_add_nc_u32_e32 v5, 1, v3
	v_add_co_ci_u32_e32 v4, vcc_lo, 0, v2, vcc_lo
	v_cmp_gt_u32_e32 vcc_lo, 2, v3
	v_add_nc_u32_e32 v3, 2, v3
	s_delay_alu instid0(VALU_DEP_3) | instskip(SKIP_3) | instid1(VALU_DEP_3)
	v_lshlrev_b32_e32 v4, 2, v4
	v_cndmask_b32_e64 v6, 0, 1, vcc_lo
	v_cmp_gt_u32_e32 vcc_lo, s2, v5
	v_lshlrev_b32_e32 v1, 2, v2
	v_lshlrev_b32_e32 v5, 1, v6
	ds_load_b32 v1, v1 offset:128
	v_add_lshl_u32 v2, v5, v2, 2
	s_waitcnt lgkmcnt(0)
	ds_bpermute_b32 v4, v4, v1
	s_waitcnt lgkmcnt(0)
	v_cndmask_b32_e32 v4, 0, v4, vcc_lo
	v_cmp_gt_u32_e32 vcc_lo, s2, v3
	s_delay_alu instid0(VALU_DEP_2) | instskip(SKIP_3) | instid1(VALU_DEP_1)
	v_add_nc_u32_e32 v1, v4, v1
	ds_bpermute_b32 v2, v2, v1
	s_waitcnt lgkmcnt(0)
	v_cndmask_b32_e32 v2, 0, v2, vcc_lo
	v_add_nc_u32_e32 v1, v1, v2
.LBB524_366:
	s_or_b32 exec_lo, exec_lo, s3
.LBB524_367:
	v_cmp_eq_u32_e64 s2, 0, v0
	s_branch .LBB524_512
.LBB524_368:
	s_cmp_eq_u32 s104, 16
	s_cbranch_scc0 .LBB524_375
; %bb.369:
	s_mov_b32 s103, 0
	s_lshl_b32 s36, s102, 11
	s_mov_b32 s37, s103
	s_waitcnt lgkmcnt(0)
	s_lshr_b64 s[4:5], s[56:57], 11
	s_lshl_b64 s[2:3], s[36:37], 4
	s_delay_alu instid0(SALU_CYCLE_1)
	s_add_u32 s34, s98, s2
	s_addc_u32 s35, s99, s3
	s_cmp_lg_u64 s[4:5], s[102:103]
	s_cbranch_scc0 .LBB524_533
; %bb.370:
	v_lshlrev_b32_e32 v5, 4, v0
	s_delay_alu instid0(VALU_DEP_1) | instskip(NEXT) | instid1(VALU_DEP_1)
	v_add_co_u32 v51, s2, s34, v5
	v_add_co_ci_u32_e64 v52, null, s35, 0, s2
	s_clause 0x1
	global_load_b128 v[1:4], v5, s[34:35]
	global_load_b128 v[5:8], v5, s[34:35] offset:2048
	v_add_co_u32 v17, vcc_lo, 0x1000, v51
	v_add_co_ci_u32_e32 v18, vcc_lo, 0, v52, vcc_lo
	v_add_co_u32 v13, vcc_lo, v51, 0x2000
	v_add_co_ci_u32_e32 v14, vcc_lo, 0, v52, vcc_lo
	;; [unrolled: 2-line block ×3, first 2 shown]
	s_clause 0x1
	global_load_b128 v[9:12], v[13:14], off offset:-4096
	global_load_b128 v[13:16], v[13:14], off
	v_add_co_u32 v33, vcc_lo, 0x3000, v51
	v_add_co_ci_u32_e32 v34, vcc_lo, 0, v52, vcc_lo
	v_add_co_u32 v29, vcc_lo, v51, 0x4000
	v_add_co_ci_u32_e32 v30, vcc_lo, 0, v52, vcc_lo
	v_add_co_u32 v37, vcc_lo, 0x4000, v51
	v_add_co_ci_u32_e32 v38, vcc_lo, 0, v52, vcc_lo
	s_clause 0x5
	global_load_b128 v[17:20], v[17:18], off offset:2048
	global_load_b128 v[21:24], v[21:22], off offset:2048
	global_load_b128 v[25:28], v[29:30], off offset:-4096
	global_load_b128 v[29:32], v[29:30], off
	global_load_b128 v[33:36], v[33:34], off offset:2048
	global_load_b128 v[37:40], v[37:38], off offset:2048
	v_add_co_u32 v45, vcc_lo, v51, 0x6000
	v_add_co_ci_u32_e32 v46, vcc_lo, 0, v52, vcc_lo
	v_add_co_u32 v49, vcc_lo, 0x5000, v51
	v_add_co_ci_u32_e32 v50, vcc_lo, 0, v52, vcc_lo
	v_add_co_u32 v61, vcc_lo, 0x7000, v51
	s_clause 0x1
	global_load_b128 v[41:44], v[45:46], off offset:-4096
	global_load_b128 v[45:48], v[45:46], off
	v_add_co_ci_u32_e32 v62, vcc_lo, 0, v52, vcc_lo
	v_add_co_u32 v57, vcc_lo, 0x6000, v51
	v_add_co_ci_u32_e32 v58, vcc_lo, 0, v52, vcc_lo
	s_clause 0x3
	global_load_b128 v[49:52], v[49:50], off offset:2048
	global_load_b128 v[53:56], v[61:62], off
	global_load_b128 v[57:60], v[57:58], off offset:2048
	global_load_b128 v[61:64], v[61:62], off offset:2048
	s_waitcnt vmcnt(15)
	v_cmp_neq_f64_e32 vcc_lo, 0, v[1:2]
	v_cmp_neq_f64_e64 s2, 0, v[3:4]
	s_waitcnt vmcnt(14)
	v_cmp_neq_f64_e64 s5, 0, v[5:6]
	v_cmp_neq_f64_e64 s6, 0, v[7:8]
	s_waitcnt vmcnt(13)
	v_cmp_neq_f64_e64 s3, 0, v[9:10]
	;; [unrolled: 3-line block ×5, first 2 shown]
	v_cmp_neq_f64_e64 s12, 0, v[27:28]
	v_cmp_neq_f64_e64 s13, 0, v[21:22]
	;; [unrolled: 1-line block ×3, first 2 shown]
	s_waitcnt vmcnt(8)
	v_cmp_neq_f64_e64 s15, 0, v[29:30]
	v_cmp_neq_f64_e64 s16, 0, v[31:32]
	s_waitcnt vmcnt(7)
	v_cmp_neq_f64_e64 s17, 0, v[33:34]
	v_cmp_neq_f64_e64 s18, 0, v[35:36]
	;; [unrolled: 3-line block ×5, first 2 shown]
	s_or_b32 s2, vcc_lo, s2
	s_or_b32 vcc_lo, s5, s6
	s_waitcnt vmcnt(3)
	v_cmp_neq_f64_e64 s25, 0, v[49:50]
	v_cmp_neq_f64_e64 s26, 0, v[51:52]
	s_waitcnt vmcnt(2)
	v_cmp_neq_f64_e64 s27, 0, v[53:54]
	v_cmp_neq_f64_e64 s28, 0, v[55:56]
	;; [unrolled: 3-line block ×4, first 2 shown]
	v_cndmask_b32_e64 v1, 0, 1, s2
	s_or_b32 s2, s3, s4
	s_delay_alu instid0(SALU_CYCLE_1) | instskip(SKIP_1) | instid1(VALU_DEP_2)
	v_cndmask_b32_e64 v2, 0, 1, s2
	s_or_b32 s2, s7, s8
	v_add_co_ci_u32_e32 v1, vcc_lo, 0, v1, vcc_lo
	v_cndmask_b32_e64 v3, 0, 1, s2
	s_or_b32 vcc_lo, s9, s10
	s_delay_alu instid0(VALU_DEP_2) | instskip(SKIP_3) | instid1(VALU_DEP_2)
	v_add_co_ci_u32_e32 v1, vcc_lo, v1, v2, vcc_lo
	s_or_b32 s2, s11, s12
	s_or_b32 vcc_lo, s13, s14
	v_cndmask_b32_e64 v2, 0, 1, s2
	v_add_co_ci_u32_e32 v1, vcc_lo, v1, v3, vcc_lo
	s_or_b32 s2, s15, s16
	s_or_b32 vcc_lo, s17, s18
	v_cndmask_b32_e64 v3, 0, 1, s2
	s_delay_alu instid0(VALU_DEP_2) | instskip(SKIP_2) | instid1(SALU_CYCLE_1)
	v_add_co_ci_u32_e32 v1, vcc_lo, v1, v2, vcc_lo
	s_or_b32 vcc_lo, s21, s22
	s_or_b32 s2, s19, s20
	v_cndmask_b32_e64 v2, 0, 1, s2
	s_delay_alu instid0(VALU_DEP_2) | instskip(SKIP_3) | instid1(VALU_DEP_2)
	v_add_co_ci_u32_e32 v1, vcc_lo, v1, v3, vcc_lo
	s_or_b32 s2, s23, s24
	s_or_b32 vcc_lo, s25, s26
	v_cndmask_b32_e64 v3, 0, 1, s2
	v_add_co_ci_u32_e32 v1, vcc_lo, v1, v2, vcc_lo
	s_or_b32 s2, s27, s28
	s_or_b32 vcc_lo, s29, s30
	v_cndmask_b32_e64 v2, 0, 1, s2
	s_delay_alu instid0(VALU_DEP_2) | instskip(SKIP_3) | instid1(VALU_DEP_2)
	v_add_co_ci_u32_e32 v1, vcc_lo, v1, v3, vcc_lo
	s_or_b32 vcc_lo, s31, s33
	v_mov_b32_e32 v3, 0
	s_mov_b32 s2, exec_lo
	v_add_co_ci_u32_e32 v1, vcc_lo, v1, v2, vcc_lo
	s_delay_alu instid0(VALU_DEP_1) | instskip(NEXT) | instid1(VALU_DEP_1)
	v_mov_b32_dpp v2, v1 quad_perm:[1,0,3,2] row_mask:0xf bank_mask:0xf
	v_add_nc_u32_e32 v1, v1, v2
	s_delay_alu instid0(VALU_DEP_1) | instskip(NEXT) | instid1(VALU_DEP_1)
	v_mov_b32_dpp v2, v1 quad_perm:[2,3,0,1] row_mask:0xf bank_mask:0xf
	v_add_nc_u32_e32 v1, v1, v2
	s_delay_alu instid0(VALU_DEP_1) | instskip(NEXT) | instid1(VALU_DEP_1)
	v_mov_b32_dpp v2, v1 row_ror:4 row_mask:0xf bank_mask:0xf
	v_add_nc_u32_e32 v1, v1, v2
	s_delay_alu instid0(VALU_DEP_1) | instskip(NEXT) | instid1(VALU_DEP_1)
	v_mov_b32_dpp v2, v1 row_ror:8 row_mask:0xf bank_mask:0xf
	v_add_nc_u32_e32 v1, v1, v2
	ds_swizzle_b32 v2, v1 offset:swizzle(BROADCAST,32,15)
	s_waitcnt lgkmcnt(0)
	v_add_nc_u32_e32 v1, v1, v2
	v_mbcnt_lo_u32_b32 v2, -1, 0
	ds_bpermute_b32 v1, v3, v1 offset:124
	v_cmpx_eq_u32_e32 0, v2
	s_cbranch_execz .LBB524_372
; %bb.371:
	v_lshrrev_b32_e32 v3, 3, v0
	s_delay_alu instid0(VALU_DEP_1)
	v_and_b32_e32 v3, 12, v3
	s_waitcnt lgkmcnt(0)
	ds_store_b32 v3, v1 offset:16
.LBB524_372:
	s_or_b32 exec_lo, exec_lo, s2
	s_delay_alu instid0(SALU_CYCLE_1)
	s_mov_b32 s2, exec_lo
	s_waitcnt lgkmcnt(0)
	s_barrier
	buffer_gl0_inv
	v_cmpx_gt_u32_e32 32, v0
	s_cbranch_execz .LBB524_374
; %bb.373:
	v_and_b32_e32 v1, 3, v2
	s_delay_alu instid0(VALU_DEP_1) | instskip(SKIP_4) | instid1(VALU_DEP_2)
	v_lshlrev_b32_e32 v3, 2, v1
	v_cmp_ne_u32_e32 vcc_lo, 3, v1
	ds_load_b32 v3, v3 offset:16
	v_add_co_ci_u32_e32 v4, vcc_lo, 0, v2, vcc_lo
	v_cmp_gt_u32_e32 vcc_lo, 2, v1
	v_lshlrev_b32_e32 v4, 2, v4
	v_cndmask_b32_e64 v1, 0, 1, vcc_lo
	s_delay_alu instid0(VALU_DEP_1) | instskip(NEXT) | instid1(VALU_DEP_1)
	v_lshlrev_b32_e32 v1, 1, v1
	v_add_lshl_u32 v1, v1, v2, 2
	s_waitcnt lgkmcnt(0)
	ds_bpermute_b32 v4, v4, v3
	s_waitcnt lgkmcnt(0)
	v_add_nc_u32_e32 v3, v4, v3
	ds_bpermute_b32 v1, v1, v3
	s_waitcnt lgkmcnt(0)
	v_add_nc_u32_e32 v1, v1, v3
.LBB524_374:
	s_or_b32 exec_lo, exec_lo, s2
	s_mov_b32 s2, 0
	s_branch .LBB524_534
.LBB524_375:
                                        ; implicit-def: $vgpr1
	s_branch .LBB524_623
.LBB524_376:
	s_mov_b32 s2, -1
                                        ; implicit-def: $vgpr1
.LBB524_377:
	s_delay_alu instid0(SALU_CYCLE_1)
	s_and_b32 vcc_lo, exec_lo, s2
	s_cbranch_vccz .LBB524_511
; %bb.378:
	s_waitcnt lgkmcnt(0)
	s_sub_i32 s3, s56, s96
	s_mov_b32 s4, exec_lo
                                        ; implicit-def: $vgpr1
	v_cmpx_gt_u32_e64 s3, v0
	s_cbranch_execz .LBB524_380
; %bb.379:
	v_lshlrev_b32_e32 v1, 4, v0
	global_load_b128 v[1:4], v1, s[94:95]
	s_waitcnt vmcnt(0)
	v_cmp_neq_f64_e32 vcc_lo, 0, v[1:2]
	v_cmp_neq_f64_e64 s2, 0, v[3:4]
	s_delay_alu instid0(VALU_DEP_1) | instskip(NEXT) | instid1(SALU_CYCLE_1)
	s_or_b32 s2, vcc_lo, s2
	v_cndmask_b32_e64 v1, 0, 1, s2
.LBB524_380:
	s_or_b32 exec_lo, exec_lo, s4
	v_or_b32_e32 v3, 0x80, v0
	v_mov_b32_e32 v2, 0
	s_delay_alu instid0(VALU_DEP_2)
	v_cmp_gt_u32_e32 vcc_lo, s3, v3
	v_mov_b32_e32 v3, 0
	s_and_saveexec_b32 s4, vcc_lo
	s_cbranch_execz .LBB524_382
; %bb.381:
	v_lshlrev_b32_e32 v3, 4, v0
	global_load_b128 v[3:6], v3, s[94:95] offset:2048
	s_waitcnt vmcnt(0)
	v_cmp_neq_f64_e32 vcc_lo, 0, v[3:4]
	v_cmp_neq_f64_e64 s2, 0, v[5:6]
	s_delay_alu instid0(VALU_DEP_1) | instskip(NEXT) | instid1(SALU_CYCLE_1)
	s_or_b32 s2, vcc_lo, s2
	v_cndmask_b32_e64 v3, 0, 1, s2
.LBB524_382:
	s_or_b32 exec_lo, exec_lo, s4
	v_or_b32_e32 v4, 0x100, v0
	s_mov_b32 s4, exec_lo
	s_delay_alu instid0(VALU_DEP_1)
	v_cmpx_gt_u32_e64 s3, v4
	s_cbranch_execz .LBB524_384
; %bb.383:
	v_lshlrev_b32_e32 v2, 4, v4
	global_load_b128 v[4:7], v2, s[94:95]
	s_waitcnt vmcnt(0)
	v_cmp_neq_f64_e32 vcc_lo, 0, v[4:5]
	v_cmp_neq_f64_e64 s2, 0, v[6:7]
	s_delay_alu instid0(VALU_DEP_1) | instskip(NEXT) | instid1(SALU_CYCLE_1)
	s_or_b32 s2, vcc_lo, s2
	v_cndmask_b32_e64 v2, 0, 1, s2
.LBB524_384:
	s_or_b32 exec_lo, exec_lo, s4
	v_or_b32_e32 v6, 0x180, v0
	v_dual_mov_b32 v4, 0 :: v_dual_mov_b32 v5, 0
	s_mov_b32 s4, exec_lo
	s_delay_alu instid0(VALU_DEP_2)
	v_cmpx_gt_u32_e64 s3, v6
	s_cbranch_execz .LBB524_386
; %bb.385:
	v_lshlrev_b32_e32 v5, 4, v6
	global_load_b128 v[5:8], v5, s[94:95]
	s_waitcnt vmcnt(0)
	v_cmp_neq_f64_e32 vcc_lo, 0, v[5:6]
	v_cmp_neq_f64_e64 s2, 0, v[7:8]
	s_delay_alu instid0(VALU_DEP_1) | instskip(NEXT) | instid1(SALU_CYCLE_1)
	s_or_b32 s2, vcc_lo, s2
	v_cndmask_b32_e64 v5, 0, 1, s2
.LBB524_386:
	s_or_b32 exec_lo, exec_lo, s4
	v_or_b32_e32 v6, 0x200, v0
	s_mov_b32 s4, exec_lo
	s_delay_alu instid0(VALU_DEP_1)
	v_cmpx_gt_u32_e64 s3, v6
	s_cbranch_execz .LBB524_388
; %bb.387:
	v_lshlrev_b32_e32 v4, 4, v6
	global_load_b128 v[6:9], v4, s[94:95]
	s_waitcnt vmcnt(0)
	v_cmp_neq_f64_e32 vcc_lo, 0, v[6:7]
	v_cmp_neq_f64_e64 s2, 0, v[8:9]
	s_delay_alu instid0(VALU_DEP_1) | instskip(NEXT) | instid1(SALU_CYCLE_1)
	s_or_b32 s2, vcc_lo, s2
	v_cndmask_b32_e64 v4, 0, 1, s2
.LBB524_388:
	s_or_b32 exec_lo, exec_lo, s4
	v_or_b32_e32 v8, 0x280, v0
	v_dual_mov_b32 v6, 0 :: v_dual_mov_b32 v7, 0
	s_mov_b32 s4, exec_lo
	s_delay_alu instid0(VALU_DEP_2)
	v_cmpx_gt_u32_e64 s3, v8
	s_cbranch_execz .LBB524_390
; %bb.389:
	v_lshlrev_b32_e32 v7, 4, v8
	global_load_b128 v[7:10], v7, s[94:95]
	s_waitcnt vmcnt(0)
	v_cmp_neq_f64_e32 vcc_lo, 0, v[7:8]
	v_cmp_neq_f64_e64 s2, 0, v[9:10]
	s_delay_alu instid0(VALU_DEP_1) | instskip(NEXT) | instid1(SALU_CYCLE_1)
	s_or_b32 s2, vcc_lo, s2
	v_cndmask_b32_e64 v7, 0, 1, s2
.LBB524_390:
	;; [unrolled: 33-line block ×30, first 2 shown]
	s_or_b32 exec_lo, exec_lo, s4
	v_or_b32_e32 v64, 0x1f00, v0
	s_mov_b32 s4, exec_lo
	s_delay_alu instid0(VALU_DEP_1)
	v_cmpx_gt_u32_e64 s3, v64
	s_cbranch_execz .LBB524_504
; %bb.503:
	v_lshlrev_b32_e32 v62, 4, v64
	global_load_b128 v[64:67], v62, s[94:95]
	s_waitcnt vmcnt(0)
	v_cmp_neq_f64_e32 vcc_lo, 0, v[64:65]
	v_cmp_neq_f64_e64 s2, 0, v[66:67]
	s_delay_alu instid0(VALU_DEP_1) | instskip(NEXT) | instid1(SALU_CYCLE_1)
	s_or_b32 s2, vcc_lo, s2
	v_cndmask_b32_e64 v62, 0, 1, s2
.LBB524_504:
	s_or_b32 exec_lo, exec_lo, s4
	v_or_b32_e32 v65, 0x1f80, v0
	v_mov_b32_e32 v64, 0
	s_mov_b32 s4, exec_lo
	s_delay_alu instid0(VALU_DEP_2)
	v_cmpx_gt_u32_e64 s3, v65
	s_cbranch_execz .LBB524_506
; %bb.505:
	v_lshlrev_b32_e32 v64, 4, v65
	global_load_b128 v[64:67], v64, s[94:95]
	s_waitcnt vmcnt(0)
	v_cmp_neq_f64_e32 vcc_lo, 0, v[64:65]
	v_cmp_neq_f64_e64 s2, 0, v[66:67]
	s_delay_alu instid0(VALU_DEP_1) | instskip(NEXT) | instid1(SALU_CYCLE_1)
	s_or_b32 s2, vcc_lo, s2
	v_cndmask_b32_e64 v64, 0, 1, s2
.LBB524_506:
	s_or_b32 exec_lo, exec_lo, s4
	v_add_nc_u32_e32 v1, v3, v1
	s_min_u32 s2, s3, 0x80
	s_mov_b32 s3, exec_lo
	s_delay_alu instid0(VALU_DEP_1) | instskip(SKIP_1) | instid1(VALU_DEP_2)
	v_add3_u32 v1, v1, v2, v5
	v_mbcnt_lo_u32_b32 v2, -1, 0
	v_add3_u32 v1, v1, v4, v7
	s_delay_alu instid0(VALU_DEP_2) | instskip(NEXT) | instid1(VALU_DEP_2)
	v_cmp_ne_u32_e32 vcc_lo, 31, v2
	v_add3_u32 v1, v1, v6, v9
	v_add_co_ci_u32_e32 v3, vcc_lo, 0, v2, vcc_lo
	v_cmp_gt_u32_e32 vcc_lo, 30, v2
	v_add_nc_u32_e32 v6, 1, v2
	s_delay_alu instid0(VALU_DEP_4) | instskip(NEXT) | instid1(VALU_DEP_4)
	v_add3_u32 v1, v1, v8, v11
	v_lshlrev_b32_e32 v3, 2, v3
	v_cndmask_b32_e64 v5, 0, 1, vcc_lo
	s_delay_alu instid0(VALU_DEP_3) | instskip(NEXT) | instid1(VALU_DEP_2)
	v_add3_u32 v1, v1, v10, v13
	v_lshlrev_b32_e32 v5, 1, v5
	s_delay_alu instid0(VALU_DEP_2) | instskip(NEXT) | instid1(VALU_DEP_2)
	v_add3_u32 v1, v1, v12, v15
	v_add_lshl_u32 v5, v5, v2, 2
	s_delay_alu instid0(VALU_DEP_2) | instskip(NEXT) | instid1(VALU_DEP_1)
	v_add3_u32 v1, v1, v14, v17
	v_add3_u32 v1, v1, v16, v19
	s_delay_alu instid0(VALU_DEP_1) | instskip(NEXT) | instid1(VALU_DEP_1)
	v_add3_u32 v1, v1, v18, v21
	v_add3_u32 v1, v1, v20, v23
	s_delay_alu instid0(VALU_DEP_1) | instskip(NEXT) | instid1(VALU_DEP_1)
	;; [unrolled: 3-line block ×11, first 2 shown]
	v_add3_u32 v1, v1, v58, v61
	v_add3_u32 v1, v1, v60, v63
	s_delay_alu instid0(VALU_DEP_1) | instskip(SKIP_2) | instid1(VALU_DEP_1)
	v_add3_u32 v1, v1, v62, v64
	ds_bpermute_b32 v3, v3, v1
	v_and_b32_e32 v4, 0x60, v0
	v_sub_nc_u32_e64 v4, s2, v4 clamp
	s_delay_alu instid0(VALU_DEP_1) | instskip(SKIP_3) | instid1(VALU_DEP_2)
	v_cmp_lt_u32_e32 vcc_lo, v6, v4
	s_waitcnt lgkmcnt(0)
	v_dual_cndmask_b32 v3, 0, v3 :: v_dual_add_nc_u32 v6, 2, v2
	v_cmp_gt_u32_e32 vcc_lo, 28, v2
	v_add_nc_u32_e32 v1, v3, v1
	ds_bpermute_b32 v3, v5, v1
	v_cndmask_b32_e64 v5, 0, 1, vcc_lo
	v_cmp_lt_u32_e32 vcc_lo, v6, v4
	v_add_nc_u32_e32 v6, 4, v2
	s_delay_alu instid0(VALU_DEP_3) | instskip(NEXT) | instid1(VALU_DEP_1)
	v_lshlrev_b32_e32 v5, 2, v5
	v_add_lshl_u32 v5, v5, v2, 2
	s_waitcnt lgkmcnt(0)
	v_cndmask_b32_e32 v3, 0, v3, vcc_lo
	v_cmp_gt_u32_e32 vcc_lo, 24, v2
	s_delay_alu instid0(VALU_DEP_2) | instskip(SKIP_4) | instid1(VALU_DEP_3)
	v_add_nc_u32_e32 v1, v1, v3
	ds_bpermute_b32 v3, v5, v1
	v_cndmask_b32_e64 v5, 0, 1, vcc_lo
	v_cmp_lt_u32_e32 vcc_lo, v6, v4
	v_add_nc_u32_e32 v6, 8, v2
	v_lshlrev_b32_e32 v5, 3, v5
	s_delay_alu instid0(VALU_DEP_1) | instskip(SKIP_3) | instid1(VALU_DEP_2)
	v_add_lshl_u32 v5, v5, v2, 2
	s_waitcnt lgkmcnt(0)
	v_cndmask_b32_e32 v3, 0, v3, vcc_lo
	v_cmp_gt_u32_e32 vcc_lo, 16, v2
	v_add_nc_u32_e32 v1, v1, v3
	ds_bpermute_b32 v3, v5, v1
	v_cndmask_b32_e64 v5, 0, 1, vcc_lo
	v_cmp_lt_u32_e32 vcc_lo, v6, v4
	s_delay_alu instid0(VALU_DEP_2) | instskip(NEXT) | instid1(VALU_DEP_1)
	v_lshlrev_b32_e32 v5, 4, v5
	v_add_lshl_u32 v5, v5, v2, 2
	s_waitcnt lgkmcnt(0)
	v_cndmask_b32_e32 v3, 0, v3, vcc_lo
	s_delay_alu instid0(VALU_DEP_1) | instskip(SKIP_2) | instid1(VALU_DEP_1)
	v_add_nc_u32_e32 v1, v1, v3
	ds_bpermute_b32 v3, v5, v1
	v_add_nc_u32_e32 v5, 16, v2
	v_cmp_lt_u32_e32 vcc_lo, v5, v4
	s_waitcnt lgkmcnt(0)
	v_cndmask_b32_e32 v3, 0, v3, vcc_lo
	s_delay_alu instid0(VALU_DEP_1)
	v_add_nc_u32_e32 v1, v1, v3
	v_cmpx_eq_u32_e32 0, v2
	s_cbranch_execz .LBB524_508
; %bb.507:
	v_lshrrev_b32_e32 v3, 3, v0
	s_delay_alu instid0(VALU_DEP_1)
	v_and_b32_e32 v3, 12, v3
	ds_store_b32 v3, v1 offset:128
.LBB524_508:
	s_or_b32 exec_lo, exec_lo, s3
	s_delay_alu instid0(SALU_CYCLE_1)
	s_mov_b32 s3, exec_lo
	s_waitcnt lgkmcnt(0)
	s_barrier
	buffer_gl0_inv
	v_cmpx_gt_u32_e32 4, v0
	s_cbranch_execz .LBB524_510
; %bb.509:
	v_and_b32_e32 v3, 3, v2
	s_add_i32 s2, s2, 31
	s_delay_alu instid0(SALU_CYCLE_1) | instskip(NEXT) | instid1(VALU_DEP_1)
	s_lshr_b32 s2, s2, 5
	v_cmp_ne_u32_e32 vcc_lo, 3, v3
	v_add_nc_u32_e32 v5, 1, v3
	v_add_co_ci_u32_e32 v4, vcc_lo, 0, v2, vcc_lo
	v_cmp_gt_u32_e32 vcc_lo, 2, v3
	v_add_nc_u32_e32 v3, 2, v3
	s_delay_alu instid0(VALU_DEP_3) | instskip(SKIP_3) | instid1(VALU_DEP_3)
	v_lshlrev_b32_e32 v4, 2, v4
	v_cndmask_b32_e64 v6, 0, 1, vcc_lo
	v_cmp_gt_u32_e32 vcc_lo, s2, v5
	v_lshlrev_b32_e32 v1, 2, v2
	v_lshlrev_b32_e32 v5, 1, v6
	ds_load_b32 v1, v1 offset:128
	v_add_lshl_u32 v2, v5, v2, 2
	s_waitcnt lgkmcnt(0)
	ds_bpermute_b32 v4, v4, v1
	s_waitcnt lgkmcnt(0)
	v_cndmask_b32_e32 v4, 0, v4, vcc_lo
	v_cmp_gt_u32_e32 vcc_lo, s2, v3
	s_delay_alu instid0(VALU_DEP_2) | instskip(SKIP_3) | instid1(VALU_DEP_1)
	v_add_nc_u32_e32 v1, v4, v1
	ds_bpermute_b32 v2, v2, v1
	s_waitcnt lgkmcnt(0)
	v_cndmask_b32_e32 v2, 0, v2, vcc_lo
	v_add_nc_u32_e32 v1, v1, v2
.LBB524_510:
	s_or_b32 exec_lo, exec_lo, s3
.LBB524_511:
	v_cmp_eq_u32_e64 s2, 0, v0
.LBB524_512:
	s_branch .LBB524_623
.LBB524_513:
	s_cmp_gt_i32 s104, 3
	s_cbranch_scc0 .LBB524_522
; %bb.514:
	s_cmp_gt_i32 s104, 7
	s_cbranch_scc0 .LBB524_523
; %bb.515:
	s_cmp_eq_u32 s104, 8
	s_cbranch_scc0 .LBB524_531
; %bb.516:
	s_mov_b32 s103, 0
	s_lshl_b32 s20, s102, 10
	s_mov_b32 s21, s103
	s_waitcnt lgkmcnt(0)
	s_lshr_b64 s[4:5], s[56:57], 10
	s_lshl_b64 s[2:3], s[20:21], 4
	s_delay_alu instid0(SALU_CYCLE_1)
	s_add_u32 s18, s98, s2
	s_addc_u32 s19, s99, s3
	s_cmp_lg_u64 s[4:5], s[102:103]
	s_cbranch_scc0 .LBB524_573
; %bb.517:
	v_lshlrev_b32_e32 v5, 4, v0
	s_delay_alu instid0(VALU_DEP_1) | instskip(NEXT) | instid1(VALU_DEP_1)
	v_add_co_u32 v19, s2, s18, v5
	v_add_co_ci_u32_e64 v20, null, s19, 0, s2
	s_clause 0x1
	global_load_b128 v[1:4], v5, s[18:19]
	global_load_b128 v[5:8], v5, s[18:19] offset:2048
	v_add_co_u32 v13, vcc_lo, v19, 0x2000
	v_add_co_ci_u32_e32 v14, vcc_lo, 0, v20, vcc_lo
	v_add_co_u32 v17, vcc_lo, 0x1000, v19
	v_add_co_ci_u32_e32 v18, vcc_lo, 0, v20, vcc_lo
	v_add_co_u32 v29, vcc_lo, 0x3000, v19
	s_clause 0x1
	global_load_b128 v[9:12], v[13:14], off offset:-4096
	global_load_b128 v[13:16], v[13:14], off
	v_add_co_ci_u32_e32 v30, vcc_lo, 0, v20, vcc_lo
	v_add_co_u32 v25, vcc_lo, 0x2000, v19
	v_add_co_ci_u32_e32 v26, vcc_lo, 0, v20, vcc_lo
	s_clause 0x3
	global_load_b128 v[17:20], v[17:18], off offset:2048
	global_load_b128 v[21:24], v[29:30], off
	global_load_b128 v[25:28], v[25:26], off offset:2048
	global_load_b128 v[29:32], v[29:30], off offset:2048
	s_waitcnt vmcnt(7)
	v_cmp_neq_f64_e32 vcc_lo, 0, v[1:2]
	v_cmp_neq_f64_e64 s2, 0, v[3:4]
	s_waitcnt vmcnt(6)
	v_cmp_neq_f64_e64 s5, 0, v[5:6]
	v_cmp_neq_f64_e64 s6, 0, v[7:8]
	s_waitcnt vmcnt(5)
	v_cmp_neq_f64_e64 s3, 0, v[9:10]
	v_cmp_neq_f64_e64 s4, 0, v[11:12]
	s_waitcnt vmcnt(4)
	v_cmp_neq_f64_e64 s7, 0, v[13:14]
	v_cmp_neq_f64_e64 s8, 0, v[15:16]
	s_waitcnt vmcnt(3)
	v_cmp_neq_f64_e64 s9, 0, v[17:18]
	v_cmp_neq_f64_e64 s10, 0, v[19:20]
	s_waitcnt vmcnt(2)
	v_cmp_neq_f64_e64 s11, 0, v[21:22]
	v_cmp_neq_f64_e64 s12, 0, v[23:24]
	s_waitcnt vmcnt(1)
	v_cmp_neq_f64_e64 s13, 0, v[25:26]
	v_cmp_neq_f64_e64 s14, 0, v[27:28]
	s_waitcnt vmcnt(0)
	v_cmp_neq_f64_e64 s15, 0, v[29:30]
	v_cmp_neq_f64_e64 s16, 0, v[31:32]
	s_or_b32 s2, vcc_lo, s2
	s_delay_alu instid0(SALU_CYCLE_1) | instskip(SKIP_1) | instid1(VALU_DEP_1)
	v_cndmask_b32_e64 v1, 0, 1, s2
	s_or_b32 vcc_lo, s5, s6
	v_add_co_ci_u32_e32 v1, vcc_lo, 0, v1, vcc_lo
	s_or_b32 s2, s3, s4
	s_delay_alu instid0(SALU_CYCLE_1) | instskip(SKIP_1) | instid1(SALU_CYCLE_1)
	v_cndmask_b32_e64 v2, 0, 1, s2
	s_or_b32 s2, s7, s8
	v_cndmask_b32_e64 v3, 0, 1, s2
	s_or_b32 vcc_lo, s9, s10
	s_delay_alu instid0(VALU_DEP_2) | instskip(SKIP_3) | instid1(VALU_DEP_2)
	v_add_co_ci_u32_e32 v1, vcc_lo, v1, v2, vcc_lo
	s_or_b32 s2, s11, s12
	s_or_b32 vcc_lo, s13, s14
	v_cndmask_b32_e64 v2, 0, 1, s2
	v_add_co_ci_u32_e32 v1, vcc_lo, v1, v3, vcc_lo
	s_or_b32 vcc_lo, s15, s16
	v_mov_b32_e32 v3, 0
	s_mov_b32 s2, exec_lo
	s_delay_alu instid0(VALU_DEP_2) | instskip(NEXT) | instid1(VALU_DEP_1)
	v_add_co_ci_u32_e32 v1, vcc_lo, v1, v2, vcc_lo
	v_mov_b32_dpp v2, v1 quad_perm:[1,0,3,2] row_mask:0xf bank_mask:0xf
	s_delay_alu instid0(VALU_DEP_1) | instskip(NEXT) | instid1(VALU_DEP_1)
	v_add_nc_u32_e32 v1, v1, v2
	v_mov_b32_dpp v2, v1 quad_perm:[2,3,0,1] row_mask:0xf bank_mask:0xf
	s_delay_alu instid0(VALU_DEP_1) | instskip(NEXT) | instid1(VALU_DEP_1)
	v_add_nc_u32_e32 v1, v1, v2
	v_mov_b32_dpp v2, v1 row_ror:4 row_mask:0xf bank_mask:0xf
	s_delay_alu instid0(VALU_DEP_1) | instskip(NEXT) | instid1(VALU_DEP_1)
	v_add_nc_u32_e32 v1, v1, v2
	v_mov_b32_dpp v2, v1 row_ror:8 row_mask:0xf bank_mask:0xf
	s_delay_alu instid0(VALU_DEP_1)
	v_add_nc_u32_e32 v1, v1, v2
	ds_swizzle_b32 v2, v1 offset:swizzle(BROADCAST,32,15)
	s_waitcnt lgkmcnt(0)
	v_add_nc_u32_e32 v1, v1, v2
	v_mbcnt_lo_u32_b32 v2, -1, 0
	ds_bpermute_b32 v1, v3, v1 offset:124
	v_cmpx_eq_u32_e32 0, v2
	s_cbranch_execz .LBB524_519
; %bb.518:
	v_lshrrev_b32_e32 v3, 3, v0
	s_delay_alu instid0(VALU_DEP_1)
	v_and_b32_e32 v3, 12, v3
	s_waitcnt lgkmcnt(0)
	ds_store_b32 v3, v1 offset:112
.LBB524_519:
	s_or_b32 exec_lo, exec_lo, s2
	s_delay_alu instid0(SALU_CYCLE_1)
	s_mov_b32 s2, exec_lo
	s_waitcnt lgkmcnt(0)
	s_barrier
	buffer_gl0_inv
	v_cmpx_gt_u32_e32 32, v0
	s_cbranch_execz .LBB524_521
; %bb.520:
	v_lshl_or_b32 v1, v2, 2, 0x70
	v_and_b32_e32 v3, 3, v2
	ds_load_b32 v1, v1
	v_cmp_ne_u32_e32 vcc_lo, 3, v3
	v_add_co_ci_u32_e32 v4, vcc_lo, 0, v2, vcc_lo
	v_cmp_gt_u32_e32 vcc_lo, 2, v3
	s_delay_alu instid0(VALU_DEP_2) | instskip(SKIP_1) | instid1(VALU_DEP_1)
	v_lshlrev_b32_e32 v4, 2, v4
	v_cndmask_b32_e64 v3, 0, 1, vcc_lo
	v_lshlrev_b32_e32 v3, 1, v3
	s_waitcnt lgkmcnt(0)
	ds_bpermute_b32 v4, v4, v1
	v_add_lshl_u32 v2, v3, v2, 2
	s_waitcnt lgkmcnt(0)
	v_add_nc_u32_e32 v1, v4, v1
	ds_bpermute_b32 v2, v2, v1
	s_waitcnt lgkmcnt(0)
	v_add_nc_u32_e32 v1, v2, v1
.LBB524_521:
	s_or_b32 exec_lo, exec_lo, s2
	s_mov_b32 s2, 0
	s_branch .LBB524_574
.LBB524_522:
                                        ; implicit-def: $vgpr1
	s_cbranch_execnz .LBB524_614
	s_branch .LBB524_623
.LBB524_523:
                                        ; implicit-def: $vgpr1
	s_cbranch_execz .LBB524_597
; %bb.524:
	s_cmp_eq_u32 s104, 4
	s_cbranch_scc0 .LBB524_532
; %bb.525:
	s_mov_b32 s103, 0
	s_lshl_b32 s12, s102, 9
	s_mov_b32 s13, s103
	s_waitcnt lgkmcnt(0)
	s_lshr_b64 s[4:5], s[56:57], 9
	s_lshl_b64 s[2:3], s[12:13], 4
	s_delay_alu instid0(SALU_CYCLE_1)
	s_add_u32 s10, s98, s2
	s_addc_u32 s11, s99, s3
	s_cmp_lg_u64 s[4:5], s[102:103]
	s_cbranch_scc0 .LBB524_598
; %bb.526:
	v_lshlrev_b32_e32 v9, 4, v0
	s_delay_alu instid0(VALU_DEP_1) | instskip(NEXT) | instid1(VALU_DEP_1)
	v_add_co_u32 v1, s2, s10, v9
	v_add_co_ci_u32_e64 v2, null, s11, 0, s2
	s_delay_alu instid0(VALU_DEP_2) | instskip(NEXT) | instid1(VALU_DEP_2)
	v_add_co_u32 v13, vcc_lo, 0x1000, v1
	v_add_co_ci_u32_e32 v14, vcc_lo, 0, v2, vcc_lo
	s_clause 0x3
	global_load_b128 v[1:4], v9, s[10:11]
	global_load_b128 v[5:8], v[13:14], off
	global_load_b128 v[9:12], v9, s[10:11] offset:2048
	global_load_b128 v[13:16], v[13:14], off offset:2048
	s_waitcnt vmcnt(3)
	v_cmp_neq_f64_e32 vcc_lo, 0, v[1:2]
	v_cmp_neq_f64_e64 s2, 0, v[3:4]
	s_waitcnt vmcnt(2)
	v_cmp_neq_f64_e64 s3, 0, v[5:6]
	v_cmp_neq_f64_e64 s4, 0, v[7:8]
	s_waitcnt vmcnt(1)
	v_cmp_neq_f64_e64 s5, 0, v[9:10]
	;; [unrolled: 3-line block ×3, first 2 shown]
	v_cmp_neq_f64_e64 s8, 0, v[15:16]
	v_mov_b32_e32 v3, 0
	s_or_b32 s2, vcc_lo, s2
	s_delay_alu instid0(SALU_CYCLE_1)
	v_cndmask_b32_e64 v1, 0, 1, s2
	s_or_b32 s2, s3, s4
	s_or_b32 vcc_lo, s5, s6
	v_cndmask_b32_e64 v2, 0, 1, s2
	s_mov_b32 s2, exec_lo
	v_add_co_ci_u32_e32 v1, vcc_lo, 0, v1, vcc_lo
	s_or_b32 vcc_lo, s7, s8
	s_delay_alu instid0(VALU_DEP_1) | instskip(NEXT) | instid1(VALU_DEP_1)
	v_add_co_ci_u32_e32 v1, vcc_lo, v1, v2, vcc_lo
	v_mov_b32_dpp v2, v1 quad_perm:[1,0,3,2] row_mask:0xf bank_mask:0xf
	s_delay_alu instid0(VALU_DEP_1) | instskip(NEXT) | instid1(VALU_DEP_1)
	v_add_nc_u32_e32 v1, v1, v2
	v_mov_b32_dpp v2, v1 quad_perm:[2,3,0,1] row_mask:0xf bank_mask:0xf
	s_delay_alu instid0(VALU_DEP_1) | instskip(NEXT) | instid1(VALU_DEP_1)
	v_add_nc_u32_e32 v1, v1, v2
	v_mov_b32_dpp v2, v1 row_ror:4 row_mask:0xf bank_mask:0xf
	s_delay_alu instid0(VALU_DEP_1) | instskip(NEXT) | instid1(VALU_DEP_1)
	v_add_nc_u32_e32 v1, v1, v2
	v_mov_b32_dpp v2, v1 row_ror:8 row_mask:0xf bank_mask:0xf
	s_delay_alu instid0(VALU_DEP_1)
	v_add_nc_u32_e32 v1, v1, v2
	ds_swizzle_b32 v2, v1 offset:swizzle(BROADCAST,32,15)
	s_waitcnt lgkmcnt(0)
	v_add_nc_u32_e32 v1, v1, v2
	v_mbcnt_lo_u32_b32 v2, -1, 0
	ds_bpermute_b32 v1, v3, v1 offset:124
	v_cmpx_eq_u32_e32 0, v2
	s_cbranch_execz .LBB524_528
; %bb.527:
	v_lshrrev_b32_e32 v3, 3, v0
	s_delay_alu instid0(VALU_DEP_1)
	v_and_b32_e32 v3, 12, v3
	s_waitcnt lgkmcnt(0)
	ds_store_b32 v3, v1 offset:80
.LBB524_528:
	s_or_b32 exec_lo, exec_lo, s2
	s_delay_alu instid0(SALU_CYCLE_1)
	s_mov_b32 s2, exec_lo
	s_waitcnt lgkmcnt(0)
	s_barrier
	buffer_gl0_inv
	v_cmpx_gt_u32_e32 32, v0
	s_cbranch_execz .LBB524_530
; %bb.529:
	v_and_b32_e32 v1, 3, v2
	s_delay_alu instid0(VALU_DEP_1) | instskip(SKIP_4) | instid1(VALU_DEP_2)
	v_lshlrev_b32_e32 v3, 2, v1
	v_cmp_ne_u32_e32 vcc_lo, 3, v1
	ds_load_b32 v3, v3 offset:80
	v_add_co_ci_u32_e32 v4, vcc_lo, 0, v2, vcc_lo
	v_cmp_gt_u32_e32 vcc_lo, 2, v1
	v_lshlrev_b32_e32 v4, 2, v4
	v_cndmask_b32_e64 v1, 0, 1, vcc_lo
	s_delay_alu instid0(VALU_DEP_1) | instskip(NEXT) | instid1(VALU_DEP_1)
	v_lshlrev_b32_e32 v1, 1, v1
	v_add_lshl_u32 v1, v1, v2, 2
	s_waitcnt lgkmcnt(0)
	ds_bpermute_b32 v4, v4, v3
	s_waitcnt lgkmcnt(0)
	v_add_nc_u32_e32 v3, v4, v3
	ds_bpermute_b32 v1, v1, v3
	s_waitcnt lgkmcnt(0)
	v_add_nc_u32_e32 v1, v1, v3
.LBB524_530:
	s_or_b32 exec_lo, exec_lo, s2
	s_mov_b32 s2, 0
	s_branch .LBB524_599
.LBB524_531:
                                        ; implicit-def: $vgpr1
	s_branch .LBB524_597
.LBB524_532:
                                        ; implicit-def: $vgpr1
	s_branch .LBB524_623
.LBB524_533:
	s_mov_b32 s2, -1
                                        ; implicit-def: $vgpr1
.LBB524_534:
	s_delay_alu instid0(SALU_CYCLE_1)
	s_and_b32 vcc_lo, exec_lo, s2
	s_cbranch_vccz .LBB524_572
; %bb.535:
	s_sub_i32 s18, s56, s36
	s_mov_b32 s3, exec_lo
                                        ; implicit-def: $vgpr1_vgpr2_vgpr3_vgpr4_vgpr5_vgpr6_vgpr7_vgpr8_vgpr9_vgpr10_vgpr11_vgpr12_vgpr13_vgpr14_vgpr15_vgpr16
	v_cmpx_gt_u32_e64 s18, v0
	s_cbranch_execz .LBB524_537
; %bb.536:
	v_lshlrev_b32_e32 v1, 4, v0
	global_load_b128 v[1:4], v1, s[34:35]
	s_waitcnt vmcnt(0)
	v_cmp_neq_f64_e32 vcc_lo, 0, v[1:2]
	v_cmp_neq_f64_e64 s2, 0, v[3:4]
	s_delay_alu instid0(VALU_DEP_1) | instskip(NEXT) | instid1(SALU_CYCLE_1)
	s_or_b32 s2, vcc_lo, s2
	v_cndmask_b32_e64 v1, 0, 1, s2
.LBB524_537:
	s_or_b32 exec_lo, exec_lo, s3
	v_or_b32_e32 v17, 0x80, v0
	s_delay_alu instid0(VALU_DEP_1)
	v_cmp_gt_u32_e32 vcc_lo, s18, v17
	s_and_saveexec_b32 s4, vcc_lo
	s_cbranch_execz .LBB524_539
; %bb.538:
	v_lshlrev_b32_e32 v2, 4, v0
	global_load_b128 v[17:20], v2, s[34:35] offset:2048
	s_waitcnt vmcnt(0)
	v_cmp_neq_f64_e64 s2, 0, v[17:18]
	v_cmp_neq_f64_e64 s3, 0, v[19:20]
	s_delay_alu instid0(VALU_DEP_1) | instskip(NEXT) | instid1(SALU_CYCLE_1)
	s_or_b32 s2, s2, s3
	v_cndmask_b32_e64 v2, 0, 1, s2
.LBB524_539:
	s_or_b32 exec_lo, exec_lo, s4
	v_or_b32_e32 v17, 0x100, v0
	s_delay_alu instid0(VALU_DEP_1) | instskip(NEXT) | instid1(VALU_DEP_1)
	v_cmp_gt_u32_e64 s2, s18, v17
	s_and_saveexec_b32 s5, s2
	s_cbranch_execz .LBB524_541
; %bb.540:
	v_lshlrev_b32_e32 v3, 4, v17
	global_load_b128 v[17:20], v3, s[34:35]
	s_waitcnt vmcnt(0)
	v_cmp_neq_f64_e64 s3, 0, v[17:18]
	v_cmp_neq_f64_e64 s4, 0, v[19:20]
	s_delay_alu instid0(VALU_DEP_1) | instskip(NEXT) | instid1(SALU_CYCLE_1)
	s_or_b32 s3, s3, s4
	v_cndmask_b32_e64 v3, 0, 1, s3
.LBB524_541:
	s_or_b32 exec_lo, exec_lo, s5
	v_or_b32_e32 v17, 0x180, v0
	s_delay_alu instid0(VALU_DEP_1) | instskip(NEXT) | instid1(VALU_DEP_1)
	v_cmp_gt_u32_e64 s3, s18, v17
	s_and_saveexec_b32 s6, s3
	s_cbranch_execz .LBB524_543
; %bb.542:
	v_lshlrev_b32_e32 v4, 4, v17
	global_load_b128 v[17:20], v4, s[34:35]
	s_waitcnt vmcnt(0)
	v_cmp_neq_f64_e64 s4, 0, v[17:18]
	v_cmp_neq_f64_e64 s5, 0, v[19:20]
	s_delay_alu instid0(VALU_DEP_1) | instskip(NEXT) | instid1(SALU_CYCLE_1)
	s_or_b32 s4, s4, s5
	v_cndmask_b32_e64 v4, 0, 1, s4
.LBB524_543:
	;; [unrolled: 16-line block ×14, first 2 shown]
	s_or_b32 exec_lo, exec_lo, s19
	v_cndmask_b32_e32 v2, 0, v2, vcc_lo
	v_cndmask_b32_e64 v3, 0, v3, s2
	v_cndmask_b32_e64 v4, 0, v4, s3
	s_min_u32 s2, s18, 0x80
	s_mov_b32 s3, exec_lo
	v_add_nc_u32_e32 v1, v2, v1
	v_cndmask_b32_e64 v2, 0, v5, s4
	v_cndmask_b32_e64 v5, 0, v6, s5
	;; [unrolled: 1-line block ×3, first 2 shown]
	s_delay_alu instid0(VALU_DEP_4) | instskip(SKIP_3) | instid1(VALU_DEP_4)
	v_add3_u32 v1, v1, v3, v4
	v_cndmask_b32_e64 v3, 0, v7, s6
	v_cndmask_b32_e64 v4, 0, v8, s7
	;; [unrolled: 1-line block ×3, first 2 shown]
	v_add3_u32 v1, v1, v2, v5
	v_cndmask_b32_e64 v2, 0, v9, s8
	v_cndmask_b32_e64 v5, 0, v10, s9
	s_delay_alu instid0(VALU_DEP_3) | instskip(SKIP_2) | instid1(VALU_DEP_3)
	v_add3_u32 v1, v1, v3, v4
	v_cndmask_b32_e64 v3, 0, v11, s10
	v_cndmask_b32_e64 v4, 0, v12, s11
	v_add3_u32 v1, v1, v2, v5
	v_mbcnt_lo_u32_b32 v2, -1, 0
	v_cndmask_b32_e64 v5, 0, v13, s12
	s_delay_alu instid0(VALU_DEP_3) | instskip(NEXT) | instid1(VALU_DEP_3)
	v_add3_u32 v1, v1, v3, v4
	v_cmp_ne_u32_e32 vcc_lo, 31, v2
	v_cndmask_b32_e64 v3, 0, v16, s15
	s_delay_alu instid0(VALU_DEP_3) | instskip(SKIP_3) | instid1(VALU_DEP_4)
	v_add3_u32 v1, v1, v5, v6
	v_add_co_ci_u32_e32 v4, vcc_lo, 0, v2, vcc_lo
	v_cmp_gt_u32_e32 vcc_lo, 30, v2
	v_add_nc_u32_e32 v6, 1, v2
	v_add3_u32 v1, v1, v7, v3
	s_delay_alu instid0(VALU_DEP_4) | instskip(SKIP_4) | instid1(VALU_DEP_2)
	v_lshlrev_b32_e32 v4, 2, v4
	v_cndmask_b32_e64 v5, 0, 1, vcc_lo
	ds_bpermute_b32 v3, v4, v1
	v_and_b32_e32 v4, 0x60, v0
	v_lshlrev_b32_e32 v5, 1, v5
	v_sub_nc_u32_e64 v4, s2, v4 clamp
	s_delay_alu instid0(VALU_DEP_2) | instskip(NEXT) | instid1(VALU_DEP_2)
	v_add_lshl_u32 v5, v5, v2, 2
	v_cmp_lt_u32_e32 vcc_lo, v6, v4
	s_waitcnt lgkmcnt(0)
	v_dual_cndmask_b32 v3, 0, v3 :: v_dual_add_nc_u32 v6, 2, v2
	v_cmp_gt_u32_e32 vcc_lo, 28, v2
	s_delay_alu instid0(VALU_DEP_2) | instskip(SKIP_4) | instid1(VALU_DEP_3)
	v_add_nc_u32_e32 v1, v1, v3
	ds_bpermute_b32 v3, v5, v1
	v_cndmask_b32_e64 v5, 0, 1, vcc_lo
	v_cmp_lt_u32_e32 vcc_lo, v6, v4
	v_add_nc_u32_e32 v6, 4, v2
	v_lshlrev_b32_e32 v5, 2, v5
	s_delay_alu instid0(VALU_DEP_1) | instskip(SKIP_3) | instid1(VALU_DEP_2)
	v_add_lshl_u32 v5, v5, v2, 2
	s_waitcnt lgkmcnt(0)
	v_cndmask_b32_e32 v3, 0, v3, vcc_lo
	v_cmp_gt_u32_e32 vcc_lo, 24, v2
	v_add_nc_u32_e32 v1, v1, v3
	ds_bpermute_b32 v3, v5, v1
	v_cndmask_b32_e64 v5, 0, 1, vcc_lo
	v_cmp_lt_u32_e32 vcc_lo, v6, v4
	v_add_nc_u32_e32 v6, 8, v2
	s_delay_alu instid0(VALU_DEP_3) | instskip(NEXT) | instid1(VALU_DEP_1)
	v_lshlrev_b32_e32 v5, 3, v5
	v_add_lshl_u32 v5, v5, v2, 2
	s_waitcnt lgkmcnt(0)
	v_cndmask_b32_e32 v3, 0, v3, vcc_lo
	v_cmp_gt_u32_e32 vcc_lo, 16, v2
	s_delay_alu instid0(VALU_DEP_2) | instskip(SKIP_3) | instid1(VALU_DEP_2)
	v_add_nc_u32_e32 v1, v1, v3
	ds_bpermute_b32 v3, v5, v1
	v_cndmask_b32_e64 v5, 0, 1, vcc_lo
	v_cmp_lt_u32_e32 vcc_lo, v6, v4
	v_lshlrev_b32_e32 v5, 4, v5
	s_delay_alu instid0(VALU_DEP_1) | instskip(SKIP_2) | instid1(VALU_DEP_1)
	v_add_lshl_u32 v5, v5, v2, 2
	s_waitcnt lgkmcnt(0)
	v_cndmask_b32_e32 v3, 0, v3, vcc_lo
	v_add_nc_u32_e32 v1, v1, v3
	ds_bpermute_b32 v3, v5, v1
	v_add_nc_u32_e32 v5, 16, v2
	s_delay_alu instid0(VALU_DEP_1) | instskip(SKIP_2) | instid1(VALU_DEP_1)
	v_cmp_lt_u32_e32 vcc_lo, v5, v4
	s_waitcnt lgkmcnt(0)
	v_cndmask_b32_e32 v3, 0, v3, vcc_lo
	v_add_nc_u32_e32 v1, v1, v3
	v_cmpx_eq_u32_e32 0, v2
	s_cbranch_execz .LBB524_569
; %bb.568:
	v_lshrrev_b32_e32 v3, 3, v0
	s_delay_alu instid0(VALU_DEP_1)
	v_and_b32_e32 v3, 12, v3
	ds_store_b32 v3, v1 offset:128
.LBB524_569:
	s_or_b32 exec_lo, exec_lo, s3
	s_delay_alu instid0(SALU_CYCLE_1)
	s_mov_b32 s3, exec_lo
	s_waitcnt lgkmcnt(0)
	s_barrier
	buffer_gl0_inv
	v_cmpx_gt_u32_e32 4, v0
	s_cbranch_execz .LBB524_571
; %bb.570:
	v_and_b32_e32 v3, 3, v2
	s_add_i32 s2, s2, 31
	s_delay_alu instid0(SALU_CYCLE_1) | instskip(NEXT) | instid1(VALU_DEP_1)
	s_lshr_b32 s2, s2, 5
	v_cmp_ne_u32_e32 vcc_lo, 3, v3
	v_add_nc_u32_e32 v5, 1, v3
	v_add_co_ci_u32_e32 v4, vcc_lo, 0, v2, vcc_lo
	v_cmp_gt_u32_e32 vcc_lo, 2, v3
	v_add_nc_u32_e32 v3, 2, v3
	s_delay_alu instid0(VALU_DEP_3) | instskip(SKIP_3) | instid1(VALU_DEP_3)
	v_lshlrev_b32_e32 v4, 2, v4
	v_cndmask_b32_e64 v6, 0, 1, vcc_lo
	v_cmp_gt_u32_e32 vcc_lo, s2, v5
	v_lshlrev_b32_e32 v1, 2, v2
	v_lshlrev_b32_e32 v5, 1, v6
	ds_load_b32 v1, v1 offset:128
	v_add_lshl_u32 v2, v5, v2, 2
	s_waitcnt lgkmcnt(0)
	ds_bpermute_b32 v4, v4, v1
	s_waitcnt lgkmcnt(0)
	v_cndmask_b32_e32 v4, 0, v4, vcc_lo
	v_cmp_gt_u32_e32 vcc_lo, s2, v3
	s_delay_alu instid0(VALU_DEP_2) | instskip(SKIP_3) | instid1(VALU_DEP_1)
	v_add_nc_u32_e32 v1, v4, v1
	ds_bpermute_b32 v2, v2, v1
	s_waitcnt lgkmcnt(0)
	v_cndmask_b32_e32 v2, 0, v2, vcc_lo
	v_add_nc_u32_e32 v1, v1, v2
.LBB524_571:
	s_or_b32 exec_lo, exec_lo, s3
.LBB524_572:
	v_cmp_eq_u32_e64 s2, 0, v0
	s_branch .LBB524_623
.LBB524_573:
	s_mov_b32 s2, -1
                                        ; implicit-def: $vgpr1
.LBB524_574:
	s_delay_alu instid0(SALU_CYCLE_1)
	s_and_b32 vcc_lo, exec_lo, s2
	s_cbranch_vccz .LBB524_596
; %bb.575:
	s_sub_i32 s10, s56, s20
	s_mov_b32 s3, exec_lo
                                        ; implicit-def: $vgpr1_vgpr2_vgpr3_vgpr4_vgpr5_vgpr6_vgpr7_vgpr8
	v_cmpx_gt_u32_e64 s10, v0
	s_cbranch_execz .LBB524_577
; %bb.576:
	v_lshlrev_b32_e32 v1, 4, v0
	global_load_b128 v[1:4], v1, s[18:19]
	s_waitcnt vmcnt(0)
	v_cmp_neq_f64_e32 vcc_lo, 0, v[1:2]
	v_cmp_neq_f64_e64 s2, 0, v[3:4]
	s_delay_alu instid0(VALU_DEP_1) | instskip(NEXT) | instid1(SALU_CYCLE_1)
	s_or_b32 s2, vcc_lo, s2
	v_cndmask_b32_e64 v1, 0, 1, s2
.LBB524_577:
	s_or_b32 exec_lo, exec_lo, s3
	v_or_b32_e32 v9, 0x80, v0
	s_delay_alu instid0(VALU_DEP_1)
	v_cmp_gt_u32_e32 vcc_lo, s10, v9
	s_and_saveexec_b32 s4, vcc_lo
	s_cbranch_execz .LBB524_579
; %bb.578:
	v_lshlrev_b32_e32 v2, 4, v0
	global_load_b128 v[9:12], v2, s[18:19] offset:2048
	s_waitcnt vmcnt(0)
	v_cmp_neq_f64_e64 s2, 0, v[9:10]
	v_cmp_neq_f64_e64 s3, 0, v[11:12]
	s_delay_alu instid0(VALU_DEP_1) | instskip(NEXT) | instid1(SALU_CYCLE_1)
	s_or_b32 s2, s2, s3
	v_cndmask_b32_e64 v2, 0, 1, s2
.LBB524_579:
	s_or_b32 exec_lo, exec_lo, s4
	v_or_b32_e32 v9, 0x100, v0
	s_delay_alu instid0(VALU_DEP_1) | instskip(NEXT) | instid1(VALU_DEP_1)
	v_cmp_gt_u32_e64 s2, s10, v9
	s_and_saveexec_b32 s5, s2
	s_cbranch_execz .LBB524_581
; %bb.580:
	v_lshlrev_b32_e32 v3, 4, v9
	global_load_b128 v[9:12], v3, s[18:19]
	s_waitcnt vmcnt(0)
	v_cmp_neq_f64_e64 s3, 0, v[9:10]
	v_cmp_neq_f64_e64 s4, 0, v[11:12]
	s_delay_alu instid0(VALU_DEP_1) | instskip(NEXT) | instid1(SALU_CYCLE_1)
	s_or_b32 s3, s3, s4
	v_cndmask_b32_e64 v3, 0, 1, s3
.LBB524_581:
	s_or_b32 exec_lo, exec_lo, s5
	v_or_b32_e32 v9, 0x180, v0
	s_delay_alu instid0(VALU_DEP_1) | instskip(NEXT) | instid1(VALU_DEP_1)
	v_cmp_gt_u32_e64 s3, s10, v9
	s_and_saveexec_b32 s6, s3
	s_cbranch_execz .LBB524_583
; %bb.582:
	v_lshlrev_b32_e32 v4, 4, v9
	global_load_b128 v[9:12], v4, s[18:19]
	s_waitcnt vmcnt(0)
	v_cmp_neq_f64_e64 s4, 0, v[9:10]
	v_cmp_neq_f64_e64 s5, 0, v[11:12]
	s_delay_alu instid0(VALU_DEP_1) | instskip(NEXT) | instid1(SALU_CYCLE_1)
	s_or_b32 s4, s4, s5
	v_cndmask_b32_e64 v4, 0, 1, s4
.LBB524_583:
	;; [unrolled: 16-line block ×6, first 2 shown]
	s_or_b32 exec_lo, exec_lo, s11
	v_cndmask_b32_e32 v2, 0, v2, vcc_lo
	v_cndmask_b32_e64 v3, 0, v3, s2
	v_cndmask_b32_e64 v4, 0, v4, s3
	;; [unrolled: 1-line block ×4, first 2 shown]
	v_add_nc_u32_e32 v1, v2, v1
	v_mbcnt_lo_u32_b32 v2, -1, 0
	v_cndmask_b32_e64 v7, 0, v7, s6
	s_min_u32 s2, s10, 0x80
	s_mov_b32 s3, exec_lo
	v_add3_u32 v1, v1, v3, v4
	v_cmp_ne_u32_e32 vcc_lo, 31, v2
	v_cndmask_b32_e64 v3, 0, v8, s7
	s_delay_alu instid0(VALU_DEP_3) | instskip(SKIP_3) | instid1(VALU_DEP_4)
	v_add3_u32 v1, v1, v5, v6
	v_add_co_ci_u32_e32 v4, vcc_lo, 0, v2, vcc_lo
	v_cmp_gt_u32_e32 vcc_lo, 30, v2
	v_add_nc_u32_e32 v6, 1, v2
	v_add3_u32 v1, v1, v7, v3
	s_delay_alu instid0(VALU_DEP_4) | instskip(SKIP_4) | instid1(VALU_DEP_2)
	v_lshlrev_b32_e32 v4, 2, v4
	v_cndmask_b32_e64 v5, 0, 1, vcc_lo
	ds_bpermute_b32 v3, v4, v1
	v_and_b32_e32 v4, 0x60, v0
	v_lshlrev_b32_e32 v5, 1, v5
	v_sub_nc_u32_e64 v4, s2, v4 clamp
	s_delay_alu instid0(VALU_DEP_2) | instskip(NEXT) | instid1(VALU_DEP_2)
	v_add_lshl_u32 v5, v5, v2, 2
	v_cmp_lt_u32_e32 vcc_lo, v6, v4
	s_waitcnt lgkmcnt(0)
	v_dual_cndmask_b32 v3, 0, v3 :: v_dual_add_nc_u32 v6, 2, v2
	v_cmp_gt_u32_e32 vcc_lo, 28, v2
	s_delay_alu instid0(VALU_DEP_2) | instskip(SKIP_4) | instid1(VALU_DEP_3)
	v_add_nc_u32_e32 v1, v1, v3
	ds_bpermute_b32 v3, v5, v1
	v_cndmask_b32_e64 v5, 0, 1, vcc_lo
	v_cmp_lt_u32_e32 vcc_lo, v6, v4
	v_add_nc_u32_e32 v6, 4, v2
	v_lshlrev_b32_e32 v5, 2, v5
	s_delay_alu instid0(VALU_DEP_1) | instskip(SKIP_3) | instid1(VALU_DEP_2)
	v_add_lshl_u32 v5, v5, v2, 2
	s_waitcnt lgkmcnt(0)
	v_cndmask_b32_e32 v3, 0, v3, vcc_lo
	v_cmp_gt_u32_e32 vcc_lo, 24, v2
	v_add_nc_u32_e32 v1, v1, v3
	ds_bpermute_b32 v3, v5, v1
	v_cndmask_b32_e64 v5, 0, 1, vcc_lo
	v_cmp_lt_u32_e32 vcc_lo, v6, v4
	v_add_nc_u32_e32 v6, 8, v2
	s_delay_alu instid0(VALU_DEP_3) | instskip(NEXT) | instid1(VALU_DEP_1)
	v_lshlrev_b32_e32 v5, 3, v5
	v_add_lshl_u32 v5, v5, v2, 2
	s_waitcnt lgkmcnt(0)
	v_cndmask_b32_e32 v3, 0, v3, vcc_lo
	v_cmp_gt_u32_e32 vcc_lo, 16, v2
	s_delay_alu instid0(VALU_DEP_2) | instskip(SKIP_3) | instid1(VALU_DEP_2)
	v_add_nc_u32_e32 v1, v1, v3
	ds_bpermute_b32 v3, v5, v1
	v_cndmask_b32_e64 v5, 0, 1, vcc_lo
	v_cmp_lt_u32_e32 vcc_lo, v6, v4
	v_lshlrev_b32_e32 v5, 4, v5
	s_delay_alu instid0(VALU_DEP_1) | instskip(SKIP_2) | instid1(VALU_DEP_1)
	v_add_lshl_u32 v5, v5, v2, 2
	s_waitcnt lgkmcnt(0)
	v_cndmask_b32_e32 v3, 0, v3, vcc_lo
	v_add_nc_u32_e32 v1, v1, v3
	ds_bpermute_b32 v3, v5, v1
	v_add_nc_u32_e32 v5, 16, v2
	s_delay_alu instid0(VALU_DEP_1) | instskip(SKIP_2) | instid1(VALU_DEP_1)
	v_cmp_lt_u32_e32 vcc_lo, v5, v4
	s_waitcnt lgkmcnt(0)
	v_cndmask_b32_e32 v3, 0, v3, vcc_lo
	v_add_nc_u32_e32 v1, v1, v3
	v_cmpx_eq_u32_e32 0, v2
	s_cbranch_execz .LBB524_593
; %bb.592:
	v_lshrrev_b32_e32 v3, 3, v0
	s_delay_alu instid0(VALU_DEP_1)
	v_and_b32_e32 v3, 12, v3
	ds_store_b32 v3, v1 offset:128
.LBB524_593:
	s_or_b32 exec_lo, exec_lo, s3
	s_delay_alu instid0(SALU_CYCLE_1)
	s_mov_b32 s3, exec_lo
	s_waitcnt lgkmcnt(0)
	s_barrier
	buffer_gl0_inv
	v_cmpx_gt_u32_e32 4, v0
	s_cbranch_execz .LBB524_595
; %bb.594:
	v_and_b32_e32 v3, 3, v2
	s_add_i32 s2, s2, 31
	s_delay_alu instid0(SALU_CYCLE_1) | instskip(NEXT) | instid1(VALU_DEP_1)
	s_lshr_b32 s2, s2, 5
	v_cmp_ne_u32_e32 vcc_lo, 3, v3
	v_add_nc_u32_e32 v5, 1, v3
	v_add_co_ci_u32_e32 v4, vcc_lo, 0, v2, vcc_lo
	v_cmp_gt_u32_e32 vcc_lo, 2, v3
	v_add_nc_u32_e32 v3, 2, v3
	s_delay_alu instid0(VALU_DEP_3) | instskip(SKIP_3) | instid1(VALU_DEP_3)
	v_lshlrev_b32_e32 v4, 2, v4
	v_cndmask_b32_e64 v6, 0, 1, vcc_lo
	v_cmp_gt_u32_e32 vcc_lo, s2, v5
	v_lshlrev_b32_e32 v1, 2, v2
	v_lshlrev_b32_e32 v5, 1, v6
	ds_load_b32 v1, v1 offset:128
	v_add_lshl_u32 v2, v5, v2, 2
	s_waitcnt lgkmcnt(0)
	ds_bpermute_b32 v4, v4, v1
	s_waitcnt lgkmcnt(0)
	v_cndmask_b32_e32 v4, 0, v4, vcc_lo
	v_cmp_gt_u32_e32 vcc_lo, s2, v3
	s_delay_alu instid0(VALU_DEP_2) | instskip(SKIP_3) | instid1(VALU_DEP_1)
	v_add_nc_u32_e32 v1, v4, v1
	ds_bpermute_b32 v2, v2, v1
	s_waitcnt lgkmcnt(0)
	v_cndmask_b32_e32 v2, 0, v2, vcc_lo
	v_add_nc_u32_e32 v1, v1, v2
.LBB524_595:
	s_or_b32 exec_lo, exec_lo, s3
.LBB524_596:
	v_cmp_eq_u32_e64 s2, 0, v0
.LBB524_597:
	s_branch .LBB524_623
.LBB524_598:
	s_mov_b32 s2, -1
                                        ; implicit-def: $vgpr1
.LBB524_599:
	s_delay_alu instid0(SALU_CYCLE_1)
	s_and_b32 vcc_lo, exec_lo, s2
	s_cbranch_vccz .LBB524_613
; %bb.600:
	s_sub_i32 s6, s56, s12
	s_mov_b32 s3, exec_lo
                                        ; implicit-def: $vgpr1_vgpr2_vgpr3_vgpr4
	v_cmpx_gt_u32_e64 s6, v0
	s_cbranch_execz .LBB524_602
; %bb.601:
	v_lshlrev_b32_e32 v1, 4, v0
	global_load_b128 v[1:4], v1, s[10:11]
	s_waitcnt vmcnt(0)
	v_cmp_neq_f64_e32 vcc_lo, 0, v[1:2]
	v_cmp_neq_f64_e64 s2, 0, v[3:4]
	s_delay_alu instid0(VALU_DEP_1) | instskip(NEXT) | instid1(SALU_CYCLE_1)
	s_or_b32 s2, vcc_lo, s2
	v_cndmask_b32_e64 v1, 0, 1, s2
.LBB524_602:
	s_or_b32 exec_lo, exec_lo, s3
	v_or_b32_e32 v5, 0x80, v0
	s_delay_alu instid0(VALU_DEP_1)
	v_cmp_gt_u32_e32 vcc_lo, s6, v5
	s_and_saveexec_b32 s4, vcc_lo
	s_cbranch_execz .LBB524_604
; %bb.603:
	v_lshlrev_b32_e32 v2, 4, v0
	global_load_b128 v[5:8], v2, s[10:11] offset:2048
	s_waitcnt vmcnt(0)
	v_cmp_neq_f64_e64 s2, 0, v[5:6]
	v_cmp_neq_f64_e64 s3, 0, v[7:8]
	s_delay_alu instid0(VALU_DEP_1) | instskip(NEXT) | instid1(SALU_CYCLE_1)
	s_or_b32 s2, s2, s3
	v_cndmask_b32_e64 v2, 0, 1, s2
.LBB524_604:
	s_or_b32 exec_lo, exec_lo, s4
	v_or_b32_e32 v5, 0x100, v0
	s_delay_alu instid0(VALU_DEP_1) | instskip(NEXT) | instid1(VALU_DEP_1)
	v_cmp_gt_u32_e64 s2, s6, v5
	s_and_saveexec_b32 s5, s2
	s_cbranch_execz .LBB524_606
; %bb.605:
	v_lshlrev_b32_e32 v3, 4, v5
	global_load_b128 v[5:8], v3, s[10:11]
	s_waitcnt vmcnt(0)
	v_cmp_neq_f64_e64 s3, 0, v[5:6]
	v_cmp_neq_f64_e64 s4, 0, v[7:8]
	s_delay_alu instid0(VALU_DEP_1) | instskip(NEXT) | instid1(SALU_CYCLE_1)
	s_or_b32 s3, s3, s4
	v_cndmask_b32_e64 v3, 0, 1, s3
.LBB524_606:
	s_or_b32 exec_lo, exec_lo, s5
	v_or_b32_e32 v5, 0x180, v0
	s_delay_alu instid0(VALU_DEP_1) | instskip(NEXT) | instid1(VALU_DEP_1)
	v_cmp_gt_u32_e64 s3, s6, v5
	s_and_saveexec_b32 s7, s3
	s_cbranch_execz .LBB524_608
; %bb.607:
	v_lshlrev_b32_e32 v4, 4, v5
	global_load_b128 v[4:7], v4, s[10:11]
	s_waitcnt vmcnt(0)
	v_cmp_neq_f64_e64 s4, 0, v[4:5]
	v_cmp_neq_f64_e64 s5, 0, v[6:7]
	s_delay_alu instid0(VALU_DEP_1) | instskip(NEXT) | instid1(SALU_CYCLE_1)
	s_or_b32 s4, s4, s5
	v_cndmask_b32_e64 v4, 0, 1, s4
.LBB524_608:
	s_or_b32 exec_lo, exec_lo, s7
	v_cndmask_b32_e32 v5, 0, v2, vcc_lo
	v_mbcnt_lo_u32_b32 v2, -1, 0
	v_cndmask_b32_e64 v3, 0, v3, s2
	v_cndmask_b32_e64 v4, 0, v4, s3
	s_min_u32 s2, s6, 0x80
	v_add_nc_u32_e32 v1, v5, v1
	v_cmp_ne_u32_e32 vcc_lo, 31, v2
	s_mov_b32 s3, exec_lo
	s_delay_alu instid0(VALU_DEP_2) | instskip(SKIP_3) | instid1(VALU_DEP_3)
	v_add3_u32 v1, v1, v3, v4
	v_and_b32_e32 v4, 0x60, v0
	v_add_co_ci_u32_e32 v5, vcc_lo, 0, v2, vcc_lo
	v_cmp_gt_u32_e32 vcc_lo, 30, v2
	v_sub_nc_u32_e64 v4, s2, v4 clamp
	s_delay_alu instid0(VALU_DEP_3) | instskip(SKIP_4) | instid1(VALU_DEP_2)
	v_lshlrev_b32_e32 v3, 2, v5
	v_cndmask_b32_e64 v5, 0, 1, vcc_lo
	ds_bpermute_b32 v3, v3, v1
	v_add_nc_u32_e32 v6, 1, v2
	v_lshlrev_b32_e32 v5, 1, v5
	v_cmp_lt_u32_e32 vcc_lo, v6, v4
	s_delay_alu instid0(VALU_DEP_2) | instskip(SKIP_3) | instid1(VALU_DEP_2)
	v_add_lshl_u32 v5, v5, v2, 2
	s_waitcnt lgkmcnt(0)
	v_cndmask_b32_e32 v3, 0, v3, vcc_lo
	v_cmp_gt_u32_e32 vcc_lo, 28, v2
	v_add_nc_u32_e32 v1, v3, v1
	ds_bpermute_b32 v3, v5, v1
	v_add_nc_u32_e32 v6, 2, v2
	v_cndmask_b32_e64 v5, 0, 1, vcc_lo
	s_delay_alu instid0(VALU_DEP_2) | instskip(NEXT) | instid1(VALU_DEP_2)
	v_cmp_lt_u32_e32 vcc_lo, v6, v4
	v_lshlrev_b32_e32 v5, 2, v5
	s_delay_alu instid0(VALU_DEP_1) | instskip(SKIP_3) | instid1(VALU_DEP_2)
	v_add_lshl_u32 v5, v5, v2, 2
	s_waitcnt lgkmcnt(0)
	v_cndmask_b32_e32 v3, 0, v3, vcc_lo
	v_cmp_gt_u32_e32 vcc_lo, 24, v2
	v_add_nc_u32_e32 v1, v1, v3
	ds_bpermute_b32 v3, v5, v1
	v_add_nc_u32_e32 v6, 4, v2
	v_cndmask_b32_e64 v5, 0, 1, vcc_lo
	s_delay_alu instid0(VALU_DEP_2) | instskip(NEXT) | instid1(VALU_DEP_2)
	v_cmp_lt_u32_e32 vcc_lo, v6, v4
	v_lshlrev_b32_e32 v5, 3, v5
	s_delay_alu instid0(VALU_DEP_1) | instskip(SKIP_3) | instid1(VALU_DEP_2)
	v_add_lshl_u32 v5, v5, v2, 2
	s_waitcnt lgkmcnt(0)
	v_cndmask_b32_e32 v3, 0, v3, vcc_lo
	v_cmp_gt_u32_e32 vcc_lo, 16, v2
	v_add_nc_u32_e32 v1, v1, v3
	ds_bpermute_b32 v3, v5, v1
	v_add_nc_u32_e32 v6, 8, v2
	v_cndmask_b32_e64 v5, 0, 1, vcc_lo
	s_delay_alu instid0(VALU_DEP_2) | instskip(NEXT) | instid1(VALU_DEP_2)
	v_cmp_lt_u32_e32 vcc_lo, v6, v4
	v_lshlrev_b32_e32 v5, 4, v5
	s_delay_alu instid0(VALU_DEP_1) | instskip(SKIP_2) | instid1(VALU_DEP_1)
	v_add_lshl_u32 v5, v5, v2, 2
	s_waitcnt lgkmcnt(0)
	v_cndmask_b32_e32 v3, 0, v3, vcc_lo
	v_add_nc_u32_e32 v1, v1, v3
	ds_bpermute_b32 v3, v5, v1
	v_add_nc_u32_e32 v5, 16, v2
	s_delay_alu instid0(VALU_DEP_1) | instskip(SKIP_2) | instid1(VALU_DEP_1)
	v_cmp_lt_u32_e32 vcc_lo, v5, v4
	s_waitcnt lgkmcnt(0)
	v_cndmask_b32_e32 v3, 0, v3, vcc_lo
	v_add_nc_u32_e32 v1, v1, v3
	v_cmpx_eq_u32_e32 0, v2
	s_cbranch_execz .LBB524_610
; %bb.609:
	v_lshrrev_b32_e32 v3, 3, v0
	s_delay_alu instid0(VALU_DEP_1)
	v_and_b32_e32 v3, 12, v3
	ds_store_b32 v3, v1 offset:128
.LBB524_610:
	s_or_b32 exec_lo, exec_lo, s3
	s_delay_alu instid0(SALU_CYCLE_1)
	s_mov_b32 s3, exec_lo
	s_waitcnt lgkmcnt(0)
	s_barrier
	buffer_gl0_inv
	v_cmpx_gt_u32_e32 4, v0
	s_cbranch_execz .LBB524_612
; %bb.611:
	v_and_b32_e32 v3, 3, v2
	s_add_i32 s2, s2, 31
	s_delay_alu instid0(SALU_CYCLE_1) | instskip(NEXT) | instid1(VALU_DEP_1)
	s_lshr_b32 s2, s2, 5
	v_cmp_ne_u32_e32 vcc_lo, 3, v3
	v_add_nc_u32_e32 v5, 1, v3
	v_add_co_ci_u32_e32 v4, vcc_lo, 0, v2, vcc_lo
	v_cmp_gt_u32_e32 vcc_lo, 2, v3
	v_add_nc_u32_e32 v3, 2, v3
	s_delay_alu instid0(VALU_DEP_3) | instskip(SKIP_3) | instid1(VALU_DEP_3)
	v_lshlrev_b32_e32 v4, 2, v4
	v_cndmask_b32_e64 v6, 0, 1, vcc_lo
	v_cmp_gt_u32_e32 vcc_lo, s2, v5
	v_lshlrev_b32_e32 v1, 2, v2
	v_lshlrev_b32_e32 v5, 1, v6
	ds_load_b32 v1, v1 offset:128
	v_add_lshl_u32 v2, v5, v2, 2
	s_waitcnt lgkmcnt(0)
	ds_bpermute_b32 v4, v4, v1
	s_waitcnt lgkmcnt(0)
	v_cndmask_b32_e32 v4, 0, v4, vcc_lo
	v_cmp_gt_u32_e32 vcc_lo, s2, v3
	s_delay_alu instid0(VALU_DEP_2) | instskip(SKIP_3) | instid1(VALU_DEP_1)
	v_add_nc_u32_e32 v1, v4, v1
	ds_bpermute_b32 v2, v2, v1
	s_waitcnt lgkmcnt(0)
	v_cndmask_b32_e32 v2, 0, v2, vcc_lo
	v_add_nc_u32_e32 v1, v1, v2
.LBB524_612:
	s_or_b32 exec_lo, exec_lo, s3
.LBB524_613:
	v_cmp_eq_u32_e64 s2, 0, v0
	s_branch .LBB524_623
.LBB524_614:
	s_cmp_gt_i32 s104, 1
	s_cbranch_scc0 .LBB524_622
; %bb.615:
	s_cmp_eq_u32 s104, 2
	s_cbranch_scc0 .LBB524_626
; %bb.616:
	s_mov_b32 s103, 0
	s_lshl_b32 s8, s102, 8
	s_mov_b32 s9, s103
	s_waitcnt lgkmcnt(0)
	s_lshr_b64 s[4:5], s[56:57], 8
	s_lshl_b64 s[2:3], s[8:9], 4
	s_delay_alu instid0(SALU_CYCLE_1)
	s_add_u32 s6, s98, s2
	s_addc_u32 s7, s99, s3
	s_cmp_lg_u64 s[4:5], s[102:103]
	s_cbranch_scc0 .LBB524_627
; %bb.617:
	v_lshlrev_b32_e32 v5, 4, v0
	s_clause 0x1
	global_load_b128 v[1:4], v5, s[6:7]
	global_load_b128 v[5:8], v5, s[6:7] offset:2048
	s_waitcnt vmcnt(1)
	v_cmp_neq_f64_e32 vcc_lo, 0, v[1:2]
	v_cmp_neq_f64_e64 s2, 0, v[3:4]
	s_waitcnt vmcnt(0)
	v_cmp_neq_f64_e64 s3, 0, v[5:6]
	v_cmp_neq_f64_e64 s4, 0, v[7:8]
	s_delay_alu instid0(VALU_DEP_3) | instskip(NEXT) | instid1(SALU_CYCLE_1)
	s_or_b32 s2, vcc_lo, s2
	v_cndmask_b32_e64 v1, 0, 1, s2
	s_delay_alu instid0(VALU_DEP_2)
	s_or_b32 vcc_lo, s3, s4
	s_delay_alu instid0(VALU_DEP_1) | instid1(SALU_CYCLE_1)
	v_add_co_ci_u32_e64 v2, s2, 0, v1, vcc_lo
	s_mov_b32 s2, exec_lo
	s_delay_alu instid0(VALU_DEP_1) | instskip(NEXT) | instid1(VALU_DEP_1)
	v_mov_b32_dpp v2, v2 quad_perm:[1,0,3,2] row_mask:0xf bank_mask:0xf
	v_add_co_ci_u32_e32 v1, vcc_lo, v2, v1, vcc_lo
	s_delay_alu instid0(VALU_DEP_1) | instskip(NEXT) | instid1(VALU_DEP_1)
	v_mov_b32_dpp v2, v1 quad_perm:[2,3,0,1] row_mask:0xf bank_mask:0xf
	v_add_nc_u32_e32 v1, v1, v2
	s_delay_alu instid0(VALU_DEP_1) | instskip(NEXT) | instid1(VALU_DEP_1)
	v_mov_b32_dpp v2, v1 row_ror:4 row_mask:0xf bank_mask:0xf
	v_add_nc_u32_e32 v1, v1, v2
	s_delay_alu instid0(VALU_DEP_1) | instskip(NEXT) | instid1(VALU_DEP_1)
	v_mov_b32_dpp v2, v1 row_ror:8 row_mask:0xf bank_mask:0xf
	v_add_nc_u32_e32 v1, v1, v2
	ds_swizzle_b32 v2, v1 offset:swizzle(BROADCAST,32,15)
	s_waitcnt lgkmcnt(0)
	v_dual_mov_b32 v2, 0 :: v_dual_add_nc_u32 v1, v1, v2
	ds_bpermute_b32 v1, v2, v1 offset:124
	v_mbcnt_lo_u32_b32 v2, -1, 0
	s_delay_alu instid0(VALU_DEP_1)
	v_cmpx_eq_u32_e32 0, v2
	s_cbranch_execz .LBB524_619
; %bb.618:
	v_lshrrev_b32_e32 v3, 3, v0
	s_delay_alu instid0(VALU_DEP_1)
	v_and_b32_e32 v3, 12, v3
	s_waitcnt lgkmcnt(0)
	ds_store_b32 v3, v1 offset:48
.LBB524_619:
	s_or_b32 exec_lo, exec_lo, s2
	s_delay_alu instid0(SALU_CYCLE_1)
	s_mov_b32 s2, exec_lo
	s_waitcnt lgkmcnt(0)
	s_barrier
	buffer_gl0_inv
	v_cmpx_gt_u32_e32 32, v0
	s_cbranch_execz .LBB524_621
; %bb.620:
	v_and_b32_e32 v1, 3, v2
	s_delay_alu instid0(VALU_DEP_1) | instskip(SKIP_4) | instid1(VALU_DEP_2)
	v_lshlrev_b32_e32 v3, 2, v1
	v_cmp_ne_u32_e32 vcc_lo, 3, v1
	ds_load_b32 v3, v3 offset:48
	v_add_co_ci_u32_e32 v4, vcc_lo, 0, v2, vcc_lo
	v_cmp_gt_u32_e32 vcc_lo, 2, v1
	v_lshlrev_b32_e32 v4, 2, v4
	v_cndmask_b32_e64 v1, 0, 1, vcc_lo
	s_delay_alu instid0(VALU_DEP_1) | instskip(NEXT) | instid1(VALU_DEP_1)
	v_lshlrev_b32_e32 v1, 1, v1
	v_add_lshl_u32 v1, v1, v2, 2
	s_waitcnt lgkmcnt(0)
	ds_bpermute_b32 v4, v4, v3
	s_waitcnt lgkmcnt(0)
	v_add_nc_u32_e32 v3, v4, v3
	ds_bpermute_b32 v1, v1, v3
	s_waitcnt lgkmcnt(0)
	v_add_nc_u32_e32 v1, v1, v3
.LBB524_621:
	s_or_b32 exec_lo, exec_lo, s2
	s_mov_b32 s2, 0
	s_branch .LBB524_628
.LBB524_622:
                                        ; implicit-def: $vgpr1
	s_cbranch_execnz .LBB524_639
.LBB524_623:
	s_delay_alu instid0(VALU_DEP_1)
	s_and_saveexec_b32 s3, s2
	s_cbranch_execz .LBB524_625
.LBB524_624:
	s_load_b32 s2, s[0:1], 0x28
	s_waitcnt lgkmcnt(0)
	s_cmp_lg_u64 s[56:57], 0
	s_cselect_b32 vcc_lo, -1, 0
	s_lshl_b64 s[0:1], s[102:103], 2
	v_dual_cndmask_b32 v0, 0, v1 :: v_dual_mov_b32 v1, 0
	s_add_u32 s0, s58, s0
	s_addc_u32 s1, s59, s1
	s_delay_alu instid0(VALU_DEP_1)
	v_add_nc_u32_e32 v0, s2, v0
	global_store_b32 v1, v0, s[0:1]
.LBB524_625:
	s_nop 0
	s_sendmsg sendmsg(MSG_DEALLOC_VGPRS)
	s_endpgm
.LBB524_626:
                                        ; implicit-def: $vgpr1
	s_branch .LBB524_623
.LBB524_627:
	s_mov_b32 s2, -1
                                        ; implicit-def: $vgpr1
.LBB524_628:
	s_delay_alu instid0(SALU_CYCLE_1)
	s_and_b32 vcc_lo, exec_lo, s2
	s_cbranch_vccz .LBB524_638
; %bb.629:
	s_sub_i32 s4, s56, s8
	s_mov_b32 s3, exec_lo
                                        ; implicit-def: $vgpr1_vgpr2
	v_cmpx_gt_u32_e64 s4, v0
	s_cbranch_execz .LBB524_631
; %bb.630:
	v_lshlrev_b32_e32 v1, 4, v0
	global_load_b128 v[1:4], v1, s[6:7]
	s_waitcnt vmcnt(0)
	v_cmp_neq_f64_e32 vcc_lo, 0, v[1:2]
	v_cmp_neq_f64_e64 s2, 0, v[3:4]
	s_delay_alu instid0(VALU_DEP_1) | instskip(NEXT) | instid1(SALU_CYCLE_1)
	s_or_b32 s2, vcc_lo, s2
	v_cndmask_b32_e64 v1, 0, 1, s2
.LBB524_631:
	s_or_b32 exec_lo, exec_lo, s3
	v_or_b32_e32 v3, 0x80, v0
	s_delay_alu instid0(VALU_DEP_1)
	v_cmp_gt_u32_e32 vcc_lo, s4, v3
	s_and_saveexec_b32 s5, vcc_lo
	s_cbranch_execz .LBB524_633
; %bb.632:
	v_lshlrev_b32_e32 v2, 4, v0
	global_load_b128 v[2:5], v2, s[6:7] offset:2048
	s_waitcnt vmcnt(0)
	v_cmp_neq_f64_e64 s2, 0, v[2:3]
	v_cmp_neq_f64_e64 s3, 0, v[4:5]
	s_delay_alu instid0(VALU_DEP_1) | instskip(NEXT) | instid1(SALU_CYCLE_1)
	s_or_b32 s2, s2, s3
	v_cndmask_b32_e64 v2, 0, 1, s2
.LBB524_633:
	s_or_b32 exec_lo, exec_lo, s5
	v_mbcnt_lo_u32_b32 v3, -1, 0
	s_delay_alu instid0(VALU_DEP_2) | instskip(SKIP_2) | instid1(VALU_DEP_2)
	v_cndmask_b32_e32 v2, 0, v2, vcc_lo
	s_min_u32 s2, s4, 0x80
	s_mov_b32 s3, exec_lo
	v_cmp_ne_u32_e32 vcc_lo, 31, v3
	v_add_nc_u32_e32 v6, 1, v3
	v_add_co_ci_u32_e32 v4, vcc_lo, 0, v3, vcc_lo
	v_cmp_gt_u32_e32 vcc_lo, 30, v3
	v_cndmask_b32_e64 v5, 0, 1, vcc_lo
	s_delay_alu instid0(VALU_DEP_1) | instskip(SKIP_3) | instid1(VALU_DEP_4)
	v_lshlrev_b32_e32 v5, 1, v5
	v_add_nc_u32_e32 v1, v2, v1
	v_lshlrev_b32_e32 v2, 2, v4
	v_and_b32_e32 v4, 0x60, v0
	v_add_lshl_u32 v5, v5, v3, 2
	ds_bpermute_b32 v2, v2, v1
	v_sub_nc_u32_e64 v4, s2, v4 clamp
	s_delay_alu instid0(VALU_DEP_1) | instskip(SKIP_4) | instid1(VALU_DEP_2)
	v_cmp_lt_u32_e32 vcc_lo, v6, v4
	v_add_nc_u32_e32 v6, 2, v3
	s_waitcnt lgkmcnt(0)
	v_cndmask_b32_e32 v2, 0, v2, vcc_lo
	v_cmp_gt_u32_e32 vcc_lo, 28, v3
	v_add_nc_u32_e32 v1, v2, v1
	ds_bpermute_b32 v2, v5, v1
	v_cndmask_b32_e64 v5, 0, 1, vcc_lo
	v_cmp_lt_u32_e32 vcc_lo, v6, v4
	v_add_nc_u32_e32 v6, 4, v3
	s_delay_alu instid0(VALU_DEP_3) | instskip(NEXT) | instid1(VALU_DEP_1)
	v_lshlrev_b32_e32 v5, 2, v5
	v_add_lshl_u32 v5, v5, v3, 2
	s_waitcnt lgkmcnt(0)
	v_cndmask_b32_e32 v2, 0, v2, vcc_lo
	v_cmp_gt_u32_e32 vcc_lo, 24, v3
	s_delay_alu instid0(VALU_DEP_2) | instskip(SKIP_4) | instid1(VALU_DEP_3)
	v_add_nc_u32_e32 v1, v1, v2
	ds_bpermute_b32 v2, v5, v1
	v_cndmask_b32_e64 v5, 0, 1, vcc_lo
	v_cmp_lt_u32_e32 vcc_lo, v6, v4
	v_add_nc_u32_e32 v6, 8, v3
	v_lshlrev_b32_e32 v5, 3, v5
	s_delay_alu instid0(VALU_DEP_1) | instskip(SKIP_3) | instid1(VALU_DEP_2)
	v_add_lshl_u32 v5, v5, v3, 2
	s_waitcnt lgkmcnt(0)
	v_cndmask_b32_e32 v2, 0, v2, vcc_lo
	v_cmp_gt_u32_e32 vcc_lo, 16, v3
	v_add_nc_u32_e32 v1, v1, v2
	ds_bpermute_b32 v2, v5, v1
	v_cndmask_b32_e64 v5, 0, 1, vcc_lo
	v_cmp_lt_u32_e32 vcc_lo, v6, v4
	s_delay_alu instid0(VALU_DEP_2) | instskip(NEXT) | instid1(VALU_DEP_1)
	v_lshlrev_b32_e32 v5, 4, v5
	v_add_lshl_u32 v5, v5, v3, 2
	s_waitcnt lgkmcnt(0)
	v_cndmask_b32_e32 v2, 0, v2, vcc_lo
	s_delay_alu instid0(VALU_DEP_1) | instskip(SKIP_2) | instid1(VALU_DEP_1)
	v_add_nc_u32_e32 v1, v1, v2
	ds_bpermute_b32 v2, v5, v1
	v_add_nc_u32_e32 v5, 16, v3
	v_cmp_lt_u32_e32 vcc_lo, v5, v4
	s_waitcnt lgkmcnt(0)
	v_cndmask_b32_e32 v2, 0, v2, vcc_lo
	s_delay_alu instid0(VALU_DEP_1)
	v_add_nc_u32_e32 v1, v1, v2
	v_cmpx_eq_u32_e32 0, v3
	s_cbranch_execz .LBB524_635
; %bb.634:
	v_lshrrev_b32_e32 v2, 3, v0
	s_delay_alu instid0(VALU_DEP_1)
	v_and_b32_e32 v2, 12, v2
	ds_store_b32 v2, v1 offset:128
.LBB524_635:
	s_or_b32 exec_lo, exec_lo, s3
	s_delay_alu instid0(SALU_CYCLE_1)
	s_mov_b32 s3, exec_lo
	s_waitcnt lgkmcnt(0)
	s_barrier
	buffer_gl0_inv
	v_cmpx_gt_u32_e32 4, v0
	s_cbranch_execz .LBB524_637
; %bb.636:
	v_and_b32_e32 v2, 3, v3
	s_add_i32 s2, s2, 31
	s_delay_alu instid0(SALU_CYCLE_1) | instskip(NEXT) | instid1(VALU_DEP_1)
	s_lshr_b32 s2, s2, 5
	v_cmp_ne_u32_e32 vcc_lo, 3, v2
	v_add_nc_u32_e32 v5, 1, v2
	v_add_co_ci_u32_e32 v4, vcc_lo, 0, v3, vcc_lo
	v_cmp_gt_u32_e32 vcc_lo, 2, v2
	v_add_nc_u32_e32 v2, 2, v2
	s_delay_alu instid0(VALU_DEP_3) | instskip(SKIP_3) | instid1(VALU_DEP_3)
	v_lshlrev_b32_e32 v4, 2, v4
	v_cndmask_b32_e64 v6, 0, 1, vcc_lo
	v_cmp_gt_u32_e32 vcc_lo, s2, v5
	v_lshlrev_b32_e32 v1, 2, v3
	v_lshlrev_b32_e32 v5, 1, v6
	ds_load_b32 v1, v1 offset:128
	v_add_lshl_u32 v3, v5, v3, 2
	s_waitcnt lgkmcnt(0)
	ds_bpermute_b32 v4, v4, v1
	s_waitcnt lgkmcnt(0)
	v_cndmask_b32_e32 v4, 0, v4, vcc_lo
	v_cmp_gt_u32_e32 vcc_lo, s2, v2
	s_delay_alu instid0(VALU_DEP_2) | instskip(SKIP_3) | instid1(VALU_DEP_1)
	v_add_nc_u32_e32 v1, v4, v1
	ds_bpermute_b32 v3, v3, v1
	s_waitcnt lgkmcnt(0)
	v_cndmask_b32_e32 v2, 0, v3, vcc_lo
	v_add_nc_u32_e32 v1, v1, v2
.LBB524_637:
	s_or_b32 exec_lo, exec_lo, s3
.LBB524_638:
	v_cmp_eq_u32_e64 s2, 0, v0
	s_branch .LBB524_623
.LBB524_639:
	s_cmp_eq_u32 s104, 1
	s_cbranch_scc0 .LBB524_647
; %bb.640:
	s_mov_b32 s5, 0
	v_mbcnt_lo_u32_b32 v2, -1, 0
	s_waitcnt lgkmcnt(0)
	s_lshr_b64 s[2:3], s[56:57], 7
	s_mov_b32 s103, s5
	s_lshl_b32 s4, s102, 7
	s_cmp_lg_u64 s[2:3], s[102:103]
	s_cbranch_scc0 .LBB524_648
; %bb.641:
	s_lshl_b64 s[2:3], s[4:5], 4
	v_lshlrev_b32_e32 v1, 4, v0
	s_add_u32 s2, s98, s2
	s_addc_u32 s3, s99, s3
	global_load_b128 v[3:6], v1, s[2:3]
	s_waitcnt vmcnt(0)
	v_cmp_neq_f64_e32 vcc_lo, 0, v[3:4]
	v_cmp_neq_f64_e64 s2, 0, v[5:6]
	s_delay_alu instid0(VALU_DEP_1) | instskip(NEXT) | instid1(SALU_CYCLE_1)
	s_or_b32 vcc_lo, vcc_lo, s2
	v_cndmask_b32_e64 v1, 0, 1, vcc_lo
	s_delay_alu instid0(VALU_DEP_1) | instskip(NEXT) | instid1(VALU_DEP_1)
	v_mov_b32_dpp v1, v1 quad_perm:[1,0,3,2] row_mask:0xf bank_mask:0xf
	v_add_co_ci_u32_e64 v3, s2, 0, v1, vcc_lo
	s_mov_b32 s2, exec_lo
	s_delay_alu instid0(VALU_DEP_1) | instskip(NEXT) | instid1(VALU_DEP_1)
	v_mov_b32_dpp v3, v3 quad_perm:[2,3,0,1] row_mask:0xf bank_mask:0xf
	v_add_co_ci_u32_e32 v1, vcc_lo, v3, v1, vcc_lo
	s_delay_alu instid0(VALU_DEP_1) | instskip(NEXT) | instid1(VALU_DEP_1)
	v_mov_b32_dpp v3, v1 row_ror:4 row_mask:0xf bank_mask:0xf
	v_add_nc_u32_e32 v1, v1, v3
	s_delay_alu instid0(VALU_DEP_1) | instskip(NEXT) | instid1(VALU_DEP_1)
	v_mov_b32_dpp v3, v1 row_ror:8 row_mask:0xf bank_mask:0xf
	v_add_nc_u32_e32 v1, v1, v3
	ds_swizzle_b32 v3, v1 offset:swizzle(BROADCAST,32,15)
	s_waitcnt lgkmcnt(0)
	v_add_nc_u32_e32 v1, v1, v3
	v_mov_b32_e32 v3, 0
	ds_bpermute_b32 v1, v3, v1 offset:124
	v_cmpx_eq_u32_e32 0, v2
	s_cbranch_execz .LBB524_643
; %bb.642:
	v_lshrrev_b32_e32 v3, 3, v0
	s_delay_alu instid0(VALU_DEP_1)
	v_and_b32_e32 v3, 12, v3
	s_waitcnt lgkmcnt(0)
	ds_store_b32 v3, v1 offset:32
.LBB524_643:
	s_or_b32 exec_lo, exec_lo, s2
	s_delay_alu instid0(SALU_CYCLE_1)
	s_mov_b32 s2, exec_lo
	s_waitcnt lgkmcnt(0)
	s_barrier
	buffer_gl0_inv
	v_cmpx_gt_u32_e32 32, v0
	s_cbranch_execz .LBB524_645
; %bb.644:
	v_and_b32_e32 v1, 3, v2
	s_delay_alu instid0(VALU_DEP_1) | instskip(SKIP_4) | instid1(VALU_DEP_2)
	v_lshlrev_b32_e32 v3, 2, v1
	v_cmp_ne_u32_e32 vcc_lo, 3, v1
	ds_load_b32 v3, v3 offset:32
	v_add_co_ci_u32_e32 v4, vcc_lo, 0, v2, vcc_lo
	v_cmp_gt_u32_e32 vcc_lo, 2, v1
	v_lshlrev_b32_e32 v4, 2, v4
	v_cndmask_b32_e64 v1, 0, 1, vcc_lo
	s_delay_alu instid0(VALU_DEP_1) | instskip(NEXT) | instid1(VALU_DEP_1)
	v_lshlrev_b32_e32 v1, 1, v1
	v_add_lshl_u32 v1, v1, v2, 2
	s_waitcnt lgkmcnt(0)
	ds_bpermute_b32 v4, v4, v3
	s_waitcnt lgkmcnt(0)
	v_add_nc_u32_e32 v3, v4, v3
	ds_bpermute_b32 v1, v1, v3
	s_waitcnt lgkmcnt(0)
	v_add_nc_u32_e32 v1, v1, v3
.LBB524_645:
	s_or_b32 exec_lo, exec_lo, s2
.LBB524_646:
	v_cmp_eq_u32_e64 s2, 0, v0
	s_delay_alu instid0(VALU_DEP_1)
	s_and_saveexec_b32 s3, s2
	s_cbranch_execnz .LBB524_624
	s_branch .LBB524_625
.LBB524_647:
                                        ; implicit-def: $sgpr102_sgpr103
                                        ; implicit-def: $vgpr1
	s_and_saveexec_b32 s3, s2
	s_cbranch_execz .LBB524_625
	s_branch .LBB524_624
.LBB524_648:
                                        ; implicit-def: $vgpr1
	s_cbranch_execz .LBB524_646
; %bb.649:
	s_sub_i32 s3, s56, s4
	s_mov_b32 s6, exec_lo
                                        ; implicit-def: $vgpr1
	v_cmpx_gt_u32_e64 s3, v0
	s_cbranch_execz .LBB524_651
; %bb.650:
	s_lshl_b64 s[4:5], s[4:5], 4
	v_lshlrev_b32_e32 v1, 4, v0
	s_add_u32 s4, s98, s4
	s_addc_u32 s5, s99, s5
	global_load_b128 v[3:6], v1, s[4:5]
	s_waitcnt vmcnt(0)
	v_cmp_neq_f64_e32 vcc_lo, 0, v[3:4]
	v_cmp_neq_f64_e64 s2, 0, v[5:6]
	s_delay_alu instid0(VALU_DEP_1) | instskip(NEXT) | instid1(SALU_CYCLE_1)
	s_or_b32 s2, vcc_lo, s2
	v_cndmask_b32_e64 v1, 0, 1, s2
.LBB524_651:
	s_or_b32 exec_lo, exec_lo, s6
	v_cmp_ne_u32_e32 vcc_lo, 31, v2
	s_min_u32 s2, s3, 0x80
	v_add_nc_u32_e32 v5, 1, v2
	s_mov_b32 s3, exec_lo
	v_add_co_ci_u32_e32 v3, vcc_lo, 0, v2, vcc_lo
	v_cmp_gt_u32_e32 vcc_lo, 30, v2
	s_delay_alu instid0(VALU_DEP_2) | instskip(SKIP_4) | instid1(VALU_DEP_2)
	v_lshlrev_b32_e32 v3, 2, v3
	v_cndmask_b32_e64 v6, 0, 1, vcc_lo
	ds_bpermute_b32 v3, v3, v1
	v_and_b32_e32 v4, 0x60, v0
	v_lshlrev_b32_e32 v6, 1, v6
	v_sub_nc_u32_e64 v4, s2, v4 clamp
	s_delay_alu instid0(VALU_DEP_1) | instskip(NEXT) | instid1(VALU_DEP_3)
	v_cmp_lt_u32_e32 vcc_lo, v5, v4
	v_add_lshl_u32 v5, v6, v2, 2
	s_waitcnt lgkmcnt(0)
	v_dual_cndmask_b32 v3, 0, v3 :: v_dual_add_nc_u32 v6, 2, v2
	v_cmp_gt_u32_e32 vcc_lo, 28, v2
	s_delay_alu instid0(VALU_DEP_2) | instskip(SKIP_4) | instid1(VALU_DEP_3)
	v_add_nc_u32_e32 v1, v3, v1
	ds_bpermute_b32 v3, v5, v1
	v_cndmask_b32_e64 v5, 0, 1, vcc_lo
	v_cmp_lt_u32_e32 vcc_lo, v6, v4
	v_add_nc_u32_e32 v6, 4, v2
	v_lshlrev_b32_e32 v5, 2, v5
	s_delay_alu instid0(VALU_DEP_1) | instskip(SKIP_3) | instid1(VALU_DEP_2)
	v_add_lshl_u32 v5, v5, v2, 2
	s_waitcnt lgkmcnt(0)
	v_cndmask_b32_e32 v3, 0, v3, vcc_lo
	v_cmp_gt_u32_e32 vcc_lo, 24, v2
	v_add_nc_u32_e32 v1, v1, v3
	ds_bpermute_b32 v3, v5, v1
	v_cndmask_b32_e64 v5, 0, 1, vcc_lo
	v_cmp_lt_u32_e32 vcc_lo, v6, v4
	v_add_nc_u32_e32 v6, 8, v2
	s_delay_alu instid0(VALU_DEP_3) | instskip(NEXT) | instid1(VALU_DEP_1)
	v_lshlrev_b32_e32 v5, 3, v5
	v_add_lshl_u32 v5, v5, v2, 2
	s_waitcnt lgkmcnt(0)
	v_cndmask_b32_e32 v3, 0, v3, vcc_lo
	v_cmp_gt_u32_e32 vcc_lo, 16, v2
	s_delay_alu instid0(VALU_DEP_2) | instskip(SKIP_3) | instid1(VALU_DEP_2)
	v_add_nc_u32_e32 v1, v1, v3
	ds_bpermute_b32 v3, v5, v1
	v_cndmask_b32_e64 v5, 0, 1, vcc_lo
	v_cmp_lt_u32_e32 vcc_lo, v6, v4
	v_lshlrev_b32_e32 v5, 4, v5
	s_delay_alu instid0(VALU_DEP_1) | instskip(SKIP_2) | instid1(VALU_DEP_1)
	v_add_lshl_u32 v5, v5, v2, 2
	s_waitcnt lgkmcnt(0)
	v_cndmask_b32_e32 v3, 0, v3, vcc_lo
	v_add_nc_u32_e32 v1, v1, v3
	ds_bpermute_b32 v3, v5, v1
	v_add_nc_u32_e32 v5, 16, v2
	s_delay_alu instid0(VALU_DEP_1) | instskip(SKIP_2) | instid1(VALU_DEP_1)
	v_cmp_lt_u32_e32 vcc_lo, v5, v4
	s_waitcnt lgkmcnt(0)
	v_cndmask_b32_e32 v3, 0, v3, vcc_lo
	v_add_nc_u32_e32 v1, v1, v3
	v_cmpx_eq_u32_e32 0, v2
	s_cbranch_execz .LBB524_653
; %bb.652:
	v_lshrrev_b32_e32 v3, 3, v0
	s_delay_alu instid0(VALU_DEP_1)
	v_and_b32_e32 v3, 12, v3
	ds_store_b32 v3, v1 offset:128
.LBB524_653:
	s_or_b32 exec_lo, exec_lo, s3
	s_delay_alu instid0(SALU_CYCLE_1)
	s_mov_b32 s3, exec_lo
	s_waitcnt lgkmcnt(0)
	s_barrier
	buffer_gl0_inv
	v_cmpx_gt_u32_e32 4, v0
	s_cbranch_execz .LBB524_655
; %bb.654:
	v_and_b32_e32 v3, 3, v2
	s_add_i32 s2, s2, 31
	s_delay_alu instid0(SALU_CYCLE_1) | instskip(NEXT) | instid1(VALU_DEP_1)
	s_lshr_b32 s2, s2, 5
	v_cmp_ne_u32_e32 vcc_lo, 3, v3
	v_add_nc_u32_e32 v5, 1, v3
	v_add_co_ci_u32_e32 v4, vcc_lo, 0, v2, vcc_lo
	v_cmp_gt_u32_e32 vcc_lo, 2, v3
	v_add_nc_u32_e32 v3, 2, v3
	s_delay_alu instid0(VALU_DEP_3) | instskip(SKIP_3) | instid1(VALU_DEP_3)
	v_lshlrev_b32_e32 v4, 2, v4
	v_cndmask_b32_e64 v6, 0, 1, vcc_lo
	v_cmp_gt_u32_e32 vcc_lo, s2, v5
	v_lshlrev_b32_e32 v1, 2, v2
	v_lshlrev_b32_e32 v5, 1, v6
	ds_load_b32 v1, v1 offset:128
	v_add_lshl_u32 v2, v5, v2, 2
	s_waitcnt lgkmcnt(0)
	ds_bpermute_b32 v4, v4, v1
	s_waitcnt lgkmcnt(0)
	v_cndmask_b32_e32 v4, 0, v4, vcc_lo
	v_cmp_gt_u32_e32 vcc_lo, s2, v3
	s_delay_alu instid0(VALU_DEP_2) | instskip(SKIP_3) | instid1(VALU_DEP_1)
	v_add_nc_u32_e32 v1, v4, v1
	ds_bpermute_b32 v2, v2, v1
	s_waitcnt lgkmcnt(0)
	v_cndmask_b32_e32 v2, 0, v2, vcc_lo
	v_add_nc_u32_e32 v1, v1, v2
.LBB524_655:
	s_or_b32 exec_lo, exec_lo, s3
	v_cmp_eq_u32_e64 s2, 0, v0
	s_delay_alu instid0(VALU_DEP_1)
	s_and_saveexec_b32 s3, s2
	s_cbranch_execnz .LBB524_624
	s_branch .LBB524_625
	.section	.rodata,"a",@progbits
	.p2align	6, 0x0
	.amdhsa_kernel _ZN7rocprim17ROCPRIM_400000_NS6detail17trampoline_kernelINS0_14default_configENS1_22reduce_config_selectorIbEEZNS1_11reduce_implILb1ES3_N6hipcub16HIPCUB_304000_NS22TransformInputIteratorIbN2at6native12_GLOBAL__N_19NonZeroOpIN3c107complexIdEEEEPKSG_lEEPiiNS8_6detail34convert_binary_result_type_wrapperINS8_3SumESK_iEEEE10hipError_tPvRmT1_T2_T3_mT4_P12ihipStream_tbEUlT_E1_NS1_11comp_targetILNS1_3genE9ELNS1_11target_archE1100ELNS1_3gpuE3ELNS1_3repE0EEENS1_30default_config_static_selectorELNS0_4arch9wavefront6targetE0EEEvST_
		.amdhsa_group_segment_fixed_size 144
		.amdhsa_private_segment_fixed_size 0
		.amdhsa_kernarg_size 48
		.amdhsa_user_sgpr_count 15
		.amdhsa_user_sgpr_dispatch_ptr 0
		.amdhsa_user_sgpr_queue_ptr 0
		.amdhsa_user_sgpr_kernarg_segment_ptr 1
		.amdhsa_user_sgpr_dispatch_id 0
		.amdhsa_user_sgpr_private_segment_size 0
		.amdhsa_wavefront_size32 1
		.amdhsa_uses_dynamic_stack 0
		.amdhsa_enable_private_segment 0
		.amdhsa_system_sgpr_workgroup_id_x 1
		.amdhsa_system_sgpr_workgroup_id_y 0
		.amdhsa_system_sgpr_workgroup_id_z 0
		.amdhsa_system_sgpr_workgroup_info 0
		.amdhsa_system_vgpr_workitem_id 0
		.amdhsa_next_free_vgpr 148
		.amdhsa_next_free_sgpr 105
		.amdhsa_reserve_vcc 1
		.amdhsa_float_round_mode_32 0
		.amdhsa_float_round_mode_16_64 0
		.amdhsa_float_denorm_mode_32 3
		.amdhsa_float_denorm_mode_16_64 3
		.amdhsa_dx10_clamp 1
		.amdhsa_ieee_mode 1
		.amdhsa_fp16_overflow 0
		.amdhsa_workgroup_processor_mode 1
		.amdhsa_memory_ordered 1
		.amdhsa_forward_progress 0
		.amdhsa_shared_vgpr_count 0
		.amdhsa_exception_fp_ieee_invalid_op 0
		.amdhsa_exception_fp_denorm_src 0
		.amdhsa_exception_fp_ieee_div_zero 0
		.amdhsa_exception_fp_ieee_overflow 0
		.amdhsa_exception_fp_ieee_underflow 0
		.amdhsa_exception_fp_ieee_inexact 0
		.amdhsa_exception_int_div_zero 0
	.end_amdhsa_kernel
	.section	.text._ZN7rocprim17ROCPRIM_400000_NS6detail17trampoline_kernelINS0_14default_configENS1_22reduce_config_selectorIbEEZNS1_11reduce_implILb1ES3_N6hipcub16HIPCUB_304000_NS22TransformInputIteratorIbN2at6native12_GLOBAL__N_19NonZeroOpIN3c107complexIdEEEEPKSG_lEEPiiNS8_6detail34convert_binary_result_type_wrapperINS8_3SumESK_iEEEE10hipError_tPvRmT1_T2_T3_mT4_P12ihipStream_tbEUlT_E1_NS1_11comp_targetILNS1_3genE9ELNS1_11target_archE1100ELNS1_3gpuE3ELNS1_3repE0EEENS1_30default_config_static_selectorELNS0_4arch9wavefront6targetE0EEEvST_,"axG",@progbits,_ZN7rocprim17ROCPRIM_400000_NS6detail17trampoline_kernelINS0_14default_configENS1_22reduce_config_selectorIbEEZNS1_11reduce_implILb1ES3_N6hipcub16HIPCUB_304000_NS22TransformInputIteratorIbN2at6native12_GLOBAL__N_19NonZeroOpIN3c107complexIdEEEEPKSG_lEEPiiNS8_6detail34convert_binary_result_type_wrapperINS8_3SumESK_iEEEE10hipError_tPvRmT1_T2_T3_mT4_P12ihipStream_tbEUlT_E1_NS1_11comp_targetILNS1_3genE9ELNS1_11target_archE1100ELNS1_3gpuE3ELNS1_3repE0EEENS1_30default_config_static_selectorELNS0_4arch9wavefront6targetE0EEEvST_,comdat
.Lfunc_end524:
	.size	_ZN7rocprim17ROCPRIM_400000_NS6detail17trampoline_kernelINS0_14default_configENS1_22reduce_config_selectorIbEEZNS1_11reduce_implILb1ES3_N6hipcub16HIPCUB_304000_NS22TransformInputIteratorIbN2at6native12_GLOBAL__N_19NonZeroOpIN3c107complexIdEEEEPKSG_lEEPiiNS8_6detail34convert_binary_result_type_wrapperINS8_3SumESK_iEEEE10hipError_tPvRmT1_T2_T3_mT4_P12ihipStream_tbEUlT_E1_NS1_11comp_targetILNS1_3genE9ELNS1_11target_archE1100ELNS1_3gpuE3ELNS1_3repE0EEENS1_30default_config_static_selectorELNS0_4arch9wavefront6targetE0EEEvST_, .Lfunc_end524-_ZN7rocprim17ROCPRIM_400000_NS6detail17trampoline_kernelINS0_14default_configENS1_22reduce_config_selectorIbEEZNS1_11reduce_implILb1ES3_N6hipcub16HIPCUB_304000_NS22TransformInputIteratorIbN2at6native12_GLOBAL__N_19NonZeroOpIN3c107complexIdEEEEPKSG_lEEPiiNS8_6detail34convert_binary_result_type_wrapperINS8_3SumESK_iEEEE10hipError_tPvRmT1_T2_T3_mT4_P12ihipStream_tbEUlT_E1_NS1_11comp_targetILNS1_3genE9ELNS1_11target_archE1100ELNS1_3gpuE3ELNS1_3repE0EEENS1_30default_config_static_selectorELNS0_4arch9wavefront6targetE0EEEvST_
                                        ; -- End function
	.section	.AMDGPU.csdata,"",@progbits
; Kernel info:
; codeLenInByte = 43608
; NumSgprs: 107
; NumVgprs: 148
; ScratchSize: 0
; MemoryBound: 0
; FloatMode: 240
; IeeeMode: 1
; LDSByteSize: 144 bytes/workgroup (compile time only)
; SGPRBlocks: 13
; VGPRBlocks: 18
; NumSGPRsForWavesPerEU: 107
; NumVGPRsForWavesPerEU: 148
; Occupancy: 9
; WaveLimiterHint : 1
; COMPUTE_PGM_RSRC2:SCRATCH_EN: 0
; COMPUTE_PGM_RSRC2:USER_SGPR: 15
; COMPUTE_PGM_RSRC2:TRAP_HANDLER: 0
; COMPUTE_PGM_RSRC2:TGID_X_EN: 1
; COMPUTE_PGM_RSRC2:TGID_Y_EN: 0
; COMPUTE_PGM_RSRC2:TGID_Z_EN: 0
; COMPUTE_PGM_RSRC2:TIDIG_COMP_CNT: 0
	.section	.text._ZN7rocprim17ROCPRIM_400000_NS6detail17trampoline_kernelINS0_14default_configENS1_22reduce_config_selectorIbEEZNS1_11reduce_implILb1ES3_N6hipcub16HIPCUB_304000_NS22TransformInputIteratorIbN2at6native12_GLOBAL__N_19NonZeroOpIN3c107complexIdEEEEPKSG_lEEPiiNS8_6detail34convert_binary_result_type_wrapperINS8_3SumESK_iEEEE10hipError_tPvRmT1_T2_T3_mT4_P12ihipStream_tbEUlT_E1_NS1_11comp_targetILNS1_3genE8ELNS1_11target_archE1030ELNS1_3gpuE2ELNS1_3repE0EEENS1_30default_config_static_selectorELNS0_4arch9wavefront6targetE0EEEvST_,"axG",@progbits,_ZN7rocprim17ROCPRIM_400000_NS6detail17trampoline_kernelINS0_14default_configENS1_22reduce_config_selectorIbEEZNS1_11reduce_implILb1ES3_N6hipcub16HIPCUB_304000_NS22TransformInputIteratorIbN2at6native12_GLOBAL__N_19NonZeroOpIN3c107complexIdEEEEPKSG_lEEPiiNS8_6detail34convert_binary_result_type_wrapperINS8_3SumESK_iEEEE10hipError_tPvRmT1_T2_T3_mT4_P12ihipStream_tbEUlT_E1_NS1_11comp_targetILNS1_3genE8ELNS1_11target_archE1030ELNS1_3gpuE2ELNS1_3repE0EEENS1_30default_config_static_selectorELNS0_4arch9wavefront6targetE0EEEvST_,comdat
	.globl	_ZN7rocprim17ROCPRIM_400000_NS6detail17trampoline_kernelINS0_14default_configENS1_22reduce_config_selectorIbEEZNS1_11reduce_implILb1ES3_N6hipcub16HIPCUB_304000_NS22TransformInputIteratorIbN2at6native12_GLOBAL__N_19NonZeroOpIN3c107complexIdEEEEPKSG_lEEPiiNS8_6detail34convert_binary_result_type_wrapperINS8_3SumESK_iEEEE10hipError_tPvRmT1_T2_T3_mT4_P12ihipStream_tbEUlT_E1_NS1_11comp_targetILNS1_3genE8ELNS1_11target_archE1030ELNS1_3gpuE2ELNS1_3repE0EEENS1_30default_config_static_selectorELNS0_4arch9wavefront6targetE0EEEvST_ ; -- Begin function _ZN7rocprim17ROCPRIM_400000_NS6detail17trampoline_kernelINS0_14default_configENS1_22reduce_config_selectorIbEEZNS1_11reduce_implILb1ES3_N6hipcub16HIPCUB_304000_NS22TransformInputIteratorIbN2at6native12_GLOBAL__N_19NonZeroOpIN3c107complexIdEEEEPKSG_lEEPiiNS8_6detail34convert_binary_result_type_wrapperINS8_3SumESK_iEEEE10hipError_tPvRmT1_T2_T3_mT4_P12ihipStream_tbEUlT_E1_NS1_11comp_targetILNS1_3genE8ELNS1_11target_archE1030ELNS1_3gpuE2ELNS1_3repE0EEENS1_30default_config_static_selectorELNS0_4arch9wavefront6targetE0EEEvST_
	.p2align	8
	.type	_ZN7rocprim17ROCPRIM_400000_NS6detail17trampoline_kernelINS0_14default_configENS1_22reduce_config_selectorIbEEZNS1_11reduce_implILb1ES3_N6hipcub16HIPCUB_304000_NS22TransformInputIteratorIbN2at6native12_GLOBAL__N_19NonZeroOpIN3c107complexIdEEEEPKSG_lEEPiiNS8_6detail34convert_binary_result_type_wrapperINS8_3SumESK_iEEEE10hipError_tPvRmT1_T2_T3_mT4_P12ihipStream_tbEUlT_E1_NS1_11comp_targetILNS1_3genE8ELNS1_11target_archE1030ELNS1_3gpuE2ELNS1_3repE0EEENS1_30default_config_static_selectorELNS0_4arch9wavefront6targetE0EEEvST_,@function
_ZN7rocprim17ROCPRIM_400000_NS6detail17trampoline_kernelINS0_14default_configENS1_22reduce_config_selectorIbEEZNS1_11reduce_implILb1ES3_N6hipcub16HIPCUB_304000_NS22TransformInputIteratorIbN2at6native12_GLOBAL__N_19NonZeroOpIN3c107complexIdEEEEPKSG_lEEPiiNS8_6detail34convert_binary_result_type_wrapperINS8_3SumESK_iEEEE10hipError_tPvRmT1_T2_T3_mT4_P12ihipStream_tbEUlT_E1_NS1_11comp_targetILNS1_3genE8ELNS1_11target_archE1030ELNS1_3gpuE2ELNS1_3repE0EEENS1_30default_config_static_selectorELNS0_4arch9wavefront6targetE0EEEvST_: ; @_ZN7rocprim17ROCPRIM_400000_NS6detail17trampoline_kernelINS0_14default_configENS1_22reduce_config_selectorIbEEZNS1_11reduce_implILb1ES3_N6hipcub16HIPCUB_304000_NS22TransformInputIteratorIbN2at6native12_GLOBAL__N_19NonZeroOpIN3c107complexIdEEEEPKSG_lEEPiiNS8_6detail34convert_binary_result_type_wrapperINS8_3SumESK_iEEEE10hipError_tPvRmT1_T2_T3_mT4_P12ihipStream_tbEUlT_E1_NS1_11comp_targetILNS1_3genE8ELNS1_11target_archE1030ELNS1_3gpuE2ELNS1_3repE0EEENS1_30default_config_static_selectorELNS0_4arch9wavefront6targetE0EEEvST_
; %bb.0:
	.section	.rodata,"a",@progbits
	.p2align	6, 0x0
	.amdhsa_kernel _ZN7rocprim17ROCPRIM_400000_NS6detail17trampoline_kernelINS0_14default_configENS1_22reduce_config_selectorIbEEZNS1_11reduce_implILb1ES3_N6hipcub16HIPCUB_304000_NS22TransformInputIteratorIbN2at6native12_GLOBAL__N_19NonZeroOpIN3c107complexIdEEEEPKSG_lEEPiiNS8_6detail34convert_binary_result_type_wrapperINS8_3SumESK_iEEEE10hipError_tPvRmT1_T2_T3_mT4_P12ihipStream_tbEUlT_E1_NS1_11comp_targetILNS1_3genE8ELNS1_11target_archE1030ELNS1_3gpuE2ELNS1_3repE0EEENS1_30default_config_static_selectorELNS0_4arch9wavefront6targetE0EEEvST_
		.amdhsa_group_segment_fixed_size 0
		.amdhsa_private_segment_fixed_size 0
		.amdhsa_kernarg_size 48
		.amdhsa_user_sgpr_count 15
		.amdhsa_user_sgpr_dispatch_ptr 0
		.amdhsa_user_sgpr_queue_ptr 0
		.amdhsa_user_sgpr_kernarg_segment_ptr 1
		.amdhsa_user_sgpr_dispatch_id 0
		.amdhsa_user_sgpr_private_segment_size 0
		.amdhsa_wavefront_size32 1
		.amdhsa_uses_dynamic_stack 0
		.amdhsa_enable_private_segment 0
		.amdhsa_system_sgpr_workgroup_id_x 1
		.amdhsa_system_sgpr_workgroup_id_y 0
		.amdhsa_system_sgpr_workgroup_id_z 0
		.amdhsa_system_sgpr_workgroup_info 0
		.amdhsa_system_vgpr_workitem_id 0
		.amdhsa_next_free_vgpr 1
		.amdhsa_next_free_sgpr 1
		.amdhsa_reserve_vcc 0
		.amdhsa_float_round_mode_32 0
		.amdhsa_float_round_mode_16_64 0
		.amdhsa_float_denorm_mode_32 3
		.amdhsa_float_denorm_mode_16_64 3
		.amdhsa_dx10_clamp 1
		.amdhsa_ieee_mode 1
		.amdhsa_fp16_overflow 0
		.amdhsa_workgroup_processor_mode 1
		.amdhsa_memory_ordered 1
		.amdhsa_forward_progress 0
		.amdhsa_shared_vgpr_count 0
		.amdhsa_exception_fp_ieee_invalid_op 0
		.amdhsa_exception_fp_denorm_src 0
		.amdhsa_exception_fp_ieee_div_zero 0
		.amdhsa_exception_fp_ieee_overflow 0
		.amdhsa_exception_fp_ieee_underflow 0
		.amdhsa_exception_fp_ieee_inexact 0
		.amdhsa_exception_int_div_zero 0
	.end_amdhsa_kernel
	.section	.text._ZN7rocprim17ROCPRIM_400000_NS6detail17trampoline_kernelINS0_14default_configENS1_22reduce_config_selectorIbEEZNS1_11reduce_implILb1ES3_N6hipcub16HIPCUB_304000_NS22TransformInputIteratorIbN2at6native12_GLOBAL__N_19NonZeroOpIN3c107complexIdEEEEPKSG_lEEPiiNS8_6detail34convert_binary_result_type_wrapperINS8_3SumESK_iEEEE10hipError_tPvRmT1_T2_T3_mT4_P12ihipStream_tbEUlT_E1_NS1_11comp_targetILNS1_3genE8ELNS1_11target_archE1030ELNS1_3gpuE2ELNS1_3repE0EEENS1_30default_config_static_selectorELNS0_4arch9wavefront6targetE0EEEvST_,"axG",@progbits,_ZN7rocprim17ROCPRIM_400000_NS6detail17trampoline_kernelINS0_14default_configENS1_22reduce_config_selectorIbEEZNS1_11reduce_implILb1ES3_N6hipcub16HIPCUB_304000_NS22TransformInputIteratorIbN2at6native12_GLOBAL__N_19NonZeroOpIN3c107complexIdEEEEPKSG_lEEPiiNS8_6detail34convert_binary_result_type_wrapperINS8_3SumESK_iEEEE10hipError_tPvRmT1_T2_T3_mT4_P12ihipStream_tbEUlT_E1_NS1_11comp_targetILNS1_3genE8ELNS1_11target_archE1030ELNS1_3gpuE2ELNS1_3repE0EEENS1_30default_config_static_selectorELNS0_4arch9wavefront6targetE0EEEvST_,comdat
.Lfunc_end525:
	.size	_ZN7rocprim17ROCPRIM_400000_NS6detail17trampoline_kernelINS0_14default_configENS1_22reduce_config_selectorIbEEZNS1_11reduce_implILb1ES3_N6hipcub16HIPCUB_304000_NS22TransformInputIteratorIbN2at6native12_GLOBAL__N_19NonZeroOpIN3c107complexIdEEEEPKSG_lEEPiiNS8_6detail34convert_binary_result_type_wrapperINS8_3SumESK_iEEEE10hipError_tPvRmT1_T2_T3_mT4_P12ihipStream_tbEUlT_E1_NS1_11comp_targetILNS1_3genE8ELNS1_11target_archE1030ELNS1_3gpuE2ELNS1_3repE0EEENS1_30default_config_static_selectorELNS0_4arch9wavefront6targetE0EEEvST_, .Lfunc_end525-_ZN7rocprim17ROCPRIM_400000_NS6detail17trampoline_kernelINS0_14default_configENS1_22reduce_config_selectorIbEEZNS1_11reduce_implILb1ES3_N6hipcub16HIPCUB_304000_NS22TransformInputIteratorIbN2at6native12_GLOBAL__N_19NonZeroOpIN3c107complexIdEEEEPKSG_lEEPiiNS8_6detail34convert_binary_result_type_wrapperINS8_3SumESK_iEEEE10hipError_tPvRmT1_T2_T3_mT4_P12ihipStream_tbEUlT_E1_NS1_11comp_targetILNS1_3genE8ELNS1_11target_archE1030ELNS1_3gpuE2ELNS1_3repE0EEENS1_30default_config_static_selectorELNS0_4arch9wavefront6targetE0EEEvST_
                                        ; -- End function
	.section	.AMDGPU.csdata,"",@progbits
; Kernel info:
; codeLenInByte = 0
; NumSgprs: 0
; NumVgprs: 0
; ScratchSize: 0
; MemoryBound: 0
; FloatMode: 240
; IeeeMode: 1
; LDSByteSize: 0 bytes/workgroup (compile time only)
; SGPRBlocks: 0
; VGPRBlocks: 0
; NumSGPRsForWavesPerEU: 1
; NumVGPRsForWavesPerEU: 1
; Occupancy: 16
; WaveLimiterHint : 0
; COMPUTE_PGM_RSRC2:SCRATCH_EN: 0
; COMPUTE_PGM_RSRC2:USER_SGPR: 15
; COMPUTE_PGM_RSRC2:TRAP_HANDLER: 0
; COMPUTE_PGM_RSRC2:TGID_X_EN: 1
; COMPUTE_PGM_RSRC2:TGID_Y_EN: 0
; COMPUTE_PGM_RSRC2:TGID_Z_EN: 0
; COMPUTE_PGM_RSRC2:TIDIG_COMP_CNT: 0
	.section	.text._ZN7rocprim17ROCPRIM_400000_NS6detail17trampoline_kernelINS0_14default_configENS1_25partition_config_selectorILNS1_17partition_subalgoE5ElNS0_10empty_typeEbEEZZNS1_14partition_implILS5_5ELb0ES3_mN6hipcub16HIPCUB_304000_NS21CountingInputIteratorIllEEPS6_NSA_22TransformInputIteratorIbN2at6native12_GLOBAL__N_19NonZeroOpIN3c107complexIdEEEEPKSL_lEENS0_5tupleIJPlS6_EEENSQ_IJSD_SD_EEES6_PiJS6_EEE10hipError_tPvRmT3_T4_T5_T6_T7_T9_mT8_P12ihipStream_tbDpT10_ENKUlT_T0_E_clISt17integral_constantIbLb0EES1E_EEDaS19_S1A_EUlS19_E_NS1_11comp_targetILNS1_3genE0ELNS1_11target_archE4294967295ELNS1_3gpuE0ELNS1_3repE0EEENS1_30default_config_static_selectorELNS0_4arch9wavefront6targetE0EEEvT1_,"axG",@progbits,_ZN7rocprim17ROCPRIM_400000_NS6detail17trampoline_kernelINS0_14default_configENS1_25partition_config_selectorILNS1_17partition_subalgoE5ElNS0_10empty_typeEbEEZZNS1_14partition_implILS5_5ELb0ES3_mN6hipcub16HIPCUB_304000_NS21CountingInputIteratorIllEEPS6_NSA_22TransformInputIteratorIbN2at6native12_GLOBAL__N_19NonZeroOpIN3c107complexIdEEEEPKSL_lEENS0_5tupleIJPlS6_EEENSQ_IJSD_SD_EEES6_PiJS6_EEE10hipError_tPvRmT3_T4_T5_T6_T7_T9_mT8_P12ihipStream_tbDpT10_ENKUlT_T0_E_clISt17integral_constantIbLb0EES1E_EEDaS19_S1A_EUlS19_E_NS1_11comp_targetILNS1_3genE0ELNS1_11target_archE4294967295ELNS1_3gpuE0ELNS1_3repE0EEENS1_30default_config_static_selectorELNS0_4arch9wavefront6targetE0EEEvT1_,comdat
	.globl	_ZN7rocprim17ROCPRIM_400000_NS6detail17trampoline_kernelINS0_14default_configENS1_25partition_config_selectorILNS1_17partition_subalgoE5ElNS0_10empty_typeEbEEZZNS1_14partition_implILS5_5ELb0ES3_mN6hipcub16HIPCUB_304000_NS21CountingInputIteratorIllEEPS6_NSA_22TransformInputIteratorIbN2at6native12_GLOBAL__N_19NonZeroOpIN3c107complexIdEEEEPKSL_lEENS0_5tupleIJPlS6_EEENSQ_IJSD_SD_EEES6_PiJS6_EEE10hipError_tPvRmT3_T4_T5_T6_T7_T9_mT8_P12ihipStream_tbDpT10_ENKUlT_T0_E_clISt17integral_constantIbLb0EES1E_EEDaS19_S1A_EUlS19_E_NS1_11comp_targetILNS1_3genE0ELNS1_11target_archE4294967295ELNS1_3gpuE0ELNS1_3repE0EEENS1_30default_config_static_selectorELNS0_4arch9wavefront6targetE0EEEvT1_ ; -- Begin function _ZN7rocprim17ROCPRIM_400000_NS6detail17trampoline_kernelINS0_14default_configENS1_25partition_config_selectorILNS1_17partition_subalgoE5ElNS0_10empty_typeEbEEZZNS1_14partition_implILS5_5ELb0ES3_mN6hipcub16HIPCUB_304000_NS21CountingInputIteratorIllEEPS6_NSA_22TransformInputIteratorIbN2at6native12_GLOBAL__N_19NonZeroOpIN3c107complexIdEEEEPKSL_lEENS0_5tupleIJPlS6_EEENSQ_IJSD_SD_EEES6_PiJS6_EEE10hipError_tPvRmT3_T4_T5_T6_T7_T9_mT8_P12ihipStream_tbDpT10_ENKUlT_T0_E_clISt17integral_constantIbLb0EES1E_EEDaS19_S1A_EUlS19_E_NS1_11comp_targetILNS1_3genE0ELNS1_11target_archE4294967295ELNS1_3gpuE0ELNS1_3repE0EEENS1_30default_config_static_selectorELNS0_4arch9wavefront6targetE0EEEvT1_
	.p2align	8
	.type	_ZN7rocprim17ROCPRIM_400000_NS6detail17trampoline_kernelINS0_14default_configENS1_25partition_config_selectorILNS1_17partition_subalgoE5ElNS0_10empty_typeEbEEZZNS1_14partition_implILS5_5ELb0ES3_mN6hipcub16HIPCUB_304000_NS21CountingInputIteratorIllEEPS6_NSA_22TransformInputIteratorIbN2at6native12_GLOBAL__N_19NonZeroOpIN3c107complexIdEEEEPKSL_lEENS0_5tupleIJPlS6_EEENSQ_IJSD_SD_EEES6_PiJS6_EEE10hipError_tPvRmT3_T4_T5_T6_T7_T9_mT8_P12ihipStream_tbDpT10_ENKUlT_T0_E_clISt17integral_constantIbLb0EES1E_EEDaS19_S1A_EUlS19_E_NS1_11comp_targetILNS1_3genE0ELNS1_11target_archE4294967295ELNS1_3gpuE0ELNS1_3repE0EEENS1_30default_config_static_selectorELNS0_4arch9wavefront6targetE0EEEvT1_,@function
_ZN7rocprim17ROCPRIM_400000_NS6detail17trampoline_kernelINS0_14default_configENS1_25partition_config_selectorILNS1_17partition_subalgoE5ElNS0_10empty_typeEbEEZZNS1_14partition_implILS5_5ELb0ES3_mN6hipcub16HIPCUB_304000_NS21CountingInputIteratorIllEEPS6_NSA_22TransformInputIteratorIbN2at6native12_GLOBAL__N_19NonZeroOpIN3c107complexIdEEEEPKSL_lEENS0_5tupleIJPlS6_EEENSQ_IJSD_SD_EEES6_PiJS6_EEE10hipError_tPvRmT3_T4_T5_T6_T7_T9_mT8_P12ihipStream_tbDpT10_ENKUlT_T0_E_clISt17integral_constantIbLb0EES1E_EEDaS19_S1A_EUlS19_E_NS1_11comp_targetILNS1_3genE0ELNS1_11target_archE4294967295ELNS1_3gpuE0ELNS1_3repE0EEENS1_30default_config_static_selectorELNS0_4arch9wavefront6targetE0EEEvT1_: ; @_ZN7rocprim17ROCPRIM_400000_NS6detail17trampoline_kernelINS0_14default_configENS1_25partition_config_selectorILNS1_17partition_subalgoE5ElNS0_10empty_typeEbEEZZNS1_14partition_implILS5_5ELb0ES3_mN6hipcub16HIPCUB_304000_NS21CountingInputIteratorIllEEPS6_NSA_22TransformInputIteratorIbN2at6native12_GLOBAL__N_19NonZeroOpIN3c107complexIdEEEEPKSL_lEENS0_5tupleIJPlS6_EEENSQ_IJSD_SD_EEES6_PiJS6_EEE10hipError_tPvRmT3_T4_T5_T6_T7_T9_mT8_P12ihipStream_tbDpT10_ENKUlT_T0_E_clISt17integral_constantIbLb0EES1E_EEDaS19_S1A_EUlS19_E_NS1_11comp_targetILNS1_3genE0ELNS1_11target_archE4294967295ELNS1_3gpuE0ELNS1_3repE0EEENS1_30default_config_static_selectorELNS0_4arch9wavefront6targetE0EEEvT1_
; %bb.0:
	.section	.rodata,"a",@progbits
	.p2align	6, 0x0
	.amdhsa_kernel _ZN7rocprim17ROCPRIM_400000_NS6detail17trampoline_kernelINS0_14default_configENS1_25partition_config_selectorILNS1_17partition_subalgoE5ElNS0_10empty_typeEbEEZZNS1_14partition_implILS5_5ELb0ES3_mN6hipcub16HIPCUB_304000_NS21CountingInputIteratorIllEEPS6_NSA_22TransformInputIteratorIbN2at6native12_GLOBAL__N_19NonZeroOpIN3c107complexIdEEEEPKSL_lEENS0_5tupleIJPlS6_EEENSQ_IJSD_SD_EEES6_PiJS6_EEE10hipError_tPvRmT3_T4_T5_T6_T7_T9_mT8_P12ihipStream_tbDpT10_ENKUlT_T0_E_clISt17integral_constantIbLb0EES1E_EEDaS19_S1A_EUlS19_E_NS1_11comp_targetILNS1_3genE0ELNS1_11target_archE4294967295ELNS1_3gpuE0ELNS1_3repE0EEENS1_30default_config_static_selectorELNS0_4arch9wavefront6targetE0EEEvT1_
		.amdhsa_group_segment_fixed_size 0
		.amdhsa_private_segment_fixed_size 0
		.amdhsa_kernarg_size 120
		.amdhsa_user_sgpr_count 15
		.amdhsa_user_sgpr_dispatch_ptr 0
		.amdhsa_user_sgpr_queue_ptr 0
		.amdhsa_user_sgpr_kernarg_segment_ptr 1
		.amdhsa_user_sgpr_dispatch_id 0
		.amdhsa_user_sgpr_private_segment_size 0
		.amdhsa_wavefront_size32 1
		.amdhsa_uses_dynamic_stack 0
		.amdhsa_enable_private_segment 0
		.amdhsa_system_sgpr_workgroup_id_x 1
		.amdhsa_system_sgpr_workgroup_id_y 0
		.amdhsa_system_sgpr_workgroup_id_z 0
		.amdhsa_system_sgpr_workgroup_info 0
		.amdhsa_system_vgpr_workitem_id 0
		.amdhsa_next_free_vgpr 1
		.amdhsa_next_free_sgpr 1
		.amdhsa_reserve_vcc 0
		.amdhsa_float_round_mode_32 0
		.amdhsa_float_round_mode_16_64 0
		.amdhsa_float_denorm_mode_32 3
		.amdhsa_float_denorm_mode_16_64 3
		.amdhsa_dx10_clamp 1
		.amdhsa_ieee_mode 1
		.amdhsa_fp16_overflow 0
		.amdhsa_workgroup_processor_mode 1
		.amdhsa_memory_ordered 1
		.amdhsa_forward_progress 0
		.amdhsa_shared_vgpr_count 0
		.amdhsa_exception_fp_ieee_invalid_op 0
		.amdhsa_exception_fp_denorm_src 0
		.amdhsa_exception_fp_ieee_div_zero 0
		.amdhsa_exception_fp_ieee_overflow 0
		.amdhsa_exception_fp_ieee_underflow 0
		.amdhsa_exception_fp_ieee_inexact 0
		.amdhsa_exception_int_div_zero 0
	.end_amdhsa_kernel
	.section	.text._ZN7rocprim17ROCPRIM_400000_NS6detail17trampoline_kernelINS0_14default_configENS1_25partition_config_selectorILNS1_17partition_subalgoE5ElNS0_10empty_typeEbEEZZNS1_14partition_implILS5_5ELb0ES3_mN6hipcub16HIPCUB_304000_NS21CountingInputIteratorIllEEPS6_NSA_22TransformInputIteratorIbN2at6native12_GLOBAL__N_19NonZeroOpIN3c107complexIdEEEEPKSL_lEENS0_5tupleIJPlS6_EEENSQ_IJSD_SD_EEES6_PiJS6_EEE10hipError_tPvRmT3_T4_T5_T6_T7_T9_mT8_P12ihipStream_tbDpT10_ENKUlT_T0_E_clISt17integral_constantIbLb0EES1E_EEDaS19_S1A_EUlS19_E_NS1_11comp_targetILNS1_3genE0ELNS1_11target_archE4294967295ELNS1_3gpuE0ELNS1_3repE0EEENS1_30default_config_static_selectorELNS0_4arch9wavefront6targetE0EEEvT1_,"axG",@progbits,_ZN7rocprim17ROCPRIM_400000_NS6detail17trampoline_kernelINS0_14default_configENS1_25partition_config_selectorILNS1_17partition_subalgoE5ElNS0_10empty_typeEbEEZZNS1_14partition_implILS5_5ELb0ES3_mN6hipcub16HIPCUB_304000_NS21CountingInputIteratorIllEEPS6_NSA_22TransformInputIteratorIbN2at6native12_GLOBAL__N_19NonZeroOpIN3c107complexIdEEEEPKSL_lEENS0_5tupleIJPlS6_EEENSQ_IJSD_SD_EEES6_PiJS6_EEE10hipError_tPvRmT3_T4_T5_T6_T7_T9_mT8_P12ihipStream_tbDpT10_ENKUlT_T0_E_clISt17integral_constantIbLb0EES1E_EEDaS19_S1A_EUlS19_E_NS1_11comp_targetILNS1_3genE0ELNS1_11target_archE4294967295ELNS1_3gpuE0ELNS1_3repE0EEENS1_30default_config_static_selectorELNS0_4arch9wavefront6targetE0EEEvT1_,comdat
.Lfunc_end526:
	.size	_ZN7rocprim17ROCPRIM_400000_NS6detail17trampoline_kernelINS0_14default_configENS1_25partition_config_selectorILNS1_17partition_subalgoE5ElNS0_10empty_typeEbEEZZNS1_14partition_implILS5_5ELb0ES3_mN6hipcub16HIPCUB_304000_NS21CountingInputIteratorIllEEPS6_NSA_22TransformInputIteratorIbN2at6native12_GLOBAL__N_19NonZeroOpIN3c107complexIdEEEEPKSL_lEENS0_5tupleIJPlS6_EEENSQ_IJSD_SD_EEES6_PiJS6_EEE10hipError_tPvRmT3_T4_T5_T6_T7_T9_mT8_P12ihipStream_tbDpT10_ENKUlT_T0_E_clISt17integral_constantIbLb0EES1E_EEDaS19_S1A_EUlS19_E_NS1_11comp_targetILNS1_3genE0ELNS1_11target_archE4294967295ELNS1_3gpuE0ELNS1_3repE0EEENS1_30default_config_static_selectorELNS0_4arch9wavefront6targetE0EEEvT1_, .Lfunc_end526-_ZN7rocprim17ROCPRIM_400000_NS6detail17trampoline_kernelINS0_14default_configENS1_25partition_config_selectorILNS1_17partition_subalgoE5ElNS0_10empty_typeEbEEZZNS1_14partition_implILS5_5ELb0ES3_mN6hipcub16HIPCUB_304000_NS21CountingInputIteratorIllEEPS6_NSA_22TransformInputIteratorIbN2at6native12_GLOBAL__N_19NonZeroOpIN3c107complexIdEEEEPKSL_lEENS0_5tupleIJPlS6_EEENSQ_IJSD_SD_EEES6_PiJS6_EEE10hipError_tPvRmT3_T4_T5_T6_T7_T9_mT8_P12ihipStream_tbDpT10_ENKUlT_T0_E_clISt17integral_constantIbLb0EES1E_EEDaS19_S1A_EUlS19_E_NS1_11comp_targetILNS1_3genE0ELNS1_11target_archE4294967295ELNS1_3gpuE0ELNS1_3repE0EEENS1_30default_config_static_selectorELNS0_4arch9wavefront6targetE0EEEvT1_
                                        ; -- End function
	.section	.AMDGPU.csdata,"",@progbits
; Kernel info:
; codeLenInByte = 0
; NumSgprs: 0
; NumVgprs: 0
; ScratchSize: 0
; MemoryBound: 0
; FloatMode: 240
; IeeeMode: 1
; LDSByteSize: 0 bytes/workgroup (compile time only)
; SGPRBlocks: 0
; VGPRBlocks: 0
; NumSGPRsForWavesPerEU: 1
; NumVGPRsForWavesPerEU: 1
; Occupancy: 16
; WaveLimiterHint : 0
; COMPUTE_PGM_RSRC2:SCRATCH_EN: 0
; COMPUTE_PGM_RSRC2:USER_SGPR: 15
; COMPUTE_PGM_RSRC2:TRAP_HANDLER: 0
; COMPUTE_PGM_RSRC2:TGID_X_EN: 1
; COMPUTE_PGM_RSRC2:TGID_Y_EN: 0
; COMPUTE_PGM_RSRC2:TGID_Z_EN: 0
; COMPUTE_PGM_RSRC2:TIDIG_COMP_CNT: 0
	.section	.text._ZN7rocprim17ROCPRIM_400000_NS6detail17trampoline_kernelINS0_14default_configENS1_25partition_config_selectorILNS1_17partition_subalgoE5ElNS0_10empty_typeEbEEZZNS1_14partition_implILS5_5ELb0ES3_mN6hipcub16HIPCUB_304000_NS21CountingInputIteratorIllEEPS6_NSA_22TransformInputIteratorIbN2at6native12_GLOBAL__N_19NonZeroOpIN3c107complexIdEEEEPKSL_lEENS0_5tupleIJPlS6_EEENSQ_IJSD_SD_EEES6_PiJS6_EEE10hipError_tPvRmT3_T4_T5_T6_T7_T9_mT8_P12ihipStream_tbDpT10_ENKUlT_T0_E_clISt17integral_constantIbLb0EES1E_EEDaS19_S1A_EUlS19_E_NS1_11comp_targetILNS1_3genE5ELNS1_11target_archE942ELNS1_3gpuE9ELNS1_3repE0EEENS1_30default_config_static_selectorELNS0_4arch9wavefront6targetE0EEEvT1_,"axG",@progbits,_ZN7rocprim17ROCPRIM_400000_NS6detail17trampoline_kernelINS0_14default_configENS1_25partition_config_selectorILNS1_17partition_subalgoE5ElNS0_10empty_typeEbEEZZNS1_14partition_implILS5_5ELb0ES3_mN6hipcub16HIPCUB_304000_NS21CountingInputIteratorIllEEPS6_NSA_22TransformInputIteratorIbN2at6native12_GLOBAL__N_19NonZeroOpIN3c107complexIdEEEEPKSL_lEENS0_5tupleIJPlS6_EEENSQ_IJSD_SD_EEES6_PiJS6_EEE10hipError_tPvRmT3_T4_T5_T6_T7_T9_mT8_P12ihipStream_tbDpT10_ENKUlT_T0_E_clISt17integral_constantIbLb0EES1E_EEDaS19_S1A_EUlS19_E_NS1_11comp_targetILNS1_3genE5ELNS1_11target_archE942ELNS1_3gpuE9ELNS1_3repE0EEENS1_30default_config_static_selectorELNS0_4arch9wavefront6targetE0EEEvT1_,comdat
	.globl	_ZN7rocprim17ROCPRIM_400000_NS6detail17trampoline_kernelINS0_14default_configENS1_25partition_config_selectorILNS1_17partition_subalgoE5ElNS0_10empty_typeEbEEZZNS1_14partition_implILS5_5ELb0ES3_mN6hipcub16HIPCUB_304000_NS21CountingInputIteratorIllEEPS6_NSA_22TransformInputIteratorIbN2at6native12_GLOBAL__N_19NonZeroOpIN3c107complexIdEEEEPKSL_lEENS0_5tupleIJPlS6_EEENSQ_IJSD_SD_EEES6_PiJS6_EEE10hipError_tPvRmT3_T4_T5_T6_T7_T9_mT8_P12ihipStream_tbDpT10_ENKUlT_T0_E_clISt17integral_constantIbLb0EES1E_EEDaS19_S1A_EUlS19_E_NS1_11comp_targetILNS1_3genE5ELNS1_11target_archE942ELNS1_3gpuE9ELNS1_3repE0EEENS1_30default_config_static_selectorELNS0_4arch9wavefront6targetE0EEEvT1_ ; -- Begin function _ZN7rocprim17ROCPRIM_400000_NS6detail17trampoline_kernelINS0_14default_configENS1_25partition_config_selectorILNS1_17partition_subalgoE5ElNS0_10empty_typeEbEEZZNS1_14partition_implILS5_5ELb0ES3_mN6hipcub16HIPCUB_304000_NS21CountingInputIteratorIllEEPS6_NSA_22TransformInputIteratorIbN2at6native12_GLOBAL__N_19NonZeroOpIN3c107complexIdEEEEPKSL_lEENS0_5tupleIJPlS6_EEENSQ_IJSD_SD_EEES6_PiJS6_EEE10hipError_tPvRmT3_T4_T5_T6_T7_T9_mT8_P12ihipStream_tbDpT10_ENKUlT_T0_E_clISt17integral_constantIbLb0EES1E_EEDaS19_S1A_EUlS19_E_NS1_11comp_targetILNS1_3genE5ELNS1_11target_archE942ELNS1_3gpuE9ELNS1_3repE0EEENS1_30default_config_static_selectorELNS0_4arch9wavefront6targetE0EEEvT1_
	.p2align	8
	.type	_ZN7rocprim17ROCPRIM_400000_NS6detail17trampoline_kernelINS0_14default_configENS1_25partition_config_selectorILNS1_17partition_subalgoE5ElNS0_10empty_typeEbEEZZNS1_14partition_implILS5_5ELb0ES3_mN6hipcub16HIPCUB_304000_NS21CountingInputIteratorIllEEPS6_NSA_22TransformInputIteratorIbN2at6native12_GLOBAL__N_19NonZeroOpIN3c107complexIdEEEEPKSL_lEENS0_5tupleIJPlS6_EEENSQ_IJSD_SD_EEES6_PiJS6_EEE10hipError_tPvRmT3_T4_T5_T6_T7_T9_mT8_P12ihipStream_tbDpT10_ENKUlT_T0_E_clISt17integral_constantIbLb0EES1E_EEDaS19_S1A_EUlS19_E_NS1_11comp_targetILNS1_3genE5ELNS1_11target_archE942ELNS1_3gpuE9ELNS1_3repE0EEENS1_30default_config_static_selectorELNS0_4arch9wavefront6targetE0EEEvT1_,@function
_ZN7rocprim17ROCPRIM_400000_NS6detail17trampoline_kernelINS0_14default_configENS1_25partition_config_selectorILNS1_17partition_subalgoE5ElNS0_10empty_typeEbEEZZNS1_14partition_implILS5_5ELb0ES3_mN6hipcub16HIPCUB_304000_NS21CountingInputIteratorIllEEPS6_NSA_22TransformInputIteratorIbN2at6native12_GLOBAL__N_19NonZeroOpIN3c107complexIdEEEEPKSL_lEENS0_5tupleIJPlS6_EEENSQ_IJSD_SD_EEES6_PiJS6_EEE10hipError_tPvRmT3_T4_T5_T6_T7_T9_mT8_P12ihipStream_tbDpT10_ENKUlT_T0_E_clISt17integral_constantIbLb0EES1E_EEDaS19_S1A_EUlS19_E_NS1_11comp_targetILNS1_3genE5ELNS1_11target_archE942ELNS1_3gpuE9ELNS1_3repE0EEENS1_30default_config_static_selectorELNS0_4arch9wavefront6targetE0EEEvT1_: ; @_ZN7rocprim17ROCPRIM_400000_NS6detail17trampoline_kernelINS0_14default_configENS1_25partition_config_selectorILNS1_17partition_subalgoE5ElNS0_10empty_typeEbEEZZNS1_14partition_implILS5_5ELb0ES3_mN6hipcub16HIPCUB_304000_NS21CountingInputIteratorIllEEPS6_NSA_22TransformInputIteratorIbN2at6native12_GLOBAL__N_19NonZeroOpIN3c107complexIdEEEEPKSL_lEENS0_5tupleIJPlS6_EEENSQ_IJSD_SD_EEES6_PiJS6_EEE10hipError_tPvRmT3_T4_T5_T6_T7_T9_mT8_P12ihipStream_tbDpT10_ENKUlT_T0_E_clISt17integral_constantIbLb0EES1E_EEDaS19_S1A_EUlS19_E_NS1_11comp_targetILNS1_3genE5ELNS1_11target_archE942ELNS1_3gpuE9ELNS1_3repE0EEENS1_30default_config_static_selectorELNS0_4arch9wavefront6targetE0EEEvT1_
; %bb.0:
	.section	.rodata,"a",@progbits
	.p2align	6, 0x0
	.amdhsa_kernel _ZN7rocprim17ROCPRIM_400000_NS6detail17trampoline_kernelINS0_14default_configENS1_25partition_config_selectorILNS1_17partition_subalgoE5ElNS0_10empty_typeEbEEZZNS1_14partition_implILS5_5ELb0ES3_mN6hipcub16HIPCUB_304000_NS21CountingInputIteratorIllEEPS6_NSA_22TransformInputIteratorIbN2at6native12_GLOBAL__N_19NonZeroOpIN3c107complexIdEEEEPKSL_lEENS0_5tupleIJPlS6_EEENSQ_IJSD_SD_EEES6_PiJS6_EEE10hipError_tPvRmT3_T4_T5_T6_T7_T9_mT8_P12ihipStream_tbDpT10_ENKUlT_T0_E_clISt17integral_constantIbLb0EES1E_EEDaS19_S1A_EUlS19_E_NS1_11comp_targetILNS1_3genE5ELNS1_11target_archE942ELNS1_3gpuE9ELNS1_3repE0EEENS1_30default_config_static_selectorELNS0_4arch9wavefront6targetE0EEEvT1_
		.amdhsa_group_segment_fixed_size 0
		.amdhsa_private_segment_fixed_size 0
		.amdhsa_kernarg_size 120
		.amdhsa_user_sgpr_count 15
		.amdhsa_user_sgpr_dispatch_ptr 0
		.amdhsa_user_sgpr_queue_ptr 0
		.amdhsa_user_sgpr_kernarg_segment_ptr 1
		.amdhsa_user_sgpr_dispatch_id 0
		.amdhsa_user_sgpr_private_segment_size 0
		.amdhsa_wavefront_size32 1
		.amdhsa_uses_dynamic_stack 0
		.amdhsa_enable_private_segment 0
		.amdhsa_system_sgpr_workgroup_id_x 1
		.amdhsa_system_sgpr_workgroup_id_y 0
		.amdhsa_system_sgpr_workgroup_id_z 0
		.amdhsa_system_sgpr_workgroup_info 0
		.amdhsa_system_vgpr_workitem_id 0
		.amdhsa_next_free_vgpr 1
		.amdhsa_next_free_sgpr 1
		.amdhsa_reserve_vcc 0
		.amdhsa_float_round_mode_32 0
		.amdhsa_float_round_mode_16_64 0
		.amdhsa_float_denorm_mode_32 3
		.amdhsa_float_denorm_mode_16_64 3
		.amdhsa_dx10_clamp 1
		.amdhsa_ieee_mode 1
		.amdhsa_fp16_overflow 0
		.amdhsa_workgroup_processor_mode 1
		.amdhsa_memory_ordered 1
		.amdhsa_forward_progress 0
		.amdhsa_shared_vgpr_count 0
		.amdhsa_exception_fp_ieee_invalid_op 0
		.amdhsa_exception_fp_denorm_src 0
		.amdhsa_exception_fp_ieee_div_zero 0
		.amdhsa_exception_fp_ieee_overflow 0
		.amdhsa_exception_fp_ieee_underflow 0
		.amdhsa_exception_fp_ieee_inexact 0
		.amdhsa_exception_int_div_zero 0
	.end_amdhsa_kernel
	.section	.text._ZN7rocprim17ROCPRIM_400000_NS6detail17trampoline_kernelINS0_14default_configENS1_25partition_config_selectorILNS1_17partition_subalgoE5ElNS0_10empty_typeEbEEZZNS1_14partition_implILS5_5ELb0ES3_mN6hipcub16HIPCUB_304000_NS21CountingInputIteratorIllEEPS6_NSA_22TransformInputIteratorIbN2at6native12_GLOBAL__N_19NonZeroOpIN3c107complexIdEEEEPKSL_lEENS0_5tupleIJPlS6_EEENSQ_IJSD_SD_EEES6_PiJS6_EEE10hipError_tPvRmT3_T4_T5_T6_T7_T9_mT8_P12ihipStream_tbDpT10_ENKUlT_T0_E_clISt17integral_constantIbLb0EES1E_EEDaS19_S1A_EUlS19_E_NS1_11comp_targetILNS1_3genE5ELNS1_11target_archE942ELNS1_3gpuE9ELNS1_3repE0EEENS1_30default_config_static_selectorELNS0_4arch9wavefront6targetE0EEEvT1_,"axG",@progbits,_ZN7rocprim17ROCPRIM_400000_NS6detail17trampoline_kernelINS0_14default_configENS1_25partition_config_selectorILNS1_17partition_subalgoE5ElNS0_10empty_typeEbEEZZNS1_14partition_implILS5_5ELb0ES3_mN6hipcub16HIPCUB_304000_NS21CountingInputIteratorIllEEPS6_NSA_22TransformInputIteratorIbN2at6native12_GLOBAL__N_19NonZeroOpIN3c107complexIdEEEEPKSL_lEENS0_5tupleIJPlS6_EEENSQ_IJSD_SD_EEES6_PiJS6_EEE10hipError_tPvRmT3_T4_T5_T6_T7_T9_mT8_P12ihipStream_tbDpT10_ENKUlT_T0_E_clISt17integral_constantIbLb0EES1E_EEDaS19_S1A_EUlS19_E_NS1_11comp_targetILNS1_3genE5ELNS1_11target_archE942ELNS1_3gpuE9ELNS1_3repE0EEENS1_30default_config_static_selectorELNS0_4arch9wavefront6targetE0EEEvT1_,comdat
.Lfunc_end527:
	.size	_ZN7rocprim17ROCPRIM_400000_NS6detail17trampoline_kernelINS0_14default_configENS1_25partition_config_selectorILNS1_17partition_subalgoE5ElNS0_10empty_typeEbEEZZNS1_14partition_implILS5_5ELb0ES3_mN6hipcub16HIPCUB_304000_NS21CountingInputIteratorIllEEPS6_NSA_22TransformInputIteratorIbN2at6native12_GLOBAL__N_19NonZeroOpIN3c107complexIdEEEEPKSL_lEENS0_5tupleIJPlS6_EEENSQ_IJSD_SD_EEES6_PiJS6_EEE10hipError_tPvRmT3_T4_T5_T6_T7_T9_mT8_P12ihipStream_tbDpT10_ENKUlT_T0_E_clISt17integral_constantIbLb0EES1E_EEDaS19_S1A_EUlS19_E_NS1_11comp_targetILNS1_3genE5ELNS1_11target_archE942ELNS1_3gpuE9ELNS1_3repE0EEENS1_30default_config_static_selectorELNS0_4arch9wavefront6targetE0EEEvT1_, .Lfunc_end527-_ZN7rocprim17ROCPRIM_400000_NS6detail17trampoline_kernelINS0_14default_configENS1_25partition_config_selectorILNS1_17partition_subalgoE5ElNS0_10empty_typeEbEEZZNS1_14partition_implILS5_5ELb0ES3_mN6hipcub16HIPCUB_304000_NS21CountingInputIteratorIllEEPS6_NSA_22TransformInputIteratorIbN2at6native12_GLOBAL__N_19NonZeroOpIN3c107complexIdEEEEPKSL_lEENS0_5tupleIJPlS6_EEENSQ_IJSD_SD_EEES6_PiJS6_EEE10hipError_tPvRmT3_T4_T5_T6_T7_T9_mT8_P12ihipStream_tbDpT10_ENKUlT_T0_E_clISt17integral_constantIbLb0EES1E_EEDaS19_S1A_EUlS19_E_NS1_11comp_targetILNS1_3genE5ELNS1_11target_archE942ELNS1_3gpuE9ELNS1_3repE0EEENS1_30default_config_static_selectorELNS0_4arch9wavefront6targetE0EEEvT1_
                                        ; -- End function
	.section	.AMDGPU.csdata,"",@progbits
; Kernel info:
; codeLenInByte = 0
; NumSgprs: 0
; NumVgprs: 0
; ScratchSize: 0
; MemoryBound: 0
; FloatMode: 240
; IeeeMode: 1
; LDSByteSize: 0 bytes/workgroup (compile time only)
; SGPRBlocks: 0
; VGPRBlocks: 0
; NumSGPRsForWavesPerEU: 1
; NumVGPRsForWavesPerEU: 1
; Occupancy: 16
; WaveLimiterHint : 0
; COMPUTE_PGM_RSRC2:SCRATCH_EN: 0
; COMPUTE_PGM_RSRC2:USER_SGPR: 15
; COMPUTE_PGM_RSRC2:TRAP_HANDLER: 0
; COMPUTE_PGM_RSRC2:TGID_X_EN: 1
; COMPUTE_PGM_RSRC2:TGID_Y_EN: 0
; COMPUTE_PGM_RSRC2:TGID_Z_EN: 0
; COMPUTE_PGM_RSRC2:TIDIG_COMP_CNT: 0
	.section	.text._ZN7rocprim17ROCPRIM_400000_NS6detail17trampoline_kernelINS0_14default_configENS1_25partition_config_selectorILNS1_17partition_subalgoE5ElNS0_10empty_typeEbEEZZNS1_14partition_implILS5_5ELb0ES3_mN6hipcub16HIPCUB_304000_NS21CountingInputIteratorIllEEPS6_NSA_22TransformInputIteratorIbN2at6native12_GLOBAL__N_19NonZeroOpIN3c107complexIdEEEEPKSL_lEENS0_5tupleIJPlS6_EEENSQ_IJSD_SD_EEES6_PiJS6_EEE10hipError_tPvRmT3_T4_T5_T6_T7_T9_mT8_P12ihipStream_tbDpT10_ENKUlT_T0_E_clISt17integral_constantIbLb0EES1E_EEDaS19_S1A_EUlS19_E_NS1_11comp_targetILNS1_3genE4ELNS1_11target_archE910ELNS1_3gpuE8ELNS1_3repE0EEENS1_30default_config_static_selectorELNS0_4arch9wavefront6targetE0EEEvT1_,"axG",@progbits,_ZN7rocprim17ROCPRIM_400000_NS6detail17trampoline_kernelINS0_14default_configENS1_25partition_config_selectorILNS1_17partition_subalgoE5ElNS0_10empty_typeEbEEZZNS1_14partition_implILS5_5ELb0ES3_mN6hipcub16HIPCUB_304000_NS21CountingInputIteratorIllEEPS6_NSA_22TransformInputIteratorIbN2at6native12_GLOBAL__N_19NonZeroOpIN3c107complexIdEEEEPKSL_lEENS0_5tupleIJPlS6_EEENSQ_IJSD_SD_EEES6_PiJS6_EEE10hipError_tPvRmT3_T4_T5_T6_T7_T9_mT8_P12ihipStream_tbDpT10_ENKUlT_T0_E_clISt17integral_constantIbLb0EES1E_EEDaS19_S1A_EUlS19_E_NS1_11comp_targetILNS1_3genE4ELNS1_11target_archE910ELNS1_3gpuE8ELNS1_3repE0EEENS1_30default_config_static_selectorELNS0_4arch9wavefront6targetE0EEEvT1_,comdat
	.globl	_ZN7rocprim17ROCPRIM_400000_NS6detail17trampoline_kernelINS0_14default_configENS1_25partition_config_selectorILNS1_17partition_subalgoE5ElNS0_10empty_typeEbEEZZNS1_14partition_implILS5_5ELb0ES3_mN6hipcub16HIPCUB_304000_NS21CountingInputIteratorIllEEPS6_NSA_22TransformInputIteratorIbN2at6native12_GLOBAL__N_19NonZeroOpIN3c107complexIdEEEEPKSL_lEENS0_5tupleIJPlS6_EEENSQ_IJSD_SD_EEES6_PiJS6_EEE10hipError_tPvRmT3_T4_T5_T6_T7_T9_mT8_P12ihipStream_tbDpT10_ENKUlT_T0_E_clISt17integral_constantIbLb0EES1E_EEDaS19_S1A_EUlS19_E_NS1_11comp_targetILNS1_3genE4ELNS1_11target_archE910ELNS1_3gpuE8ELNS1_3repE0EEENS1_30default_config_static_selectorELNS0_4arch9wavefront6targetE0EEEvT1_ ; -- Begin function _ZN7rocprim17ROCPRIM_400000_NS6detail17trampoline_kernelINS0_14default_configENS1_25partition_config_selectorILNS1_17partition_subalgoE5ElNS0_10empty_typeEbEEZZNS1_14partition_implILS5_5ELb0ES3_mN6hipcub16HIPCUB_304000_NS21CountingInputIteratorIllEEPS6_NSA_22TransformInputIteratorIbN2at6native12_GLOBAL__N_19NonZeroOpIN3c107complexIdEEEEPKSL_lEENS0_5tupleIJPlS6_EEENSQ_IJSD_SD_EEES6_PiJS6_EEE10hipError_tPvRmT3_T4_T5_T6_T7_T9_mT8_P12ihipStream_tbDpT10_ENKUlT_T0_E_clISt17integral_constantIbLb0EES1E_EEDaS19_S1A_EUlS19_E_NS1_11comp_targetILNS1_3genE4ELNS1_11target_archE910ELNS1_3gpuE8ELNS1_3repE0EEENS1_30default_config_static_selectorELNS0_4arch9wavefront6targetE0EEEvT1_
	.p2align	8
	.type	_ZN7rocprim17ROCPRIM_400000_NS6detail17trampoline_kernelINS0_14default_configENS1_25partition_config_selectorILNS1_17partition_subalgoE5ElNS0_10empty_typeEbEEZZNS1_14partition_implILS5_5ELb0ES3_mN6hipcub16HIPCUB_304000_NS21CountingInputIteratorIllEEPS6_NSA_22TransformInputIteratorIbN2at6native12_GLOBAL__N_19NonZeroOpIN3c107complexIdEEEEPKSL_lEENS0_5tupleIJPlS6_EEENSQ_IJSD_SD_EEES6_PiJS6_EEE10hipError_tPvRmT3_T4_T5_T6_T7_T9_mT8_P12ihipStream_tbDpT10_ENKUlT_T0_E_clISt17integral_constantIbLb0EES1E_EEDaS19_S1A_EUlS19_E_NS1_11comp_targetILNS1_3genE4ELNS1_11target_archE910ELNS1_3gpuE8ELNS1_3repE0EEENS1_30default_config_static_selectorELNS0_4arch9wavefront6targetE0EEEvT1_,@function
_ZN7rocprim17ROCPRIM_400000_NS6detail17trampoline_kernelINS0_14default_configENS1_25partition_config_selectorILNS1_17partition_subalgoE5ElNS0_10empty_typeEbEEZZNS1_14partition_implILS5_5ELb0ES3_mN6hipcub16HIPCUB_304000_NS21CountingInputIteratorIllEEPS6_NSA_22TransformInputIteratorIbN2at6native12_GLOBAL__N_19NonZeroOpIN3c107complexIdEEEEPKSL_lEENS0_5tupleIJPlS6_EEENSQ_IJSD_SD_EEES6_PiJS6_EEE10hipError_tPvRmT3_T4_T5_T6_T7_T9_mT8_P12ihipStream_tbDpT10_ENKUlT_T0_E_clISt17integral_constantIbLb0EES1E_EEDaS19_S1A_EUlS19_E_NS1_11comp_targetILNS1_3genE4ELNS1_11target_archE910ELNS1_3gpuE8ELNS1_3repE0EEENS1_30default_config_static_selectorELNS0_4arch9wavefront6targetE0EEEvT1_: ; @_ZN7rocprim17ROCPRIM_400000_NS6detail17trampoline_kernelINS0_14default_configENS1_25partition_config_selectorILNS1_17partition_subalgoE5ElNS0_10empty_typeEbEEZZNS1_14partition_implILS5_5ELb0ES3_mN6hipcub16HIPCUB_304000_NS21CountingInputIteratorIllEEPS6_NSA_22TransformInputIteratorIbN2at6native12_GLOBAL__N_19NonZeroOpIN3c107complexIdEEEEPKSL_lEENS0_5tupleIJPlS6_EEENSQ_IJSD_SD_EEES6_PiJS6_EEE10hipError_tPvRmT3_T4_T5_T6_T7_T9_mT8_P12ihipStream_tbDpT10_ENKUlT_T0_E_clISt17integral_constantIbLb0EES1E_EEDaS19_S1A_EUlS19_E_NS1_11comp_targetILNS1_3genE4ELNS1_11target_archE910ELNS1_3gpuE8ELNS1_3repE0EEENS1_30default_config_static_selectorELNS0_4arch9wavefront6targetE0EEEvT1_
; %bb.0:
	.section	.rodata,"a",@progbits
	.p2align	6, 0x0
	.amdhsa_kernel _ZN7rocprim17ROCPRIM_400000_NS6detail17trampoline_kernelINS0_14default_configENS1_25partition_config_selectorILNS1_17partition_subalgoE5ElNS0_10empty_typeEbEEZZNS1_14partition_implILS5_5ELb0ES3_mN6hipcub16HIPCUB_304000_NS21CountingInputIteratorIllEEPS6_NSA_22TransformInputIteratorIbN2at6native12_GLOBAL__N_19NonZeroOpIN3c107complexIdEEEEPKSL_lEENS0_5tupleIJPlS6_EEENSQ_IJSD_SD_EEES6_PiJS6_EEE10hipError_tPvRmT3_T4_T5_T6_T7_T9_mT8_P12ihipStream_tbDpT10_ENKUlT_T0_E_clISt17integral_constantIbLb0EES1E_EEDaS19_S1A_EUlS19_E_NS1_11comp_targetILNS1_3genE4ELNS1_11target_archE910ELNS1_3gpuE8ELNS1_3repE0EEENS1_30default_config_static_selectorELNS0_4arch9wavefront6targetE0EEEvT1_
		.amdhsa_group_segment_fixed_size 0
		.amdhsa_private_segment_fixed_size 0
		.amdhsa_kernarg_size 120
		.amdhsa_user_sgpr_count 15
		.amdhsa_user_sgpr_dispatch_ptr 0
		.amdhsa_user_sgpr_queue_ptr 0
		.amdhsa_user_sgpr_kernarg_segment_ptr 1
		.amdhsa_user_sgpr_dispatch_id 0
		.amdhsa_user_sgpr_private_segment_size 0
		.amdhsa_wavefront_size32 1
		.amdhsa_uses_dynamic_stack 0
		.amdhsa_enable_private_segment 0
		.amdhsa_system_sgpr_workgroup_id_x 1
		.amdhsa_system_sgpr_workgroup_id_y 0
		.amdhsa_system_sgpr_workgroup_id_z 0
		.amdhsa_system_sgpr_workgroup_info 0
		.amdhsa_system_vgpr_workitem_id 0
		.amdhsa_next_free_vgpr 1
		.amdhsa_next_free_sgpr 1
		.amdhsa_reserve_vcc 0
		.amdhsa_float_round_mode_32 0
		.amdhsa_float_round_mode_16_64 0
		.amdhsa_float_denorm_mode_32 3
		.amdhsa_float_denorm_mode_16_64 3
		.amdhsa_dx10_clamp 1
		.amdhsa_ieee_mode 1
		.amdhsa_fp16_overflow 0
		.amdhsa_workgroup_processor_mode 1
		.amdhsa_memory_ordered 1
		.amdhsa_forward_progress 0
		.amdhsa_shared_vgpr_count 0
		.amdhsa_exception_fp_ieee_invalid_op 0
		.amdhsa_exception_fp_denorm_src 0
		.amdhsa_exception_fp_ieee_div_zero 0
		.amdhsa_exception_fp_ieee_overflow 0
		.amdhsa_exception_fp_ieee_underflow 0
		.amdhsa_exception_fp_ieee_inexact 0
		.amdhsa_exception_int_div_zero 0
	.end_amdhsa_kernel
	.section	.text._ZN7rocprim17ROCPRIM_400000_NS6detail17trampoline_kernelINS0_14default_configENS1_25partition_config_selectorILNS1_17partition_subalgoE5ElNS0_10empty_typeEbEEZZNS1_14partition_implILS5_5ELb0ES3_mN6hipcub16HIPCUB_304000_NS21CountingInputIteratorIllEEPS6_NSA_22TransformInputIteratorIbN2at6native12_GLOBAL__N_19NonZeroOpIN3c107complexIdEEEEPKSL_lEENS0_5tupleIJPlS6_EEENSQ_IJSD_SD_EEES6_PiJS6_EEE10hipError_tPvRmT3_T4_T5_T6_T7_T9_mT8_P12ihipStream_tbDpT10_ENKUlT_T0_E_clISt17integral_constantIbLb0EES1E_EEDaS19_S1A_EUlS19_E_NS1_11comp_targetILNS1_3genE4ELNS1_11target_archE910ELNS1_3gpuE8ELNS1_3repE0EEENS1_30default_config_static_selectorELNS0_4arch9wavefront6targetE0EEEvT1_,"axG",@progbits,_ZN7rocprim17ROCPRIM_400000_NS6detail17trampoline_kernelINS0_14default_configENS1_25partition_config_selectorILNS1_17partition_subalgoE5ElNS0_10empty_typeEbEEZZNS1_14partition_implILS5_5ELb0ES3_mN6hipcub16HIPCUB_304000_NS21CountingInputIteratorIllEEPS6_NSA_22TransformInputIteratorIbN2at6native12_GLOBAL__N_19NonZeroOpIN3c107complexIdEEEEPKSL_lEENS0_5tupleIJPlS6_EEENSQ_IJSD_SD_EEES6_PiJS6_EEE10hipError_tPvRmT3_T4_T5_T6_T7_T9_mT8_P12ihipStream_tbDpT10_ENKUlT_T0_E_clISt17integral_constantIbLb0EES1E_EEDaS19_S1A_EUlS19_E_NS1_11comp_targetILNS1_3genE4ELNS1_11target_archE910ELNS1_3gpuE8ELNS1_3repE0EEENS1_30default_config_static_selectorELNS0_4arch9wavefront6targetE0EEEvT1_,comdat
.Lfunc_end528:
	.size	_ZN7rocprim17ROCPRIM_400000_NS6detail17trampoline_kernelINS0_14default_configENS1_25partition_config_selectorILNS1_17partition_subalgoE5ElNS0_10empty_typeEbEEZZNS1_14partition_implILS5_5ELb0ES3_mN6hipcub16HIPCUB_304000_NS21CountingInputIteratorIllEEPS6_NSA_22TransformInputIteratorIbN2at6native12_GLOBAL__N_19NonZeroOpIN3c107complexIdEEEEPKSL_lEENS0_5tupleIJPlS6_EEENSQ_IJSD_SD_EEES6_PiJS6_EEE10hipError_tPvRmT3_T4_T5_T6_T7_T9_mT8_P12ihipStream_tbDpT10_ENKUlT_T0_E_clISt17integral_constantIbLb0EES1E_EEDaS19_S1A_EUlS19_E_NS1_11comp_targetILNS1_3genE4ELNS1_11target_archE910ELNS1_3gpuE8ELNS1_3repE0EEENS1_30default_config_static_selectorELNS0_4arch9wavefront6targetE0EEEvT1_, .Lfunc_end528-_ZN7rocprim17ROCPRIM_400000_NS6detail17trampoline_kernelINS0_14default_configENS1_25partition_config_selectorILNS1_17partition_subalgoE5ElNS0_10empty_typeEbEEZZNS1_14partition_implILS5_5ELb0ES3_mN6hipcub16HIPCUB_304000_NS21CountingInputIteratorIllEEPS6_NSA_22TransformInputIteratorIbN2at6native12_GLOBAL__N_19NonZeroOpIN3c107complexIdEEEEPKSL_lEENS0_5tupleIJPlS6_EEENSQ_IJSD_SD_EEES6_PiJS6_EEE10hipError_tPvRmT3_T4_T5_T6_T7_T9_mT8_P12ihipStream_tbDpT10_ENKUlT_T0_E_clISt17integral_constantIbLb0EES1E_EEDaS19_S1A_EUlS19_E_NS1_11comp_targetILNS1_3genE4ELNS1_11target_archE910ELNS1_3gpuE8ELNS1_3repE0EEENS1_30default_config_static_selectorELNS0_4arch9wavefront6targetE0EEEvT1_
                                        ; -- End function
	.section	.AMDGPU.csdata,"",@progbits
; Kernel info:
; codeLenInByte = 0
; NumSgprs: 0
; NumVgprs: 0
; ScratchSize: 0
; MemoryBound: 0
; FloatMode: 240
; IeeeMode: 1
; LDSByteSize: 0 bytes/workgroup (compile time only)
; SGPRBlocks: 0
; VGPRBlocks: 0
; NumSGPRsForWavesPerEU: 1
; NumVGPRsForWavesPerEU: 1
; Occupancy: 15
; WaveLimiterHint : 0
; COMPUTE_PGM_RSRC2:SCRATCH_EN: 0
; COMPUTE_PGM_RSRC2:USER_SGPR: 15
; COMPUTE_PGM_RSRC2:TRAP_HANDLER: 0
; COMPUTE_PGM_RSRC2:TGID_X_EN: 1
; COMPUTE_PGM_RSRC2:TGID_Y_EN: 0
; COMPUTE_PGM_RSRC2:TGID_Z_EN: 0
; COMPUTE_PGM_RSRC2:TIDIG_COMP_CNT: 0
	.section	.text._ZN7rocprim17ROCPRIM_400000_NS6detail17trampoline_kernelINS0_14default_configENS1_25partition_config_selectorILNS1_17partition_subalgoE5ElNS0_10empty_typeEbEEZZNS1_14partition_implILS5_5ELb0ES3_mN6hipcub16HIPCUB_304000_NS21CountingInputIteratorIllEEPS6_NSA_22TransformInputIteratorIbN2at6native12_GLOBAL__N_19NonZeroOpIN3c107complexIdEEEEPKSL_lEENS0_5tupleIJPlS6_EEENSQ_IJSD_SD_EEES6_PiJS6_EEE10hipError_tPvRmT3_T4_T5_T6_T7_T9_mT8_P12ihipStream_tbDpT10_ENKUlT_T0_E_clISt17integral_constantIbLb0EES1E_EEDaS19_S1A_EUlS19_E_NS1_11comp_targetILNS1_3genE3ELNS1_11target_archE908ELNS1_3gpuE7ELNS1_3repE0EEENS1_30default_config_static_selectorELNS0_4arch9wavefront6targetE0EEEvT1_,"axG",@progbits,_ZN7rocprim17ROCPRIM_400000_NS6detail17trampoline_kernelINS0_14default_configENS1_25partition_config_selectorILNS1_17partition_subalgoE5ElNS0_10empty_typeEbEEZZNS1_14partition_implILS5_5ELb0ES3_mN6hipcub16HIPCUB_304000_NS21CountingInputIteratorIllEEPS6_NSA_22TransformInputIteratorIbN2at6native12_GLOBAL__N_19NonZeroOpIN3c107complexIdEEEEPKSL_lEENS0_5tupleIJPlS6_EEENSQ_IJSD_SD_EEES6_PiJS6_EEE10hipError_tPvRmT3_T4_T5_T6_T7_T9_mT8_P12ihipStream_tbDpT10_ENKUlT_T0_E_clISt17integral_constantIbLb0EES1E_EEDaS19_S1A_EUlS19_E_NS1_11comp_targetILNS1_3genE3ELNS1_11target_archE908ELNS1_3gpuE7ELNS1_3repE0EEENS1_30default_config_static_selectorELNS0_4arch9wavefront6targetE0EEEvT1_,comdat
	.globl	_ZN7rocprim17ROCPRIM_400000_NS6detail17trampoline_kernelINS0_14default_configENS1_25partition_config_selectorILNS1_17partition_subalgoE5ElNS0_10empty_typeEbEEZZNS1_14partition_implILS5_5ELb0ES3_mN6hipcub16HIPCUB_304000_NS21CountingInputIteratorIllEEPS6_NSA_22TransformInputIteratorIbN2at6native12_GLOBAL__N_19NonZeroOpIN3c107complexIdEEEEPKSL_lEENS0_5tupleIJPlS6_EEENSQ_IJSD_SD_EEES6_PiJS6_EEE10hipError_tPvRmT3_T4_T5_T6_T7_T9_mT8_P12ihipStream_tbDpT10_ENKUlT_T0_E_clISt17integral_constantIbLb0EES1E_EEDaS19_S1A_EUlS19_E_NS1_11comp_targetILNS1_3genE3ELNS1_11target_archE908ELNS1_3gpuE7ELNS1_3repE0EEENS1_30default_config_static_selectorELNS0_4arch9wavefront6targetE0EEEvT1_ ; -- Begin function _ZN7rocprim17ROCPRIM_400000_NS6detail17trampoline_kernelINS0_14default_configENS1_25partition_config_selectorILNS1_17partition_subalgoE5ElNS0_10empty_typeEbEEZZNS1_14partition_implILS5_5ELb0ES3_mN6hipcub16HIPCUB_304000_NS21CountingInputIteratorIllEEPS6_NSA_22TransformInputIteratorIbN2at6native12_GLOBAL__N_19NonZeroOpIN3c107complexIdEEEEPKSL_lEENS0_5tupleIJPlS6_EEENSQ_IJSD_SD_EEES6_PiJS6_EEE10hipError_tPvRmT3_T4_T5_T6_T7_T9_mT8_P12ihipStream_tbDpT10_ENKUlT_T0_E_clISt17integral_constantIbLb0EES1E_EEDaS19_S1A_EUlS19_E_NS1_11comp_targetILNS1_3genE3ELNS1_11target_archE908ELNS1_3gpuE7ELNS1_3repE0EEENS1_30default_config_static_selectorELNS0_4arch9wavefront6targetE0EEEvT1_
	.p2align	8
	.type	_ZN7rocprim17ROCPRIM_400000_NS6detail17trampoline_kernelINS0_14default_configENS1_25partition_config_selectorILNS1_17partition_subalgoE5ElNS0_10empty_typeEbEEZZNS1_14partition_implILS5_5ELb0ES3_mN6hipcub16HIPCUB_304000_NS21CountingInputIteratorIllEEPS6_NSA_22TransformInputIteratorIbN2at6native12_GLOBAL__N_19NonZeroOpIN3c107complexIdEEEEPKSL_lEENS0_5tupleIJPlS6_EEENSQ_IJSD_SD_EEES6_PiJS6_EEE10hipError_tPvRmT3_T4_T5_T6_T7_T9_mT8_P12ihipStream_tbDpT10_ENKUlT_T0_E_clISt17integral_constantIbLb0EES1E_EEDaS19_S1A_EUlS19_E_NS1_11comp_targetILNS1_3genE3ELNS1_11target_archE908ELNS1_3gpuE7ELNS1_3repE0EEENS1_30default_config_static_selectorELNS0_4arch9wavefront6targetE0EEEvT1_,@function
_ZN7rocprim17ROCPRIM_400000_NS6detail17trampoline_kernelINS0_14default_configENS1_25partition_config_selectorILNS1_17partition_subalgoE5ElNS0_10empty_typeEbEEZZNS1_14partition_implILS5_5ELb0ES3_mN6hipcub16HIPCUB_304000_NS21CountingInputIteratorIllEEPS6_NSA_22TransformInputIteratorIbN2at6native12_GLOBAL__N_19NonZeroOpIN3c107complexIdEEEEPKSL_lEENS0_5tupleIJPlS6_EEENSQ_IJSD_SD_EEES6_PiJS6_EEE10hipError_tPvRmT3_T4_T5_T6_T7_T9_mT8_P12ihipStream_tbDpT10_ENKUlT_T0_E_clISt17integral_constantIbLb0EES1E_EEDaS19_S1A_EUlS19_E_NS1_11comp_targetILNS1_3genE3ELNS1_11target_archE908ELNS1_3gpuE7ELNS1_3repE0EEENS1_30default_config_static_selectorELNS0_4arch9wavefront6targetE0EEEvT1_: ; @_ZN7rocprim17ROCPRIM_400000_NS6detail17trampoline_kernelINS0_14default_configENS1_25partition_config_selectorILNS1_17partition_subalgoE5ElNS0_10empty_typeEbEEZZNS1_14partition_implILS5_5ELb0ES3_mN6hipcub16HIPCUB_304000_NS21CountingInputIteratorIllEEPS6_NSA_22TransformInputIteratorIbN2at6native12_GLOBAL__N_19NonZeroOpIN3c107complexIdEEEEPKSL_lEENS0_5tupleIJPlS6_EEENSQ_IJSD_SD_EEES6_PiJS6_EEE10hipError_tPvRmT3_T4_T5_T6_T7_T9_mT8_P12ihipStream_tbDpT10_ENKUlT_T0_E_clISt17integral_constantIbLb0EES1E_EEDaS19_S1A_EUlS19_E_NS1_11comp_targetILNS1_3genE3ELNS1_11target_archE908ELNS1_3gpuE7ELNS1_3repE0EEENS1_30default_config_static_selectorELNS0_4arch9wavefront6targetE0EEEvT1_
; %bb.0:
	.section	.rodata,"a",@progbits
	.p2align	6, 0x0
	.amdhsa_kernel _ZN7rocprim17ROCPRIM_400000_NS6detail17trampoline_kernelINS0_14default_configENS1_25partition_config_selectorILNS1_17partition_subalgoE5ElNS0_10empty_typeEbEEZZNS1_14partition_implILS5_5ELb0ES3_mN6hipcub16HIPCUB_304000_NS21CountingInputIteratorIllEEPS6_NSA_22TransformInputIteratorIbN2at6native12_GLOBAL__N_19NonZeroOpIN3c107complexIdEEEEPKSL_lEENS0_5tupleIJPlS6_EEENSQ_IJSD_SD_EEES6_PiJS6_EEE10hipError_tPvRmT3_T4_T5_T6_T7_T9_mT8_P12ihipStream_tbDpT10_ENKUlT_T0_E_clISt17integral_constantIbLb0EES1E_EEDaS19_S1A_EUlS19_E_NS1_11comp_targetILNS1_3genE3ELNS1_11target_archE908ELNS1_3gpuE7ELNS1_3repE0EEENS1_30default_config_static_selectorELNS0_4arch9wavefront6targetE0EEEvT1_
		.amdhsa_group_segment_fixed_size 0
		.amdhsa_private_segment_fixed_size 0
		.amdhsa_kernarg_size 120
		.amdhsa_user_sgpr_count 15
		.amdhsa_user_sgpr_dispatch_ptr 0
		.amdhsa_user_sgpr_queue_ptr 0
		.amdhsa_user_sgpr_kernarg_segment_ptr 1
		.amdhsa_user_sgpr_dispatch_id 0
		.amdhsa_user_sgpr_private_segment_size 0
		.amdhsa_wavefront_size32 1
		.amdhsa_uses_dynamic_stack 0
		.amdhsa_enable_private_segment 0
		.amdhsa_system_sgpr_workgroup_id_x 1
		.amdhsa_system_sgpr_workgroup_id_y 0
		.amdhsa_system_sgpr_workgroup_id_z 0
		.amdhsa_system_sgpr_workgroup_info 0
		.amdhsa_system_vgpr_workitem_id 0
		.amdhsa_next_free_vgpr 1
		.amdhsa_next_free_sgpr 1
		.amdhsa_reserve_vcc 0
		.amdhsa_float_round_mode_32 0
		.amdhsa_float_round_mode_16_64 0
		.amdhsa_float_denorm_mode_32 3
		.amdhsa_float_denorm_mode_16_64 3
		.amdhsa_dx10_clamp 1
		.amdhsa_ieee_mode 1
		.amdhsa_fp16_overflow 0
		.amdhsa_workgroup_processor_mode 1
		.amdhsa_memory_ordered 1
		.amdhsa_forward_progress 0
		.amdhsa_shared_vgpr_count 0
		.amdhsa_exception_fp_ieee_invalid_op 0
		.amdhsa_exception_fp_denorm_src 0
		.amdhsa_exception_fp_ieee_div_zero 0
		.amdhsa_exception_fp_ieee_overflow 0
		.amdhsa_exception_fp_ieee_underflow 0
		.amdhsa_exception_fp_ieee_inexact 0
		.amdhsa_exception_int_div_zero 0
	.end_amdhsa_kernel
	.section	.text._ZN7rocprim17ROCPRIM_400000_NS6detail17trampoline_kernelINS0_14default_configENS1_25partition_config_selectorILNS1_17partition_subalgoE5ElNS0_10empty_typeEbEEZZNS1_14partition_implILS5_5ELb0ES3_mN6hipcub16HIPCUB_304000_NS21CountingInputIteratorIllEEPS6_NSA_22TransformInputIteratorIbN2at6native12_GLOBAL__N_19NonZeroOpIN3c107complexIdEEEEPKSL_lEENS0_5tupleIJPlS6_EEENSQ_IJSD_SD_EEES6_PiJS6_EEE10hipError_tPvRmT3_T4_T5_T6_T7_T9_mT8_P12ihipStream_tbDpT10_ENKUlT_T0_E_clISt17integral_constantIbLb0EES1E_EEDaS19_S1A_EUlS19_E_NS1_11comp_targetILNS1_3genE3ELNS1_11target_archE908ELNS1_3gpuE7ELNS1_3repE0EEENS1_30default_config_static_selectorELNS0_4arch9wavefront6targetE0EEEvT1_,"axG",@progbits,_ZN7rocprim17ROCPRIM_400000_NS6detail17trampoline_kernelINS0_14default_configENS1_25partition_config_selectorILNS1_17partition_subalgoE5ElNS0_10empty_typeEbEEZZNS1_14partition_implILS5_5ELb0ES3_mN6hipcub16HIPCUB_304000_NS21CountingInputIteratorIllEEPS6_NSA_22TransformInputIteratorIbN2at6native12_GLOBAL__N_19NonZeroOpIN3c107complexIdEEEEPKSL_lEENS0_5tupleIJPlS6_EEENSQ_IJSD_SD_EEES6_PiJS6_EEE10hipError_tPvRmT3_T4_T5_T6_T7_T9_mT8_P12ihipStream_tbDpT10_ENKUlT_T0_E_clISt17integral_constantIbLb0EES1E_EEDaS19_S1A_EUlS19_E_NS1_11comp_targetILNS1_3genE3ELNS1_11target_archE908ELNS1_3gpuE7ELNS1_3repE0EEENS1_30default_config_static_selectorELNS0_4arch9wavefront6targetE0EEEvT1_,comdat
.Lfunc_end529:
	.size	_ZN7rocprim17ROCPRIM_400000_NS6detail17trampoline_kernelINS0_14default_configENS1_25partition_config_selectorILNS1_17partition_subalgoE5ElNS0_10empty_typeEbEEZZNS1_14partition_implILS5_5ELb0ES3_mN6hipcub16HIPCUB_304000_NS21CountingInputIteratorIllEEPS6_NSA_22TransformInputIteratorIbN2at6native12_GLOBAL__N_19NonZeroOpIN3c107complexIdEEEEPKSL_lEENS0_5tupleIJPlS6_EEENSQ_IJSD_SD_EEES6_PiJS6_EEE10hipError_tPvRmT3_T4_T5_T6_T7_T9_mT8_P12ihipStream_tbDpT10_ENKUlT_T0_E_clISt17integral_constantIbLb0EES1E_EEDaS19_S1A_EUlS19_E_NS1_11comp_targetILNS1_3genE3ELNS1_11target_archE908ELNS1_3gpuE7ELNS1_3repE0EEENS1_30default_config_static_selectorELNS0_4arch9wavefront6targetE0EEEvT1_, .Lfunc_end529-_ZN7rocprim17ROCPRIM_400000_NS6detail17trampoline_kernelINS0_14default_configENS1_25partition_config_selectorILNS1_17partition_subalgoE5ElNS0_10empty_typeEbEEZZNS1_14partition_implILS5_5ELb0ES3_mN6hipcub16HIPCUB_304000_NS21CountingInputIteratorIllEEPS6_NSA_22TransformInputIteratorIbN2at6native12_GLOBAL__N_19NonZeroOpIN3c107complexIdEEEEPKSL_lEENS0_5tupleIJPlS6_EEENSQ_IJSD_SD_EEES6_PiJS6_EEE10hipError_tPvRmT3_T4_T5_T6_T7_T9_mT8_P12ihipStream_tbDpT10_ENKUlT_T0_E_clISt17integral_constantIbLb0EES1E_EEDaS19_S1A_EUlS19_E_NS1_11comp_targetILNS1_3genE3ELNS1_11target_archE908ELNS1_3gpuE7ELNS1_3repE0EEENS1_30default_config_static_selectorELNS0_4arch9wavefront6targetE0EEEvT1_
                                        ; -- End function
	.section	.AMDGPU.csdata,"",@progbits
; Kernel info:
; codeLenInByte = 0
; NumSgprs: 0
; NumVgprs: 0
; ScratchSize: 0
; MemoryBound: 0
; FloatMode: 240
; IeeeMode: 1
; LDSByteSize: 0 bytes/workgroup (compile time only)
; SGPRBlocks: 0
; VGPRBlocks: 0
; NumSGPRsForWavesPerEU: 1
; NumVGPRsForWavesPerEU: 1
; Occupancy: 16
; WaveLimiterHint : 0
; COMPUTE_PGM_RSRC2:SCRATCH_EN: 0
; COMPUTE_PGM_RSRC2:USER_SGPR: 15
; COMPUTE_PGM_RSRC2:TRAP_HANDLER: 0
; COMPUTE_PGM_RSRC2:TGID_X_EN: 1
; COMPUTE_PGM_RSRC2:TGID_Y_EN: 0
; COMPUTE_PGM_RSRC2:TGID_Z_EN: 0
; COMPUTE_PGM_RSRC2:TIDIG_COMP_CNT: 0
	.section	.text._ZN7rocprim17ROCPRIM_400000_NS6detail17trampoline_kernelINS0_14default_configENS1_25partition_config_selectorILNS1_17partition_subalgoE5ElNS0_10empty_typeEbEEZZNS1_14partition_implILS5_5ELb0ES3_mN6hipcub16HIPCUB_304000_NS21CountingInputIteratorIllEEPS6_NSA_22TransformInputIteratorIbN2at6native12_GLOBAL__N_19NonZeroOpIN3c107complexIdEEEEPKSL_lEENS0_5tupleIJPlS6_EEENSQ_IJSD_SD_EEES6_PiJS6_EEE10hipError_tPvRmT3_T4_T5_T6_T7_T9_mT8_P12ihipStream_tbDpT10_ENKUlT_T0_E_clISt17integral_constantIbLb0EES1E_EEDaS19_S1A_EUlS19_E_NS1_11comp_targetILNS1_3genE2ELNS1_11target_archE906ELNS1_3gpuE6ELNS1_3repE0EEENS1_30default_config_static_selectorELNS0_4arch9wavefront6targetE0EEEvT1_,"axG",@progbits,_ZN7rocprim17ROCPRIM_400000_NS6detail17trampoline_kernelINS0_14default_configENS1_25partition_config_selectorILNS1_17partition_subalgoE5ElNS0_10empty_typeEbEEZZNS1_14partition_implILS5_5ELb0ES3_mN6hipcub16HIPCUB_304000_NS21CountingInputIteratorIllEEPS6_NSA_22TransformInputIteratorIbN2at6native12_GLOBAL__N_19NonZeroOpIN3c107complexIdEEEEPKSL_lEENS0_5tupleIJPlS6_EEENSQ_IJSD_SD_EEES6_PiJS6_EEE10hipError_tPvRmT3_T4_T5_T6_T7_T9_mT8_P12ihipStream_tbDpT10_ENKUlT_T0_E_clISt17integral_constantIbLb0EES1E_EEDaS19_S1A_EUlS19_E_NS1_11comp_targetILNS1_3genE2ELNS1_11target_archE906ELNS1_3gpuE6ELNS1_3repE0EEENS1_30default_config_static_selectorELNS0_4arch9wavefront6targetE0EEEvT1_,comdat
	.globl	_ZN7rocprim17ROCPRIM_400000_NS6detail17trampoline_kernelINS0_14default_configENS1_25partition_config_selectorILNS1_17partition_subalgoE5ElNS0_10empty_typeEbEEZZNS1_14partition_implILS5_5ELb0ES3_mN6hipcub16HIPCUB_304000_NS21CountingInputIteratorIllEEPS6_NSA_22TransformInputIteratorIbN2at6native12_GLOBAL__N_19NonZeroOpIN3c107complexIdEEEEPKSL_lEENS0_5tupleIJPlS6_EEENSQ_IJSD_SD_EEES6_PiJS6_EEE10hipError_tPvRmT3_T4_T5_T6_T7_T9_mT8_P12ihipStream_tbDpT10_ENKUlT_T0_E_clISt17integral_constantIbLb0EES1E_EEDaS19_S1A_EUlS19_E_NS1_11comp_targetILNS1_3genE2ELNS1_11target_archE906ELNS1_3gpuE6ELNS1_3repE0EEENS1_30default_config_static_selectorELNS0_4arch9wavefront6targetE0EEEvT1_ ; -- Begin function _ZN7rocprim17ROCPRIM_400000_NS6detail17trampoline_kernelINS0_14default_configENS1_25partition_config_selectorILNS1_17partition_subalgoE5ElNS0_10empty_typeEbEEZZNS1_14partition_implILS5_5ELb0ES3_mN6hipcub16HIPCUB_304000_NS21CountingInputIteratorIllEEPS6_NSA_22TransformInputIteratorIbN2at6native12_GLOBAL__N_19NonZeroOpIN3c107complexIdEEEEPKSL_lEENS0_5tupleIJPlS6_EEENSQ_IJSD_SD_EEES6_PiJS6_EEE10hipError_tPvRmT3_T4_T5_T6_T7_T9_mT8_P12ihipStream_tbDpT10_ENKUlT_T0_E_clISt17integral_constantIbLb0EES1E_EEDaS19_S1A_EUlS19_E_NS1_11comp_targetILNS1_3genE2ELNS1_11target_archE906ELNS1_3gpuE6ELNS1_3repE0EEENS1_30default_config_static_selectorELNS0_4arch9wavefront6targetE0EEEvT1_
	.p2align	8
	.type	_ZN7rocprim17ROCPRIM_400000_NS6detail17trampoline_kernelINS0_14default_configENS1_25partition_config_selectorILNS1_17partition_subalgoE5ElNS0_10empty_typeEbEEZZNS1_14partition_implILS5_5ELb0ES3_mN6hipcub16HIPCUB_304000_NS21CountingInputIteratorIllEEPS6_NSA_22TransformInputIteratorIbN2at6native12_GLOBAL__N_19NonZeroOpIN3c107complexIdEEEEPKSL_lEENS0_5tupleIJPlS6_EEENSQ_IJSD_SD_EEES6_PiJS6_EEE10hipError_tPvRmT3_T4_T5_T6_T7_T9_mT8_P12ihipStream_tbDpT10_ENKUlT_T0_E_clISt17integral_constantIbLb0EES1E_EEDaS19_S1A_EUlS19_E_NS1_11comp_targetILNS1_3genE2ELNS1_11target_archE906ELNS1_3gpuE6ELNS1_3repE0EEENS1_30default_config_static_selectorELNS0_4arch9wavefront6targetE0EEEvT1_,@function
_ZN7rocprim17ROCPRIM_400000_NS6detail17trampoline_kernelINS0_14default_configENS1_25partition_config_selectorILNS1_17partition_subalgoE5ElNS0_10empty_typeEbEEZZNS1_14partition_implILS5_5ELb0ES3_mN6hipcub16HIPCUB_304000_NS21CountingInputIteratorIllEEPS6_NSA_22TransformInputIteratorIbN2at6native12_GLOBAL__N_19NonZeroOpIN3c107complexIdEEEEPKSL_lEENS0_5tupleIJPlS6_EEENSQ_IJSD_SD_EEES6_PiJS6_EEE10hipError_tPvRmT3_T4_T5_T6_T7_T9_mT8_P12ihipStream_tbDpT10_ENKUlT_T0_E_clISt17integral_constantIbLb0EES1E_EEDaS19_S1A_EUlS19_E_NS1_11comp_targetILNS1_3genE2ELNS1_11target_archE906ELNS1_3gpuE6ELNS1_3repE0EEENS1_30default_config_static_selectorELNS0_4arch9wavefront6targetE0EEEvT1_: ; @_ZN7rocprim17ROCPRIM_400000_NS6detail17trampoline_kernelINS0_14default_configENS1_25partition_config_selectorILNS1_17partition_subalgoE5ElNS0_10empty_typeEbEEZZNS1_14partition_implILS5_5ELb0ES3_mN6hipcub16HIPCUB_304000_NS21CountingInputIteratorIllEEPS6_NSA_22TransformInputIteratorIbN2at6native12_GLOBAL__N_19NonZeroOpIN3c107complexIdEEEEPKSL_lEENS0_5tupleIJPlS6_EEENSQ_IJSD_SD_EEES6_PiJS6_EEE10hipError_tPvRmT3_T4_T5_T6_T7_T9_mT8_P12ihipStream_tbDpT10_ENKUlT_T0_E_clISt17integral_constantIbLb0EES1E_EEDaS19_S1A_EUlS19_E_NS1_11comp_targetILNS1_3genE2ELNS1_11target_archE906ELNS1_3gpuE6ELNS1_3repE0EEENS1_30default_config_static_selectorELNS0_4arch9wavefront6targetE0EEEvT1_
; %bb.0:
	.section	.rodata,"a",@progbits
	.p2align	6, 0x0
	.amdhsa_kernel _ZN7rocprim17ROCPRIM_400000_NS6detail17trampoline_kernelINS0_14default_configENS1_25partition_config_selectorILNS1_17partition_subalgoE5ElNS0_10empty_typeEbEEZZNS1_14partition_implILS5_5ELb0ES3_mN6hipcub16HIPCUB_304000_NS21CountingInputIteratorIllEEPS6_NSA_22TransformInputIteratorIbN2at6native12_GLOBAL__N_19NonZeroOpIN3c107complexIdEEEEPKSL_lEENS0_5tupleIJPlS6_EEENSQ_IJSD_SD_EEES6_PiJS6_EEE10hipError_tPvRmT3_T4_T5_T6_T7_T9_mT8_P12ihipStream_tbDpT10_ENKUlT_T0_E_clISt17integral_constantIbLb0EES1E_EEDaS19_S1A_EUlS19_E_NS1_11comp_targetILNS1_3genE2ELNS1_11target_archE906ELNS1_3gpuE6ELNS1_3repE0EEENS1_30default_config_static_selectorELNS0_4arch9wavefront6targetE0EEEvT1_
		.amdhsa_group_segment_fixed_size 0
		.amdhsa_private_segment_fixed_size 0
		.amdhsa_kernarg_size 120
		.amdhsa_user_sgpr_count 15
		.amdhsa_user_sgpr_dispatch_ptr 0
		.amdhsa_user_sgpr_queue_ptr 0
		.amdhsa_user_sgpr_kernarg_segment_ptr 1
		.amdhsa_user_sgpr_dispatch_id 0
		.amdhsa_user_sgpr_private_segment_size 0
		.amdhsa_wavefront_size32 1
		.amdhsa_uses_dynamic_stack 0
		.amdhsa_enable_private_segment 0
		.amdhsa_system_sgpr_workgroup_id_x 1
		.amdhsa_system_sgpr_workgroup_id_y 0
		.amdhsa_system_sgpr_workgroup_id_z 0
		.amdhsa_system_sgpr_workgroup_info 0
		.amdhsa_system_vgpr_workitem_id 0
		.amdhsa_next_free_vgpr 1
		.amdhsa_next_free_sgpr 1
		.amdhsa_reserve_vcc 0
		.amdhsa_float_round_mode_32 0
		.amdhsa_float_round_mode_16_64 0
		.amdhsa_float_denorm_mode_32 3
		.amdhsa_float_denorm_mode_16_64 3
		.amdhsa_dx10_clamp 1
		.amdhsa_ieee_mode 1
		.amdhsa_fp16_overflow 0
		.amdhsa_workgroup_processor_mode 1
		.amdhsa_memory_ordered 1
		.amdhsa_forward_progress 0
		.amdhsa_shared_vgpr_count 0
		.amdhsa_exception_fp_ieee_invalid_op 0
		.amdhsa_exception_fp_denorm_src 0
		.amdhsa_exception_fp_ieee_div_zero 0
		.amdhsa_exception_fp_ieee_overflow 0
		.amdhsa_exception_fp_ieee_underflow 0
		.amdhsa_exception_fp_ieee_inexact 0
		.amdhsa_exception_int_div_zero 0
	.end_amdhsa_kernel
	.section	.text._ZN7rocprim17ROCPRIM_400000_NS6detail17trampoline_kernelINS0_14default_configENS1_25partition_config_selectorILNS1_17partition_subalgoE5ElNS0_10empty_typeEbEEZZNS1_14partition_implILS5_5ELb0ES3_mN6hipcub16HIPCUB_304000_NS21CountingInputIteratorIllEEPS6_NSA_22TransformInputIteratorIbN2at6native12_GLOBAL__N_19NonZeroOpIN3c107complexIdEEEEPKSL_lEENS0_5tupleIJPlS6_EEENSQ_IJSD_SD_EEES6_PiJS6_EEE10hipError_tPvRmT3_T4_T5_T6_T7_T9_mT8_P12ihipStream_tbDpT10_ENKUlT_T0_E_clISt17integral_constantIbLb0EES1E_EEDaS19_S1A_EUlS19_E_NS1_11comp_targetILNS1_3genE2ELNS1_11target_archE906ELNS1_3gpuE6ELNS1_3repE0EEENS1_30default_config_static_selectorELNS0_4arch9wavefront6targetE0EEEvT1_,"axG",@progbits,_ZN7rocprim17ROCPRIM_400000_NS6detail17trampoline_kernelINS0_14default_configENS1_25partition_config_selectorILNS1_17partition_subalgoE5ElNS0_10empty_typeEbEEZZNS1_14partition_implILS5_5ELb0ES3_mN6hipcub16HIPCUB_304000_NS21CountingInputIteratorIllEEPS6_NSA_22TransformInputIteratorIbN2at6native12_GLOBAL__N_19NonZeroOpIN3c107complexIdEEEEPKSL_lEENS0_5tupleIJPlS6_EEENSQ_IJSD_SD_EEES6_PiJS6_EEE10hipError_tPvRmT3_T4_T5_T6_T7_T9_mT8_P12ihipStream_tbDpT10_ENKUlT_T0_E_clISt17integral_constantIbLb0EES1E_EEDaS19_S1A_EUlS19_E_NS1_11comp_targetILNS1_3genE2ELNS1_11target_archE906ELNS1_3gpuE6ELNS1_3repE0EEENS1_30default_config_static_selectorELNS0_4arch9wavefront6targetE0EEEvT1_,comdat
.Lfunc_end530:
	.size	_ZN7rocprim17ROCPRIM_400000_NS6detail17trampoline_kernelINS0_14default_configENS1_25partition_config_selectorILNS1_17partition_subalgoE5ElNS0_10empty_typeEbEEZZNS1_14partition_implILS5_5ELb0ES3_mN6hipcub16HIPCUB_304000_NS21CountingInputIteratorIllEEPS6_NSA_22TransformInputIteratorIbN2at6native12_GLOBAL__N_19NonZeroOpIN3c107complexIdEEEEPKSL_lEENS0_5tupleIJPlS6_EEENSQ_IJSD_SD_EEES6_PiJS6_EEE10hipError_tPvRmT3_T4_T5_T6_T7_T9_mT8_P12ihipStream_tbDpT10_ENKUlT_T0_E_clISt17integral_constantIbLb0EES1E_EEDaS19_S1A_EUlS19_E_NS1_11comp_targetILNS1_3genE2ELNS1_11target_archE906ELNS1_3gpuE6ELNS1_3repE0EEENS1_30default_config_static_selectorELNS0_4arch9wavefront6targetE0EEEvT1_, .Lfunc_end530-_ZN7rocprim17ROCPRIM_400000_NS6detail17trampoline_kernelINS0_14default_configENS1_25partition_config_selectorILNS1_17partition_subalgoE5ElNS0_10empty_typeEbEEZZNS1_14partition_implILS5_5ELb0ES3_mN6hipcub16HIPCUB_304000_NS21CountingInputIteratorIllEEPS6_NSA_22TransformInputIteratorIbN2at6native12_GLOBAL__N_19NonZeroOpIN3c107complexIdEEEEPKSL_lEENS0_5tupleIJPlS6_EEENSQ_IJSD_SD_EEES6_PiJS6_EEE10hipError_tPvRmT3_T4_T5_T6_T7_T9_mT8_P12ihipStream_tbDpT10_ENKUlT_T0_E_clISt17integral_constantIbLb0EES1E_EEDaS19_S1A_EUlS19_E_NS1_11comp_targetILNS1_3genE2ELNS1_11target_archE906ELNS1_3gpuE6ELNS1_3repE0EEENS1_30default_config_static_selectorELNS0_4arch9wavefront6targetE0EEEvT1_
                                        ; -- End function
	.section	.AMDGPU.csdata,"",@progbits
; Kernel info:
; codeLenInByte = 0
; NumSgprs: 0
; NumVgprs: 0
; ScratchSize: 0
; MemoryBound: 0
; FloatMode: 240
; IeeeMode: 1
; LDSByteSize: 0 bytes/workgroup (compile time only)
; SGPRBlocks: 0
; VGPRBlocks: 0
; NumSGPRsForWavesPerEU: 1
; NumVGPRsForWavesPerEU: 1
; Occupancy: 16
; WaveLimiterHint : 0
; COMPUTE_PGM_RSRC2:SCRATCH_EN: 0
; COMPUTE_PGM_RSRC2:USER_SGPR: 15
; COMPUTE_PGM_RSRC2:TRAP_HANDLER: 0
; COMPUTE_PGM_RSRC2:TGID_X_EN: 1
; COMPUTE_PGM_RSRC2:TGID_Y_EN: 0
; COMPUTE_PGM_RSRC2:TGID_Z_EN: 0
; COMPUTE_PGM_RSRC2:TIDIG_COMP_CNT: 0
	.section	.text._ZN7rocprim17ROCPRIM_400000_NS6detail17trampoline_kernelINS0_14default_configENS1_25partition_config_selectorILNS1_17partition_subalgoE5ElNS0_10empty_typeEbEEZZNS1_14partition_implILS5_5ELb0ES3_mN6hipcub16HIPCUB_304000_NS21CountingInputIteratorIllEEPS6_NSA_22TransformInputIteratorIbN2at6native12_GLOBAL__N_19NonZeroOpIN3c107complexIdEEEEPKSL_lEENS0_5tupleIJPlS6_EEENSQ_IJSD_SD_EEES6_PiJS6_EEE10hipError_tPvRmT3_T4_T5_T6_T7_T9_mT8_P12ihipStream_tbDpT10_ENKUlT_T0_E_clISt17integral_constantIbLb0EES1E_EEDaS19_S1A_EUlS19_E_NS1_11comp_targetILNS1_3genE10ELNS1_11target_archE1200ELNS1_3gpuE4ELNS1_3repE0EEENS1_30default_config_static_selectorELNS0_4arch9wavefront6targetE0EEEvT1_,"axG",@progbits,_ZN7rocprim17ROCPRIM_400000_NS6detail17trampoline_kernelINS0_14default_configENS1_25partition_config_selectorILNS1_17partition_subalgoE5ElNS0_10empty_typeEbEEZZNS1_14partition_implILS5_5ELb0ES3_mN6hipcub16HIPCUB_304000_NS21CountingInputIteratorIllEEPS6_NSA_22TransformInputIteratorIbN2at6native12_GLOBAL__N_19NonZeroOpIN3c107complexIdEEEEPKSL_lEENS0_5tupleIJPlS6_EEENSQ_IJSD_SD_EEES6_PiJS6_EEE10hipError_tPvRmT3_T4_T5_T6_T7_T9_mT8_P12ihipStream_tbDpT10_ENKUlT_T0_E_clISt17integral_constantIbLb0EES1E_EEDaS19_S1A_EUlS19_E_NS1_11comp_targetILNS1_3genE10ELNS1_11target_archE1200ELNS1_3gpuE4ELNS1_3repE0EEENS1_30default_config_static_selectorELNS0_4arch9wavefront6targetE0EEEvT1_,comdat
	.globl	_ZN7rocprim17ROCPRIM_400000_NS6detail17trampoline_kernelINS0_14default_configENS1_25partition_config_selectorILNS1_17partition_subalgoE5ElNS0_10empty_typeEbEEZZNS1_14partition_implILS5_5ELb0ES3_mN6hipcub16HIPCUB_304000_NS21CountingInputIteratorIllEEPS6_NSA_22TransformInputIteratorIbN2at6native12_GLOBAL__N_19NonZeroOpIN3c107complexIdEEEEPKSL_lEENS0_5tupleIJPlS6_EEENSQ_IJSD_SD_EEES6_PiJS6_EEE10hipError_tPvRmT3_T4_T5_T6_T7_T9_mT8_P12ihipStream_tbDpT10_ENKUlT_T0_E_clISt17integral_constantIbLb0EES1E_EEDaS19_S1A_EUlS19_E_NS1_11comp_targetILNS1_3genE10ELNS1_11target_archE1200ELNS1_3gpuE4ELNS1_3repE0EEENS1_30default_config_static_selectorELNS0_4arch9wavefront6targetE0EEEvT1_ ; -- Begin function _ZN7rocprim17ROCPRIM_400000_NS6detail17trampoline_kernelINS0_14default_configENS1_25partition_config_selectorILNS1_17partition_subalgoE5ElNS0_10empty_typeEbEEZZNS1_14partition_implILS5_5ELb0ES3_mN6hipcub16HIPCUB_304000_NS21CountingInputIteratorIllEEPS6_NSA_22TransformInputIteratorIbN2at6native12_GLOBAL__N_19NonZeroOpIN3c107complexIdEEEEPKSL_lEENS0_5tupleIJPlS6_EEENSQ_IJSD_SD_EEES6_PiJS6_EEE10hipError_tPvRmT3_T4_T5_T6_T7_T9_mT8_P12ihipStream_tbDpT10_ENKUlT_T0_E_clISt17integral_constantIbLb0EES1E_EEDaS19_S1A_EUlS19_E_NS1_11comp_targetILNS1_3genE10ELNS1_11target_archE1200ELNS1_3gpuE4ELNS1_3repE0EEENS1_30default_config_static_selectorELNS0_4arch9wavefront6targetE0EEEvT1_
	.p2align	8
	.type	_ZN7rocprim17ROCPRIM_400000_NS6detail17trampoline_kernelINS0_14default_configENS1_25partition_config_selectorILNS1_17partition_subalgoE5ElNS0_10empty_typeEbEEZZNS1_14partition_implILS5_5ELb0ES3_mN6hipcub16HIPCUB_304000_NS21CountingInputIteratorIllEEPS6_NSA_22TransformInputIteratorIbN2at6native12_GLOBAL__N_19NonZeroOpIN3c107complexIdEEEEPKSL_lEENS0_5tupleIJPlS6_EEENSQ_IJSD_SD_EEES6_PiJS6_EEE10hipError_tPvRmT3_T4_T5_T6_T7_T9_mT8_P12ihipStream_tbDpT10_ENKUlT_T0_E_clISt17integral_constantIbLb0EES1E_EEDaS19_S1A_EUlS19_E_NS1_11comp_targetILNS1_3genE10ELNS1_11target_archE1200ELNS1_3gpuE4ELNS1_3repE0EEENS1_30default_config_static_selectorELNS0_4arch9wavefront6targetE0EEEvT1_,@function
_ZN7rocprim17ROCPRIM_400000_NS6detail17trampoline_kernelINS0_14default_configENS1_25partition_config_selectorILNS1_17partition_subalgoE5ElNS0_10empty_typeEbEEZZNS1_14partition_implILS5_5ELb0ES3_mN6hipcub16HIPCUB_304000_NS21CountingInputIteratorIllEEPS6_NSA_22TransformInputIteratorIbN2at6native12_GLOBAL__N_19NonZeroOpIN3c107complexIdEEEEPKSL_lEENS0_5tupleIJPlS6_EEENSQ_IJSD_SD_EEES6_PiJS6_EEE10hipError_tPvRmT3_T4_T5_T6_T7_T9_mT8_P12ihipStream_tbDpT10_ENKUlT_T0_E_clISt17integral_constantIbLb0EES1E_EEDaS19_S1A_EUlS19_E_NS1_11comp_targetILNS1_3genE10ELNS1_11target_archE1200ELNS1_3gpuE4ELNS1_3repE0EEENS1_30default_config_static_selectorELNS0_4arch9wavefront6targetE0EEEvT1_: ; @_ZN7rocprim17ROCPRIM_400000_NS6detail17trampoline_kernelINS0_14default_configENS1_25partition_config_selectorILNS1_17partition_subalgoE5ElNS0_10empty_typeEbEEZZNS1_14partition_implILS5_5ELb0ES3_mN6hipcub16HIPCUB_304000_NS21CountingInputIteratorIllEEPS6_NSA_22TransformInputIteratorIbN2at6native12_GLOBAL__N_19NonZeroOpIN3c107complexIdEEEEPKSL_lEENS0_5tupleIJPlS6_EEENSQ_IJSD_SD_EEES6_PiJS6_EEE10hipError_tPvRmT3_T4_T5_T6_T7_T9_mT8_P12ihipStream_tbDpT10_ENKUlT_T0_E_clISt17integral_constantIbLb0EES1E_EEDaS19_S1A_EUlS19_E_NS1_11comp_targetILNS1_3genE10ELNS1_11target_archE1200ELNS1_3gpuE4ELNS1_3repE0EEENS1_30default_config_static_selectorELNS0_4arch9wavefront6targetE0EEEvT1_
; %bb.0:
	.section	.rodata,"a",@progbits
	.p2align	6, 0x0
	.amdhsa_kernel _ZN7rocprim17ROCPRIM_400000_NS6detail17trampoline_kernelINS0_14default_configENS1_25partition_config_selectorILNS1_17partition_subalgoE5ElNS0_10empty_typeEbEEZZNS1_14partition_implILS5_5ELb0ES3_mN6hipcub16HIPCUB_304000_NS21CountingInputIteratorIllEEPS6_NSA_22TransformInputIteratorIbN2at6native12_GLOBAL__N_19NonZeroOpIN3c107complexIdEEEEPKSL_lEENS0_5tupleIJPlS6_EEENSQ_IJSD_SD_EEES6_PiJS6_EEE10hipError_tPvRmT3_T4_T5_T6_T7_T9_mT8_P12ihipStream_tbDpT10_ENKUlT_T0_E_clISt17integral_constantIbLb0EES1E_EEDaS19_S1A_EUlS19_E_NS1_11comp_targetILNS1_3genE10ELNS1_11target_archE1200ELNS1_3gpuE4ELNS1_3repE0EEENS1_30default_config_static_selectorELNS0_4arch9wavefront6targetE0EEEvT1_
		.amdhsa_group_segment_fixed_size 0
		.amdhsa_private_segment_fixed_size 0
		.amdhsa_kernarg_size 120
		.amdhsa_user_sgpr_count 15
		.amdhsa_user_sgpr_dispatch_ptr 0
		.amdhsa_user_sgpr_queue_ptr 0
		.amdhsa_user_sgpr_kernarg_segment_ptr 1
		.amdhsa_user_sgpr_dispatch_id 0
		.amdhsa_user_sgpr_private_segment_size 0
		.amdhsa_wavefront_size32 1
		.amdhsa_uses_dynamic_stack 0
		.amdhsa_enable_private_segment 0
		.amdhsa_system_sgpr_workgroup_id_x 1
		.amdhsa_system_sgpr_workgroup_id_y 0
		.amdhsa_system_sgpr_workgroup_id_z 0
		.amdhsa_system_sgpr_workgroup_info 0
		.amdhsa_system_vgpr_workitem_id 0
		.amdhsa_next_free_vgpr 1
		.amdhsa_next_free_sgpr 1
		.amdhsa_reserve_vcc 0
		.amdhsa_float_round_mode_32 0
		.amdhsa_float_round_mode_16_64 0
		.amdhsa_float_denorm_mode_32 3
		.amdhsa_float_denorm_mode_16_64 3
		.amdhsa_dx10_clamp 1
		.amdhsa_ieee_mode 1
		.amdhsa_fp16_overflow 0
		.amdhsa_workgroup_processor_mode 1
		.amdhsa_memory_ordered 1
		.amdhsa_forward_progress 0
		.amdhsa_shared_vgpr_count 0
		.amdhsa_exception_fp_ieee_invalid_op 0
		.amdhsa_exception_fp_denorm_src 0
		.amdhsa_exception_fp_ieee_div_zero 0
		.amdhsa_exception_fp_ieee_overflow 0
		.amdhsa_exception_fp_ieee_underflow 0
		.amdhsa_exception_fp_ieee_inexact 0
		.amdhsa_exception_int_div_zero 0
	.end_amdhsa_kernel
	.section	.text._ZN7rocprim17ROCPRIM_400000_NS6detail17trampoline_kernelINS0_14default_configENS1_25partition_config_selectorILNS1_17partition_subalgoE5ElNS0_10empty_typeEbEEZZNS1_14partition_implILS5_5ELb0ES3_mN6hipcub16HIPCUB_304000_NS21CountingInputIteratorIllEEPS6_NSA_22TransformInputIteratorIbN2at6native12_GLOBAL__N_19NonZeroOpIN3c107complexIdEEEEPKSL_lEENS0_5tupleIJPlS6_EEENSQ_IJSD_SD_EEES6_PiJS6_EEE10hipError_tPvRmT3_T4_T5_T6_T7_T9_mT8_P12ihipStream_tbDpT10_ENKUlT_T0_E_clISt17integral_constantIbLb0EES1E_EEDaS19_S1A_EUlS19_E_NS1_11comp_targetILNS1_3genE10ELNS1_11target_archE1200ELNS1_3gpuE4ELNS1_3repE0EEENS1_30default_config_static_selectorELNS0_4arch9wavefront6targetE0EEEvT1_,"axG",@progbits,_ZN7rocprim17ROCPRIM_400000_NS6detail17trampoline_kernelINS0_14default_configENS1_25partition_config_selectorILNS1_17partition_subalgoE5ElNS0_10empty_typeEbEEZZNS1_14partition_implILS5_5ELb0ES3_mN6hipcub16HIPCUB_304000_NS21CountingInputIteratorIllEEPS6_NSA_22TransformInputIteratorIbN2at6native12_GLOBAL__N_19NonZeroOpIN3c107complexIdEEEEPKSL_lEENS0_5tupleIJPlS6_EEENSQ_IJSD_SD_EEES6_PiJS6_EEE10hipError_tPvRmT3_T4_T5_T6_T7_T9_mT8_P12ihipStream_tbDpT10_ENKUlT_T0_E_clISt17integral_constantIbLb0EES1E_EEDaS19_S1A_EUlS19_E_NS1_11comp_targetILNS1_3genE10ELNS1_11target_archE1200ELNS1_3gpuE4ELNS1_3repE0EEENS1_30default_config_static_selectorELNS0_4arch9wavefront6targetE0EEEvT1_,comdat
.Lfunc_end531:
	.size	_ZN7rocprim17ROCPRIM_400000_NS6detail17trampoline_kernelINS0_14default_configENS1_25partition_config_selectorILNS1_17partition_subalgoE5ElNS0_10empty_typeEbEEZZNS1_14partition_implILS5_5ELb0ES3_mN6hipcub16HIPCUB_304000_NS21CountingInputIteratorIllEEPS6_NSA_22TransformInputIteratorIbN2at6native12_GLOBAL__N_19NonZeroOpIN3c107complexIdEEEEPKSL_lEENS0_5tupleIJPlS6_EEENSQ_IJSD_SD_EEES6_PiJS6_EEE10hipError_tPvRmT3_T4_T5_T6_T7_T9_mT8_P12ihipStream_tbDpT10_ENKUlT_T0_E_clISt17integral_constantIbLb0EES1E_EEDaS19_S1A_EUlS19_E_NS1_11comp_targetILNS1_3genE10ELNS1_11target_archE1200ELNS1_3gpuE4ELNS1_3repE0EEENS1_30default_config_static_selectorELNS0_4arch9wavefront6targetE0EEEvT1_, .Lfunc_end531-_ZN7rocprim17ROCPRIM_400000_NS6detail17trampoline_kernelINS0_14default_configENS1_25partition_config_selectorILNS1_17partition_subalgoE5ElNS0_10empty_typeEbEEZZNS1_14partition_implILS5_5ELb0ES3_mN6hipcub16HIPCUB_304000_NS21CountingInputIteratorIllEEPS6_NSA_22TransformInputIteratorIbN2at6native12_GLOBAL__N_19NonZeroOpIN3c107complexIdEEEEPKSL_lEENS0_5tupleIJPlS6_EEENSQ_IJSD_SD_EEES6_PiJS6_EEE10hipError_tPvRmT3_T4_T5_T6_T7_T9_mT8_P12ihipStream_tbDpT10_ENKUlT_T0_E_clISt17integral_constantIbLb0EES1E_EEDaS19_S1A_EUlS19_E_NS1_11comp_targetILNS1_3genE10ELNS1_11target_archE1200ELNS1_3gpuE4ELNS1_3repE0EEENS1_30default_config_static_selectorELNS0_4arch9wavefront6targetE0EEEvT1_
                                        ; -- End function
	.section	.AMDGPU.csdata,"",@progbits
; Kernel info:
; codeLenInByte = 0
; NumSgprs: 0
; NumVgprs: 0
; ScratchSize: 0
; MemoryBound: 0
; FloatMode: 240
; IeeeMode: 1
; LDSByteSize: 0 bytes/workgroup (compile time only)
; SGPRBlocks: 0
; VGPRBlocks: 0
; NumSGPRsForWavesPerEU: 1
; NumVGPRsForWavesPerEU: 1
; Occupancy: 16
; WaveLimiterHint : 0
; COMPUTE_PGM_RSRC2:SCRATCH_EN: 0
; COMPUTE_PGM_RSRC2:USER_SGPR: 15
; COMPUTE_PGM_RSRC2:TRAP_HANDLER: 0
; COMPUTE_PGM_RSRC2:TGID_X_EN: 1
; COMPUTE_PGM_RSRC2:TGID_Y_EN: 0
; COMPUTE_PGM_RSRC2:TGID_Z_EN: 0
; COMPUTE_PGM_RSRC2:TIDIG_COMP_CNT: 0
	.section	.text._ZN7rocprim17ROCPRIM_400000_NS6detail17trampoline_kernelINS0_14default_configENS1_25partition_config_selectorILNS1_17partition_subalgoE5ElNS0_10empty_typeEbEEZZNS1_14partition_implILS5_5ELb0ES3_mN6hipcub16HIPCUB_304000_NS21CountingInputIteratorIllEEPS6_NSA_22TransformInputIteratorIbN2at6native12_GLOBAL__N_19NonZeroOpIN3c107complexIdEEEEPKSL_lEENS0_5tupleIJPlS6_EEENSQ_IJSD_SD_EEES6_PiJS6_EEE10hipError_tPvRmT3_T4_T5_T6_T7_T9_mT8_P12ihipStream_tbDpT10_ENKUlT_T0_E_clISt17integral_constantIbLb0EES1E_EEDaS19_S1A_EUlS19_E_NS1_11comp_targetILNS1_3genE9ELNS1_11target_archE1100ELNS1_3gpuE3ELNS1_3repE0EEENS1_30default_config_static_selectorELNS0_4arch9wavefront6targetE0EEEvT1_,"axG",@progbits,_ZN7rocprim17ROCPRIM_400000_NS6detail17trampoline_kernelINS0_14default_configENS1_25partition_config_selectorILNS1_17partition_subalgoE5ElNS0_10empty_typeEbEEZZNS1_14partition_implILS5_5ELb0ES3_mN6hipcub16HIPCUB_304000_NS21CountingInputIteratorIllEEPS6_NSA_22TransformInputIteratorIbN2at6native12_GLOBAL__N_19NonZeroOpIN3c107complexIdEEEEPKSL_lEENS0_5tupleIJPlS6_EEENSQ_IJSD_SD_EEES6_PiJS6_EEE10hipError_tPvRmT3_T4_T5_T6_T7_T9_mT8_P12ihipStream_tbDpT10_ENKUlT_T0_E_clISt17integral_constantIbLb0EES1E_EEDaS19_S1A_EUlS19_E_NS1_11comp_targetILNS1_3genE9ELNS1_11target_archE1100ELNS1_3gpuE3ELNS1_3repE0EEENS1_30default_config_static_selectorELNS0_4arch9wavefront6targetE0EEEvT1_,comdat
	.globl	_ZN7rocprim17ROCPRIM_400000_NS6detail17trampoline_kernelINS0_14default_configENS1_25partition_config_selectorILNS1_17partition_subalgoE5ElNS0_10empty_typeEbEEZZNS1_14partition_implILS5_5ELb0ES3_mN6hipcub16HIPCUB_304000_NS21CountingInputIteratorIllEEPS6_NSA_22TransformInputIteratorIbN2at6native12_GLOBAL__N_19NonZeroOpIN3c107complexIdEEEEPKSL_lEENS0_5tupleIJPlS6_EEENSQ_IJSD_SD_EEES6_PiJS6_EEE10hipError_tPvRmT3_T4_T5_T6_T7_T9_mT8_P12ihipStream_tbDpT10_ENKUlT_T0_E_clISt17integral_constantIbLb0EES1E_EEDaS19_S1A_EUlS19_E_NS1_11comp_targetILNS1_3genE9ELNS1_11target_archE1100ELNS1_3gpuE3ELNS1_3repE0EEENS1_30default_config_static_selectorELNS0_4arch9wavefront6targetE0EEEvT1_ ; -- Begin function _ZN7rocprim17ROCPRIM_400000_NS6detail17trampoline_kernelINS0_14default_configENS1_25partition_config_selectorILNS1_17partition_subalgoE5ElNS0_10empty_typeEbEEZZNS1_14partition_implILS5_5ELb0ES3_mN6hipcub16HIPCUB_304000_NS21CountingInputIteratorIllEEPS6_NSA_22TransformInputIteratorIbN2at6native12_GLOBAL__N_19NonZeroOpIN3c107complexIdEEEEPKSL_lEENS0_5tupleIJPlS6_EEENSQ_IJSD_SD_EEES6_PiJS6_EEE10hipError_tPvRmT3_T4_T5_T6_T7_T9_mT8_P12ihipStream_tbDpT10_ENKUlT_T0_E_clISt17integral_constantIbLb0EES1E_EEDaS19_S1A_EUlS19_E_NS1_11comp_targetILNS1_3genE9ELNS1_11target_archE1100ELNS1_3gpuE3ELNS1_3repE0EEENS1_30default_config_static_selectorELNS0_4arch9wavefront6targetE0EEEvT1_
	.p2align	8
	.type	_ZN7rocprim17ROCPRIM_400000_NS6detail17trampoline_kernelINS0_14default_configENS1_25partition_config_selectorILNS1_17partition_subalgoE5ElNS0_10empty_typeEbEEZZNS1_14partition_implILS5_5ELb0ES3_mN6hipcub16HIPCUB_304000_NS21CountingInputIteratorIllEEPS6_NSA_22TransformInputIteratorIbN2at6native12_GLOBAL__N_19NonZeroOpIN3c107complexIdEEEEPKSL_lEENS0_5tupleIJPlS6_EEENSQ_IJSD_SD_EEES6_PiJS6_EEE10hipError_tPvRmT3_T4_T5_T6_T7_T9_mT8_P12ihipStream_tbDpT10_ENKUlT_T0_E_clISt17integral_constantIbLb0EES1E_EEDaS19_S1A_EUlS19_E_NS1_11comp_targetILNS1_3genE9ELNS1_11target_archE1100ELNS1_3gpuE3ELNS1_3repE0EEENS1_30default_config_static_selectorELNS0_4arch9wavefront6targetE0EEEvT1_,@function
_ZN7rocprim17ROCPRIM_400000_NS6detail17trampoline_kernelINS0_14default_configENS1_25partition_config_selectorILNS1_17partition_subalgoE5ElNS0_10empty_typeEbEEZZNS1_14partition_implILS5_5ELb0ES3_mN6hipcub16HIPCUB_304000_NS21CountingInputIteratorIllEEPS6_NSA_22TransformInputIteratorIbN2at6native12_GLOBAL__N_19NonZeroOpIN3c107complexIdEEEEPKSL_lEENS0_5tupleIJPlS6_EEENSQ_IJSD_SD_EEES6_PiJS6_EEE10hipError_tPvRmT3_T4_T5_T6_T7_T9_mT8_P12ihipStream_tbDpT10_ENKUlT_T0_E_clISt17integral_constantIbLb0EES1E_EEDaS19_S1A_EUlS19_E_NS1_11comp_targetILNS1_3genE9ELNS1_11target_archE1100ELNS1_3gpuE3ELNS1_3repE0EEENS1_30default_config_static_selectorELNS0_4arch9wavefront6targetE0EEEvT1_: ; @_ZN7rocprim17ROCPRIM_400000_NS6detail17trampoline_kernelINS0_14default_configENS1_25partition_config_selectorILNS1_17partition_subalgoE5ElNS0_10empty_typeEbEEZZNS1_14partition_implILS5_5ELb0ES3_mN6hipcub16HIPCUB_304000_NS21CountingInputIteratorIllEEPS6_NSA_22TransformInputIteratorIbN2at6native12_GLOBAL__N_19NonZeroOpIN3c107complexIdEEEEPKSL_lEENS0_5tupleIJPlS6_EEENSQ_IJSD_SD_EEES6_PiJS6_EEE10hipError_tPvRmT3_T4_T5_T6_T7_T9_mT8_P12ihipStream_tbDpT10_ENKUlT_T0_E_clISt17integral_constantIbLb0EES1E_EEDaS19_S1A_EUlS19_E_NS1_11comp_targetILNS1_3genE9ELNS1_11target_archE1100ELNS1_3gpuE3ELNS1_3repE0EEENS1_30default_config_static_selectorELNS0_4arch9wavefront6targetE0EEEvT1_
; %bb.0:
	s_clause 0x4
	s_load_b128 s[20:23], s[0:1], 0x8
	s_load_b128 s[16:19], s[0:1], 0x48
	s_load_b32 s4, s[0:1], 0x70
	s_load_b64 s[24:25], s[0:1], 0x58
	s_load_b64 s[2:3], s[0:1], 0x20
	s_waitcnt lgkmcnt(0)
	s_add_u32 s6, s22, s20
	s_load_b64 s[18:19], s[18:19], 0x0
	s_mul_i32 s26, s4, 0x300
	s_addc_u32 s7, s23, s21
	s_add_i32 s8, s4, -1
	s_add_u32 s4, s22, s26
	s_addc_u32 s5, s23, 0
	s_cmp_eq_u32 s15, s8
	v_cmp_ge_u64_e64 s4, s[4:5], s[24:25]
	s_cselect_b32 s13, -1, 0
	s_mov_b32 s8, -1
	s_delay_alu instid0(VALU_DEP_1)
	s_and_b32 s5, s13, s4
	s_mul_i32 s4, s15, 0x300
	s_xor_b32 s14, s5, -1
	s_mov_b32 s5, 0
	s_and_b32 vcc_lo, exec_lo, s14
	s_cbranch_vccz .LBB532_2
; %bb.1:
	s_add_u32 s8, s6, s4
	s_addc_u32 s9, s7, 0
	v_add_co_u32 v1, s8, s8, v0
	s_delay_alu instid0(VALU_DEP_1) | instskip(SKIP_1) | instid1(VALU_DEP_3)
	v_add_co_ci_u32_e64 v2, null, s9, 0, s8
	v_lshlrev_b32_e32 v13, 3, v0
	v_add_co_u32 v3, vcc_lo, 0x80, v1
	s_delay_alu instid0(VALU_DEP_3)
	v_add_co_ci_u32_e32 v4, vcc_lo, 0, v2, vcc_lo
	v_add_co_u32 v5, vcc_lo, 0x100, v1
	v_add_co_ci_u32_e32 v6, vcc_lo, 0, v2, vcc_lo
	v_add_co_u32 v7, vcc_lo, 0x180, v1
	;; [unrolled: 2-line block ×4, first 2 shown]
	v_add_co_ci_u32_e32 v12, vcc_lo, 0, v2, vcc_lo
	ds_store_2addr_stride64_b64 v13, v[1:2], v[3:4] offset1:2
	ds_store_2addr_stride64_b64 v13, v[5:6], v[7:8] offset0:4 offset1:6
	ds_store_2addr_stride64_b64 v13, v[9:10], v[11:12] offset0:8 offset1:10
	s_waitcnt lgkmcnt(0)
	s_mov_b32 s8, s5
	s_barrier
.LBB532_2:
	v_or_b32_e32 v17, 0x100, v0
	v_or_b32_e32 v16, 0x180, v0
	v_or_b32_e32 v15, 0x200, v0
	v_or_b32_e32 v13, 0x280, v0
	s_and_not1_b32 vcc_lo, exec_lo, s8
	s_cbranch_vccnz .LBB532_4
; %bb.3:
	v_or_b32_e32 v3, 0x80, v0
	s_add_u32 s6, s6, s4
	s_addc_u32 s7, s7, 0
	v_add_co_u32 v1, s8, s6, v0
	s_delay_alu instid0(VALU_DEP_1) | instskip(SKIP_1) | instid1(VALU_DEP_1)
	v_add_co_ci_u32_e64 v2, null, s7, 0, s8
	v_add_co_u32 v3, s8, s6, v3
	v_add_co_ci_u32_e64 v4, null, s7, 0, s8
	v_add_co_u32 v5, s8, s6, v17
	s_delay_alu instid0(VALU_DEP_1) | instskip(SKIP_1) | instid1(VALU_DEP_1)
	v_add_co_ci_u32_e64 v6, null, s7, 0, s8
	v_add_co_u32 v7, s8, s6, v16
	v_add_co_ci_u32_e64 v8, null, s7, 0, s8
	v_add_co_u32 v9, s8, s6, v15
	v_lshlrev_b32_e32 v14, 3, v0
	v_add_co_u32 v11, s6, s6, v13
	v_add_co_ci_u32_e64 v10, null, s7, 0, s8
	v_add_co_ci_u32_e64 v12, null, s7, 0, s6
	ds_store_2addr_stride64_b64 v14, v[1:2], v[3:4] offset1:2
	ds_store_2addr_stride64_b64 v14, v[5:6], v[7:8] offset0:4 offset1:6
	ds_store_2addr_stride64_b64 v14, v[9:10], v[11:12] offset0:8 offset1:10
	s_waitcnt lgkmcnt(0)
	s_barrier
.LBB532_4:
	v_mul_u32_u24_e32 v1, 6, v0
	s_waitcnt lgkmcnt(0)
	buffer_gl0_inv
	s_lshl_b64 s[6:7], s[22:23], 4
	v_lshlrev_b32_e32 v18, 4, v0
	s_add_u32 s6, s2, s6
	v_lshlrev_b32_e32 v14, 3, v1
	s_addc_u32 s7, s3, s7
	s_lshl_b64 s[2:3], s[4:5], 4
	s_mov_b32 s23, -1
	s_add_u32 s20, s6, s2
	ds_load_b128 v[9:12], v14
	ds_load_b128 v[5:8], v14 offset:16
	ds_load_b128 v[1:4], v14 offset:32
	s_addc_u32 s21, s7, s3
	s_and_b32 vcc_lo, exec_lo, s14
	s_waitcnt lgkmcnt(0)
	s_barrier
	buffer_gl0_inv
	s_cbranch_vccz .LBB532_6
; %bb.5:
	v_add_co_u32 v33, s2, s20, v18
	s_delay_alu instid0(VALU_DEP_1)
	v_add_co_ci_u32_e64 v34, null, s21, 0, s2
	s_clause 0x1
	global_load_b128 v[19:22], v18, s[20:21]
	global_load_b128 v[23:26], v18, s[20:21] offset:2048
	v_add_co_u32 v35, vcc_lo, v33, 0x2000
	v_add_co_ci_u32_e32 v36, vcc_lo, 0, v34, vcc_lo
	v_add_co_u32 v31, vcc_lo, 0x1000, v33
	v_add_co_ci_u32_e32 v32, vcc_lo, 0, v34, vcc_lo
	v_add_co_u32 v39, vcc_lo, 0x2000, v33
	global_load_b128 v[27:30], v[35:36], off offset:-4096
	v_add_co_ci_u32_e32 v40, vcc_lo, 0, v34, vcc_lo
	s_clause 0x2
	global_load_b128 v[31:34], v[31:32], off offset:2048
	global_load_b128 v[35:38], v[35:36], off
	global_load_b128 v[39:42], v[39:40], off offset:2048
	s_mov_b32 s23, 0
	s_waitcnt vmcnt(5)
	v_cmp_neq_f64_e32 vcc_lo, 0, v[19:20]
	v_cmp_neq_f64_e64 s2, 0, v[21:22]
	s_waitcnt vmcnt(4)
	v_cmp_neq_f64_e64 s3, 0, v[23:24]
	v_cmp_neq_f64_e64 s4, 0, v[25:26]
	s_waitcnt vmcnt(3)
	v_cmp_neq_f64_e64 s5, 0, v[27:28]
	;; [unrolled: 3-line block ×5, first 2 shown]
	v_cmp_neq_f64_e64 s12, 0, v[41:42]
	s_or_b32 s2, vcc_lo, s2
	s_delay_alu instid0(SALU_CYCLE_1) | instskip(SKIP_1) | instid1(SALU_CYCLE_1)
	v_cndmask_b32_e64 v19, 0, 1, s2
	s_or_b32 s2, s3, s4
	v_cndmask_b32_e64 v20, 0, 1, s2
	s_or_b32 s2, s5, s6
	s_delay_alu instid0(SALU_CYCLE_1) | instskip(SKIP_1) | instid1(SALU_CYCLE_1)
	v_cndmask_b32_e64 v21, 0, 1, s2
	s_or_b32 s2, s7, s8
	v_cndmask_b32_e64 v22, 0, 1, s2
	s_or_b32 s2, s9, s10
	s_delay_alu instid0(SALU_CYCLE_1) | instskip(SKIP_1) | instid1(SALU_CYCLE_1)
	v_cndmask_b32_e64 v23, 0, 1, s2
	s_or_b32 s2, s11, s12
	v_cndmask_b32_e64 v24, 0, 1, s2
	ds_store_b8 v0, v19
	ds_store_b8 v0, v20 offset:128
	ds_store_b8 v0, v21 offset:256
	;; [unrolled: 1-line block ×5, first 2 shown]
	s_waitcnt lgkmcnt(0)
	s_barrier
.LBB532_6:
	s_load_b64 s[4:5], s[0:1], 0x68
	s_and_not1_b32 vcc_lo, exec_lo, s23
	s_cbranch_vccnz .LBB532_20
; %bb.7:
	s_add_i32 s26, s26, s22
	v_dual_mov_b32 v19, 0 :: v_dual_mov_b32 v20, 0
	s_sub_i32 s3, s24, s26
	s_mov_b32 s6, exec_lo
	s_addk_i32 s3, 0x300
	s_delay_alu instid0(SALU_CYCLE_1)
	v_cmpx_gt_u32_e64 s3, v0
	s_cbranch_execz .LBB532_9
; %bb.8:
	global_load_b128 v[20:23], v18, s[20:21]
	s_waitcnt vmcnt(0)
	v_cmp_neq_f64_e32 vcc_lo, 0, v[20:21]
	v_cmp_neq_f64_e64 s2, 0, v[22:23]
	s_delay_alu instid0(VALU_DEP_1) | instskip(NEXT) | instid1(SALU_CYCLE_1)
	s_or_b32 s2, vcc_lo, s2
	v_cndmask_b32_e64 v20, 0, 1, s2
.LBB532_9:
	s_or_b32 exec_lo, exec_lo, s6
	v_or_b32_e32 v21, 0x80, v0
	s_mov_b32 s6, exec_lo
	s_delay_alu instid0(VALU_DEP_1)
	v_cmpx_gt_u32_e64 s3, v21
	s_cbranch_execz .LBB532_11
; %bb.10:
	global_load_b128 v[21:24], v18, s[20:21] offset:2048
	s_waitcnt vmcnt(0)
	v_cmp_neq_f64_e32 vcc_lo, 0, v[21:22]
	v_cmp_neq_f64_e64 s2, 0, v[23:24]
	s_delay_alu instid0(VALU_DEP_1) | instskip(NEXT) | instid1(SALU_CYCLE_1)
	s_or_b32 s2, vcc_lo, s2
	v_cndmask_b32_e64 v19, 0, 1, s2
.LBB532_11:
	s_or_b32 exec_lo, exec_lo, s6
	v_dual_mov_b32 v18, 0 :: v_dual_mov_b32 v21, 0
	s_mov_b32 s6, exec_lo
	v_cmpx_gt_u32_e64 s3, v17
	s_cbranch_execz .LBB532_13
; %bb.12:
	v_lshlrev_b32_e32 v17, 4, v17
	global_load_b128 v[21:24], v17, s[20:21]
	s_waitcnt vmcnt(0)
	v_cmp_neq_f64_e32 vcc_lo, 0, v[21:22]
	v_cmp_neq_f64_e64 s2, 0, v[23:24]
	s_delay_alu instid0(VALU_DEP_1) | instskip(NEXT) | instid1(SALU_CYCLE_1)
	s_or_b32 s2, vcc_lo, s2
	v_cndmask_b32_e64 v21, 0, 1, s2
.LBB532_13:
	s_or_b32 exec_lo, exec_lo, s6
	s_delay_alu instid0(SALU_CYCLE_1)
	s_mov_b32 s6, exec_lo
	v_cmpx_gt_u32_e64 s3, v16
	s_cbranch_execz .LBB532_15
; %bb.14:
	v_lshlrev_b32_e32 v16, 4, v16
	global_load_b128 v[22:25], v16, s[20:21]
	s_waitcnt vmcnt(0)
	v_cmp_neq_f64_e32 vcc_lo, 0, v[22:23]
	v_cmp_neq_f64_e64 s2, 0, v[24:25]
	s_delay_alu instid0(VALU_DEP_1) | instskip(NEXT) | instid1(SALU_CYCLE_1)
	s_or_b32 s2, vcc_lo, s2
	v_cndmask_b32_e64 v18, 0, 1, s2
.LBB532_15:
	s_or_b32 exec_lo, exec_lo, s6
	v_dual_mov_b32 v16, 0 :: v_dual_mov_b32 v17, 0
	s_mov_b32 s6, exec_lo
	v_cmpx_gt_u32_e64 s3, v15
	s_cbranch_execz .LBB532_17
; %bb.16:
	v_lshlrev_b32_e32 v15, 4, v15
	global_load_b128 v[22:25], v15, s[20:21]
	s_waitcnt vmcnt(0)
	v_cmp_neq_f64_e32 vcc_lo, 0, v[22:23]
	v_cmp_neq_f64_e64 s2, 0, v[24:25]
	s_delay_alu instid0(VALU_DEP_1) | instskip(NEXT) | instid1(SALU_CYCLE_1)
	s_or_b32 s2, vcc_lo, s2
	v_cndmask_b32_e64 v17, 0, 1, s2
.LBB532_17:
	s_or_b32 exec_lo, exec_lo, s6
	v_cmp_gt_u32_e32 vcc_lo, s3, v13
	s_and_saveexec_b32 s3, vcc_lo
	s_cbranch_execz .LBB532_19
; %bb.18:
	v_lshlrev_b32_e32 v13, 4, v13
	global_load_b128 v[22:25], v13, s[20:21]
	s_waitcnt vmcnt(0)
	v_cmp_neq_f64_e32 vcc_lo, 0, v[22:23]
	v_cmp_neq_f64_e64 s2, 0, v[24:25]
	s_delay_alu instid0(VALU_DEP_1) | instskip(NEXT) | instid1(SALU_CYCLE_1)
	s_or_b32 s2, vcc_lo, s2
	v_cndmask_b32_e64 v16, 0, 1, s2
.LBB532_19:
	s_or_b32 exec_lo, exec_lo, s3
	ds_store_b8 v0, v20
	ds_store_b8 v0, v19 offset:128
	ds_store_b8 v0, v21 offset:256
	;; [unrolled: 1-line block ×5, first 2 shown]
	s_waitcnt lgkmcnt(0)
	s_barrier
.LBB532_20:
	v_mad_i32_i24 v43, 0xffffffd6, v0, v14
	s_waitcnt lgkmcnt(0)
	buffer_gl0_inv
	v_mbcnt_lo_u32_b32 v42, -1, 0
	s_cmp_lg_u32 s15, 0
	s_mov_b32 s3, -1
	ds_load_u16 v36, v43
	ds_load_u16 v33, v43 offset:2
	ds_load_u16 v31, v43 offset:4
	v_mov_b32_e32 v14, 0
	v_and_b32_e32 v44, 15, v42
	s_waitcnt lgkmcnt(0)
	s_barrier
	buffer_gl0_inv
	v_and_b32_e32 v41, 0xff, v36
	v_lshrrev_b16 v34, 8, v36
	v_lshrrev_b16 v35, 8, v33
	v_and_b32_e32 v39, 0xff, v33
	v_lshrrev_b16 v32, 8, v31
	v_and_b32_e32 v37, 0xff, v31
	v_and_b32_e32 v40, 0xffff, v34
	;; [unrolled: 1-line block ×3, first 2 shown]
	s_delay_alu instid0(VALU_DEP_4) | instskip(NEXT) | instid1(VALU_DEP_3)
	v_and_b32_e32 v16, 0xffff, v32
	v_add_co_u32 v13, s2, v40, v41
	s_delay_alu instid0(VALU_DEP_1) | instskip(SKIP_1) | instid1(VALU_DEP_3)
	v_add_co_ci_u32_e64 v15, null, 0, 0, s2
	v_cmp_ne_u32_e64 s2, 0, v44
	v_add_co_u32 v13, vcc_lo, v13, v39
	s_delay_alu instid0(VALU_DEP_3) | instskip(NEXT) | instid1(VALU_DEP_2)
	v_add_co_ci_u32_e32 v15, vcc_lo, 0, v15, vcc_lo
	v_add_co_u32 v13, vcc_lo, v13, v38
	s_delay_alu instid0(VALU_DEP_2) | instskip(NEXT) | instid1(VALU_DEP_2)
	v_add_co_ci_u32_e32 v15, vcc_lo, 0, v15, vcc_lo
	v_add_co_u32 v13, vcc_lo, v13, v37
	s_delay_alu instid0(VALU_DEP_2) | instskip(NEXT) | instid1(VALU_DEP_2)
	v_add_co_ci_u32_e32 v15, vcc_lo, 0, v15, vcc_lo
	v_add_co_u32 v21, vcc_lo, v13, v16
	s_delay_alu instid0(VALU_DEP_2)
	v_add_co_ci_u32_e32 v22, vcc_lo, 0, v15, vcc_lo
	s_cbranch_scc0 .LBB532_84
; %bb.21:
	s_delay_alu instid0(VALU_DEP_2)
	v_mov_b32_e32 v15, v21
	v_mov_b32_dpp v13, v21 row_shr:1 row_mask:0xf bank_mask:0xf
	v_mov_b32_dpp v18, v14 row_shr:1 row_mask:0xf bank_mask:0xf
	v_dual_mov_b32 v17, v21 :: v_dual_mov_b32 v16, v22
	s_and_saveexec_b32 s3, s2
; %bb.22:
	s_delay_alu instid0(VALU_DEP_3) | instskip(SKIP_1) | instid1(VALU_DEP_2)
	v_add_co_u32 v17, vcc_lo, v21, v13
	v_add_co_ci_u32_e32 v14, vcc_lo, 0, v22, vcc_lo
	v_add_co_u32 v13, vcc_lo, 0, v17
	s_delay_alu instid0(VALU_DEP_2) | instskip(NEXT) | instid1(VALU_DEP_1)
	v_add_co_ci_u32_e32 v14, vcc_lo, v18, v14, vcc_lo
	v_dual_mov_b32 v16, v14 :: v_dual_mov_b32 v15, v13
; %bb.23:
	s_or_b32 exec_lo, exec_lo, s3
	v_mov_b32_dpp v13, v17 row_shr:2 row_mask:0xf bank_mask:0xf
	v_mov_b32_dpp v18, v14 row_shr:2 row_mask:0xf bank_mask:0xf
	s_mov_b32 s3, exec_lo
	v_cmpx_lt_u32_e32 1, v44
; %bb.24:
	s_delay_alu instid0(VALU_DEP_3) | instskip(SKIP_1) | instid1(VALU_DEP_2)
	v_add_co_u32 v17, vcc_lo, v15, v13
	v_add_co_ci_u32_e32 v14, vcc_lo, 0, v16, vcc_lo
	v_add_co_u32 v13, vcc_lo, 0, v17
	s_delay_alu instid0(VALU_DEP_2) | instskip(NEXT) | instid1(VALU_DEP_1)
	v_add_co_ci_u32_e32 v14, vcc_lo, v18, v14, vcc_lo
	v_dual_mov_b32 v16, v14 :: v_dual_mov_b32 v15, v13
; %bb.25:
	s_or_b32 exec_lo, exec_lo, s3
	v_mov_b32_dpp v13, v17 row_shr:4 row_mask:0xf bank_mask:0xf
	v_mov_b32_dpp v18, v14 row_shr:4 row_mask:0xf bank_mask:0xf
	s_mov_b32 s3, exec_lo
	v_cmpx_lt_u32_e32 3, v44
	;; [unrolled: 14-line block ×3, first 2 shown]
; %bb.28:
	s_delay_alu instid0(VALU_DEP_3) | instskip(SKIP_1) | instid1(VALU_DEP_2)
	v_add_co_u32 v17, vcc_lo, v15, v18
	v_add_co_ci_u32_e32 v14, vcc_lo, 0, v16, vcc_lo
	v_add_co_u32 v15, vcc_lo, 0, v17
	s_delay_alu instid0(VALU_DEP_2) | instskip(NEXT) | instid1(VALU_DEP_1)
	v_add_co_ci_u32_e32 v16, vcc_lo, v13, v14, vcc_lo
	v_mov_b32_e32 v14, v16
; %bb.29:
	s_or_b32 exec_lo, exec_lo, s3
	ds_swizzle_b32 v13, v17 offset:swizzle(BROADCAST,32,15)
	ds_swizzle_b32 v18, v14 offset:swizzle(BROADCAST,32,15)
	v_and_b32_e32 v19, 16, v42
	s_mov_b32 s3, exec_lo
	s_delay_alu instid0(VALU_DEP_1)
	v_cmpx_ne_u32_e32 0, v19
	s_cbranch_execz .LBB532_31
; %bb.30:
	s_waitcnt lgkmcnt(1)
	v_add_co_u32 v17, vcc_lo, v15, v13
	v_add_co_ci_u32_e32 v14, vcc_lo, 0, v16, vcc_lo
	s_delay_alu instid0(VALU_DEP_2) | instskip(SKIP_1) | instid1(VALU_DEP_2)
	v_add_co_u32 v13, vcc_lo, 0, v17
	s_waitcnt lgkmcnt(0)
	v_add_co_ci_u32_e32 v14, vcc_lo, v18, v14, vcc_lo
	s_delay_alu instid0(VALU_DEP_1)
	v_dual_mov_b32 v16, v14 :: v_dual_mov_b32 v15, v13
.LBB532_31:
	s_or_b32 exec_lo, exec_lo, s3
	s_waitcnt lgkmcnt(0)
	v_or_b32_e32 v18, 31, v0
	v_lshrrev_b32_e32 v13, 5, v0
	s_mov_b32 s3, exec_lo
	s_delay_alu instid0(VALU_DEP_2)
	v_cmpx_eq_u32_e64 v18, v0
	s_cbranch_execz .LBB532_33
; %bb.32:
	s_delay_alu instid0(VALU_DEP_2)
	v_lshlrev_b32_e32 v18, 3, v13
	ds_store_b64 v18, v[15:16]
.LBB532_33:
	s_or_b32 exec_lo, exec_lo, s3
	s_delay_alu instid0(SALU_CYCLE_1)
	s_mov_b32 s3, exec_lo
	s_waitcnt lgkmcnt(0)
	s_barrier
	buffer_gl0_inv
	v_cmpx_gt_u32_e32 4, v0
	s_cbranch_execz .LBB532_39
; %bb.34:
	v_lshlrev_b32_e32 v18, 3, v0
	s_mov_b32 s6, exec_lo
	ds_load_b64 v[15:16], v18
	s_waitcnt lgkmcnt(0)
	v_dual_mov_b32 v20, v15 :: v_dual_and_b32 v19, 3, v42
	v_mov_b32_dpp v24, v15 row_shr:1 row_mask:0xf bank_mask:0xf
	v_mov_b32_dpp v23, v16 row_shr:1 row_mask:0xf bank_mask:0xf
	s_delay_alu instid0(VALU_DEP_3)
	v_cmpx_ne_u32_e32 0, v19
; %bb.35:
	s_delay_alu instid0(VALU_DEP_3) | instskip(SKIP_1) | instid1(VALU_DEP_2)
	v_add_co_u32 v20, vcc_lo, v15, v24
	v_add_co_ci_u32_e32 v16, vcc_lo, 0, v16, vcc_lo
	v_add_co_u32 v15, vcc_lo, 0, v20
	s_delay_alu instid0(VALU_DEP_2)
	v_add_co_ci_u32_e32 v16, vcc_lo, v23, v16, vcc_lo
; %bb.36:
	s_or_b32 exec_lo, exec_lo, s6
	v_mov_b32_dpp v23, v20 row_shr:2 row_mask:0xf bank_mask:0xf
	s_delay_alu instid0(VALU_DEP_2)
	v_mov_b32_dpp v20, v16 row_shr:2 row_mask:0xf bank_mask:0xf
	s_mov_b32 s6, exec_lo
	v_cmpx_lt_u32_e32 1, v19
; %bb.37:
	s_delay_alu instid0(VALU_DEP_3) | instskip(SKIP_1) | instid1(VALU_DEP_2)
	v_add_co_u32 v15, vcc_lo, v15, v23
	v_add_co_ci_u32_e32 v16, vcc_lo, 0, v16, vcc_lo
	v_add_co_u32 v15, vcc_lo, v15, 0
	s_delay_alu instid0(VALU_DEP_2)
	v_add_co_ci_u32_e32 v16, vcc_lo, v16, v20, vcc_lo
; %bb.38:
	s_or_b32 exec_lo, exec_lo, s6
	ds_store_b64 v18, v[15:16]
.LBB532_39:
	s_or_b32 exec_lo, exec_lo, s3
	v_cmp_gt_u32_e32 vcc_lo, 32, v0
	s_mov_b32 s6, exec_lo
	s_waitcnt lgkmcnt(0)
	s_barrier
	buffer_gl0_inv
                                        ; implicit-def: $vgpr23_vgpr24
	v_cmpx_lt_u32_e32 31, v0
	s_cbranch_execz .LBB532_41
; %bb.40:
	v_lshl_add_u32 v13, v13, 3, -8
	ds_load_b64 v[23:24], v13
	s_waitcnt lgkmcnt(0)
	v_add_co_u32 v17, s3, v17, v23
	s_delay_alu instid0(VALU_DEP_1)
	v_add_co_ci_u32_e64 v14, s3, v14, v24, s3
.LBB532_41:
	s_or_b32 exec_lo, exec_lo, s6
	v_add_nc_u32_e32 v13, -1, v42
	s_delay_alu instid0(VALU_DEP_1) | instskip(NEXT) | instid1(VALU_DEP_1)
	v_cmp_gt_i32_e64 s3, 0, v13
	v_cndmask_b32_e64 v13, v13, v42, s3
	v_cmp_eq_u32_e64 s3, 0, v42
	s_delay_alu instid0(VALU_DEP_2)
	v_lshlrev_b32_e32 v13, 2, v13
	ds_bpermute_b32 v29, v13, v17
	ds_bpermute_b32 v30, v13, v14
	s_and_saveexec_b32 s6, vcc_lo
	s_cbranch_execz .LBB532_79
; %bb.42:
	v_mov_b32_e32 v16, 0
	ds_load_b64 v[13:14], v16 offset:24
	s_and_saveexec_b32 s7, s3
	s_cbranch_execz .LBB532_44
; %bb.43:
	s_add_i32 s8, s15, 32
	s_mov_b32 s9, 0
	s_delay_alu instid0(SALU_CYCLE_1) | instskip(NEXT) | instid1(SALU_CYCLE_1)
	s_lshl_b64 s[8:9], s[8:9], 4
	s_add_u32 s8, s4, s8
	s_addc_u32 s9, s5, s9
	s_delay_alu instid0(SALU_CYCLE_1)
	v_dual_mov_b32 v15, 1 :: v_dual_mov_b32 v18, s9
	v_mov_b32_e32 v17, s8
	s_waitcnt lgkmcnt(0)
	;;#ASMSTART
	global_store_dwordx4 v[17:18], v[13:16] off	
s_waitcnt vmcnt(0)
	;;#ASMEND
.LBB532_44:
	s_or_b32 exec_lo, exec_lo, s7
	v_xad_u32 v25, v42, -1, s15
	s_mov_b32 s8, 0
	s_mov_b32 s7, exec_lo
	s_delay_alu instid0(VALU_DEP_1) | instskip(NEXT) | instid1(VALU_DEP_1)
	v_add_nc_u32_e32 v15, 32, v25
	v_lshlrev_b64 v[15:16], 4, v[15:16]
	s_delay_alu instid0(VALU_DEP_1) | instskip(NEXT) | instid1(VALU_DEP_2)
	v_add_co_u32 v15, vcc_lo, s4, v15
	v_add_co_ci_u32_e32 v16, vcc_lo, s5, v16, vcc_lo
	;;#ASMSTART
	global_load_dwordx4 v[17:20], v[15:16] off glc	
s_waitcnt vmcnt(0)
	;;#ASMEND
	v_and_b32_e32 v20, 0xff, v18
	v_and_b32_e32 v26, 0xff00, v18
	v_or3_b32 v17, v17, 0, 0
	v_and_b32_e32 v27, 0xff000000, v18
	v_and_b32_e32 v18, 0xff0000, v18
	s_delay_alu instid0(VALU_DEP_4) | instskip(SKIP_2) | instid1(VALU_DEP_3)
	v_or3_b32 v20, 0, v20, v26
	v_and_b32_e32 v26, 0xff, v19
	v_or3_b32 v17, v17, 0, 0
	v_or3_b32 v18, v20, v18, v27
	s_delay_alu instid0(VALU_DEP_3)
	v_cmpx_eq_u16_e32 0, v26
	s_cbranch_execz .LBB532_47
.LBB532_45:                             ; =>This Inner Loop Header: Depth=1
	;;#ASMSTART
	global_load_dwordx4 v[17:20], v[15:16] off glc	
s_waitcnt vmcnt(0)
	;;#ASMEND
	v_and_b32_e32 v20, 0xff, v19
	s_delay_alu instid0(VALU_DEP_1) | instskip(SKIP_1) | instid1(SALU_CYCLE_1)
	v_cmp_ne_u16_e32 vcc_lo, 0, v20
	s_or_b32 s8, vcc_lo, s8
	s_and_not1_b32 exec_lo, exec_lo, s8
	s_cbranch_execnz .LBB532_45
; %bb.46:
	s_or_b32 exec_lo, exec_lo, s8
.LBB532_47:
	s_delay_alu instid0(SALU_CYCLE_1)
	s_or_b32 exec_lo, exec_lo, s7
	v_cmp_ne_u32_e32 vcc_lo, 31, v42
	v_and_b32_e32 v16, 0xff, v19
	v_lshlrev_b32_e64 v46, v42, -1
	s_mov_b32 s7, exec_lo
	v_add_co_ci_u32_e32 v15, vcc_lo, 0, v42, vcc_lo
	s_delay_alu instid0(VALU_DEP_3) | instskip(NEXT) | instid1(VALU_DEP_2)
	v_cmp_eq_u16_e32 vcc_lo, 2, v16
	v_dual_mov_b32 v16, v17 :: v_dual_lshlrev_b32 v45, 2, v15
	v_and_or_b32 v15, vcc_lo, v46, 0x80000000
	ds_bpermute_b32 v26, v45, v17
	ds_bpermute_b32 v20, v45, v18
	v_ctz_i32_b32_e32 v15, v15
	s_delay_alu instid0(VALU_DEP_1)
	v_cmpx_lt_u32_e64 v42, v15
	s_cbranch_execz .LBB532_49
; %bb.48:
	s_waitcnt lgkmcnt(1)
	v_add_co_u32 v16, vcc_lo, v17, v26
	v_add_co_ci_u32_e32 v18, vcc_lo, 0, v18, vcc_lo
	s_delay_alu instid0(VALU_DEP_2) | instskip(SKIP_1) | instid1(VALU_DEP_2)
	v_add_co_u32 v17, vcc_lo, 0, v16
	s_waitcnt lgkmcnt(0)
	v_add_co_ci_u32_e32 v18, vcc_lo, v20, v18, vcc_lo
.LBB532_49:
	s_or_b32 exec_lo, exec_lo, s7
	v_cmp_gt_u32_e32 vcc_lo, 30, v42
	v_add_nc_u32_e32 v48, 2, v42
	s_mov_b32 s7, exec_lo
	s_waitcnt lgkmcnt(0)
	v_cndmask_b32_e64 v20, 0, 1, vcc_lo
	s_delay_alu instid0(VALU_DEP_1) | instskip(NEXT) | instid1(VALU_DEP_1)
	v_lshlrev_b32_e32 v20, 1, v20
	v_add_lshl_u32 v47, v20, v42, 2
	ds_bpermute_b32 v26, v47, v16
	ds_bpermute_b32 v20, v47, v18
	v_cmpx_le_u32_e64 v48, v15
	s_cbranch_execz .LBB532_51
; %bb.50:
	s_waitcnt lgkmcnt(1)
	v_add_co_u32 v16, vcc_lo, v17, v26
	v_add_co_ci_u32_e32 v18, vcc_lo, 0, v18, vcc_lo
	s_delay_alu instid0(VALU_DEP_2) | instskip(SKIP_1) | instid1(VALU_DEP_2)
	v_add_co_u32 v17, vcc_lo, 0, v16
	s_waitcnt lgkmcnt(0)
	v_add_co_ci_u32_e32 v18, vcc_lo, v20, v18, vcc_lo
.LBB532_51:
	s_or_b32 exec_lo, exec_lo, s7
	v_cmp_gt_u32_e32 vcc_lo, 28, v42
	v_add_nc_u32_e32 v50, 4, v42
	s_mov_b32 s7, exec_lo
	s_waitcnt lgkmcnt(0)
	v_cndmask_b32_e64 v20, 0, 1, vcc_lo
	s_delay_alu instid0(VALU_DEP_1) | instskip(NEXT) | instid1(VALU_DEP_1)
	v_lshlrev_b32_e32 v20, 2, v20
	v_add_lshl_u32 v49, v20, v42, 2
	ds_bpermute_b32 v26, v49, v16
	ds_bpermute_b32 v20, v49, v18
	v_cmpx_le_u32_e64 v50, v15
	;; [unrolled: 22-line block ×4, first 2 shown]
	s_cbranch_execz .LBB532_57
; %bb.56:
	s_waitcnt lgkmcnt(1)
	v_add_co_u32 v15, vcc_lo, v17, v20
	v_add_co_ci_u32_e32 v18, vcc_lo, 0, v18, vcc_lo
	s_delay_alu instid0(VALU_DEP_2) | instskip(SKIP_1) | instid1(VALU_DEP_2)
	v_add_co_u32 v17, vcc_lo, v15, 0
	s_waitcnt lgkmcnt(0)
	v_add_co_ci_u32_e32 v18, vcc_lo, v18, v16, vcc_lo
.LBB532_57:
	s_or_b32 exec_lo, exec_lo, s7
	v_mov_b32_e32 v26, 0
	s_branch .LBB532_59
.LBB532_58:                             ;   in Loop: Header=BB532_59 Depth=1
	s_or_b32 exec_lo, exec_lo, s7
	v_add_co_u32 v17, vcc_lo, v17, v15
	v_subrev_nc_u32_e32 v25, 32, v25
	v_add_co_ci_u32_e32 v18, vcc_lo, v18, v16, vcc_lo
.LBB532_59:                             ; =>This Loop Header: Depth=1
                                        ;     Child Loop BB532_62 Depth 2
	v_and_b32_e32 v15, 0xff, v19
	s_delay_alu instid0(VALU_DEP_1) | instskip(SKIP_2) | instid1(VALU_DEP_1)
	v_cmp_ne_u16_e32 vcc_lo, 2, v15
	v_cndmask_b32_e64 v15, 0, 1, vcc_lo
	;;#ASMSTART
	;;#ASMEND
	v_cmp_ne_u32_e32 vcc_lo, 0, v15
	s_waitcnt lgkmcnt(0)
	v_dual_mov_b32 v15, v17 :: v_dual_mov_b32 v16, v18
	s_cmp_lg_u32 vcc_lo, exec_lo
	s_cbranch_scc1 .LBB532_74
; %bb.60:                               ;   in Loop: Header=BB532_59 Depth=1
	v_lshlrev_b64 v[17:18], 4, v[25:26]
	s_mov_b32 s7, exec_lo
	s_delay_alu instid0(VALU_DEP_1) | instskip(NEXT) | instid1(VALU_DEP_2)
	v_add_co_u32 v27, vcc_lo, s4, v17
	v_add_co_ci_u32_e32 v28, vcc_lo, s5, v18, vcc_lo
	;;#ASMSTART
	global_load_dwordx4 v[17:20], v[27:28] off glc	
s_waitcnt vmcnt(0)
	;;#ASMEND
	v_and_b32_e32 v20, 0xff, v18
	v_and_b32_e32 v55, 0xff00, v18
	v_or3_b32 v17, v17, 0, 0
	v_and_b32_e32 v56, 0xff000000, v18
	v_and_b32_e32 v18, 0xff0000, v18
	s_delay_alu instid0(VALU_DEP_4) | instskip(SKIP_2) | instid1(VALU_DEP_3)
	v_or3_b32 v20, 0, v20, v55
	v_and_b32_e32 v55, 0xff, v19
	v_or3_b32 v17, v17, 0, 0
	v_or3_b32 v18, v20, v18, v56
	s_delay_alu instid0(VALU_DEP_3)
	v_cmpx_eq_u16_e32 0, v55
	s_cbranch_execz .LBB532_64
; %bb.61:                               ;   in Loop: Header=BB532_59 Depth=1
	s_mov_b32 s8, 0
.LBB532_62:                             ;   Parent Loop BB532_59 Depth=1
                                        ; =>  This Inner Loop Header: Depth=2
	;;#ASMSTART
	global_load_dwordx4 v[17:20], v[27:28] off glc	
s_waitcnt vmcnt(0)
	;;#ASMEND
	v_and_b32_e32 v20, 0xff, v19
	s_delay_alu instid0(VALU_DEP_1) | instskip(SKIP_1) | instid1(SALU_CYCLE_1)
	v_cmp_ne_u16_e32 vcc_lo, 0, v20
	s_or_b32 s8, vcc_lo, s8
	s_and_not1_b32 exec_lo, exec_lo, s8
	s_cbranch_execnz .LBB532_62
; %bb.63:                               ;   in Loop: Header=BB532_59 Depth=1
	s_or_b32 exec_lo, exec_lo, s8
.LBB532_64:                             ;   in Loop: Header=BB532_59 Depth=1
	s_delay_alu instid0(SALU_CYCLE_1)
	s_or_b32 exec_lo, exec_lo, s7
	v_dual_mov_b32 v27, v17 :: v_dual_and_b32 v20, 0xff, v19
	ds_bpermute_b32 v55, v45, v17
	ds_bpermute_b32 v28, v45, v18
	s_mov_b32 s7, exec_lo
	v_cmp_eq_u16_e32 vcc_lo, 2, v20
	v_and_or_b32 v20, vcc_lo, v46, 0x80000000
	s_delay_alu instid0(VALU_DEP_1) | instskip(NEXT) | instid1(VALU_DEP_1)
	v_ctz_i32_b32_e32 v20, v20
	v_cmpx_lt_u32_e64 v42, v20
	s_cbranch_execz .LBB532_66
; %bb.65:                               ;   in Loop: Header=BB532_59 Depth=1
	s_waitcnt lgkmcnt(1)
	v_add_co_u32 v27, vcc_lo, v17, v55
	v_add_co_ci_u32_e32 v18, vcc_lo, 0, v18, vcc_lo
	s_delay_alu instid0(VALU_DEP_2) | instskip(SKIP_1) | instid1(VALU_DEP_2)
	v_add_co_u32 v17, vcc_lo, 0, v27
	s_waitcnt lgkmcnt(0)
	v_add_co_ci_u32_e32 v18, vcc_lo, v28, v18, vcc_lo
.LBB532_66:                             ;   in Loop: Header=BB532_59 Depth=1
	s_or_b32 exec_lo, exec_lo, s7
	s_waitcnt lgkmcnt(1)
	ds_bpermute_b32 v55, v47, v27
	s_waitcnt lgkmcnt(1)
	ds_bpermute_b32 v28, v47, v18
	s_mov_b32 s7, exec_lo
	v_cmpx_le_u32_e64 v48, v20
	s_cbranch_execz .LBB532_68
; %bb.67:                               ;   in Loop: Header=BB532_59 Depth=1
	s_waitcnt lgkmcnt(1)
	v_add_co_u32 v27, vcc_lo, v17, v55
	v_add_co_ci_u32_e32 v18, vcc_lo, 0, v18, vcc_lo
	s_delay_alu instid0(VALU_DEP_2) | instskip(SKIP_1) | instid1(VALU_DEP_2)
	v_add_co_u32 v17, vcc_lo, 0, v27
	s_waitcnt lgkmcnt(0)
	v_add_co_ci_u32_e32 v18, vcc_lo, v28, v18, vcc_lo
.LBB532_68:                             ;   in Loop: Header=BB532_59 Depth=1
	s_or_b32 exec_lo, exec_lo, s7
	s_waitcnt lgkmcnt(1)
	ds_bpermute_b32 v55, v49, v27
	s_waitcnt lgkmcnt(1)
	ds_bpermute_b32 v28, v49, v18
	s_mov_b32 s7, exec_lo
	v_cmpx_le_u32_e64 v50, v20
	;; [unrolled: 17-line block ×3, first 2 shown]
	s_cbranch_execz .LBB532_72
; %bb.71:                               ;   in Loop: Header=BB532_59 Depth=1
	s_waitcnt lgkmcnt(1)
	v_add_co_u32 v27, vcc_lo, v17, v55
	v_add_co_ci_u32_e32 v18, vcc_lo, 0, v18, vcc_lo
	s_delay_alu instid0(VALU_DEP_2) | instskip(SKIP_1) | instid1(VALU_DEP_2)
	v_add_co_u32 v17, vcc_lo, 0, v27
	s_waitcnt lgkmcnt(0)
	v_add_co_ci_u32_e32 v18, vcc_lo, v28, v18, vcc_lo
.LBB532_72:                             ;   in Loop: Header=BB532_59 Depth=1
	s_or_b32 exec_lo, exec_lo, s7
	s_waitcnt lgkmcnt(0)
	ds_bpermute_b32 v28, v53, v27
	ds_bpermute_b32 v27, v53, v18
	s_mov_b32 s7, exec_lo
	v_cmpx_le_u32_e64 v54, v20
	s_cbranch_execz .LBB532_58
; %bb.73:                               ;   in Loop: Header=BB532_59 Depth=1
	s_waitcnt lgkmcnt(1)
	v_add_co_u32 v17, vcc_lo, v17, v28
	v_add_co_ci_u32_e32 v18, vcc_lo, 0, v18, vcc_lo
	s_delay_alu instid0(VALU_DEP_2) | instskip(SKIP_1) | instid1(VALU_DEP_2)
	v_add_co_u32 v17, vcc_lo, v17, 0
	s_waitcnt lgkmcnt(0)
	v_add_co_ci_u32_e32 v18, vcc_lo, v18, v27, vcc_lo
	s_branch .LBB532_58
.LBB532_74:                             ;   in Loop: Header=BB532_59 Depth=1
                                        ; implicit-def: $vgpr17_vgpr18
	s_cbranch_execz .LBB532_59
; %bb.75:
	s_and_saveexec_b32 s7, s3
	s_cbranch_execz .LBB532_77
; %bb.76:
	s_add_i32 s8, s15, 32
	s_mov_b32 s9, 0
	v_add_co_u32 v17, vcc_lo, v15, v13
	s_lshl_b64 s[8:9], s[8:9], 4
	v_dual_mov_b32 v19, 2 :: v_dual_mov_b32 v20, 0
	s_add_u32 s8, s4, s8
	s_addc_u32 s9, s5, s9
	v_add_co_ci_u32_e32 v18, vcc_lo, v16, v14, vcc_lo
	v_dual_mov_b32 v26, s9 :: v_dual_mov_b32 v25, s8
	;;#ASMSTART
	global_store_dwordx4 v[25:26], v[17:20] off	
s_waitcnt vmcnt(0)
	;;#ASMEND
	ds_store_b128 v20, v[13:16] offset:6144
.LBB532_77:
	s_or_b32 exec_lo, exec_lo, s7
	v_cmp_eq_u32_e32 vcc_lo, 0, v0
	s_and_b32 exec_lo, exec_lo, vcc_lo
	s_cbranch_execz .LBB532_79
; %bb.78:
	v_mov_b32_e32 v13, 0
	ds_store_b64 v13, v[15:16] offset:24
.LBB532_79:
	s_or_b32 exec_lo, exec_lo, s6
	s_waitcnt lgkmcnt(1)
	v_cndmask_b32_e64 v16, v29, v23, s3
	v_cmp_ne_u32_e32 vcc_lo, 0, v0
	v_mov_b32_e32 v15, 0
	s_waitcnt lgkmcnt(0)
	s_barrier
	buffer_gl0_inv
	v_cndmask_b32_e32 v16, 0, v16, vcc_lo
	ds_load_b64 v[13:14], v15 offset:24
	v_cndmask_b32_e64 v17, v30, v24, s3
	s_waitcnt lgkmcnt(0)
	s_barrier
	buffer_gl0_inv
	v_cndmask_b32_e32 v17, 0, v17, vcc_lo
	v_add_co_u32 v29, vcc_lo, v13, v16
	s_delay_alu instid0(VALU_DEP_2) | instskip(SKIP_3) | instid1(VALU_DEP_2)
	v_add_co_ci_u32_e32 v30, vcc_lo, v14, v17, vcc_lo
	ds_load_b128 v[13:16], v15 offset:6144
	v_add_co_u32 v27, vcc_lo, v29, v41
	v_add_co_ci_u32_e32 v28, vcc_lo, 0, v30, vcc_lo
	v_add_co_u32 v25, vcc_lo, v27, v40
	s_delay_alu instid0(VALU_DEP_2) | instskip(NEXT) | instid1(VALU_DEP_2)
	v_add_co_ci_u32_e32 v26, vcc_lo, 0, v28, vcc_lo
	v_add_co_u32 v23, vcc_lo, v25, v39
	s_delay_alu instid0(VALU_DEP_2) | instskip(NEXT) | instid1(VALU_DEP_2)
	;; [unrolled: 3-line block ×3, first 2 shown]
	v_add_co_ci_u32_e32 v20, vcc_lo, 0, v24, vcc_lo
	v_add_co_u32 v17, vcc_lo, v19, v37
	s_delay_alu instid0(VALU_DEP_2)
	v_add_co_ci_u32_e32 v18, vcc_lo, 0, v20, vcc_lo
	s_load_b64 s[6:7], s[0:1], 0x30
.LBB532_80:
	s_waitcnt lgkmcnt(0)
	v_cmp_gt_u64_e32 vcc_lo, 0x81, v[13:14]
	s_mov_b32 s0, -1
	s_cbranch_vccnz .LBB532_108
.LBB532_81:
	s_and_b32 vcc_lo, exec_lo, s0
	s_cbranch_vccnz .LBB532_127
.LBB532_82:
	v_cmp_eq_u32_e32 vcc_lo, 0, v0
	s_and_b32 s0, vcc_lo, s13
	s_delay_alu instid0(SALU_CYCLE_1)
	s_and_saveexec_b32 s1, s0
	s_cbranch_execnz .LBB532_143
.LBB532_83:
	s_nop 0
	s_sendmsg sendmsg(MSG_DEALLOC_VGPRS)
	s_endpgm
.LBB532_84:
                                        ; kill: def $vgpr13_vgpr14 killed $sgpr0_sgpr1 killed $exec
                                        ; implicit-def: $vgpr17_vgpr18
                                        ; implicit-def: $vgpr19_vgpr20
                                        ; implicit-def: $vgpr23_vgpr24
                                        ; implicit-def: $vgpr25_vgpr26
                                        ; implicit-def: $vgpr27_vgpr28
                                        ; implicit-def: $vgpr29_vgpr30
                                        ; implicit-def: $vgpr15_vgpr16
	s_load_b64 s[6:7], s[0:1], 0x30
	s_and_b32 vcc_lo, exec_lo, s3
	s_cbranch_vccz .LBB532_80
; %bb.85:
	s_waitcnt lgkmcnt(0)
	v_dual_mov_b32 v14, 0 :: v_dual_mov_b32 v15, v21
	v_mov_b32_dpp v16, v21 row_shr:1 row_mask:0xf bank_mask:0xf
	s_delay_alu instid0(VALU_DEP_2)
	v_mov_b32_dpp v13, v14 row_shr:1 row_mask:0xf bank_mask:0xf
	s_and_saveexec_b32 s0, s2
; %bb.86:
	s_delay_alu instid0(VALU_DEP_2) | instskip(SKIP_1) | instid1(VALU_DEP_2)
	v_add_co_u32 v15, vcc_lo, v21, v16
	v_add_co_ci_u32_e32 v14, vcc_lo, 0, v22, vcc_lo
	v_add_co_u32 v21, vcc_lo, 0, v15
	s_delay_alu instid0(VALU_DEP_2) | instskip(NEXT) | instid1(VALU_DEP_1)
	v_add_co_ci_u32_e32 v22, vcc_lo, v13, v14, vcc_lo
	v_mov_b32_e32 v14, v22
; %bb.87:
	s_or_b32 exec_lo, exec_lo, s0
	v_mov_b32_dpp v13, v15 row_shr:2 row_mask:0xf bank_mask:0xf
	s_delay_alu instid0(VALU_DEP_2)
	v_mov_b32_dpp v16, v14 row_shr:2 row_mask:0xf bank_mask:0xf
	s_mov_b32 s0, exec_lo
	v_cmpx_lt_u32_e32 1, v44
; %bb.88:
	s_delay_alu instid0(VALU_DEP_3) | instskip(SKIP_1) | instid1(VALU_DEP_2)
	v_add_co_u32 v15, vcc_lo, v21, v13
	v_add_co_ci_u32_e32 v14, vcc_lo, 0, v22, vcc_lo
	v_add_co_u32 v13, vcc_lo, 0, v15
	s_delay_alu instid0(VALU_DEP_2) | instskip(NEXT) | instid1(VALU_DEP_1)
	v_add_co_ci_u32_e32 v14, vcc_lo, v16, v14, vcc_lo
	v_dual_mov_b32 v22, v14 :: v_dual_mov_b32 v21, v13
; %bb.89:
	s_or_b32 exec_lo, exec_lo, s0
	v_mov_b32_dpp v13, v15 row_shr:4 row_mask:0xf bank_mask:0xf
	v_mov_b32_dpp v16, v14 row_shr:4 row_mask:0xf bank_mask:0xf
	s_mov_b32 s0, exec_lo
	v_cmpx_lt_u32_e32 3, v44
; %bb.90:
	s_delay_alu instid0(VALU_DEP_3) | instskip(SKIP_1) | instid1(VALU_DEP_2)
	v_add_co_u32 v15, vcc_lo, v21, v13
	v_add_co_ci_u32_e32 v14, vcc_lo, 0, v22, vcc_lo
	v_add_co_u32 v13, vcc_lo, 0, v15
	s_delay_alu instid0(VALU_DEP_2) | instskip(NEXT) | instid1(VALU_DEP_1)
	v_add_co_ci_u32_e32 v14, vcc_lo, v16, v14, vcc_lo
	v_dual_mov_b32 v22, v14 :: v_dual_mov_b32 v21, v13
; %bb.91:
	s_or_b32 exec_lo, exec_lo, s0
	v_mov_b32_dpp v16, v15 row_shr:8 row_mask:0xf bank_mask:0xf
	v_mov_b32_dpp v13, v14 row_shr:8 row_mask:0xf bank_mask:0xf
	s_mov_b32 s0, exec_lo
	v_cmpx_lt_u32_e32 7, v44
; %bb.92:
	s_delay_alu instid0(VALU_DEP_3) | instskip(SKIP_1) | instid1(VALU_DEP_2)
	v_add_co_u32 v15, vcc_lo, v21, v16
	v_add_co_ci_u32_e32 v14, vcc_lo, 0, v22, vcc_lo
	v_add_co_u32 v21, vcc_lo, 0, v15
	s_delay_alu instid0(VALU_DEP_2) | instskip(NEXT) | instid1(VALU_DEP_1)
	v_add_co_ci_u32_e32 v22, vcc_lo, v13, v14, vcc_lo
	v_mov_b32_e32 v14, v22
; %bb.93:
	s_or_b32 exec_lo, exec_lo, s0
	ds_swizzle_b32 v15, v15 offset:swizzle(BROADCAST,32,15)
	ds_swizzle_b32 v13, v14 offset:swizzle(BROADCAST,32,15)
	v_and_b32_e32 v14, 16, v42
	s_mov_b32 s0, exec_lo
	s_delay_alu instid0(VALU_DEP_1)
	v_cmpx_ne_u32_e32 0, v14
	s_cbranch_execz .LBB532_95
; %bb.94:
	s_waitcnt lgkmcnt(1)
	v_add_co_u32 v14, vcc_lo, v21, v15
	v_add_co_ci_u32_e32 v15, vcc_lo, 0, v22, vcc_lo
	s_delay_alu instid0(VALU_DEP_2) | instskip(SKIP_1) | instid1(VALU_DEP_2)
	v_add_co_u32 v21, vcc_lo, v14, 0
	s_waitcnt lgkmcnt(0)
	v_add_co_ci_u32_e32 v22, vcc_lo, v15, v13, vcc_lo
.LBB532_95:
	s_or_b32 exec_lo, exec_lo, s0
	s_waitcnt lgkmcnt(0)
	v_or_b32_e32 v13, 31, v0
	v_lshrrev_b32_e32 v15, 5, v0
	s_mov_b32 s0, exec_lo
	s_delay_alu instid0(VALU_DEP_2)
	v_cmpx_eq_u32_e64 v13, v0
	s_cbranch_execz .LBB532_97
; %bb.96:
	s_delay_alu instid0(VALU_DEP_2)
	v_lshlrev_b32_e32 v13, 3, v15
	ds_store_b64 v13, v[21:22]
.LBB532_97:
	s_or_b32 exec_lo, exec_lo, s0
	s_delay_alu instid0(SALU_CYCLE_1)
	s_mov_b32 s0, exec_lo
	s_waitcnt lgkmcnt(0)
	s_barrier
	buffer_gl0_inv
	v_cmpx_gt_u32_e32 4, v0
	s_cbranch_execz .LBB532_103
; %bb.98:
	v_lshlrev_b32_e32 v13, 1, v0
	s_mov_b32 s1, exec_lo
	s_delay_alu instid0(VALU_DEP_1)
	v_add_nc_u32_e32 v16, v43, v13
	ds_load_b64 v[13:14], v16
	s_waitcnt lgkmcnt(0)
	v_dual_mov_b32 v18, v13 :: v_dual_and_b32 v17, 3, v42
	v_mov_b32_dpp v20, v13 row_shr:1 row_mask:0xf bank_mask:0xf
	v_mov_b32_dpp v19, v14 row_shr:1 row_mask:0xf bank_mask:0xf
	s_delay_alu instid0(VALU_DEP_3)
	v_cmpx_ne_u32_e32 0, v17
; %bb.99:
	s_delay_alu instid0(VALU_DEP_3) | instskip(SKIP_1) | instid1(VALU_DEP_2)
	v_add_co_u32 v18, vcc_lo, v13, v20
	v_add_co_ci_u32_e32 v14, vcc_lo, 0, v14, vcc_lo
	v_add_co_u32 v13, vcc_lo, 0, v18
	s_delay_alu instid0(VALU_DEP_2)
	v_add_co_ci_u32_e32 v14, vcc_lo, v19, v14, vcc_lo
; %bb.100:
	s_or_b32 exec_lo, exec_lo, s1
	v_mov_b32_dpp v19, v18 row_shr:2 row_mask:0xf bank_mask:0xf
	s_delay_alu instid0(VALU_DEP_2)
	v_mov_b32_dpp v18, v14 row_shr:2 row_mask:0xf bank_mask:0xf
	s_mov_b32 s1, exec_lo
	v_cmpx_lt_u32_e32 1, v17
; %bb.101:
	s_delay_alu instid0(VALU_DEP_3) | instskip(SKIP_1) | instid1(VALU_DEP_2)
	v_add_co_u32 v13, vcc_lo, v13, v19
	v_add_co_ci_u32_e32 v14, vcc_lo, 0, v14, vcc_lo
	v_add_co_u32 v13, vcc_lo, v13, 0
	s_delay_alu instid0(VALU_DEP_2)
	v_add_co_ci_u32_e32 v14, vcc_lo, v14, v18, vcc_lo
; %bb.102:
	s_or_b32 exec_lo, exec_lo, s1
	ds_store_b64 v16, v[13:14]
.LBB532_103:
	s_or_b32 exec_lo, exec_lo, s0
	v_mov_b32_e32 v17, 0
	v_mov_b32_e32 v18, 0
	s_mov_b32 s0, exec_lo
	s_waitcnt lgkmcnt(0)
	s_barrier
	buffer_gl0_inv
	v_cmpx_lt_u32_e32 31, v0
	s_cbranch_execz .LBB532_105
; %bb.104:
	v_lshl_add_u32 v13, v15, 3, -8
	ds_load_b64 v[17:18], v13
.LBB532_105:
	s_or_b32 exec_lo, exec_lo, s0
	v_dual_mov_b32 v16, 0 :: v_dual_add_nc_u32 v13, -1, v42
	s_delay_alu instid0(VALU_DEP_1) | instskip(SKIP_4) | instid1(VALU_DEP_3)
	v_cmp_gt_i32_e32 vcc_lo, 0, v13
	v_cndmask_b32_e32 v13, v13, v42, vcc_lo
	s_waitcnt lgkmcnt(0)
	v_add_co_u32 v14, vcc_lo, v17, v21
	v_add_co_ci_u32_e32 v15, vcc_lo, v18, v22, vcc_lo
	v_lshlrev_b32_e32 v13, 2, v13
	v_cmp_eq_u32_e32 vcc_lo, 0, v0
	ds_bpermute_b32 v19, v13, v14
	ds_bpermute_b32 v20, v13, v15
	ds_load_b64 v[13:14], v16 offset:24
	s_and_saveexec_b32 s0, vcc_lo
	s_cbranch_execz .LBB532_107
; %bb.106:
	s_add_u32 s2, s4, 0x200
	s_addc_u32 s3, s5, 0
	s_delay_alu instid0(SALU_CYCLE_1)
	v_dual_mov_b32 v15, 2 :: v_dual_mov_b32 v22, s3
	v_mov_b32_e32 v21, s2
	s_waitcnt lgkmcnt(0)
	;;#ASMSTART
	global_store_dwordx4 v[21:22], v[13:16] off	
s_waitcnt vmcnt(0)
	;;#ASMEND
.LBB532_107:
	s_or_b32 exec_lo, exec_lo, s0
	v_cmp_eq_u32_e64 s0, 0, v42
	s_waitcnt lgkmcnt(0)
	s_barrier
	buffer_gl0_inv
	v_cndmask_b32_e64 v15, v19, v17, s0
	v_cndmask_b32_e64 v16, v20, v18, s0
	s_delay_alu instid0(VALU_DEP_2) | instskip(NEXT) | instid1(VALU_DEP_2)
	v_cndmask_b32_e64 v29, v15, 0, vcc_lo
	v_cndmask_b32_e64 v30, v16, 0, vcc_lo
	v_mov_b32_e32 v15, 0
	v_mov_b32_e32 v16, 0
	s_delay_alu instid0(VALU_DEP_4) | instskip(NEXT) | instid1(VALU_DEP_4)
	v_add_co_u32 v27, vcc_lo, v29, v41
	v_add_co_ci_u32_e32 v28, vcc_lo, 0, v30, vcc_lo
	s_delay_alu instid0(VALU_DEP_2) | instskip(NEXT) | instid1(VALU_DEP_2)
	v_add_co_u32 v25, vcc_lo, v27, v40
	v_add_co_ci_u32_e32 v26, vcc_lo, 0, v28, vcc_lo
	s_delay_alu instid0(VALU_DEP_2) | instskip(NEXT) | instid1(VALU_DEP_2)
	;; [unrolled: 3-line block ×4, first 2 shown]
	v_add_co_u32 v17, vcc_lo, v19, v37
	v_add_co_ci_u32_e32 v18, vcc_lo, 0, v20, vcc_lo
	v_cmp_gt_u64_e32 vcc_lo, 0x81, v[13:14]
	s_mov_b32 s0, -1
	s_cbranch_vccz .LBB532_81
.LBB532_108:
	v_add_co_u32 v21, vcc_lo, v15, v13
	v_add_co_ci_u32_e32 v22, vcc_lo, v16, v14, vcc_lo
	s_delay_alu instid0(VALU_DEP_1) | instskip(SKIP_1) | instid1(SALU_CYCLE_1)
	v_cmp_lt_u64_e32 vcc_lo, v[29:30], v[21:22]
	s_or_b32 s1, s14, vcc_lo
	s_and_saveexec_b32 s0, s1
	s_cbranch_execz .LBB532_111
; %bb.109:
	v_and_b32_e32 v37, 1, v36
	s_delay_alu instid0(VALU_DEP_1)
	v_cmp_eq_u32_e32 vcc_lo, 1, v37
	s_and_b32 exec_lo, exec_lo, vcc_lo
	s_cbranch_execz .LBB532_111
; %bb.110:
	v_lshlrev_b64 v[37:38], 3, v[29:30]
	s_lshl_b64 s[2:3], s[18:19], 3
	s_delay_alu instid0(SALU_CYCLE_1) | instskip(SKIP_1) | instid1(VALU_DEP_1)
	s_add_u32 s1, s6, s2
	s_addc_u32 s2, s7, s3
	v_add_co_u32 v37, vcc_lo, s1, v37
	s_delay_alu instid0(VALU_DEP_2)
	v_add_co_ci_u32_e32 v38, vcc_lo, s2, v38, vcc_lo
	global_store_b64 v[37:38], v[9:10], off
.LBB532_111:
	s_or_b32 exec_lo, exec_lo, s0
	v_cmp_lt_u64_e32 vcc_lo, v[27:28], v[21:22]
	s_or_b32 s1, s14, vcc_lo
	s_delay_alu instid0(SALU_CYCLE_1)
	s_and_saveexec_b32 s0, s1
	s_cbranch_execz .LBB532_114
; %bb.112:
	v_and_b32_e32 v30, 1, v34
	s_delay_alu instid0(VALU_DEP_1)
	v_cmp_eq_u32_e32 vcc_lo, 1, v30
	s_and_b32 exec_lo, exec_lo, vcc_lo
	s_cbranch_execz .LBB532_114
; %bb.113:
	v_lshlrev_b64 v[37:38], 3, v[27:28]
	s_lshl_b64 s[2:3], s[18:19], 3
	s_delay_alu instid0(SALU_CYCLE_1) | instskip(SKIP_1) | instid1(VALU_DEP_1)
	s_add_u32 s1, s6, s2
	s_addc_u32 s2, s7, s3
	v_add_co_u32 v37, vcc_lo, s1, v37
	s_delay_alu instid0(VALU_DEP_2)
	v_add_co_ci_u32_e32 v38, vcc_lo, s2, v38, vcc_lo
	global_store_b64 v[37:38], v[11:12], off
.LBB532_114:
	s_or_b32 exec_lo, exec_lo, s0
	v_cmp_lt_u64_e32 vcc_lo, v[25:26], v[21:22]
	s_or_b32 s1, s14, vcc_lo
	s_delay_alu instid0(SALU_CYCLE_1)
	;; [unrolled: 23-line block ×5, first 2 shown]
	s_and_saveexec_b32 s0, s1
	s_cbranch_execz .LBB532_126
; %bb.124:
	v_and_b32_e32 v20, 1, v32
	s_delay_alu instid0(VALU_DEP_1)
	v_cmp_eq_u32_e32 vcc_lo, 1, v20
	s_and_b32 exec_lo, exec_lo, vcc_lo
	s_cbranch_execz .LBB532_126
; %bb.125:
	v_lshlrev_b64 v[20:21], 3, v[17:18]
	s_lshl_b64 s[2:3], s[18:19], 3
	s_delay_alu instid0(SALU_CYCLE_1) | instskip(SKIP_1) | instid1(VALU_DEP_1)
	s_add_u32 s1, s6, s2
	s_addc_u32 s2, s7, s3
	v_add_co_u32 v20, vcc_lo, s1, v20
	s_delay_alu instid0(VALU_DEP_2)
	v_add_co_ci_u32_e32 v21, vcc_lo, s2, v21, vcc_lo
	global_store_b64 v[20:21], v[3:4], off
.LBB532_126:
	s_or_b32 exec_lo, exec_lo, s0
	s_branch .LBB532_82
.LBB532_127:
	v_and_b32_e32 v18, 1, v36
	s_mov_b32 s0, exec_lo
	s_delay_alu instid0(VALU_DEP_1)
	v_cmpx_eq_u32_e32 1, v18
	s_cbranch_execz .LBB532_129
; %bb.128:
	v_sub_nc_u32_e32 v18, v29, v15
	s_delay_alu instid0(VALU_DEP_1)
	v_lshlrev_b32_e32 v18, 3, v18
	ds_store_b64 v18, v[9:10]
.LBB532_129:
	s_or_b32 exec_lo, exec_lo, s0
	v_and_b32_e32 v9, 1, v34
	s_mov_b32 s0, exec_lo
	s_delay_alu instid0(VALU_DEP_1)
	v_cmpx_eq_u32_e32 1, v9
	s_cbranch_execz .LBB532_131
; %bb.130:
	v_sub_nc_u32_e32 v9, v27, v15
	s_delay_alu instid0(VALU_DEP_1)
	v_lshlrev_b32_e32 v9, 3, v9
	ds_store_b64 v9, v[11:12]
.LBB532_131:
	s_or_b32 exec_lo, exec_lo, s0
	;; [unrolled: 12-line block ×6, first 2 shown]
	v_mov_b32_e32 v3, 0
	s_mov_b32 s1, exec_lo
	s_waitcnt lgkmcnt(0)
	s_waitcnt_vscnt null, 0x0
	s_barrier
	buffer_gl0_inv
	v_mov_b32_e32 v1, v3
	s_delay_alu instid0(VALU_DEP_1)
	v_cmpx_gt_u64_e64 v[13:14], v[0:1]
	s_cbranch_execz .LBB532_142
; %bb.140:
	v_lshlrev_b64 v[4:5], 3, v[15:16]
	s_lshl_b64 s[2:3], s[18:19], 3
	v_or_b32_e32 v2, 0x80, v0
	s_delay_alu instid0(VALU_DEP_2) | instskip(NEXT) | instid1(VALU_DEP_3)
	v_add_co_u32 v4, vcc_lo, s6, v4
	v_add_co_ci_u32_e32 v5, vcc_lo, s7, v5, vcc_lo
	s_delay_alu instid0(VALU_DEP_2) | instskip(NEXT) | instid1(VALU_DEP_2)
	v_add_co_u32 v6, vcc_lo, v4, s2
	v_add_co_ci_u32_e32 v7, vcc_lo, s3, v5, vcc_lo
	v_dual_mov_b32 v5, v1 :: v_dual_mov_b32 v4, v0
	s_mov_b32 s2, 0
	.p2align	6
.LBB532_141:                            ; =>This Inner Loop Header: Depth=1
	s_delay_alu instid0(VALU_DEP_1) | instskip(NEXT) | instid1(VALU_DEP_2)
	v_lshlrev_b32_e32 v1, 3, v4
	v_lshlrev_b64 v[10:11], 3, v[4:5]
	v_dual_mov_b32 v5, v3 :: v_dual_mov_b32 v4, v2
	v_cmp_le_u64_e32 vcc_lo, v[13:14], v[2:3]
	v_add_nc_u32_e32 v2, 0x80, v2
	ds_load_b64 v[8:9], v1
	v_add_co_u32 v10, s0, v6, v10
	s_delay_alu instid0(VALU_DEP_1)
	v_add_co_ci_u32_e64 v11, s0, v7, v11, s0
	s_or_b32 s2, vcc_lo, s2
	s_waitcnt lgkmcnt(0)
	global_store_b64 v[10:11], v[8:9], off
	s_and_not1_b32 exec_lo, exec_lo, s2
	s_cbranch_execnz .LBB532_141
.LBB532_142:
	s_or_b32 exec_lo, exec_lo, s1
	v_cmp_eq_u32_e32 vcc_lo, 0, v0
	s_and_b32 s0, vcc_lo, s13
	s_delay_alu instid0(SALU_CYCLE_1)
	s_and_saveexec_b32 s1, s0
	s_cbranch_execz .LBB532_83
.LBB532_143:
	v_add_co_u32 v0, vcc_lo, v15, v13
	v_add_co_ci_u32_e32 v1, vcc_lo, v16, v14, vcc_lo
	v_mov_b32_e32 v2, 0
	s_delay_alu instid0(VALU_DEP_3) | instskip(NEXT) | instid1(VALU_DEP_3)
	v_add_co_u32 v0, vcc_lo, v0, s18
	v_add_co_ci_u32_e32 v1, vcc_lo, s19, v1, vcc_lo
	global_store_b64 v2, v[0:1], s[16:17]
	s_nop 0
	s_sendmsg sendmsg(MSG_DEALLOC_VGPRS)
	s_endpgm
	.section	.rodata,"a",@progbits
	.p2align	6, 0x0
	.amdhsa_kernel _ZN7rocprim17ROCPRIM_400000_NS6detail17trampoline_kernelINS0_14default_configENS1_25partition_config_selectorILNS1_17partition_subalgoE5ElNS0_10empty_typeEbEEZZNS1_14partition_implILS5_5ELb0ES3_mN6hipcub16HIPCUB_304000_NS21CountingInputIteratorIllEEPS6_NSA_22TransformInputIteratorIbN2at6native12_GLOBAL__N_19NonZeroOpIN3c107complexIdEEEEPKSL_lEENS0_5tupleIJPlS6_EEENSQ_IJSD_SD_EEES6_PiJS6_EEE10hipError_tPvRmT3_T4_T5_T6_T7_T9_mT8_P12ihipStream_tbDpT10_ENKUlT_T0_E_clISt17integral_constantIbLb0EES1E_EEDaS19_S1A_EUlS19_E_NS1_11comp_targetILNS1_3genE9ELNS1_11target_archE1100ELNS1_3gpuE3ELNS1_3repE0EEENS1_30default_config_static_selectorELNS0_4arch9wavefront6targetE0EEEvT1_
		.amdhsa_group_segment_fixed_size 6160
		.amdhsa_private_segment_fixed_size 0
		.amdhsa_kernarg_size 120
		.amdhsa_user_sgpr_count 15
		.amdhsa_user_sgpr_dispatch_ptr 0
		.amdhsa_user_sgpr_queue_ptr 0
		.amdhsa_user_sgpr_kernarg_segment_ptr 1
		.amdhsa_user_sgpr_dispatch_id 0
		.amdhsa_user_sgpr_private_segment_size 0
		.amdhsa_wavefront_size32 1
		.amdhsa_uses_dynamic_stack 0
		.amdhsa_enable_private_segment 0
		.amdhsa_system_sgpr_workgroup_id_x 1
		.amdhsa_system_sgpr_workgroup_id_y 0
		.amdhsa_system_sgpr_workgroup_id_z 0
		.amdhsa_system_sgpr_workgroup_info 0
		.amdhsa_system_vgpr_workitem_id 0
		.amdhsa_next_free_vgpr 57
		.amdhsa_next_free_sgpr 27
		.amdhsa_reserve_vcc 1
		.amdhsa_float_round_mode_32 0
		.amdhsa_float_round_mode_16_64 0
		.amdhsa_float_denorm_mode_32 3
		.amdhsa_float_denorm_mode_16_64 3
		.amdhsa_dx10_clamp 1
		.amdhsa_ieee_mode 1
		.amdhsa_fp16_overflow 0
		.amdhsa_workgroup_processor_mode 1
		.amdhsa_memory_ordered 1
		.amdhsa_forward_progress 0
		.amdhsa_shared_vgpr_count 0
		.amdhsa_exception_fp_ieee_invalid_op 0
		.amdhsa_exception_fp_denorm_src 0
		.amdhsa_exception_fp_ieee_div_zero 0
		.amdhsa_exception_fp_ieee_overflow 0
		.amdhsa_exception_fp_ieee_underflow 0
		.amdhsa_exception_fp_ieee_inexact 0
		.amdhsa_exception_int_div_zero 0
	.end_amdhsa_kernel
	.section	.text._ZN7rocprim17ROCPRIM_400000_NS6detail17trampoline_kernelINS0_14default_configENS1_25partition_config_selectorILNS1_17partition_subalgoE5ElNS0_10empty_typeEbEEZZNS1_14partition_implILS5_5ELb0ES3_mN6hipcub16HIPCUB_304000_NS21CountingInputIteratorIllEEPS6_NSA_22TransformInputIteratorIbN2at6native12_GLOBAL__N_19NonZeroOpIN3c107complexIdEEEEPKSL_lEENS0_5tupleIJPlS6_EEENSQ_IJSD_SD_EEES6_PiJS6_EEE10hipError_tPvRmT3_T4_T5_T6_T7_T9_mT8_P12ihipStream_tbDpT10_ENKUlT_T0_E_clISt17integral_constantIbLb0EES1E_EEDaS19_S1A_EUlS19_E_NS1_11comp_targetILNS1_3genE9ELNS1_11target_archE1100ELNS1_3gpuE3ELNS1_3repE0EEENS1_30default_config_static_selectorELNS0_4arch9wavefront6targetE0EEEvT1_,"axG",@progbits,_ZN7rocprim17ROCPRIM_400000_NS6detail17trampoline_kernelINS0_14default_configENS1_25partition_config_selectorILNS1_17partition_subalgoE5ElNS0_10empty_typeEbEEZZNS1_14partition_implILS5_5ELb0ES3_mN6hipcub16HIPCUB_304000_NS21CountingInputIteratorIllEEPS6_NSA_22TransformInputIteratorIbN2at6native12_GLOBAL__N_19NonZeroOpIN3c107complexIdEEEEPKSL_lEENS0_5tupleIJPlS6_EEENSQ_IJSD_SD_EEES6_PiJS6_EEE10hipError_tPvRmT3_T4_T5_T6_T7_T9_mT8_P12ihipStream_tbDpT10_ENKUlT_T0_E_clISt17integral_constantIbLb0EES1E_EEDaS19_S1A_EUlS19_E_NS1_11comp_targetILNS1_3genE9ELNS1_11target_archE1100ELNS1_3gpuE3ELNS1_3repE0EEENS1_30default_config_static_selectorELNS0_4arch9wavefront6targetE0EEEvT1_,comdat
.Lfunc_end532:
	.size	_ZN7rocprim17ROCPRIM_400000_NS6detail17trampoline_kernelINS0_14default_configENS1_25partition_config_selectorILNS1_17partition_subalgoE5ElNS0_10empty_typeEbEEZZNS1_14partition_implILS5_5ELb0ES3_mN6hipcub16HIPCUB_304000_NS21CountingInputIteratorIllEEPS6_NSA_22TransformInputIteratorIbN2at6native12_GLOBAL__N_19NonZeroOpIN3c107complexIdEEEEPKSL_lEENS0_5tupleIJPlS6_EEENSQ_IJSD_SD_EEES6_PiJS6_EEE10hipError_tPvRmT3_T4_T5_T6_T7_T9_mT8_P12ihipStream_tbDpT10_ENKUlT_T0_E_clISt17integral_constantIbLb0EES1E_EEDaS19_S1A_EUlS19_E_NS1_11comp_targetILNS1_3genE9ELNS1_11target_archE1100ELNS1_3gpuE3ELNS1_3repE0EEENS1_30default_config_static_selectorELNS0_4arch9wavefront6targetE0EEEvT1_, .Lfunc_end532-_ZN7rocprim17ROCPRIM_400000_NS6detail17trampoline_kernelINS0_14default_configENS1_25partition_config_selectorILNS1_17partition_subalgoE5ElNS0_10empty_typeEbEEZZNS1_14partition_implILS5_5ELb0ES3_mN6hipcub16HIPCUB_304000_NS21CountingInputIteratorIllEEPS6_NSA_22TransformInputIteratorIbN2at6native12_GLOBAL__N_19NonZeroOpIN3c107complexIdEEEEPKSL_lEENS0_5tupleIJPlS6_EEENSQ_IJSD_SD_EEES6_PiJS6_EEE10hipError_tPvRmT3_T4_T5_T6_T7_T9_mT8_P12ihipStream_tbDpT10_ENKUlT_T0_E_clISt17integral_constantIbLb0EES1E_EEDaS19_S1A_EUlS19_E_NS1_11comp_targetILNS1_3genE9ELNS1_11target_archE1100ELNS1_3gpuE3ELNS1_3repE0EEENS1_30default_config_static_selectorELNS0_4arch9wavefront6targetE0EEEvT1_
                                        ; -- End function
	.section	.AMDGPU.csdata,"",@progbits
; Kernel info:
; codeLenInByte = 6644
; NumSgprs: 29
; NumVgprs: 57
; ScratchSize: 0
; MemoryBound: 0
; FloatMode: 240
; IeeeMode: 1
; LDSByteSize: 6160 bytes/workgroup (compile time only)
; SGPRBlocks: 3
; VGPRBlocks: 7
; NumSGPRsForWavesPerEU: 29
; NumVGPRsForWavesPerEU: 57
; Occupancy: 16
; WaveLimiterHint : 1
; COMPUTE_PGM_RSRC2:SCRATCH_EN: 0
; COMPUTE_PGM_RSRC2:USER_SGPR: 15
; COMPUTE_PGM_RSRC2:TRAP_HANDLER: 0
; COMPUTE_PGM_RSRC2:TGID_X_EN: 1
; COMPUTE_PGM_RSRC2:TGID_Y_EN: 0
; COMPUTE_PGM_RSRC2:TGID_Z_EN: 0
; COMPUTE_PGM_RSRC2:TIDIG_COMP_CNT: 0
	.section	.text._ZN7rocprim17ROCPRIM_400000_NS6detail17trampoline_kernelINS0_14default_configENS1_25partition_config_selectorILNS1_17partition_subalgoE5ElNS0_10empty_typeEbEEZZNS1_14partition_implILS5_5ELb0ES3_mN6hipcub16HIPCUB_304000_NS21CountingInputIteratorIllEEPS6_NSA_22TransformInputIteratorIbN2at6native12_GLOBAL__N_19NonZeroOpIN3c107complexIdEEEEPKSL_lEENS0_5tupleIJPlS6_EEENSQ_IJSD_SD_EEES6_PiJS6_EEE10hipError_tPvRmT3_T4_T5_T6_T7_T9_mT8_P12ihipStream_tbDpT10_ENKUlT_T0_E_clISt17integral_constantIbLb0EES1E_EEDaS19_S1A_EUlS19_E_NS1_11comp_targetILNS1_3genE8ELNS1_11target_archE1030ELNS1_3gpuE2ELNS1_3repE0EEENS1_30default_config_static_selectorELNS0_4arch9wavefront6targetE0EEEvT1_,"axG",@progbits,_ZN7rocprim17ROCPRIM_400000_NS6detail17trampoline_kernelINS0_14default_configENS1_25partition_config_selectorILNS1_17partition_subalgoE5ElNS0_10empty_typeEbEEZZNS1_14partition_implILS5_5ELb0ES3_mN6hipcub16HIPCUB_304000_NS21CountingInputIteratorIllEEPS6_NSA_22TransformInputIteratorIbN2at6native12_GLOBAL__N_19NonZeroOpIN3c107complexIdEEEEPKSL_lEENS0_5tupleIJPlS6_EEENSQ_IJSD_SD_EEES6_PiJS6_EEE10hipError_tPvRmT3_T4_T5_T6_T7_T9_mT8_P12ihipStream_tbDpT10_ENKUlT_T0_E_clISt17integral_constantIbLb0EES1E_EEDaS19_S1A_EUlS19_E_NS1_11comp_targetILNS1_3genE8ELNS1_11target_archE1030ELNS1_3gpuE2ELNS1_3repE0EEENS1_30default_config_static_selectorELNS0_4arch9wavefront6targetE0EEEvT1_,comdat
	.globl	_ZN7rocprim17ROCPRIM_400000_NS6detail17trampoline_kernelINS0_14default_configENS1_25partition_config_selectorILNS1_17partition_subalgoE5ElNS0_10empty_typeEbEEZZNS1_14partition_implILS5_5ELb0ES3_mN6hipcub16HIPCUB_304000_NS21CountingInputIteratorIllEEPS6_NSA_22TransformInputIteratorIbN2at6native12_GLOBAL__N_19NonZeroOpIN3c107complexIdEEEEPKSL_lEENS0_5tupleIJPlS6_EEENSQ_IJSD_SD_EEES6_PiJS6_EEE10hipError_tPvRmT3_T4_T5_T6_T7_T9_mT8_P12ihipStream_tbDpT10_ENKUlT_T0_E_clISt17integral_constantIbLb0EES1E_EEDaS19_S1A_EUlS19_E_NS1_11comp_targetILNS1_3genE8ELNS1_11target_archE1030ELNS1_3gpuE2ELNS1_3repE0EEENS1_30default_config_static_selectorELNS0_4arch9wavefront6targetE0EEEvT1_ ; -- Begin function _ZN7rocprim17ROCPRIM_400000_NS6detail17trampoline_kernelINS0_14default_configENS1_25partition_config_selectorILNS1_17partition_subalgoE5ElNS0_10empty_typeEbEEZZNS1_14partition_implILS5_5ELb0ES3_mN6hipcub16HIPCUB_304000_NS21CountingInputIteratorIllEEPS6_NSA_22TransformInputIteratorIbN2at6native12_GLOBAL__N_19NonZeroOpIN3c107complexIdEEEEPKSL_lEENS0_5tupleIJPlS6_EEENSQ_IJSD_SD_EEES6_PiJS6_EEE10hipError_tPvRmT3_T4_T5_T6_T7_T9_mT8_P12ihipStream_tbDpT10_ENKUlT_T0_E_clISt17integral_constantIbLb0EES1E_EEDaS19_S1A_EUlS19_E_NS1_11comp_targetILNS1_3genE8ELNS1_11target_archE1030ELNS1_3gpuE2ELNS1_3repE0EEENS1_30default_config_static_selectorELNS0_4arch9wavefront6targetE0EEEvT1_
	.p2align	8
	.type	_ZN7rocprim17ROCPRIM_400000_NS6detail17trampoline_kernelINS0_14default_configENS1_25partition_config_selectorILNS1_17partition_subalgoE5ElNS0_10empty_typeEbEEZZNS1_14partition_implILS5_5ELb0ES3_mN6hipcub16HIPCUB_304000_NS21CountingInputIteratorIllEEPS6_NSA_22TransformInputIteratorIbN2at6native12_GLOBAL__N_19NonZeroOpIN3c107complexIdEEEEPKSL_lEENS0_5tupleIJPlS6_EEENSQ_IJSD_SD_EEES6_PiJS6_EEE10hipError_tPvRmT3_T4_T5_T6_T7_T9_mT8_P12ihipStream_tbDpT10_ENKUlT_T0_E_clISt17integral_constantIbLb0EES1E_EEDaS19_S1A_EUlS19_E_NS1_11comp_targetILNS1_3genE8ELNS1_11target_archE1030ELNS1_3gpuE2ELNS1_3repE0EEENS1_30default_config_static_selectorELNS0_4arch9wavefront6targetE0EEEvT1_,@function
_ZN7rocprim17ROCPRIM_400000_NS6detail17trampoline_kernelINS0_14default_configENS1_25partition_config_selectorILNS1_17partition_subalgoE5ElNS0_10empty_typeEbEEZZNS1_14partition_implILS5_5ELb0ES3_mN6hipcub16HIPCUB_304000_NS21CountingInputIteratorIllEEPS6_NSA_22TransformInputIteratorIbN2at6native12_GLOBAL__N_19NonZeroOpIN3c107complexIdEEEEPKSL_lEENS0_5tupleIJPlS6_EEENSQ_IJSD_SD_EEES6_PiJS6_EEE10hipError_tPvRmT3_T4_T5_T6_T7_T9_mT8_P12ihipStream_tbDpT10_ENKUlT_T0_E_clISt17integral_constantIbLb0EES1E_EEDaS19_S1A_EUlS19_E_NS1_11comp_targetILNS1_3genE8ELNS1_11target_archE1030ELNS1_3gpuE2ELNS1_3repE0EEENS1_30default_config_static_selectorELNS0_4arch9wavefront6targetE0EEEvT1_: ; @_ZN7rocprim17ROCPRIM_400000_NS6detail17trampoline_kernelINS0_14default_configENS1_25partition_config_selectorILNS1_17partition_subalgoE5ElNS0_10empty_typeEbEEZZNS1_14partition_implILS5_5ELb0ES3_mN6hipcub16HIPCUB_304000_NS21CountingInputIteratorIllEEPS6_NSA_22TransformInputIteratorIbN2at6native12_GLOBAL__N_19NonZeroOpIN3c107complexIdEEEEPKSL_lEENS0_5tupleIJPlS6_EEENSQ_IJSD_SD_EEES6_PiJS6_EEE10hipError_tPvRmT3_T4_T5_T6_T7_T9_mT8_P12ihipStream_tbDpT10_ENKUlT_T0_E_clISt17integral_constantIbLb0EES1E_EEDaS19_S1A_EUlS19_E_NS1_11comp_targetILNS1_3genE8ELNS1_11target_archE1030ELNS1_3gpuE2ELNS1_3repE0EEENS1_30default_config_static_selectorELNS0_4arch9wavefront6targetE0EEEvT1_
; %bb.0:
	.section	.rodata,"a",@progbits
	.p2align	6, 0x0
	.amdhsa_kernel _ZN7rocprim17ROCPRIM_400000_NS6detail17trampoline_kernelINS0_14default_configENS1_25partition_config_selectorILNS1_17partition_subalgoE5ElNS0_10empty_typeEbEEZZNS1_14partition_implILS5_5ELb0ES3_mN6hipcub16HIPCUB_304000_NS21CountingInputIteratorIllEEPS6_NSA_22TransformInputIteratorIbN2at6native12_GLOBAL__N_19NonZeroOpIN3c107complexIdEEEEPKSL_lEENS0_5tupleIJPlS6_EEENSQ_IJSD_SD_EEES6_PiJS6_EEE10hipError_tPvRmT3_T4_T5_T6_T7_T9_mT8_P12ihipStream_tbDpT10_ENKUlT_T0_E_clISt17integral_constantIbLb0EES1E_EEDaS19_S1A_EUlS19_E_NS1_11comp_targetILNS1_3genE8ELNS1_11target_archE1030ELNS1_3gpuE2ELNS1_3repE0EEENS1_30default_config_static_selectorELNS0_4arch9wavefront6targetE0EEEvT1_
		.amdhsa_group_segment_fixed_size 0
		.amdhsa_private_segment_fixed_size 0
		.amdhsa_kernarg_size 120
		.amdhsa_user_sgpr_count 15
		.amdhsa_user_sgpr_dispatch_ptr 0
		.amdhsa_user_sgpr_queue_ptr 0
		.amdhsa_user_sgpr_kernarg_segment_ptr 1
		.amdhsa_user_sgpr_dispatch_id 0
		.amdhsa_user_sgpr_private_segment_size 0
		.amdhsa_wavefront_size32 1
		.amdhsa_uses_dynamic_stack 0
		.amdhsa_enable_private_segment 0
		.amdhsa_system_sgpr_workgroup_id_x 1
		.amdhsa_system_sgpr_workgroup_id_y 0
		.amdhsa_system_sgpr_workgroup_id_z 0
		.amdhsa_system_sgpr_workgroup_info 0
		.amdhsa_system_vgpr_workitem_id 0
		.amdhsa_next_free_vgpr 1
		.amdhsa_next_free_sgpr 1
		.amdhsa_reserve_vcc 0
		.amdhsa_float_round_mode_32 0
		.amdhsa_float_round_mode_16_64 0
		.amdhsa_float_denorm_mode_32 3
		.amdhsa_float_denorm_mode_16_64 3
		.amdhsa_dx10_clamp 1
		.amdhsa_ieee_mode 1
		.amdhsa_fp16_overflow 0
		.amdhsa_workgroup_processor_mode 1
		.amdhsa_memory_ordered 1
		.amdhsa_forward_progress 0
		.amdhsa_shared_vgpr_count 0
		.amdhsa_exception_fp_ieee_invalid_op 0
		.amdhsa_exception_fp_denorm_src 0
		.amdhsa_exception_fp_ieee_div_zero 0
		.amdhsa_exception_fp_ieee_overflow 0
		.amdhsa_exception_fp_ieee_underflow 0
		.amdhsa_exception_fp_ieee_inexact 0
		.amdhsa_exception_int_div_zero 0
	.end_amdhsa_kernel
	.section	.text._ZN7rocprim17ROCPRIM_400000_NS6detail17trampoline_kernelINS0_14default_configENS1_25partition_config_selectorILNS1_17partition_subalgoE5ElNS0_10empty_typeEbEEZZNS1_14partition_implILS5_5ELb0ES3_mN6hipcub16HIPCUB_304000_NS21CountingInputIteratorIllEEPS6_NSA_22TransformInputIteratorIbN2at6native12_GLOBAL__N_19NonZeroOpIN3c107complexIdEEEEPKSL_lEENS0_5tupleIJPlS6_EEENSQ_IJSD_SD_EEES6_PiJS6_EEE10hipError_tPvRmT3_T4_T5_T6_T7_T9_mT8_P12ihipStream_tbDpT10_ENKUlT_T0_E_clISt17integral_constantIbLb0EES1E_EEDaS19_S1A_EUlS19_E_NS1_11comp_targetILNS1_3genE8ELNS1_11target_archE1030ELNS1_3gpuE2ELNS1_3repE0EEENS1_30default_config_static_selectorELNS0_4arch9wavefront6targetE0EEEvT1_,"axG",@progbits,_ZN7rocprim17ROCPRIM_400000_NS6detail17trampoline_kernelINS0_14default_configENS1_25partition_config_selectorILNS1_17partition_subalgoE5ElNS0_10empty_typeEbEEZZNS1_14partition_implILS5_5ELb0ES3_mN6hipcub16HIPCUB_304000_NS21CountingInputIteratorIllEEPS6_NSA_22TransformInputIteratorIbN2at6native12_GLOBAL__N_19NonZeroOpIN3c107complexIdEEEEPKSL_lEENS0_5tupleIJPlS6_EEENSQ_IJSD_SD_EEES6_PiJS6_EEE10hipError_tPvRmT3_T4_T5_T6_T7_T9_mT8_P12ihipStream_tbDpT10_ENKUlT_T0_E_clISt17integral_constantIbLb0EES1E_EEDaS19_S1A_EUlS19_E_NS1_11comp_targetILNS1_3genE8ELNS1_11target_archE1030ELNS1_3gpuE2ELNS1_3repE0EEENS1_30default_config_static_selectorELNS0_4arch9wavefront6targetE0EEEvT1_,comdat
.Lfunc_end533:
	.size	_ZN7rocprim17ROCPRIM_400000_NS6detail17trampoline_kernelINS0_14default_configENS1_25partition_config_selectorILNS1_17partition_subalgoE5ElNS0_10empty_typeEbEEZZNS1_14partition_implILS5_5ELb0ES3_mN6hipcub16HIPCUB_304000_NS21CountingInputIteratorIllEEPS6_NSA_22TransformInputIteratorIbN2at6native12_GLOBAL__N_19NonZeroOpIN3c107complexIdEEEEPKSL_lEENS0_5tupleIJPlS6_EEENSQ_IJSD_SD_EEES6_PiJS6_EEE10hipError_tPvRmT3_T4_T5_T6_T7_T9_mT8_P12ihipStream_tbDpT10_ENKUlT_T0_E_clISt17integral_constantIbLb0EES1E_EEDaS19_S1A_EUlS19_E_NS1_11comp_targetILNS1_3genE8ELNS1_11target_archE1030ELNS1_3gpuE2ELNS1_3repE0EEENS1_30default_config_static_selectorELNS0_4arch9wavefront6targetE0EEEvT1_, .Lfunc_end533-_ZN7rocprim17ROCPRIM_400000_NS6detail17trampoline_kernelINS0_14default_configENS1_25partition_config_selectorILNS1_17partition_subalgoE5ElNS0_10empty_typeEbEEZZNS1_14partition_implILS5_5ELb0ES3_mN6hipcub16HIPCUB_304000_NS21CountingInputIteratorIllEEPS6_NSA_22TransformInputIteratorIbN2at6native12_GLOBAL__N_19NonZeroOpIN3c107complexIdEEEEPKSL_lEENS0_5tupleIJPlS6_EEENSQ_IJSD_SD_EEES6_PiJS6_EEE10hipError_tPvRmT3_T4_T5_T6_T7_T9_mT8_P12ihipStream_tbDpT10_ENKUlT_T0_E_clISt17integral_constantIbLb0EES1E_EEDaS19_S1A_EUlS19_E_NS1_11comp_targetILNS1_3genE8ELNS1_11target_archE1030ELNS1_3gpuE2ELNS1_3repE0EEENS1_30default_config_static_selectorELNS0_4arch9wavefront6targetE0EEEvT1_
                                        ; -- End function
	.section	.AMDGPU.csdata,"",@progbits
; Kernel info:
; codeLenInByte = 0
; NumSgprs: 0
; NumVgprs: 0
; ScratchSize: 0
; MemoryBound: 0
; FloatMode: 240
; IeeeMode: 1
; LDSByteSize: 0 bytes/workgroup (compile time only)
; SGPRBlocks: 0
; VGPRBlocks: 0
; NumSGPRsForWavesPerEU: 1
; NumVGPRsForWavesPerEU: 1
; Occupancy: 16
; WaveLimiterHint : 0
; COMPUTE_PGM_RSRC2:SCRATCH_EN: 0
; COMPUTE_PGM_RSRC2:USER_SGPR: 15
; COMPUTE_PGM_RSRC2:TRAP_HANDLER: 0
; COMPUTE_PGM_RSRC2:TGID_X_EN: 1
; COMPUTE_PGM_RSRC2:TGID_Y_EN: 0
; COMPUTE_PGM_RSRC2:TGID_Z_EN: 0
; COMPUTE_PGM_RSRC2:TIDIG_COMP_CNT: 0
	.section	.text._ZN7rocprim17ROCPRIM_400000_NS6detail17trampoline_kernelINS0_14default_configENS1_25partition_config_selectorILNS1_17partition_subalgoE5ElNS0_10empty_typeEbEEZZNS1_14partition_implILS5_5ELb0ES3_mN6hipcub16HIPCUB_304000_NS21CountingInputIteratorIllEEPS6_NSA_22TransformInputIteratorIbN2at6native12_GLOBAL__N_19NonZeroOpIN3c107complexIdEEEEPKSL_lEENS0_5tupleIJPlS6_EEENSQ_IJSD_SD_EEES6_PiJS6_EEE10hipError_tPvRmT3_T4_T5_T6_T7_T9_mT8_P12ihipStream_tbDpT10_ENKUlT_T0_E_clISt17integral_constantIbLb1EES1E_EEDaS19_S1A_EUlS19_E_NS1_11comp_targetILNS1_3genE0ELNS1_11target_archE4294967295ELNS1_3gpuE0ELNS1_3repE0EEENS1_30default_config_static_selectorELNS0_4arch9wavefront6targetE0EEEvT1_,"axG",@progbits,_ZN7rocprim17ROCPRIM_400000_NS6detail17trampoline_kernelINS0_14default_configENS1_25partition_config_selectorILNS1_17partition_subalgoE5ElNS0_10empty_typeEbEEZZNS1_14partition_implILS5_5ELb0ES3_mN6hipcub16HIPCUB_304000_NS21CountingInputIteratorIllEEPS6_NSA_22TransformInputIteratorIbN2at6native12_GLOBAL__N_19NonZeroOpIN3c107complexIdEEEEPKSL_lEENS0_5tupleIJPlS6_EEENSQ_IJSD_SD_EEES6_PiJS6_EEE10hipError_tPvRmT3_T4_T5_T6_T7_T9_mT8_P12ihipStream_tbDpT10_ENKUlT_T0_E_clISt17integral_constantIbLb1EES1E_EEDaS19_S1A_EUlS19_E_NS1_11comp_targetILNS1_3genE0ELNS1_11target_archE4294967295ELNS1_3gpuE0ELNS1_3repE0EEENS1_30default_config_static_selectorELNS0_4arch9wavefront6targetE0EEEvT1_,comdat
	.globl	_ZN7rocprim17ROCPRIM_400000_NS6detail17trampoline_kernelINS0_14default_configENS1_25partition_config_selectorILNS1_17partition_subalgoE5ElNS0_10empty_typeEbEEZZNS1_14partition_implILS5_5ELb0ES3_mN6hipcub16HIPCUB_304000_NS21CountingInputIteratorIllEEPS6_NSA_22TransformInputIteratorIbN2at6native12_GLOBAL__N_19NonZeroOpIN3c107complexIdEEEEPKSL_lEENS0_5tupleIJPlS6_EEENSQ_IJSD_SD_EEES6_PiJS6_EEE10hipError_tPvRmT3_T4_T5_T6_T7_T9_mT8_P12ihipStream_tbDpT10_ENKUlT_T0_E_clISt17integral_constantIbLb1EES1E_EEDaS19_S1A_EUlS19_E_NS1_11comp_targetILNS1_3genE0ELNS1_11target_archE4294967295ELNS1_3gpuE0ELNS1_3repE0EEENS1_30default_config_static_selectorELNS0_4arch9wavefront6targetE0EEEvT1_ ; -- Begin function _ZN7rocprim17ROCPRIM_400000_NS6detail17trampoline_kernelINS0_14default_configENS1_25partition_config_selectorILNS1_17partition_subalgoE5ElNS0_10empty_typeEbEEZZNS1_14partition_implILS5_5ELb0ES3_mN6hipcub16HIPCUB_304000_NS21CountingInputIteratorIllEEPS6_NSA_22TransformInputIteratorIbN2at6native12_GLOBAL__N_19NonZeroOpIN3c107complexIdEEEEPKSL_lEENS0_5tupleIJPlS6_EEENSQ_IJSD_SD_EEES6_PiJS6_EEE10hipError_tPvRmT3_T4_T5_T6_T7_T9_mT8_P12ihipStream_tbDpT10_ENKUlT_T0_E_clISt17integral_constantIbLb1EES1E_EEDaS19_S1A_EUlS19_E_NS1_11comp_targetILNS1_3genE0ELNS1_11target_archE4294967295ELNS1_3gpuE0ELNS1_3repE0EEENS1_30default_config_static_selectorELNS0_4arch9wavefront6targetE0EEEvT1_
	.p2align	8
	.type	_ZN7rocprim17ROCPRIM_400000_NS6detail17trampoline_kernelINS0_14default_configENS1_25partition_config_selectorILNS1_17partition_subalgoE5ElNS0_10empty_typeEbEEZZNS1_14partition_implILS5_5ELb0ES3_mN6hipcub16HIPCUB_304000_NS21CountingInputIteratorIllEEPS6_NSA_22TransformInputIteratorIbN2at6native12_GLOBAL__N_19NonZeroOpIN3c107complexIdEEEEPKSL_lEENS0_5tupleIJPlS6_EEENSQ_IJSD_SD_EEES6_PiJS6_EEE10hipError_tPvRmT3_T4_T5_T6_T7_T9_mT8_P12ihipStream_tbDpT10_ENKUlT_T0_E_clISt17integral_constantIbLb1EES1E_EEDaS19_S1A_EUlS19_E_NS1_11comp_targetILNS1_3genE0ELNS1_11target_archE4294967295ELNS1_3gpuE0ELNS1_3repE0EEENS1_30default_config_static_selectorELNS0_4arch9wavefront6targetE0EEEvT1_,@function
_ZN7rocprim17ROCPRIM_400000_NS6detail17trampoline_kernelINS0_14default_configENS1_25partition_config_selectorILNS1_17partition_subalgoE5ElNS0_10empty_typeEbEEZZNS1_14partition_implILS5_5ELb0ES3_mN6hipcub16HIPCUB_304000_NS21CountingInputIteratorIllEEPS6_NSA_22TransformInputIteratorIbN2at6native12_GLOBAL__N_19NonZeroOpIN3c107complexIdEEEEPKSL_lEENS0_5tupleIJPlS6_EEENSQ_IJSD_SD_EEES6_PiJS6_EEE10hipError_tPvRmT3_T4_T5_T6_T7_T9_mT8_P12ihipStream_tbDpT10_ENKUlT_T0_E_clISt17integral_constantIbLb1EES1E_EEDaS19_S1A_EUlS19_E_NS1_11comp_targetILNS1_3genE0ELNS1_11target_archE4294967295ELNS1_3gpuE0ELNS1_3repE0EEENS1_30default_config_static_selectorELNS0_4arch9wavefront6targetE0EEEvT1_: ; @_ZN7rocprim17ROCPRIM_400000_NS6detail17trampoline_kernelINS0_14default_configENS1_25partition_config_selectorILNS1_17partition_subalgoE5ElNS0_10empty_typeEbEEZZNS1_14partition_implILS5_5ELb0ES3_mN6hipcub16HIPCUB_304000_NS21CountingInputIteratorIllEEPS6_NSA_22TransformInputIteratorIbN2at6native12_GLOBAL__N_19NonZeroOpIN3c107complexIdEEEEPKSL_lEENS0_5tupleIJPlS6_EEENSQ_IJSD_SD_EEES6_PiJS6_EEE10hipError_tPvRmT3_T4_T5_T6_T7_T9_mT8_P12ihipStream_tbDpT10_ENKUlT_T0_E_clISt17integral_constantIbLb1EES1E_EEDaS19_S1A_EUlS19_E_NS1_11comp_targetILNS1_3genE0ELNS1_11target_archE4294967295ELNS1_3gpuE0ELNS1_3repE0EEENS1_30default_config_static_selectorELNS0_4arch9wavefront6targetE0EEEvT1_
; %bb.0:
	.section	.rodata,"a",@progbits
	.p2align	6, 0x0
	.amdhsa_kernel _ZN7rocprim17ROCPRIM_400000_NS6detail17trampoline_kernelINS0_14default_configENS1_25partition_config_selectorILNS1_17partition_subalgoE5ElNS0_10empty_typeEbEEZZNS1_14partition_implILS5_5ELb0ES3_mN6hipcub16HIPCUB_304000_NS21CountingInputIteratorIllEEPS6_NSA_22TransformInputIteratorIbN2at6native12_GLOBAL__N_19NonZeroOpIN3c107complexIdEEEEPKSL_lEENS0_5tupleIJPlS6_EEENSQ_IJSD_SD_EEES6_PiJS6_EEE10hipError_tPvRmT3_T4_T5_T6_T7_T9_mT8_P12ihipStream_tbDpT10_ENKUlT_T0_E_clISt17integral_constantIbLb1EES1E_EEDaS19_S1A_EUlS19_E_NS1_11comp_targetILNS1_3genE0ELNS1_11target_archE4294967295ELNS1_3gpuE0ELNS1_3repE0EEENS1_30default_config_static_selectorELNS0_4arch9wavefront6targetE0EEEvT1_
		.amdhsa_group_segment_fixed_size 0
		.amdhsa_private_segment_fixed_size 0
		.amdhsa_kernarg_size 136
		.amdhsa_user_sgpr_count 15
		.amdhsa_user_sgpr_dispatch_ptr 0
		.amdhsa_user_sgpr_queue_ptr 0
		.amdhsa_user_sgpr_kernarg_segment_ptr 1
		.amdhsa_user_sgpr_dispatch_id 0
		.amdhsa_user_sgpr_private_segment_size 0
		.amdhsa_wavefront_size32 1
		.amdhsa_uses_dynamic_stack 0
		.amdhsa_enable_private_segment 0
		.amdhsa_system_sgpr_workgroup_id_x 1
		.amdhsa_system_sgpr_workgroup_id_y 0
		.amdhsa_system_sgpr_workgroup_id_z 0
		.amdhsa_system_sgpr_workgroup_info 0
		.amdhsa_system_vgpr_workitem_id 0
		.amdhsa_next_free_vgpr 1
		.amdhsa_next_free_sgpr 1
		.amdhsa_reserve_vcc 0
		.amdhsa_float_round_mode_32 0
		.amdhsa_float_round_mode_16_64 0
		.amdhsa_float_denorm_mode_32 3
		.amdhsa_float_denorm_mode_16_64 3
		.amdhsa_dx10_clamp 1
		.amdhsa_ieee_mode 1
		.amdhsa_fp16_overflow 0
		.amdhsa_workgroup_processor_mode 1
		.amdhsa_memory_ordered 1
		.amdhsa_forward_progress 0
		.amdhsa_shared_vgpr_count 0
		.amdhsa_exception_fp_ieee_invalid_op 0
		.amdhsa_exception_fp_denorm_src 0
		.amdhsa_exception_fp_ieee_div_zero 0
		.amdhsa_exception_fp_ieee_overflow 0
		.amdhsa_exception_fp_ieee_underflow 0
		.amdhsa_exception_fp_ieee_inexact 0
		.amdhsa_exception_int_div_zero 0
	.end_amdhsa_kernel
	.section	.text._ZN7rocprim17ROCPRIM_400000_NS6detail17trampoline_kernelINS0_14default_configENS1_25partition_config_selectorILNS1_17partition_subalgoE5ElNS0_10empty_typeEbEEZZNS1_14partition_implILS5_5ELb0ES3_mN6hipcub16HIPCUB_304000_NS21CountingInputIteratorIllEEPS6_NSA_22TransformInputIteratorIbN2at6native12_GLOBAL__N_19NonZeroOpIN3c107complexIdEEEEPKSL_lEENS0_5tupleIJPlS6_EEENSQ_IJSD_SD_EEES6_PiJS6_EEE10hipError_tPvRmT3_T4_T5_T6_T7_T9_mT8_P12ihipStream_tbDpT10_ENKUlT_T0_E_clISt17integral_constantIbLb1EES1E_EEDaS19_S1A_EUlS19_E_NS1_11comp_targetILNS1_3genE0ELNS1_11target_archE4294967295ELNS1_3gpuE0ELNS1_3repE0EEENS1_30default_config_static_selectorELNS0_4arch9wavefront6targetE0EEEvT1_,"axG",@progbits,_ZN7rocprim17ROCPRIM_400000_NS6detail17trampoline_kernelINS0_14default_configENS1_25partition_config_selectorILNS1_17partition_subalgoE5ElNS0_10empty_typeEbEEZZNS1_14partition_implILS5_5ELb0ES3_mN6hipcub16HIPCUB_304000_NS21CountingInputIteratorIllEEPS6_NSA_22TransformInputIteratorIbN2at6native12_GLOBAL__N_19NonZeroOpIN3c107complexIdEEEEPKSL_lEENS0_5tupleIJPlS6_EEENSQ_IJSD_SD_EEES6_PiJS6_EEE10hipError_tPvRmT3_T4_T5_T6_T7_T9_mT8_P12ihipStream_tbDpT10_ENKUlT_T0_E_clISt17integral_constantIbLb1EES1E_EEDaS19_S1A_EUlS19_E_NS1_11comp_targetILNS1_3genE0ELNS1_11target_archE4294967295ELNS1_3gpuE0ELNS1_3repE0EEENS1_30default_config_static_selectorELNS0_4arch9wavefront6targetE0EEEvT1_,comdat
.Lfunc_end534:
	.size	_ZN7rocprim17ROCPRIM_400000_NS6detail17trampoline_kernelINS0_14default_configENS1_25partition_config_selectorILNS1_17partition_subalgoE5ElNS0_10empty_typeEbEEZZNS1_14partition_implILS5_5ELb0ES3_mN6hipcub16HIPCUB_304000_NS21CountingInputIteratorIllEEPS6_NSA_22TransformInputIteratorIbN2at6native12_GLOBAL__N_19NonZeroOpIN3c107complexIdEEEEPKSL_lEENS0_5tupleIJPlS6_EEENSQ_IJSD_SD_EEES6_PiJS6_EEE10hipError_tPvRmT3_T4_T5_T6_T7_T9_mT8_P12ihipStream_tbDpT10_ENKUlT_T0_E_clISt17integral_constantIbLb1EES1E_EEDaS19_S1A_EUlS19_E_NS1_11comp_targetILNS1_3genE0ELNS1_11target_archE4294967295ELNS1_3gpuE0ELNS1_3repE0EEENS1_30default_config_static_selectorELNS0_4arch9wavefront6targetE0EEEvT1_, .Lfunc_end534-_ZN7rocprim17ROCPRIM_400000_NS6detail17trampoline_kernelINS0_14default_configENS1_25partition_config_selectorILNS1_17partition_subalgoE5ElNS0_10empty_typeEbEEZZNS1_14partition_implILS5_5ELb0ES3_mN6hipcub16HIPCUB_304000_NS21CountingInputIteratorIllEEPS6_NSA_22TransformInputIteratorIbN2at6native12_GLOBAL__N_19NonZeroOpIN3c107complexIdEEEEPKSL_lEENS0_5tupleIJPlS6_EEENSQ_IJSD_SD_EEES6_PiJS6_EEE10hipError_tPvRmT3_T4_T5_T6_T7_T9_mT8_P12ihipStream_tbDpT10_ENKUlT_T0_E_clISt17integral_constantIbLb1EES1E_EEDaS19_S1A_EUlS19_E_NS1_11comp_targetILNS1_3genE0ELNS1_11target_archE4294967295ELNS1_3gpuE0ELNS1_3repE0EEENS1_30default_config_static_selectorELNS0_4arch9wavefront6targetE0EEEvT1_
                                        ; -- End function
	.section	.AMDGPU.csdata,"",@progbits
; Kernel info:
; codeLenInByte = 0
; NumSgprs: 0
; NumVgprs: 0
; ScratchSize: 0
; MemoryBound: 0
; FloatMode: 240
; IeeeMode: 1
; LDSByteSize: 0 bytes/workgroup (compile time only)
; SGPRBlocks: 0
; VGPRBlocks: 0
; NumSGPRsForWavesPerEU: 1
; NumVGPRsForWavesPerEU: 1
; Occupancy: 16
; WaveLimiterHint : 0
; COMPUTE_PGM_RSRC2:SCRATCH_EN: 0
; COMPUTE_PGM_RSRC2:USER_SGPR: 15
; COMPUTE_PGM_RSRC2:TRAP_HANDLER: 0
; COMPUTE_PGM_RSRC2:TGID_X_EN: 1
; COMPUTE_PGM_RSRC2:TGID_Y_EN: 0
; COMPUTE_PGM_RSRC2:TGID_Z_EN: 0
; COMPUTE_PGM_RSRC2:TIDIG_COMP_CNT: 0
	.section	.text._ZN7rocprim17ROCPRIM_400000_NS6detail17trampoline_kernelINS0_14default_configENS1_25partition_config_selectorILNS1_17partition_subalgoE5ElNS0_10empty_typeEbEEZZNS1_14partition_implILS5_5ELb0ES3_mN6hipcub16HIPCUB_304000_NS21CountingInputIteratorIllEEPS6_NSA_22TransformInputIteratorIbN2at6native12_GLOBAL__N_19NonZeroOpIN3c107complexIdEEEEPKSL_lEENS0_5tupleIJPlS6_EEENSQ_IJSD_SD_EEES6_PiJS6_EEE10hipError_tPvRmT3_T4_T5_T6_T7_T9_mT8_P12ihipStream_tbDpT10_ENKUlT_T0_E_clISt17integral_constantIbLb1EES1E_EEDaS19_S1A_EUlS19_E_NS1_11comp_targetILNS1_3genE5ELNS1_11target_archE942ELNS1_3gpuE9ELNS1_3repE0EEENS1_30default_config_static_selectorELNS0_4arch9wavefront6targetE0EEEvT1_,"axG",@progbits,_ZN7rocprim17ROCPRIM_400000_NS6detail17trampoline_kernelINS0_14default_configENS1_25partition_config_selectorILNS1_17partition_subalgoE5ElNS0_10empty_typeEbEEZZNS1_14partition_implILS5_5ELb0ES3_mN6hipcub16HIPCUB_304000_NS21CountingInputIteratorIllEEPS6_NSA_22TransformInputIteratorIbN2at6native12_GLOBAL__N_19NonZeroOpIN3c107complexIdEEEEPKSL_lEENS0_5tupleIJPlS6_EEENSQ_IJSD_SD_EEES6_PiJS6_EEE10hipError_tPvRmT3_T4_T5_T6_T7_T9_mT8_P12ihipStream_tbDpT10_ENKUlT_T0_E_clISt17integral_constantIbLb1EES1E_EEDaS19_S1A_EUlS19_E_NS1_11comp_targetILNS1_3genE5ELNS1_11target_archE942ELNS1_3gpuE9ELNS1_3repE0EEENS1_30default_config_static_selectorELNS0_4arch9wavefront6targetE0EEEvT1_,comdat
	.globl	_ZN7rocprim17ROCPRIM_400000_NS6detail17trampoline_kernelINS0_14default_configENS1_25partition_config_selectorILNS1_17partition_subalgoE5ElNS0_10empty_typeEbEEZZNS1_14partition_implILS5_5ELb0ES3_mN6hipcub16HIPCUB_304000_NS21CountingInputIteratorIllEEPS6_NSA_22TransformInputIteratorIbN2at6native12_GLOBAL__N_19NonZeroOpIN3c107complexIdEEEEPKSL_lEENS0_5tupleIJPlS6_EEENSQ_IJSD_SD_EEES6_PiJS6_EEE10hipError_tPvRmT3_T4_T5_T6_T7_T9_mT8_P12ihipStream_tbDpT10_ENKUlT_T0_E_clISt17integral_constantIbLb1EES1E_EEDaS19_S1A_EUlS19_E_NS1_11comp_targetILNS1_3genE5ELNS1_11target_archE942ELNS1_3gpuE9ELNS1_3repE0EEENS1_30default_config_static_selectorELNS0_4arch9wavefront6targetE0EEEvT1_ ; -- Begin function _ZN7rocprim17ROCPRIM_400000_NS6detail17trampoline_kernelINS0_14default_configENS1_25partition_config_selectorILNS1_17partition_subalgoE5ElNS0_10empty_typeEbEEZZNS1_14partition_implILS5_5ELb0ES3_mN6hipcub16HIPCUB_304000_NS21CountingInputIteratorIllEEPS6_NSA_22TransformInputIteratorIbN2at6native12_GLOBAL__N_19NonZeroOpIN3c107complexIdEEEEPKSL_lEENS0_5tupleIJPlS6_EEENSQ_IJSD_SD_EEES6_PiJS6_EEE10hipError_tPvRmT3_T4_T5_T6_T7_T9_mT8_P12ihipStream_tbDpT10_ENKUlT_T0_E_clISt17integral_constantIbLb1EES1E_EEDaS19_S1A_EUlS19_E_NS1_11comp_targetILNS1_3genE5ELNS1_11target_archE942ELNS1_3gpuE9ELNS1_3repE0EEENS1_30default_config_static_selectorELNS0_4arch9wavefront6targetE0EEEvT1_
	.p2align	8
	.type	_ZN7rocprim17ROCPRIM_400000_NS6detail17trampoline_kernelINS0_14default_configENS1_25partition_config_selectorILNS1_17partition_subalgoE5ElNS0_10empty_typeEbEEZZNS1_14partition_implILS5_5ELb0ES3_mN6hipcub16HIPCUB_304000_NS21CountingInputIteratorIllEEPS6_NSA_22TransformInputIteratorIbN2at6native12_GLOBAL__N_19NonZeroOpIN3c107complexIdEEEEPKSL_lEENS0_5tupleIJPlS6_EEENSQ_IJSD_SD_EEES6_PiJS6_EEE10hipError_tPvRmT3_T4_T5_T6_T7_T9_mT8_P12ihipStream_tbDpT10_ENKUlT_T0_E_clISt17integral_constantIbLb1EES1E_EEDaS19_S1A_EUlS19_E_NS1_11comp_targetILNS1_3genE5ELNS1_11target_archE942ELNS1_3gpuE9ELNS1_3repE0EEENS1_30default_config_static_selectorELNS0_4arch9wavefront6targetE0EEEvT1_,@function
_ZN7rocprim17ROCPRIM_400000_NS6detail17trampoline_kernelINS0_14default_configENS1_25partition_config_selectorILNS1_17partition_subalgoE5ElNS0_10empty_typeEbEEZZNS1_14partition_implILS5_5ELb0ES3_mN6hipcub16HIPCUB_304000_NS21CountingInputIteratorIllEEPS6_NSA_22TransformInputIteratorIbN2at6native12_GLOBAL__N_19NonZeroOpIN3c107complexIdEEEEPKSL_lEENS0_5tupleIJPlS6_EEENSQ_IJSD_SD_EEES6_PiJS6_EEE10hipError_tPvRmT3_T4_T5_T6_T7_T9_mT8_P12ihipStream_tbDpT10_ENKUlT_T0_E_clISt17integral_constantIbLb1EES1E_EEDaS19_S1A_EUlS19_E_NS1_11comp_targetILNS1_3genE5ELNS1_11target_archE942ELNS1_3gpuE9ELNS1_3repE0EEENS1_30default_config_static_selectorELNS0_4arch9wavefront6targetE0EEEvT1_: ; @_ZN7rocprim17ROCPRIM_400000_NS6detail17trampoline_kernelINS0_14default_configENS1_25partition_config_selectorILNS1_17partition_subalgoE5ElNS0_10empty_typeEbEEZZNS1_14partition_implILS5_5ELb0ES3_mN6hipcub16HIPCUB_304000_NS21CountingInputIteratorIllEEPS6_NSA_22TransformInputIteratorIbN2at6native12_GLOBAL__N_19NonZeroOpIN3c107complexIdEEEEPKSL_lEENS0_5tupleIJPlS6_EEENSQ_IJSD_SD_EEES6_PiJS6_EEE10hipError_tPvRmT3_T4_T5_T6_T7_T9_mT8_P12ihipStream_tbDpT10_ENKUlT_T0_E_clISt17integral_constantIbLb1EES1E_EEDaS19_S1A_EUlS19_E_NS1_11comp_targetILNS1_3genE5ELNS1_11target_archE942ELNS1_3gpuE9ELNS1_3repE0EEENS1_30default_config_static_selectorELNS0_4arch9wavefront6targetE0EEEvT1_
; %bb.0:
	.section	.rodata,"a",@progbits
	.p2align	6, 0x0
	.amdhsa_kernel _ZN7rocprim17ROCPRIM_400000_NS6detail17trampoline_kernelINS0_14default_configENS1_25partition_config_selectorILNS1_17partition_subalgoE5ElNS0_10empty_typeEbEEZZNS1_14partition_implILS5_5ELb0ES3_mN6hipcub16HIPCUB_304000_NS21CountingInputIteratorIllEEPS6_NSA_22TransformInputIteratorIbN2at6native12_GLOBAL__N_19NonZeroOpIN3c107complexIdEEEEPKSL_lEENS0_5tupleIJPlS6_EEENSQ_IJSD_SD_EEES6_PiJS6_EEE10hipError_tPvRmT3_T4_T5_T6_T7_T9_mT8_P12ihipStream_tbDpT10_ENKUlT_T0_E_clISt17integral_constantIbLb1EES1E_EEDaS19_S1A_EUlS19_E_NS1_11comp_targetILNS1_3genE5ELNS1_11target_archE942ELNS1_3gpuE9ELNS1_3repE0EEENS1_30default_config_static_selectorELNS0_4arch9wavefront6targetE0EEEvT1_
		.amdhsa_group_segment_fixed_size 0
		.amdhsa_private_segment_fixed_size 0
		.amdhsa_kernarg_size 136
		.amdhsa_user_sgpr_count 15
		.amdhsa_user_sgpr_dispatch_ptr 0
		.amdhsa_user_sgpr_queue_ptr 0
		.amdhsa_user_sgpr_kernarg_segment_ptr 1
		.amdhsa_user_sgpr_dispatch_id 0
		.amdhsa_user_sgpr_private_segment_size 0
		.amdhsa_wavefront_size32 1
		.amdhsa_uses_dynamic_stack 0
		.amdhsa_enable_private_segment 0
		.amdhsa_system_sgpr_workgroup_id_x 1
		.amdhsa_system_sgpr_workgroup_id_y 0
		.amdhsa_system_sgpr_workgroup_id_z 0
		.amdhsa_system_sgpr_workgroup_info 0
		.amdhsa_system_vgpr_workitem_id 0
		.amdhsa_next_free_vgpr 1
		.amdhsa_next_free_sgpr 1
		.amdhsa_reserve_vcc 0
		.amdhsa_float_round_mode_32 0
		.amdhsa_float_round_mode_16_64 0
		.amdhsa_float_denorm_mode_32 3
		.amdhsa_float_denorm_mode_16_64 3
		.amdhsa_dx10_clamp 1
		.amdhsa_ieee_mode 1
		.amdhsa_fp16_overflow 0
		.amdhsa_workgroup_processor_mode 1
		.amdhsa_memory_ordered 1
		.amdhsa_forward_progress 0
		.amdhsa_shared_vgpr_count 0
		.amdhsa_exception_fp_ieee_invalid_op 0
		.amdhsa_exception_fp_denorm_src 0
		.amdhsa_exception_fp_ieee_div_zero 0
		.amdhsa_exception_fp_ieee_overflow 0
		.amdhsa_exception_fp_ieee_underflow 0
		.amdhsa_exception_fp_ieee_inexact 0
		.amdhsa_exception_int_div_zero 0
	.end_amdhsa_kernel
	.section	.text._ZN7rocprim17ROCPRIM_400000_NS6detail17trampoline_kernelINS0_14default_configENS1_25partition_config_selectorILNS1_17partition_subalgoE5ElNS0_10empty_typeEbEEZZNS1_14partition_implILS5_5ELb0ES3_mN6hipcub16HIPCUB_304000_NS21CountingInputIteratorIllEEPS6_NSA_22TransformInputIteratorIbN2at6native12_GLOBAL__N_19NonZeroOpIN3c107complexIdEEEEPKSL_lEENS0_5tupleIJPlS6_EEENSQ_IJSD_SD_EEES6_PiJS6_EEE10hipError_tPvRmT3_T4_T5_T6_T7_T9_mT8_P12ihipStream_tbDpT10_ENKUlT_T0_E_clISt17integral_constantIbLb1EES1E_EEDaS19_S1A_EUlS19_E_NS1_11comp_targetILNS1_3genE5ELNS1_11target_archE942ELNS1_3gpuE9ELNS1_3repE0EEENS1_30default_config_static_selectorELNS0_4arch9wavefront6targetE0EEEvT1_,"axG",@progbits,_ZN7rocprim17ROCPRIM_400000_NS6detail17trampoline_kernelINS0_14default_configENS1_25partition_config_selectorILNS1_17partition_subalgoE5ElNS0_10empty_typeEbEEZZNS1_14partition_implILS5_5ELb0ES3_mN6hipcub16HIPCUB_304000_NS21CountingInputIteratorIllEEPS6_NSA_22TransformInputIteratorIbN2at6native12_GLOBAL__N_19NonZeroOpIN3c107complexIdEEEEPKSL_lEENS0_5tupleIJPlS6_EEENSQ_IJSD_SD_EEES6_PiJS6_EEE10hipError_tPvRmT3_T4_T5_T6_T7_T9_mT8_P12ihipStream_tbDpT10_ENKUlT_T0_E_clISt17integral_constantIbLb1EES1E_EEDaS19_S1A_EUlS19_E_NS1_11comp_targetILNS1_3genE5ELNS1_11target_archE942ELNS1_3gpuE9ELNS1_3repE0EEENS1_30default_config_static_selectorELNS0_4arch9wavefront6targetE0EEEvT1_,comdat
.Lfunc_end535:
	.size	_ZN7rocprim17ROCPRIM_400000_NS6detail17trampoline_kernelINS0_14default_configENS1_25partition_config_selectorILNS1_17partition_subalgoE5ElNS0_10empty_typeEbEEZZNS1_14partition_implILS5_5ELb0ES3_mN6hipcub16HIPCUB_304000_NS21CountingInputIteratorIllEEPS6_NSA_22TransformInputIteratorIbN2at6native12_GLOBAL__N_19NonZeroOpIN3c107complexIdEEEEPKSL_lEENS0_5tupleIJPlS6_EEENSQ_IJSD_SD_EEES6_PiJS6_EEE10hipError_tPvRmT3_T4_T5_T6_T7_T9_mT8_P12ihipStream_tbDpT10_ENKUlT_T0_E_clISt17integral_constantIbLb1EES1E_EEDaS19_S1A_EUlS19_E_NS1_11comp_targetILNS1_3genE5ELNS1_11target_archE942ELNS1_3gpuE9ELNS1_3repE0EEENS1_30default_config_static_selectorELNS0_4arch9wavefront6targetE0EEEvT1_, .Lfunc_end535-_ZN7rocprim17ROCPRIM_400000_NS6detail17trampoline_kernelINS0_14default_configENS1_25partition_config_selectorILNS1_17partition_subalgoE5ElNS0_10empty_typeEbEEZZNS1_14partition_implILS5_5ELb0ES3_mN6hipcub16HIPCUB_304000_NS21CountingInputIteratorIllEEPS6_NSA_22TransformInputIteratorIbN2at6native12_GLOBAL__N_19NonZeroOpIN3c107complexIdEEEEPKSL_lEENS0_5tupleIJPlS6_EEENSQ_IJSD_SD_EEES6_PiJS6_EEE10hipError_tPvRmT3_T4_T5_T6_T7_T9_mT8_P12ihipStream_tbDpT10_ENKUlT_T0_E_clISt17integral_constantIbLb1EES1E_EEDaS19_S1A_EUlS19_E_NS1_11comp_targetILNS1_3genE5ELNS1_11target_archE942ELNS1_3gpuE9ELNS1_3repE0EEENS1_30default_config_static_selectorELNS0_4arch9wavefront6targetE0EEEvT1_
                                        ; -- End function
	.section	.AMDGPU.csdata,"",@progbits
; Kernel info:
; codeLenInByte = 0
; NumSgprs: 0
; NumVgprs: 0
; ScratchSize: 0
; MemoryBound: 0
; FloatMode: 240
; IeeeMode: 1
; LDSByteSize: 0 bytes/workgroup (compile time only)
; SGPRBlocks: 0
; VGPRBlocks: 0
; NumSGPRsForWavesPerEU: 1
; NumVGPRsForWavesPerEU: 1
; Occupancy: 16
; WaveLimiterHint : 0
; COMPUTE_PGM_RSRC2:SCRATCH_EN: 0
; COMPUTE_PGM_RSRC2:USER_SGPR: 15
; COMPUTE_PGM_RSRC2:TRAP_HANDLER: 0
; COMPUTE_PGM_RSRC2:TGID_X_EN: 1
; COMPUTE_PGM_RSRC2:TGID_Y_EN: 0
; COMPUTE_PGM_RSRC2:TGID_Z_EN: 0
; COMPUTE_PGM_RSRC2:TIDIG_COMP_CNT: 0
	.section	.text._ZN7rocprim17ROCPRIM_400000_NS6detail17trampoline_kernelINS0_14default_configENS1_25partition_config_selectorILNS1_17partition_subalgoE5ElNS0_10empty_typeEbEEZZNS1_14partition_implILS5_5ELb0ES3_mN6hipcub16HIPCUB_304000_NS21CountingInputIteratorIllEEPS6_NSA_22TransformInputIteratorIbN2at6native12_GLOBAL__N_19NonZeroOpIN3c107complexIdEEEEPKSL_lEENS0_5tupleIJPlS6_EEENSQ_IJSD_SD_EEES6_PiJS6_EEE10hipError_tPvRmT3_T4_T5_T6_T7_T9_mT8_P12ihipStream_tbDpT10_ENKUlT_T0_E_clISt17integral_constantIbLb1EES1E_EEDaS19_S1A_EUlS19_E_NS1_11comp_targetILNS1_3genE4ELNS1_11target_archE910ELNS1_3gpuE8ELNS1_3repE0EEENS1_30default_config_static_selectorELNS0_4arch9wavefront6targetE0EEEvT1_,"axG",@progbits,_ZN7rocprim17ROCPRIM_400000_NS6detail17trampoline_kernelINS0_14default_configENS1_25partition_config_selectorILNS1_17partition_subalgoE5ElNS0_10empty_typeEbEEZZNS1_14partition_implILS5_5ELb0ES3_mN6hipcub16HIPCUB_304000_NS21CountingInputIteratorIllEEPS6_NSA_22TransformInputIteratorIbN2at6native12_GLOBAL__N_19NonZeroOpIN3c107complexIdEEEEPKSL_lEENS0_5tupleIJPlS6_EEENSQ_IJSD_SD_EEES6_PiJS6_EEE10hipError_tPvRmT3_T4_T5_T6_T7_T9_mT8_P12ihipStream_tbDpT10_ENKUlT_T0_E_clISt17integral_constantIbLb1EES1E_EEDaS19_S1A_EUlS19_E_NS1_11comp_targetILNS1_3genE4ELNS1_11target_archE910ELNS1_3gpuE8ELNS1_3repE0EEENS1_30default_config_static_selectorELNS0_4arch9wavefront6targetE0EEEvT1_,comdat
	.globl	_ZN7rocprim17ROCPRIM_400000_NS6detail17trampoline_kernelINS0_14default_configENS1_25partition_config_selectorILNS1_17partition_subalgoE5ElNS0_10empty_typeEbEEZZNS1_14partition_implILS5_5ELb0ES3_mN6hipcub16HIPCUB_304000_NS21CountingInputIteratorIllEEPS6_NSA_22TransformInputIteratorIbN2at6native12_GLOBAL__N_19NonZeroOpIN3c107complexIdEEEEPKSL_lEENS0_5tupleIJPlS6_EEENSQ_IJSD_SD_EEES6_PiJS6_EEE10hipError_tPvRmT3_T4_T5_T6_T7_T9_mT8_P12ihipStream_tbDpT10_ENKUlT_T0_E_clISt17integral_constantIbLb1EES1E_EEDaS19_S1A_EUlS19_E_NS1_11comp_targetILNS1_3genE4ELNS1_11target_archE910ELNS1_3gpuE8ELNS1_3repE0EEENS1_30default_config_static_selectorELNS0_4arch9wavefront6targetE0EEEvT1_ ; -- Begin function _ZN7rocprim17ROCPRIM_400000_NS6detail17trampoline_kernelINS0_14default_configENS1_25partition_config_selectorILNS1_17partition_subalgoE5ElNS0_10empty_typeEbEEZZNS1_14partition_implILS5_5ELb0ES3_mN6hipcub16HIPCUB_304000_NS21CountingInputIteratorIllEEPS6_NSA_22TransformInputIteratorIbN2at6native12_GLOBAL__N_19NonZeroOpIN3c107complexIdEEEEPKSL_lEENS0_5tupleIJPlS6_EEENSQ_IJSD_SD_EEES6_PiJS6_EEE10hipError_tPvRmT3_T4_T5_T6_T7_T9_mT8_P12ihipStream_tbDpT10_ENKUlT_T0_E_clISt17integral_constantIbLb1EES1E_EEDaS19_S1A_EUlS19_E_NS1_11comp_targetILNS1_3genE4ELNS1_11target_archE910ELNS1_3gpuE8ELNS1_3repE0EEENS1_30default_config_static_selectorELNS0_4arch9wavefront6targetE0EEEvT1_
	.p2align	8
	.type	_ZN7rocprim17ROCPRIM_400000_NS6detail17trampoline_kernelINS0_14default_configENS1_25partition_config_selectorILNS1_17partition_subalgoE5ElNS0_10empty_typeEbEEZZNS1_14partition_implILS5_5ELb0ES3_mN6hipcub16HIPCUB_304000_NS21CountingInputIteratorIllEEPS6_NSA_22TransformInputIteratorIbN2at6native12_GLOBAL__N_19NonZeroOpIN3c107complexIdEEEEPKSL_lEENS0_5tupleIJPlS6_EEENSQ_IJSD_SD_EEES6_PiJS6_EEE10hipError_tPvRmT3_T4_T5_T6_T7_T9_mT8_P12ihipStream_tbDpT10_ENKUlT_T0_E_clISt17integral_constantIbLb1EES1E_EEDaS19_S1A_EUlS19_E_NS1_11comp_targetILNS1_3genE4ELNS1_11target_archE910ELNS1_3gpuE8ELNS1_3repE0EEENS1_30default_config_static_selectorELNS0_4arch9wavefront6targetE0EEEvT1_,@function
_ZN7rocprim17ROCPRIM_400000_NS6detail17trampoline_kernelINS0_14default_configENS1_25partition_config_selectorILNS1_17partition_subalgoE5ElNS0_10empty_typeEbEEZZNS1_14partition_implILS5_5ELb0ES3_mN6hipcub16HIPCUB_304000_NS21CountingInputIteratorIllEEPS6_NSA_22TransformInputIteratorIbN2at6native12_GLOBAL__N_19NonZeroOpIN3c107complexIdEEEEPKSL_lEENS0_5tupleIJPlS6_EEENSQ_IJSD_SD_EEES6_PiJS6_EEE10hipError_tPvRmT3_T4_T5_T6_T7_T9_mT8_P12ihipStream_tbDpT10_ENKUlT_T0_E_clISt17integral_constantIbLb1EES1E_EEDaS19_S1A_EUlS19_E_NS1_11comp_targetILNS1_3genE4ELNS1_11target_archE910ELNS1_3gpuE8ELNS1_3repE0EEENS1_30default_config_static_selectorELNS0_4arch9wavefront6targetE0EEEvT1_: ; @_ZN7rocprim17ROCPRIM_400000_NS6detail17trampoline_kernelINS0_14default_configENS1_25partition_config_selectorILNS1_17partition_subalgoE5ElNS0_10empty_typeEbEEZZNS1_14partition_implILS5_5ELb0ES3_mN6hipcub16HIPCUB_304000_NS21CountingInputIteratorIllEEPS6_NSA_22TransformInputIteratorIbN2at6native12_GLOBAL__N_19NonZeroOpIN3c107complexIdEEEEPKSL_lEENS0_5tupleIJPlS6_EEENSQ_IJSD_SD_EEES6_PiJS6_EEE10hipError_tPvRmT3_T4_T5_T6_T7_T9_mT8_P12ihipStream_tbDpT10_ENKUlT_T0_E_clISt17integral_constantIbLb1EES1E_EEDaS19_S1A_EUlS19_E_NS1_11comp_targetILNS1_3genE4ELNS1_11target_archE910ELNS1_3gpuE8ELNS1_3repE0EEENS1_30default_config_static_selectorELNS0_4arch9wavefront6targetE0EEEvT1_
; %bb.0:
	.section	.rodata,"a",@progbits
	.p2align	6, 0x0
	.amdhsa_kernel _ZN7rocprim17ROCPRIM_400000_NS6detail17trampoline_kernelINS0_14default_configENS1_25partition_config_selectorILNS1_17partition_subalgoE5ElNS0_10empty_typeEbEEZZNS1_14partition_implILS5_5ELb0ES3_mN6hipcub16HIPCUB_304000_NS21CountingInputIteratorIllEEPS6_NSA_22TransformInputIteratorIbN2at6native12_GLOBAL__N_19NonZeroOpIN3c107complexIdEEEEPKSL_lEENS0_5tupleIJPlS6_EEENSQ_IJSD_SD_EEES6_PiJS6_EEE10hipError_tPvRmT3_T4_T5_T6_T7_T9_mT8_P12ihipStream_tbDpT10_ENKUlT_T0_E_clISt17integral_constantIbLb1EES1E_EEDaS19_S1A_EUlS19_E_NS1_11comp_targetILNS1_3genE4ELNS1_11target_archE910ELNS1_3gpuE8ELNS1_3repE0EEENS1_30default_config_static_selectorELNS0_4arch9wavefront6targetE0EEEvT1_
		.amdhsa_group_segment_fixed_size 0
		.amdhsa_private_segment_fixed_size 0
		.amdhsa_kernarg_size 136
		.amdhsa_user_sgpr_count 15
		.amdhsa_user_sgpr_dispatch_ptr 0
		.amdhsa_user_sgpr_queue_ptr 0
		.amdhsa_user_sgpr_kernarg_segment_ptr 1
		.amdhsa_user_sgpr_dispatch_id 0
		.amdhsa_user_sgpr_private_segment_size 0
		.amdhsa_wavefront_size32 1
		.amdhsa_uses_dynamic_stack 0
		.amdhsa_enable_private_segment 0
		.amdhsa_system_sgpr_workgroup_id_x 1
		.amdhsa_system_sgpr_workgroup_id_y 0
		.amdhsa_system_sgpr_workgroup_id_z 0
		.amdhsa_system_sgpr_workgroup_info 0
		.amdhsa_system_vgpr_workitem_id 0
		.amdhsa_next_free_vgpr 1
		.amdhsa_next_free_sgpr 1
		.amdhsa_reserve_vcc 0
		.amdhsa_float_round_mode_32 0
		.amdhsa_float_round_mode_16_64 0
		.amdhsa_float_denorm_mode_32 3
		.amdhsa_float_denorm_mode_16_64 3
		.amdhsa_dx10_clamp 1
		.amdhsa_ieee_mode 1
		.amdhsa_fp16_overflow 0
		.amdhsa_workgroup_processor_mode 1
		.amdhsa_memory_ordered 1
		.amdhsa_forward_progress 0
		.amdhsa_shared_vgpr_count 0
		.amdhsa_exception_fp_ieee_invalid_op 0
		.amdhsa_exception_fp_denorm_src 0
		.amdhsa_exception_fp_ieee_div_zero 0
		.amdhsa_exception_fp_ieee_overflow 0
		.amdhsa_exception_fp_ieee_underflow 0
		.amdhsa_exception_fp_ieee_inexact 0
		.amdhsa_exception_int_div_zero 0
	.end_amdhsa_kernel
	.section	.text._ZN7rocprim17ROCPRIM_400000_NS6detail17trampoline_kernelINS0_14default_configENS1_25partition_config_selectorILNS1_17partition_subalgoE5ElNS0_10empty_typeEbEEZZNS1_14partition_implILS5_5ELb0ES3_mN6hipcub16HIPCUB_304000_NS21CountingInputIteratorIllEEPS6_NSA_22TransformInputIteratorIbN2at6native12_GLOBAL__N_19NonZeroOpIN3c107complexIdEEEEPKSL_lEENS0_5tupleIJPlS6_EEENSQ_IJSD_SD_EEES6_PiJS6_EEE10hipError_tPvRmT3_T4_T5_T6_T7_T9_mT8_P12ihipStream_tbDpT10_ENKUlT_T0_E_clISt17integral_constantIbLb1EES1E_EEDaS19_S1A_EUlS19_E_NS1_11comp_targetILNS1_3genE4ELNS1_11target_archE910ELNS1_3gpuE8ELNS1_3repE0EEENS1_30default_config_static_selectorELNS0_4arch9wavefront6targetE0EEEvT1_,"axG",@progbits,_ZN7rocprim17ROCPRIM_400000_NS6detail17trampoline_kernelINS0_14default_configENS1_25partition_config_selectorILNS1_17partition_subalgoE5ElNS0_10empty_typeEbEEZZNS1_14partition_implILS5_5ELb0ES3_mN6hipcub16HIPCUB_304000_NS21CountingInputIteratorIllEEPS6_NSA_22TransformInputIteratorIbN2at6native12_GLOBAL__N_19NonZeroOpIN3c107complexIdEEEEPKSL_lEENS0_5tupleIJPlS6_EEENSQ_IJSD_SD_EEES6_PiJS6_EEE10hipError_tPvRmT3_T4_T5_T6_T7_T9_mT8_P12ihipStream_tbDpT10_ENKUlT_T0_E_clISt17integral_constantIbLb1EES1E_EEDaS19_S1A_EUlS19_E_NS1_11comp_targetILNS1_3genE4ELNS1_11target_archE910ELNS1_3gpuE8ELNS1_3repE0EEENS1_30default_config_static_selectorELNS0_4arch9wavefront6targetE0EEEvT1_,comdat
.Lfunc_end536:
	.size	_ZN7rocprim17ROCPRIM_400000_NS6detail17trampoline_kernelINS0_14default_configENS1_25partition_config_selectorILNS1_17partition_subalgoE5ElNS0_10empty_typeEbEEZZNS1_14partition_implILS5_5ELb0ES3_mN6hipcub16HIPCUB_304000_NS21CountingInputIteratorIllEEPS6_NSA_22TransformInputIteratorIbN2at6native12_GLOBAL__N_19NonZeroOpIN3c107complexIdEEEEPKSL_lEENS0_5tupleIJPlS6_EEENSQ_IJSD_SD_EEES6_PiJS6_EEE10hipError_tPvRmT3_T4_T5_T6_T7_T9_mT8_P12ihipStream_tbDpT10_ENKUlT_T0_E_clISt17integral_constantIbLb1EES1E_EEDaS19_S1A_EUlS19_E_NS1_11comp_targetILNS1_3genE4ELNS1_11target_archE910ELNS1_3gpuE8ELNS1_3repE0EEENS1_30default_config_static_selectorELNS0_4arch9wavefront6targetE0EEEvT1_, .Lfunc_end536-_ZN7rocprim17ROCPRIM_400000_NS6detail17trampoline_kernelINS0_14default_configENS1_25partition_config_selectorILNS1_17partition_subalgoE5ElNS0_10empty_typeEbEEZZNS1_14partition_implILS5_5ELb0ES3_mN6hipcub16HIPCUB_304000_NS21CountingInputIteratorIllEEPS6_NSA_22TransformInputIteratorIbN2at6native12_GLOBAL__N_19NonZeroOpIN3c107complexIdEEEEPKSL_lEENS0_5tupleIJPlS6_EEENSQ_IJSD_SD_EEES6_PiJS6_EEE10hipError_tPvRmT3_T4_T5_T6_T7_T9_mT8_P12ihipStream_tbDpT10_ENKUlT_T0_E_clISt17integral_constantIbLb1EES1E_EEDaS19_S1A_EUlS19_E_NS1_11comp_targetILNS1_3genE4ELNS1_11target_archE910ELNS1_3gpuE8ELNS1_3repE0EEENS1_30default_config_static_selectorELNS0_4arch9wavefront6targetE0EEEvT1_
                                        ; -- End function
	.section	.AMDGPU.csdata,"",@progbits
; Kernel info:
; codeLenInByte = 0
; NumSgprs: 0
; NumVgprs: 0
; ScratchSize: 0
; MemoryBound: 0
; FloatMode: 240
; IeeeMode: 1
; LDSByteSize: 0 bytes/workgroup (compile time only)
; SGPRBlocks: 0
; VGPRBlocks: 0
; NumSGPRsForWavesPerEU: 1
; NumVGPRsForWavesPerEU: 1
; Occupancy: 15
; WaveLimiterHint : 0
; COMPUTE_PGM_RSRC2:SCRATCH_EN: 0
; COMPUTE_PGM_RSRC2:USER_SGPR: 15
; COMPUTE_PGM_RSRC2:TRAP_HANDLER: 0
; COMPUTE_PGM_RSRC2:TGID_X_EN: 1
; COMPUTE_PGM_RSRC2:TGID_Y_EN: 0
; COMPUTE_PGM_RSRC2:TGID_Z_EN: 0
; COMPUTE_PGM_RSRC2:TIDIG_COMP_CNT: 0
	.section	.text._ZN7rocprim17ROCPRIM_400000_NS6detail17trampoline_kernelINS0_14default_configENS1_25partition_config_selectorILNS1_17partition_subalgoE5ElNS0_10empty_typeEbEEZZNS1_14partition_implILS5_5ELb0ES3_mN6hipcub16HIPCUB_304000_NS21CountingInputIteratorIllEEPS6_NSA_22TransformInputIteratorIbN2at6native12_GLOBAL__N_19NonZeroOpIN3c107complexIdEEEEPKSL_lEENS0_5tupleIJPlS6_EEENSQ_IJSD_SD_EEES6_PiJS6_EEE10hipError_tPvRmT3_T4_T5_T6_T7_T9_mT8_P12ihipStream_tbDpT10_ENKUlT_T0_E_clISt17integral_constantIbLb1EES1E_EEDaS19_S1A_EUlS19_E_NS1_11comp_targetILNS1_3genE3ELNS1_11target_archE908ELNS1_3gpuE7ELNS1_3repE0EEENS1_30default_config_static_selectorELNS0_4arch9wavefront6targetE0EEEvT1_,"axG",@progbits,_ZN7rocprim17ROCPRIM_400000_NS6detail17trampoline_kernelINS0_14default_configENS1_25partition_config_selectorILNS1_17partition_subalgoE5ElNS0_10empty_typeEbEEZZNS1_14partition_implILS5_5ELb0ES3_mN6hipcub16HIPCUB_304000_NS21CountingInputIteratorIllEEPS6_NSA_22TransformInputIteratorIbN2at6native12_GLOBAL__N_19NonZeroOpIN3c107complexIdEEEEPKSL_lEENS0_5tupleIJPlS6_EEENSQ_IJSD_SD_EEES6_PiJS6_EEE10hipError_tPvRmT3_T4_T5_T6_T7_T9_mT8_P12ihipStream_tbDpT10_ENKUlT_T0_E_clISt17integral_constantIbLb1EES1E_EEDaS19_S1A_EUlS19_E_NS1_11comp_targetILNS1_3genE3ELNS1_11target_archE908ELNS1_3gpuE7ELNS1_3repE0EEENS1_30default_config_static_selectorELNS0_4arch9wavefront6targetE0EEEvT1_,comdat
	.globl	_ZN7rocprim17ROCPRIM_400000_NS6detail17trampoline_kernelINS0_14default_configENS1_25partition_config_selectorILNS1_17partition_subalgoE5ElNS0_10empty_typeEbEEZZNS1_14partition_implILS5_5ELb0ES3_mN6hipcub16HIPCUB_304000_NS21CountingInputIteratorIllEEPS6_NSA_22TransformInputIteratorIbN2at6native12_GLOBAL__N_19NonZeroOpIN3c107complexIdEEEEPKSL_lEENS0_5tupleIJPlS6_EEENSQ_IJSD_SD_EEES6_PiJS6_EEE10hipError_tPvRmT3_T4_T5_T6_T7_T9_mT8_P12ihipStream_tbDpT10_ENKUlT_T0_E_clISt17integral_constantIbLb1EES1E_EEDaS19_S1A_EUlS19_E_NS1_11comp_targetILNS1_3genE3ELNS1_11target_archE908ELNS1_3gpuE7ELNS1_3repE0EEENS1_30default_config_static_selectorELNS0_4arch9wavefront6targetE0EEEvT1_ ; -- Begin function _ZN7rocprim17ROCPRIM_400000_NS6detail17trampoline_kernelINS0_14default_configENS1_25partition_config_selectorILNS1_17partition_subalgoE5ElNS0_10empty_typeEbEEZZNS1_14partition_implILS5_5ELb0ES3_mN6hipcub16HIPCUB_304000_NS21CountingInputIteratorIllEEPS6_NSA_22TransformInputIteratorIbN2at6native12_GLOBAL__N_19NonZeroOpIN3c107complexIdEEEEPKSL_lEENS0_5tupleIJPlS6_EEENSQ_IJSD_SD_EEES6_PiJS6_EEE10hipError_tPvRmT3_T4_T5_T6_T7_T9_mT8_P12ihipStream_tbDpT10_ENKUlT_T0_E_clISt17integral_constantIbLb1EES1E_EEDaS19_S1A_EUlS19_E_NS1_11comp_targetILNS1_3genE3ELNS1_11target_archE908ELNS1_3gpuE7ELNS1_3repE0EEENS1_30default_config_static_selectorELNS0_4arch9wavefront6targetE0EEEvT1_
	.p2align	8
	.type	_ZN7rocprim17ROCPRIM_400000_NS6detail17trampoline_kernelINS0_14default_configENS1_25partition_config_selectorILNS1_17partition_subalgoE5ElNS0_10empty_typeEbEEZZNS1_14partition_implILS5_5ELb0ES3_mN6hipcub16HIPCUB_304000_NS21CountingInputIteratorIllEEPS6_NSA_22TransformInputIteratorIbN2at6native12_GLOBAL__N_19NonZeroOpIN3c107complexIdEEEEPKSL_lEENS0_5tupleIJPlS6_EEENSQ_IJSD_SD_EEES6_PiJS6_EEE10hipError_tPvRmT3_T4_T5_T6_T7_T9_mT8_P12ihipStream_tbDpT10_ENKUlT_T0_E_clISt17integral_constantIbLb1EES1E_EEDaS19_S1A_EUlS19_E_NS1_11comp_targetILNS1_3genE3ELNS1_11target_archE908ELNS1_3gpuE7ELNS1_3repE0EEENS1_30default_config_static_selectorELNS0_4arch9wavefront6targetE0EEEvT1_,@function
_ZN7rocprim17ROCPRIM_400000_NS6detail17trampoline_kernelINS0_14default_configENS1_25partition_config_selectorILNS1_17partition_subalgoE5ElNS0_10empty_typeEbEEZZNS1_14partition_implILS5_5ELb0ES3_mN6hipcub16HIPCUB_304000_NS21CountingInputIteratorIllEEPS6_NSA_22TransformInputIteratorIbN2at6native12_GLOBAL__N_19NonZeroOpIN3c107complexIdEEEEPKSL_lEENS0_5tupleIJPlS6_EEENSQ_IJSD_SD_EEES6_PiJS6_EEE10hipError_tPvRmT3_T4_T5_T6_T7_T9_mT8_P12ihipStream_tbDpT10_ENKUlT_T0_E_clISt17integral_constantIbLb1EES1E_EEDaS19_S1A_EUlS19_E_NS1_11comp_targetILNS1_3genE3ELNS1_11target_archE908ELNS1_3gpuE7ELNS1_3repE0EEENS1_30default_config_static_selectorELNS0_4arch9wavefront6targetE0EEEvT1_: ; @_ZN7rocprim17ROCPRIM_400000_NS6detail17trampoline_kernelINS0_14default_configENS1_25partition_config_selectorILNS1_17partition_subalgoE5ElNS0_10empty_typeEbEEZZNS1_14partition_implILS5_5ELb0ES3_mN6hipcub16HIPCUB_304000_NS21CountingInputIteratorIllEEPS6_NSA_22TransformInputIteratorIbN2at6native12_GLOBAL__N_19NonZeroOpIN3c107complexIdEEEEPKSL_lEENS0_5tupleIJPlS6_EEENSQ_IJSD_SD_EEES6_PiJS6_EEE10hipError_tPvRmT3_T4_T5_T6_T7_T9_mT8_P12ihipStream_tbDpT10_ENKUlT_T0_E_clISt17integral_constantIbLb1EES1E_EEDaS19_S1A_EUlS19_E_NS1_11comp_targetILNS1_3genE3ELNS1_11target_archE908ELNS1_3gpuE7ELNS1_3repE0EEENS1_30default_config_static_selectorELNS0_4arch9wavefront6targetE0EEEvT1_
; %bb.0:
	.section	.rodata,"a",@progbits
	.p2align	6, 0x0
	.amdhsa_kernel _ZN7rocprim17ROCPRIM_400000_NS6detail17trampoline_kernelINS0_14default_configENS1_25partition_config_selectorILNS1_17partition_subalgoE5ElNS0_10empty_typeEbEEZZNS1_14partition_implILS5_5ELb0ES3_mN6hipcub16HIPCUB_304000_NS21CountingInputIteratorIllEEPS6_NSA_22TransformInputIteratorIbN2at6native12_GLOBAL__N_19NonZeroOpIN3c107complexIdEEEEPKSL_lEENS0_5tupleIJPlS6_EEENSQ_IJSD_SD_EEES6_PiJS6_EEE10hipError_tPvRmT3_T4_T5_T6_T7_T9_mT8_P12ihipStream_tbDpT10_ENKUlT_T0_E_clISt17integral_constantIbLb1EES1E_EEDaS19_S1A_EUlS19_E_NS1_11comp_targetILNS1_3genE3ELNS1_11target_archE908ELNS1_3gpuE7ELNS1_3repE0EEENS1_30default_config_static_selectorELNS0_4arch9wavefront6targetE0EEEvT1_
		.amdhsa_group_segment_fixed_size 0
		.amdhsa_private_segment_fixed_size 0
		.amdhsa_kernarg_size 136
		.amdhsa_user_sgpr_count 15
		.amdhsa_user_sgpr_dispatch_ptr 0
		.amdhsa_user_sgpr_queue_ptr 0
		.amdhsa_user_sgpr_kernarg_segment_ptr 1
		.amdhsa_user_sgpr_dispatch_id 0
		.amdhsa_user_sgpr_private_segment_size 0
		.amdhsa_wavefront_size32 1
		.amdhsa_uses_dynamic_stack 0
		.amdhsa_enable_private_segment 0
		.amdhsa_system_sgpr_workgroup_id_x 1
		.amdhsa_system_sgpr_workgroup_id_y 0
		.amdhsa_system_sgpr_workgroup_id_z 0
		.amdhsa_system_sgpr_workgroup_info 0
		.amdhsa_system_vgpr_workitem_id 0
		.amdhsa_next_free_vgpr 1
		.amdhsa_next_free_sgpr 1
		.amdhsa_reserve_vcc 0
		.amdhsa_float_round_mode_32 0
		.amdhsa_float_round_mode_16_64 0
		.amdhsa_float_denorm_mode_32 3
		.amdhsa_float_denorm_mode_16_64 3
		.amdhsa_dx10_clamp 1
		.amdhsa_ieee_mode 1
		.amdhsa_fp16_overflow 0
		.amdhsa_workgroup_processor_mode 1
		.amdhsa_memory_ordered 1
		.amdhsa_forward_progress 0
		.amdhsa_shared_vgpr_count 0
		.amdhsa_exception_fp_ieee_invalid_op 0
		.amdhsa_exception_fp_denorm_src 0
		.amdhsa_exception_fp_ieee_div_zero 0
		.amdhsa_exception_fp_ieee_overflow 0
		.amdhsa_exception_fp_ieee_underflow 0
		.amdhsa_exception_fp_ieee_inexact 0
		.amdhsa_exception_int_div_zero 0
	.end_amdhsa_kernel
	.section	.text._ZN7rocprim17ROCPRIM_400000_NS6detail17trampoline_kernelINS0_14default_configENS1_25partition_config_selectorILNS1_17partition_subalgoE5ElNS0_10empty_typeEbEEZZNS1_14partition_implILS5_5ELb0ES3_mN6hipcub16HIPCUB_304000_NS21CountingInputIteratorIllEEPS6_NSA_22TransformInputIteratorIbN2at6native12_GLOBAL__N_19NonZeroOpIN3c107complexIdEEEEPKSL_lEENS0_5tupleIJPlS6_EEENSQ_IJSD_SD_EEES6_PiJS6_EEE10hipError_tPvRmT3_T4_T5_T6_T7_T9_mT8_P12ihipStream_tbDpT10_ENKUlT_T0_E_clISt17integral_constantIbLb1EES1E_EEDaS19_S1A_EUlS19_E_NS1_11comp_targetILNS1_3genE3ELNS1_11target_archE908ELNS1_3gpuE7ELNS1_3repE0EEENS1_30default_config_static_selectorELNS0_4arch9wavefront6targetE0EEEvT1_,"axG",@progbits,_ZN7rocprim17ROCPRIM_400000_NS6detail17trampoline_kernelINS0_14default_configENS1_25partition_config_selectorILNS1_17partition_subalgoE5ElNS0_10empty_typeEbEEZZNS1_14partition_implILS5_5ELb0ES3_mN6hipcub16HIPCUB_304000_NS21CountingInputIteratorIllEEPS6_NSA_22TransformInputIteratorIbN2at6native12_GLOBAL__N_19NonZeroOpIN3c107complexIdEEEEPKSL_lEENS0_5tupleIJPlS6_EEENSQ_IJSD_SD_EEES6_PiJS6_EEE10hipError_tPvRmT3_T4_T5_T6_T7_T9_mT8_P12ihipStream_tbDpT10_ENKUlT_T0_E_clISt17integral_constantIbLb1EES1E_EEDaS19_S1A_EUlS19_E_NS1_11comp_targetILNS1_3genE3ELNS1_11target_archE908ELNS1_3gpuE7ELNS1_3repE0EEENS1_30default_config_static_selectorELNS0_4arch9wavefront6targetE0EEEvT1_,comdat
.Lfunc_end537:
	.size	_ZN7rocprim17ROCPRIM_400000_NS6detail17trampoline_kernelINS0_14default_configENS1_25partition_config_selectorILNS1_17partition_subalgoE5ElNS0_10empty_typeEbEEZZNS1_14partition_implILS5_5ELb0ES3_mN6hipcub16HIPCUB_304000_NS21CountingInputIteratorIllEEPS6_NSA_22TransformInputIteratorIbN2at6native12_GLOBAL__N_19NonZeroOpIN3c107complexIdEEEEPKSL_lEENS0_5tupleIJPlS6_EEENSQ_IJSD_SD_EEES6_PiJS6_EEE10hipError_tPvRmT3_T4_T5_T6_T7_T9_mT8_P12ihipStream_tbDpT10_ENKUlT_T0_E_clISt17integral_constantIbLb1EES1E_EEDaS19_S1A_EUlS19_E_NS1_11comp_targetILNS1_3genE3ELNS1_11target_archE908ELNS1_3gpuE7ELNS1_3repE0EEENS1_30default_config_static_selectorELNS0_4arch9wavefront6targetE0EEEvT1_, .Lfunc_end537-_ZN7rocprim17ROCPRIM_400000_NS6detail17trampoline_kernelINS0_14default_configENS1_25partition_config_selectorILNS1_17partition_subalgoE5ElNS0_10empty_typeEbEEZZNS1_14partition_implILS5_5ELb0ES3_mN6hipcub16HIPCUB_304000_NS21CountingInputIteratorIllEEPS6_NSA_22TransformInputIteratorIbN2at6native12_GLOBAL__N_19NonZeroOpIN3c107complexIdEEEEPKSL_lEENS0_5tupleIJPlS6_EEENSQ_IJSD_SD_EEES6_PiJS6_EEE10hipError_tPvRmT3_T4_T5_T6_T7_T9_mT8_P12ihipStream_tbDpT10_ENKUlT_T0_E_clISt17integral_constantIbLb1EES1E_EEDaS19_S1A_EUlS19_E_NS1_11comp_targetILNS1_3genE3ELNS1_11target_archE908ELNS1_3gpuE7ELNS1_3repE0EEENS1_30default_config_static_selectorELNS0_4arch9wavefront6targetE0EEEvT1_
                                        ; -- End function
	.section	.AMDGPU.csdata,"",@progbits
; Kernel info:
; codeLenInByte = 0
; NumSgprs: 0
; NumVgprs: 0
; ScratchSize: 0
; MemoryBound: 0
; FloatMode: 240
; IeeeMode: 1
; LDSByteSize: 0 bytes/workgroup (compile time only)
; SGPRBlocks: 0
; VGPRBlocks: 0
; NumSGPRsForWavesPerEU: 1
; NumVGPRsForWavesPerEU: 1
; Occupancy: 16
; WaveLimiterHint : 0
; COMPUTE_PGM_RSRC2:SCRATCH_EN: 0
; COMPUTE_PGM_RSRC2:USER_SGPR: 15
; COMPUTE_PGM_RSRC2:TRAP_HANDLER: 0
; COMPUTE_PGM_RSRC2:TGID_X_EN: 1
; COMPUTE_PGM_RSRC2:TGID_Y_EN: 0
; COMPUTE_PGM_RSRC2:TGID_Z_EN: 0
; COMPUTE_PGM_RSRC2:TIDIG_COMP_CNT: 0
	.section	.text._ZN7rocprim17ROCPRIM_400000_NS6detail17trampoline_kernelINS0_14default_configENS1_25partition_config_selectorILNS1_17partition_subalgoE5ElNS0_10empty_typeEbEEZZNS1_14partition_implILS5_5ELb0ES3_mN6hipcub16HIPCUB_304000_NS21CountingInputIteratorIllEEPS6_NSA_22TransformInputIteratorIbN2at6native12_GLOBAL__N_19NonZeroOpIN3c107complexIdEEEEPKSL_lEENS0_5tupleIJPlS6_EEENSQ_IJSD_SD_EEES6_PiJS6_EEE10hipError_tPvRmT3_T4_T5_T6_T7_T9_mT8_P12ihipStream_tbDpT10_ENKUlT_T0_E_clISt17integral_constantIbLb1EES1E_EEDaS19_S1A_EUlS19_E_NS1_11comp_targetILNS1_3genE2ELNS1_11target_archE906ELNS1_3gpuE6ELNS1_3repE0EEENS1_30default_config_static_selectorELNS0_4arch9wavefront6targetE0EEEvT1_,"axG",@progbits,_ZN7rocprim17ROCPRIM_400000_NS6detail17trampoline_kernelINS0_14default_configENS1_25partition_config_selectorILNS1_17partition_subalgoE5ElNS0_10empty_typeEbEEZZNS1_14partition_implILS5_5ELb0ES3_mN6hipcub16HIPCUB_304000_NS21CountingInputIteratorIllEEPS6_NSA_22TransformInputIteratorIbN2at6native12_GLOBAL__N_19NonZeroOpIN3c107complexIdEEEEPKSL_lEENS0_5tupleIJPlS6_EEENSQ_IJSD_SD_EEES6_PiJS6_EEE10hipError_tPvRmT3_T4_T5_T6_T7_T9_mT8_P12ihipStream_tbDpT10_ENKUlT_T0_E_clISt17integral_constantIbLb1EES1E_EEDaS19_S1A_EUlS19_E_NS1_11comp_targetILNS1_3genE2ELNS1_11target_archE906ELNS1_3gpuE6ELNS1_3repE0EEENS1_30default_config_static_selectorELNS0_4arch9wavefront6targetE0EEEvT1_,comdat
	.globl	_ZN7rocprim17ROCPRIM_400000_NS6detail17trampoline_kernelINS0_14default_configENS1_25partition_config_selectorILNS1_17partition_subalgoE5ElNS0_10empty_typeEbEEZZNS1_14partition_implILS5_5ELb0ES3_mN6hipcub16HIPCUB_304000_NS21CountingInputIteratorIllEEPS6_NSA_22TransformInputIteratorIbN2at6native12_GLOBAL__N_19NonZeroOpIN3c107complexIdEEEEPKSL_lEENS0_5tupleIJPlS6_EEENSQ_IJSD_SD_EEES6_PiJS6_EEE10hipError_tPvRmT3_T4_T5_T6_T7_T9_mT8_P12ihipStream_tbDpT10_ENKUlT_T0_E_clISt17integral_constantIbLb1EES1E_EEDaS19_S1A_EUlS19_E_NS1_11comp_targetILNS1_3genE2ELNS1_11target_archE906ELNS1_3gpuE6ELNS1_3repE0EEENS1_30default_config_static_selectorELNS0_4arch9wavefront6targetE0EEEvT1_ ; -- Begin function _ZN7rocprim17ROCPRIM_400000_NS6detail17trampoline_kernelINS0_14default_configENS1_25partition_config_selectorILNS1_17partition_subalgoE5ElNS0_10empty_typeEbEEZZNS1_14partition_implILS5_5ELb0ES3_mN6hipcub16HIPCUB_304000_NS21CountingInputIteratorIllEEPS6_NSA_22TransformInputIteratorIbN2at6native12_GLOBAL__N_19NonZeroOpIN3c107complexIdEEEEPKSL_lEENS0_5tupleIJPlS6_EEENSQ_IJSD_SD_EEES6_PiJS6_EEE10hipError_tPvRmT3_T4_T5_T6_T7_T9_mT8_P12ihipStream_tbDpT10_ENKUlT_T0_E_clISt17integral_constantIbLb1EES1E_EEDaS19_S1A_EUlS19_E_NS1_11comp_targetILNS1_3genE2ELNS1_11target_archE906ELNS1_3gpuE6ELNS1_3repE0EEENS1_30default_config_static_selectorELNS0_4arch9wavefront6targetE0EEEvT1_
	.p2align	8
	.type	_ZN7rocprim17ROCPRIM_400000_NS6detail17trampoline_kernelINS0_14default_configENS1_25partition_config_selectorILNS1_17partition_subalgoE5ElNS0_10empty_typeEbEEZZNS1_14partition_implILS5_5ELb0ES3_mN6hipcub16HIPCUB_304000_NS21CountingInputIteratorIllEEPS6_NSA_22TransformInputIteratorIbN2at6native12_GLOBAL__N_19NonZeroOpIN3c107complexIdEEEEPKSL_lEENS0_5tupleIJPlS6_EEENSQ_IJSD_SD_EEES6_PiJS6_EEE10hipError_tPvRmT3_T4_T5_T6_T7_T9_mT8_P12ihipStream_tbDpT10_ENKUlT_T0_E_clISt17integral_constantIbLb1EES1E_EEDaS19_S1A_EUlS19_E_NS1_11comp_targetILNS1_3genE2ELNS1_11target_archE906ELNS1_3gpuE6ELNS1_3repE0EEENS1_30default_config_static_selectorELNS0_4arch9wavefront6targetE0EEEvT1_,@function
_ZN7rocprim17ROCPRIM_400000_NS6detail17trampoline_kernelINS0_14default_configENS1_25partition_config_selectorILNS1_17partition_subalgoE5ElNS0_10empty_typeEbEEZZNS1_14partition_implILS5_5ELb0ES3_mN6hipcub16HIPCUB_304000_NS21CountingInputIteratorIllEEPS6_NSA_22TransformInputIteratorIbN2at6native12_GLOBAL__N_19NonZeroOpIN3c107complexIdEEEEPKSL_lEENS0_5tupleIJPlS6_EEENSQ_IJSD_SD_EEES6_PiJS6_EEE10hipError_tPvRmT3_T4_T5_T6_T7_T9_mT8_P12ihipStream_tbDpT10_ENKUlT_T0_E_clISt17integral_constantIbLb1EES1E_EEDaS19_S1A_EUlS19_E_NS1_11comp_targetILNS1_3genE2ELNS1_11target_archE906ELNS1_3gpuE6ELNS1_3repE0EEENS1_30default_config_static_selectorELNS0_4arch9wavefront6targetE0EEEvT1_: ; @_ZN7rocprim17ROCPRIM_400000_NS6detail17trampoline_kernelINS0_14default_configENS1_25partition_config_selectorILNS1_17partition_subalgoE5ElNS0_10empty_typeEbEEZZNS1_14partition_implILS5_5ELb0ES3_mN6hipcub16HIPCUB_304000_NS21CountingInputIteratorIllEEPS6_NSA_22TransformInputIteratorIbN2at6native12_GLOBAL__N_19NonZeroOpIN3c107complexIdEEEEPKSL_lEENS0_5tupleIJPlS6_EEENSQ_IJSD_SD_EEES6_PiJS6_EEE10hipError_tPvRmT3_T4_T5_T6_T7_T9_mT8_P12ihipStream_tbDpT10_ENKUlT_T0_E_clISt17integral_constantIbLb1EES1E_EEDaS19_S1A_EUlS19_E_NS1_11comp_targetILNS1_3genE2ELNS1_11target_archE906ELNS1_3gpuE6ELNS1_3repE0EEENS1_30default_config_static_selectorELNS0_4arch9wavefront6targetE0EEEvT1_
; %bb.0:
	.section	.rodata,"a",@progbits
	.p2align	6, 0x0
	.amdhsa_kernel _ZN7rocprim17ROCPRIM_400000_NS6detail17trampoline_kernelINS0_14default_configENS1_25partition_config_selectorILNS1_17partition_subalgoE5ElNS0_10empty_typeEbEEZZNS1_14partition_implILS5_5ELb0ES3_mN6hipcub16HIPCUB_304000_NS21CountingInputIteratorIllEEPS6_NSA_22TransformInputIteratorIbN2at6native12_GLOBAL__N_19NonZeroOpIN3c107complexIdEEEEPKSL_lEENS0_5tupleIJPlS6_EEENSQ_IJSD_SD_EEES6_PiJS6_EEE10hipError_tPvRmT3_T4_T5_T6_T7_T9_mT8_P12ihipStream_tbDpT10_ENKUlT_T0_E_clISt17integral_constantIbLb1EES1E_EEDaS19_S1A_EUlS19_E_NS1_11comp_targetILNS1_3genE2ELNS1_11target_archE906ELNS1_3gpuE6ELNS1_3repE0EEENS1_30default_config_static_selectorELNS0_4arch9wavefront6targetE0EEEvT1_
		.amdhsa_group_segment_fixed_size 0
		.amdhsa_private_segment_fixed_size 0
		.amdhsa_kernarg_size 136
		.amdhsa_user_sgpr_count 15
		.amdhsa_user_sgpr_dispatch_ptr 0
		.amdhsa_user_sgpr_queue_ptr 0
		.amdhsa_user_sgpr_kernarg_segment_ptr 1
		.amdhsa_user_sgpr_dispatch_id 0
		.amdhsa_user_sgpr_private_segment_size 0
		.amdhsa_wavefront_size32 1
		.amdhsa_uses_dynamic_stack 0
		.amdhsa_enable_private_segment 0
		.amdhsa_system_sgpr_workgroup_id_x 1
		.amdhsa_system_sgpr_workgroup_id_y 0
		.amdhsa_system_sgpr_workgroup_id_z 0
		.amdhsa_system_sgpr_workgroup_info 0
		.amdhsa_system_vgpr_workitem_id 0
		.amdhsa_next_free_vgpr 1
		.amdhsa_next_free_sgpr 1
		.amdhsa_reserve_vcc 0
		.amdhsa_float_round_mode_32 0
		.amdhsa_float_round_mode_16_64 0
		.amdhsa_float_denorm_mode_32 3
		.amdhsa_float_denorm_mode_16_64 3
		.amdhsa_dx10_clamp 1
		.amdhsa_ieee_mode 1
		.amdhsa_fp16_overflow 0
		.amdhsa_workgroup_processor_mode 1
		.amdhsa_memory_ordered 1
		.amdhsa_forward_progress 0
		.amdhsa_shared_vgpr_count 0
		.amdhsa_exception_fp_ieee_invalid_op 0
		.amdhsa_exception_fp_denorm_src 0
		.amdhsa_exception_fp_ieee_div_zero 0
		.amdhsa_exception_fp_ieee_overflow 0
		.amdhsa_exception_fp_ieee_underflow 0
		.amdhsa_exception_fp_ieee_inexact 0
		.amdhsa_exception_int_div_zero 0
	.end_amdhsa_kernel
	.section	.text._ZN7rocprim17ROCPRIM_400000_NS6detail17trampoline_kernelINS0_14default_configENS1_25partition_config_selectorILNS1_17partition_subalgoE5ElNS0_10empty_typeEbEEZZNS1_14partition_implILS5_5ELb0ES3_mN6hipcub16HIPCUB_304000_NS21CountingInputIteratorIllEEPS6_NSA_22TransformInputIteratorIbN2at6native12_GLOBAL__N_19NonZeroOpIN3c107complexIdEEEEPKSL_lEENS0_5tupleIJPlS6_EEENSQ_IJSD_SD_EEES6_PiJS6_EEE10hipError_tPvRmT3_T4_T5_T6_T7_T9_mT8_P12ihipStream_tbDpT10_ENKUlT_T0_E_clISt17integral_constantIbLb1EES1E_EEDaS19_S1A_EUlS19_E_NS1_11comp_targetILNS1_3genE2ELNS1_11target_archE906ELNS1_3gpuE6ELNS1_3repE0EEENS1_30default_config_static_selectorELNS0_4arch9wavefront6targetE0EEEvT1_,"axG",@progbits,_ZN7rocprim17ROCPRIM_400000_NS6detail17trampoline_kernelINS0_14default_configENS1_25partition_config_selectorILNS1_17partition_subalgoE5ElNS0_10empty_typeEbEEZZNS1_14partition_implILS5_5ELb0ES3_mN6hipcub16HIPCUB_304000_NS21CountingInputIteratorIllEEPS6_NSA_22TransformInputIteratorIbN2at6native12_GLOBAL__N_19NonZeroOpIN3c107complexIdEEEEPKSL_lEENS0_5tupleIJPlS6_EEENSQ_IJSD_SD_EEES6_PiJS6_EEE10hipError_tPvRmT3_T4_T5_T6_T7_T9_mT8_P12ihipStream_tbDpT10_ENKUlT_T0_E_clISt17integral_constantIbLb1EES1E_EEDaS19_S1A_EUlS19_E_NS1_11comp_targetILNS1_3genE2ELNS1_11target_archE906ELNS1_3gpuE6ELNS1_3repE0EEENS1_30default_config_static_selectorELNS0_4arch9wavefront6targetE0EEEvT1_,comdat
.Lfunc_end538:
	.size	_ZN7rocprim17ROCPRIM_400000_NS6detail17trampoline_kernelINS0_14default_configENS1_25partition_config_selectorILNS1_17partition_subalgoE5ElNS0_10empty_typeEbEEZZNS1_14partition_implILS5_5ELb0ES3_mN6hipcub16HIPCUB_304000_NS21CountingInputIteratorIllEEPS6_NSA_22TransformInputIteratorIbN2at6native12_GLOBAL__N_19NonZeroOpIN3c107complexIdEEEEPKSL_lEENS0_5tupleIJPlS6_EEENSQ_IJSD_SD_EEES6_PiJS6_EEE10hipError_tPvRmT3_T4_T5_T6_T7_T9_mT8_P12ihipStream_tbDpT10_ENKUlT_T0_E_clISt17integral_constantIbLb1EES1E_EEDaS19_S1A_EUlS19_E_NS1_11comp_targetILNS1_3genE2ELNS1_11target_archE906ELNS1_3gpuE6ELNS1_3repE0EEENS1_30default_config_static_selectorELNS0_4arch9wavefront6targetE0EEEvT1_, .Lfunc_end538-_ZN7rocprim17ROCPRIM_400000_NS6detail17trampoline_kernelINS0_14default_configENS1_25partition_config_selectorILNS1_17partition_subalgoE5ElNS0_10empty_typeEbEEZZNS1_14partition_implILS5_5ELb0ES3_mN6hipcub16HIPCUB_304000_NS21CountingInputIteratorIllEEPS6_NSA_22TransformInputIteratorIbN2at6native12_GLOBAL__N_19NonZeroOpIN3c107complexIdEEEEPKSL_lEENS0_5tupleIJPlS6_EEENSQ_IJSD_SD_EEES6_PiJS6_EEE10hipError_tPvRmT3_T4_T5_T6_T7_T9_mT8_P12ihipStream_tbDpT10_ENKUlT_T0_E_clISt17integral_constantIbLb1EES1E_EEDaS19_S1A_EUlS19_E_NS1_11comp_targetILNS1_3genE2ELNS1_11target_archE906ELNS1_3gpuE6ELNS1_3repE0EEENS1_30default_config_static_selectorELNS0_4arch9wavefront6targetE0EEEvT1_
                                        ; -- End function
	.section	.AMDGPU.csdata,"",@progbits
; Kernel info:
; codeLenInByte = 0
; NumSgprs: 0
; NumVgprs: 0
; ScratchSize: 0
; MemoryBound: 0
; FloatMode: 240
; IeeeMode: 1
; LDSByteSize: 0 bytes/workgroup (compile time only)
; SGPRBlocks: 0
; VGPRBlocks: 0
; NumSGPRsForWavesPerEU: 1
; NumVGPRsForWavesPerEU: 1
; Occupancy: 16
; WaveLimiterHint : 0
; COMPUTE_PGM_RSRC2:SCRATCH_EN: 0
; COMPUTE_PGM_RSRC2:USER_SGPR: 15
; COMPUTE_PGM_RSRC2:TRAP_HANDLER: 0
; COMPUTE_PGM_RSRC2:TGID_X_EN: 1
; COMPUTE_PGM_RSRC2:TGID_Y_EN: 0
; COMPUTE_PGM_RSRC2:TGID_Z_EN: 0
; COMPUTE_PGM_RSRC2:TIDIG_COMP_CNT: 0
	.section	.text._ZN7rocprim17ROCPRIM_400000_NS6detail17trampoline_kernelINS0_14default_configENS1_25partition_config_selectorILNS1_17partition_subalgoE5ElNS0_10empty_typeEbEEZZNS1_14partition_implILS5_5ELb0ES3_mN6hipcub16HIPCUB_304000_NS21CountingInputIteratorIllEEPS6_NSA_22TransformInputIteratorIbN2at6native12_GLOBAL__N_19NonZeroOpIN3c107complexIdEEEEPKSL_lEENS0_5tupleIJPlS6_EEENSQ_IJSD_SD_EEES6_PiJS6_EEE10hipError_tPvRmT3_T4_T5_T6_T7_T9_mT8_P12ihipStream_tbDpT10_ENKUlT_T0_E_clISt17integral_constantIbLb1EES1E_EEDaS19_S1A_EUlS19_E_NS1_11comp_targetILNS1_3genE10ELNS1_11target_archE1200ELNS1_3gpuE4ELNS1_3repE0EEENS1_30default_config_static_selectorELNS0_4arch9wavefront6targetE0EEEvT1_,"axG",@progbits,_ZN7rocprim17ROCPRIM_400000_NS6detail17trampoline_kernelINS0_14default_configENS1_25partition_config_selectorILNS1_17partition_subalgoE5ElNS0_10empty_typeEbEEZZNS1_14partition_implILS5_5ELb0ES3_mN6hipcub16HIPCUB_304000_NS21CountingInputIteratorIllEEPS6_NSA_22TransformInputIteratorIbN2at6native12_GLOBAL__N_19NonZeroOpIN3c107complexIdEEEEPKSL_lEENS0_5tupleIJPlS6_EEENSQ_IJSD_SD_EEES6_PiJS6_EEE10hipError_tPvRmT3_T4_T5_T6_T7_T9_mT8_P12ihipStream_tbDpT10_ENKUlT_T0_E_clISt17integral_constantIbLb1EES1E_EEDaS19_S1A_EUlS19_E_NS1_11comp_targetILNS1_3genE10ELNS1_11target_archE1200ELNS1_3gpuE4ELNS1_3repE0EEENS1_30default_config_static_selectorELNS0_4arch9wavefront6targetE0EEEvT1_,comdat
	.globl	_ZN7rocprim17ROCPRIM_400000_NS6detail17trampoline_kernelINS0_14default_configENS1_25partition_config_selectorILNS1_17partition_subalgoE5ElNS0_10empty_typeEbEEZZNS1_14partition_implILS5_5ELb0ES3_mN6hipcub16HIPCUB_304000_NS21CountingInputIteratorIllEEPS6_NSA_22TransformInputIteratorIbN2at6native12_GLOBAL__N_19NonZeroOpIN3c107complexIdEEEEPKSL_lEENS0_5tupleIJPlS6_EEENSQ_IJSD_SD_EEES6_PiJS6_EEE10hipError_tPvRmT3_T4_T5_T6_T7_T9_mT8_P12ihipStream_tbDpT10_ENKUlT_T0_E_clISt17integral_constantIbLb1EES1E_EEDaS19_S1A_EUlS19_E_NS1_11comp_targetILNS1_3genE10ELNS1_11target_archE1200ELNS1_3gpuE4ELNS1_3repE0EEENS1_30default_config_static_selectorELNS0_4arch9wavefront6targetE0EEEvT1_ ; -- Begin function _ZN7rocprim17ROCPRIM_400000_NS6detail17trampoline_kernelINS0_14default_configENS1_25partition_config_selectorILNS1_17partition_subalgoE5ElNS0_10empty_typeEbEEZZNS1_14partition_implILS5_5ELb0ES3_mN6hipcub16HIPCUB_304000_NS21CountingInputIteratorIllEEPS6_NSA_22TransformInputIteratorIbN2at6native12_GLOBAL__N_19NonZeroOpIN3c107complexIdEEEEPKSL_lEENS0_5tupleIJPlS6_EEENSQ_IJSD_SD_EEES6_PiJS6_EEE10hipError_tPvRmT3_T4_T5_T6_T7_T9_mT8_P12ihipStream_tbDpT10_ENKUlT_T0_E_clISt17integral_constantIbLb1EES1E_EEDaS19_S1A_EUlS19_E_NS1_11comp_targetILNS1_3genE10ELNS1_11target_archE1200ELNS1_3gpuE4ELNS1_3repE0EEENS1_30default_config_static_selectorELNS0_4arch9wavefront6targetE0EEEvT1_
	.p2align	8
	.type	_ZN7rocprim17ROCPRIM_400000_NS6detail17trampoline_kernelINS0_14default_configENS1_25partition_config_selectorILNS1_17partition_subalgoE5ElNS0_10empty_typeEbEEZZNS1_14partition_implILS5_5ELb0ES3_mN6hipcub16HIPCUB_304000_NS21CountingInputIteratorIllEEPS6_NSA_22TransformInputIteratorIbN2at6native12_GLOBAL__N_19NonZeroOpIN3c107complexIdEEEEPKSL_lEENS0_5tupleIJPlS6_EEENSQ_IJSD_SD_EEES6_PiJS6_EEE10hipError_tPvRmT3_T4_T5_T6_T7_T9_mT8_P12ihipStream_tbDpT10_ENKUlT_T0_E_clISt17integral_constantIbLb1EES1E_EEDaS19_S1A_EUlS19_E_NS1_11comp_targetILNS1_3genE10ELNS1_11target_archE1200ELNS1_3gpuE4ELNS1_3repE0EEENS1_30default_config_static_selectorELNS0_4arch9wavefront6targetE0EEEvT1_,@function
_ZN7rocprim17ROCPRIM_400000_NS6detail17trampoline_kernelINS0_14default_configENS1_25partition_config_selectorILNS1_17partition_subalgoE5ElNS0_10empty_typeEbEEZZNS1_14partition_implILS5_5ELb0ES3_mN6hipcub16HIPCUB_304000_NS21CountingInputIteratorIllEEPS6_NSA_22TransformInputIteratorIbN2at6native12_GLOBAL__N_19NonZeroOpIN3c107complexIdEEEEPKSL_lEENS0_5tupleIJPlS6_EEENSQ_IJSD_SD_EEES6_PiJS6_EEE10hipError_tPvRmT3_T4_T5_T6_T7_T9_mT8_P12ihipStream_tbDpT10_ENKUlT_T0_E_clISt17integral_constantIbLb1EES1E_EEDaS19_S1A_EUlS19_E_NS1_11comp_targetILNS1_3genE10ELNS1_11target_archE1200ELNS1_3gpuE4ELNS1_3repE0EEENS1_30default_config_static_selectorELNS0_4arch9wavefront6targetE0EEEvT1_: ; @_ZN7rocprim17ROCPRIM_400000_NS6detail17trampoline_kernelINS0_14default_configENS1_25partition_config_selectorILNS1_17partition_subalgoE5ElNS0_10empty_typeEbEEZZNS1_14partition_implILS5_5ELb0ES3_mN6hipcub16HIPCUB_304000_NS21CountingInputIteratorIllEEPS6_NSA_22TransformInputIteratorIbN2at6native12_GLOBAL__N_19NonZeroOpIN3c107complexIdEEEEPKSL_lEENS0_5tupleIJPlS6_EEENSQ_IJSD_SD_EEES6_PiJS6_EEE10hipError_tPvRmT3_T4_T5_T6_T7_T9_mT8_P12ihipStream_tbDpT10_ENKUlT_T0_E_clISt17integral_constantIbLb1EES1E_EEDaS19_S1A_EUlS19_E_NS1_11comp_targetILNS1_3genE10ELNS1_11target_archE1200ELNS1_3gpuE4ELNS1_3repE0EEENS1_30default_config_static_selectorELNS0_4arch9wavefront6targetE0EEEvT1_
; %bb.0:
	.section	.rodata,"a",@progbits
	.p2align	6, 0x0
	.amdhsa_kernel _ZN7rocprim17ROCPRIM_400000_NS6detail17trampoline_kernelINS0_14default_configENS1_25partition_config_selectorILNS1_17partition_subalgoE5ElNS0_10empty_typeEbEEZZNS1_14partition_implILS5_5ELb0ES3_mN6hipcub16HIPCUB_304000_NS21CountingInputIteratorIllEEPS6_NSA_22TransformInputIteratorIbN2at6native12_GLOBAL__N_19NonZeroOpIN3c107complexIdEEEEPKSL_lEENS0_5tupleIJPlS6_EEENSQ_IJSD_SD_EEES6_PiJS6_EEE10hipError_tPvRmT3_T4_T5_T6_T7_T9_mT8_P12ihipStream_tbDpT10_ENKUlT_T0_E_clISt17integral_constantIbLb1EES1E_EEDaS19_S1A_EUlS19_E_NS1_11comp_targetILNS1_3genE10ELNS1_11target_archE1200ELNS1_3gpuE4ELNS1_3repE0EEENS1_30default_config_static_selectorELNS0_4arch9wavefront6targetE0EEEvT1_
		.amdhsa_group_segment_fixed_size 0
		.amdhsa_private_segment_fixed_size 0
		.amdhsa_kernarg_size 136
		.amdhsa_user_sgpr_count 15
		.amdhsa_user_sgpr_dispatch_ptr 0
		.amdhsa_user_sgpr_queue_ptr 0
		.amdhsa_user_sgpr_kernarg_segment_ptr 1
		.amdhsa_user_sgpr_dispatch_id 0
		.amdhsa_user_sgpr_private_segment_size 0
		.amdhsa_wavefront_size32 1
		.amdhsa_uses_dynamic_stack 0
		.amdhsa_enable_private_segment 0
		.amdhsa_system_sgpr_workgroup_id_x 1
		.amdhsa_system_sgpr_workgroup_id_y 0
		.amdhsa_system_sgpr_workgroup_id_z 0
		.amdhsa_system_sgpr_workgroup_info 0
		.amdhsa_system_vgpr_workitem_id 0
		.amdhsa_next_free_vgpr 1
		.amdhsa_next_free_sgpr 1
		.amdhsa_reserve_vcc 0
		.amdhsa_float_round_mode_32 0
		.amdhsa_float_round_mode_16_64 0
		.amdhsa_float_denorm_mode_32 3
		.amdhsa_float_denorm_mode_16_64 3
		.amdhsa_dx10_clamp 1
		.amdhsa_ieee_mode 1
		.amdhsa_fp16_overflow 0
		.amdhsa_workgroup_processor_mode 1
		.amdhsa_memory_ordered 1
		.amdhsa_forward_progress 0
		.amdhsa_shared_vgpr_count 0
		.amdhsa_exception_fp_ieee_invalid_op 0
		.amdhsa_exception_fp_denorm_src 0
		.amdhsa_exception_fp_ieee_div_zero 0
		.amdhsa_exception_fp_ieee_overflow 0
		.amdhsa_exception_fp_ieee_underflow 0
		.amdhsa_exception_fp_ieee_inexact 0
		.amdhsa_exception_int_div_zero 0
	.end_amdhsa_kernel
	.section	.text._ZN7rocprim17ROCPRIM_400000_NS6detail17trampoline_kernelINS0_14default_configENS1_25partition_config_selectorILNS1_17partition_subalgoE5ElNS0_10empty_typeEbEEZZNS1_14partition_implILS5_5ELb0ES3_mN6hipcub16HIPCUB_304000_NS21CountingInputIteratorIllEEPS6_NSA_22TransformInputIteratorIbN2at6native12_GLOBAL__N_19NonZeroOpIN3c107complexIdEEEEPKSL_lEENS0_5tupleIJPlS6_EEENSQ_IJSD_SD_EEES6_PiJS6_EEE10hipError_tPvRmT3_T4_T5_T6_T7_T9_mT8_P12ihipStream_tbDpT10_ENKUlT_T0_E_clISt17integral_constantIbLb1EES1E_EEDaS19_S1A_EUlS19_E_NS1_11comp_targetILNS1_3genE10ELNS1_11target_archE1200ELNS1_3gpuE4ELNS1_3repE0EEENS1_30default_config_static_selectorELNS0_4arch9wavefront6targetE0EEEvT1_,"axG",@progbits,_ZN7rocprim17ROCPRIM_400000_NS6detail17trampoline_kernelINS0_14default_configENS1_25partition_config_selectorILNS1_17partition_subalgoE5ElNS0_10empty_typeEbEEZZNS1_14partition_implILS5_5ELb0ES3_mN6hipcub16HIPCUB_304000_NS21CountingInputIteratorIllEEPS6_NSA_22TransformInputIteratorIbN2at6native12_GLOBAL__N_19NonZeroOpIN3c107complexIdEEEEPKSL_lEENS0_5tupleIJPlS6_EEENSQ_IJSD_SD_EEES6_PiJS6_EEE10hipError_tPvRmT3_T4_T5_T6_T7_T9_mT8_P12ihipStream_tbDpT10_ENKUlT_T0_E_clISt17integral_constantIbLb1EES1E_EEDaS19_S1A_EUlS19_E_NS1_11comp_targetILNS1_3genE10ELNS1_11target_archE1200ELNS1_3gpuE4ELNS1_3repE0EEENS1_30default_config_static_selectorELNS0_4arch9wavefront6targetE0EEEvT1_,comdat
.Lfunc_end539:
	.size	_ZN7rocprim17ROCPRIM_400000_NS6detail17trampoline_kernelINS0_14default_configENS1_25partition_config_selectorILNS1_17partition_subalgoE5ElNS0_10empty_typeEbEEZZNS1_14partition_implILS5_5ELb0ES3_mN6hipcub16HIPCUB_304000_NS21CountingInputIteratorIllEEPS6_NSA_22TransformInputIteratorIbN2at6native12_GLOBAL__N_19NonZeroOpIN3c107complexIdEEEEPKSL_lEENS0_5tupleIJPlS6_EEENSQ_IJSD_SD_EEES6_PiJS6_EEE10hipError_tPvRmT3_T4_T5_T6_T7_T9_mT8_P12ihipStream_tbDpT10_ENKUlT_T0_E_clISt17integral_constantIbLb1EES1E_EEDaS19_S1A_EUlS19_E_NS1_11comp_targetILNS1_3genE10ELNS1_11target_archE1200ELNS1_3gpuE4ELNS1_3repE0EEENS1_30default_config_static_selectorELNS0_4arch9wavefront6targetE0EEEvT1_, .Lfunc_end539-_ZN7rocprim17ROCPRIM_400000_NS6detail17trampoline_kernelINS0_14default_configENS1_25partition_config_selectorILNS1_17partition_subalgoE5ElNS0_10empty_typeEbEEZZNS1_14partition_implILS5_5ELb0ES3_mN6hipcub16HIPCUB_304000_NS21CountingInputIteratorIllEEPS6_NSA_22TransformInputIteratorIbN2at6native12_GLOBAL__N_19NonZeroOpIN3c107complexIdEEEEPKSL_lEENS0_5tupleIJPlS6_EEENSQ_IJSD_SD_EEES6_PiJS6_EEE10hipError_tPvRmT3_T4_T5_T6_T7_T9_mT8_P12ihipStream_tbDpT10_ENKUlT_T0_E_clISt17integral_constantIbLb1EES1E_EEDaS19_S1A_EUlS19_E_NS1_11comp_targetILNS1_3genE10ELNS1_11target_archE1200ELNS1_3gpuE4ELNS1_3repE0EEENS1_30default_config_static_selectorELNS0_4arch9wavefront6targetE0EEEvT1_
                                        ; -- End function
	.section	.AMDGPU.csdata,"",@progbits
; Kernel info:
; codeLenInByte = 0
; NumSgprs: 0
; NumVgprs: 0
; ScratchSize: 0
; MemoryBound: 0
; FloatMode: 240
; IeeeMode: 1
; LDSByteSize: 0 bytes/workgroup (compile time only)
; SGPRBlocks: 0
; VGPRBlocks: 0
; NumSGPRsForWavesPerEU: 1
; NumVGPRsForWavesPerEU: 1
; Occupancy: 16
; WaveLimiterHint : 0
; COMPUTE_PGM_RSRC2:SCRATCH_EN: 0
; COMPUTE_PGM_RSRC2:USER_SGPR: 15
; COMPUTE_PGM_RSRC2:TRAP_HANDLER: 0
; COMPUTE_PGM_RSRC2:TGID_X_EN: 1
; COMPUTE_PGM_RSRC2:TGID_Y_EN: 0
; COMPUTE_PGM_RSRC2:TGID_Z_EN: 0
; COMPUTE_PGM_RSRC2:TIDIG_COMP_CNT: 0
	.section	.text._ZN7rocprim17ROCPRIM_400000_NS6detail17trampoline_kernelINS0_14default_configENS1_25partition_config_selectorILNS1_17partition_subalgoE5ElNS0_10empty_typeEbEEZZNS1_14partition_implILS5_5ELb0ES3_mN6hipcub16HIPCUB_304000_NS21CountingInputIteratorIllEEPS6_NSA_22TransformInputIteratorIbN2at6native12_GLOBAL__N_19NonZeroOpIN3c107complexIdEEEEPKSL_lEENS0_5tupleIJPlS6_EEENSQ_IJSD_SD_EEES6_PiJS6_EEE10hipError_tPvRmT3_T4_T5_T6_T7_T9_mT8_P12ihipStream_tbDpT10_ENKUlT_T0_E_clISt17integral_constantIbLb1EES1E_EEDaS19_S1A_EUlS19_E_NS1_11comp_targetILNS1_3genE9ELNS1_11target_archE1100ELNS1_3gpuE3ELNS1_3repE0EEENS1_30default_config_static_selectorELNS0_4arch9wavefront6targetE0EEEvT1_,"axG",@progbits,_ZN7rocprim17ROCPRIM_400000_NS6detail17trampoline_kernelINS0_14default_configENS1_25partition_config_selectorILNS1_17partition_subalgoE5ElNS0_10empty_typeEbEEZZNS1_14partition_implILS5_5ELb0ES3_mN6hipcub16HIPCUB_304000_NS21CountingInputIteratorIllEEPS6_NSA_22TransformInputIteratorIbN2at6native12_GLOBAL__N_19NonZeroOpIN3c107complexIdEEEEPKSL_lEENS0_5tupleIJPlS6_EEENSQ_IJSD_SD_EEES6_PiJS6_EEE10hipError_tPvRmT3_T4_T5_T6_T7_T9_mT8_P12ihipStream_tbDpT10_ENKUlT_T0_E_clISt17integral_constantIbLb1EES1E_EEDaS19_S1A_EUlS19_E_NS1_11comp_targetILNS1_3genE9ELNS1_11target_archE1100ELNS1_3gpuE3ELNS1_3repE0EEENS1_30default_config_static_selectorELNS0_4arch9wavefront6targetE0EEEvT1_,comdat
	.globl	_ZN7rocprim17ROCPRIM_400000_NS6detail17trampoline_kernelINS0_14default_configENS1_25partition_config_selectorILNS1_17partition_subalgoE5ElNS0_10empty_typeEbEEZZNS1_14partition_implILS5_5ELb0ES3_mN6hipcub16HIPCUB_304000_NS21CountingInputIteratorIllEEPS6_NSA_22TransformInputIteratorIbN2at6native12_GLOBAL__N_19NonZeroOpIN3c107complexIdEEEEPKSL_lEENS0_5tupleIJPlS6_EEENSQ_IJSD_SD_EEES6_PiJS6_EEE10hipError_tPvRmT3_T4_T5_T6_T7_T9_mT8_P12ihipStream_tbDpT10_ENKUlT_T0_E_clISt17integral_constantIbLb1EES1E_EEDaS19_S1A_EUlS19_E_NS1_11comp_targetILNS1_3genE9ELNS1_11target_archE1100ELNS1_3gpuE3ELNS1_3repE0EEENS1_30default_config_static_selectorELNS0_4arch9wavefront6targetE0EEEvT1_ ; -- Begin function _ZN7rocprim17ROCPRIM_400000_NS6detail17trampoline_kernelINS0_14default_configENS1_25partition_config_selectorILNS1_17partition_subalgoE5ElNS0_10empty_typeEbEEZZNS1_14partition_implILS5_5ELb0ES3_mN6hipcub16HIPCUB_304000_NS21CountingInputIteratorIllEEPS6_NSA_22TransformInputIteratorIbN2at6native12_GLOBAL__N_19NonZeroOpIN3c107complexIdEEEEPKSL_lEENS0_5tupleIJPlS6_EEENSQ_IJSD_SD_EEES6_PiJS6_EEE10hipError_tPvRmT3_T4_T5_T6_T7_T9_mT8_P12ihipStream_tbDpT10_ENKUlT_T0_E_clISt17integral_constantIbLb1EES1E_EEDaS19_S1A_EUlS19_E_NS1_11comp_targetILNS1_3genE9ELNS1_11target_archE1100ELNS1_3gpuE3ELNS1_3repE0EEENS1_30default_config_static_selectorELNS0_4arch9wavefront6targetE0EEEvT1_
	.p2align	8
	.type	_ZN7rocprim17ROCPRIM_400000_NS6detail17trampoline_kernelINS0_14default_configENS1_25partition_config_selectorILNS1_17partition_subalgoE5ElNS0_10empty_typeEbEEZZNS1_14partition_implILS5_5ELb0ES3_mN6hipcub16HIPCUB_304000_NS21CountingInputIteratorIllEEPS6_NSA_22TransformInputIteratorIbN2at6native12_GLOBAL__N_19NonZeroOpIN3c107complexIdEEEEPKSL_lEENS0_5tupleIJPlS6_EEENSQ_IJSD_SD_EEES6_PiJS6_EEE10hipError_tPvRmT3_T4_T5_T6_T7_T9_mT8_P12ihipStream_tbDpT10_ENKUlT_T0_E_clISt17integral_constantIbLb1EES1E_EEDaS19_S1A_EUlS19_E_NS1_11comp_targetILNS1_3genE9ELNS1_11target_archE1100ELNS1_3gpuE3ELNS1_3repE0EEENS1_30default_config_static_selectorELNS0_4arch9wavefront6targetE0EEEvT1_,@function
_ZN7rocprim17ROCPRIM_400000_NS6detail17trampoline_kernelINS0_14default_configENS1_25partition_config_selectorILNS1_17partition_subalgoE5ElNS0_10empty_typeEbEEZZNS1_14partition_implILS5_5ELb0ES3_mN6hipcub16HIPCUB_304000_NS21CountingInputIteratorIllEEPS6_NSA_22TransformInputIteratorIbN2at6native12_GLOBAL__N_19NonZeroOpIN3c107complexIdEEEEPKSL_lEENS0_5tupleIJPlS6_EEENSQ_IJSD_SD_EEES6_PiJS6_EEE10hipError_tPvRmT3_T4_T5_T6_T7_T9_mT8_P12ihipStream_tbDpT10_ENKUlT_T0_E_clISt17integral_constantIbLb1EES1E_EEDaS19_S1A_EUlS19_E_NS1_11comp_targetILNS1_3genE9ELNS1_11target_archE1100ELNS1_3gpuE3ELNS1_3repE0EEENS1_30default_config_static_selectorELNS0_4arch9wavefront6targetE0EEEvT1_: ; @_ZN7rocprim17ROCPRIM_400000_NS6detail17trampoline_kernelINS0_14default_configENS1_25partition_config_selectorILNS1_17partition_subalgoE5ElNS0_10empty_typeEbEEZZNS1_14partition_implILS5_5ELb0ES3_mN6hipcub16HIPCUB_304000_NS21CountingInputIteratorIllEEPS6_NSA_22TransformInputIteratorIbN2at6native12_GLOBAL__N_19NonZeroOpIN3c107complexIdEEEEPKSL_lEENS0_5tupleIJPlS6_EEENSQ_IJSD_SD_EEES6_PiJS6_EEE10hipError_tPvRmT3_T4_T5_T6_T7_T9_mT8_P12ihipStream_tbDpT10_ENKUlT_T0_E_clISt17integral_constantIbLb1EES1E_EEDaS19_S1A_EUlS19_E_NS1_11comp_targetILNS1_3genE9ELNS1_11target_archE1100ELNS1_3gpuE3ELNS1_3repE0EEENS1_30default_config_static_selectorELNS0_4arch9wavefront6targetE0EEEvT1_
; %bb.0:
	s_clause 0x4
	s_load_b64 s[4:5], s[0:1], 0x20
	s_load_b64 s[20:21], s[0:1], 0x30
	s_load_b64 s[24:25], s[0:1], 0x58
	s_load_b128 s[12:15], s[0:1], 0x48
	s_load_b64 s[22:23], s[0:1], 0x68
	v_cmp_eq_u32_e64 s2, 0, v0
	s_delay_alu instid0(VALU_DEP_1)
	s_and_saveexec_b32 s3, s2
	s_cbranch_execz .LBB540_4
; %bb.1:
	s_mov_b32 s7, exec_lo
	s_mov_b32 s6, exec_lo
	v_mbcnt_lo_u32_b32 v1, s7, 0
                                        ; implicit-def: $vgpr2
	s_delay_alu instid0(VALU_DEP_1)
	v_cmpx_eq_u32_e32 0, v1
	s_cbranch_execz .LBB540_3
; %bb.2:
	s_load_b64 s[8:9], s[0:1], 0x78
	s_bcnt1_i32_b32 s7, s7
	s_delay_alu instid0(SALU_CYCLE_1)
	v_dual_mov_b32 v2, 0 :: v_dual_mov_b32 v3, s7
	s_waitcnt lgkmcnt(0)
	global_atomic_add_u32 v2, v2, v3, s[8:9] glc
.LBB540_3:
	s_or_b32 exec_lo, exec_lo, s6
	s_waitcnt vmcnt(0)
	v_readfirstlane_b32 s6, v2
	s_delay_alu instid0(VALU_DEP_1)
	v_dual_mov_b32 v2, 0 :: v_dual_add_nc_u32 v1, s6, v1
	ds_store_b32 v2, v1
.LBB540_4:
	s_or_b32 exec_lo, exec_lo, s3
	v_mov_b32_e32 v1, 0
	s_clause 0x1
	s_load_b128 s[16:19], s[0:1], 0x8
	s_load_b32 s0, s[0:1], 0x70
	s_waitcnt lgkmcnt(0)
	s_barrier
	buffer_gl0_inv
	ds_load_b32 v3, v1
	s_waitcnt lgkmcnt(0)
	s_barrier
	buffer_gl0_inv
	global_load_b64 v[1:2], v1, s[14:15]
	s_add_u32 s3, s18, s16
	s_mul_i32 s28, s0, 0x300
	s_addc_u32 s6, s19, s17
	s_add_i32 s7, s0, -1
	s_add_u32 s0, s18, s28
	v_readfirstlane_b32 s27, v3
	s_addc_u32 s1, s19, 0
	s_delay_alu instid0(SALU_CYCLE_1) | instskip(NEXT) | instid1(VALU_DEP_2)
	v_cmp_ge_u64_e64 s0, s[0:1], s[24:25]
	s_cmp_eq_u32 s27, s7
	s_mov_b32 s7, -1
	s_cselect_b32 s25, -1, 0
	s_delay_alu instid0(VALU_DEP_1) | instid1(SALU_CYCLE_1)
	s_and_b32 s1, s0, s25
	s_mul_i32 s0, s27, 0x300
	s_xor_b32 s26, s1, -1
	s_mov_b32 s1, 0
	s_and_b32 vcc_lo, exec_lo, s26
	s_waitcnt vmcnt(0)
	v_readfirstlane_b32 s14, v1
	v_readfirstlane_b32 s15, v2
	s_cbranch_vccz .LBB540_6
; %bb.5:
	s_add_u32 s7, s0, s3
	s_addc_u32 s8, 0, s6
	v_add_co_u32 v1, s7, s7, v0
	s_delay_alu instid0(VALU_DEP_1) | instskip(SKIP_1) | instid1(VALU_DEP_3)
	v_add_co_ci_u32_e64 v2, null, s8, 0, s7
	v_lshlrev_b32_e32 v13, 3, v0
	v_add_co_u32 v3, vcc_lo, 0x80, v1
	s_delay_alu instid0(VALU_DEP_3)
	v_add_co_ci_u32_e32 v4, vcc_lo, 0, v2, vcc_lo
	v_add_co_u32 v5, vcc_lo, 0x100, v1
	v_add_co_ci_u32_e32 v6, vcc_lo, 0, v2, vcc_lo
	v_add_co_u32 v7, vcc_lo, 0x180, v1
	;; [unrolled: 2-line block ×4, first 2 shown]
	v_add_co_ci_u32_e32 v12, vcc_lo, 0, v2, vcc_lo
	ds_store_2addr_stride64_b64 v13, v[1:2], v[3:4] offset1:2
	ds_store_2addr_stride64_b64 v13, v[5:6], v[7:8] offset0:4 offset1:6
	ds_store_2addr_stride64_b64 v13, v[9:10], v[11:12] offset0:8 offset1:10
	s_waitcnt lgkmcnt(0)
	s_mov_b32 s7, s1
	s_barrier
.LBB540_6:
	v_or_b32_e32 v17, 0x100, v0
	v_or_b32_e32 v16, 0x180, v0
	;; [unrolled: 1-line block ×4, first 2 shown]
	s_and_not1_b32 vcc_lo, exec_lo, s7
	s_cbranch_vccnz .LBB540_8
; %bb.7:
	v_or_b32_e32 v3, 0x80, v0
	s_add_u32 s3, s3, s0
	s_addc_u32 s6, s6, 0
	v_add_co_u32 v1, s7, s3, v0
	s_delay_alu instid0(VALU_DEP_1) | instskip(SKIP_1) | instid1(VALU_DEP_1)
	v_add_co_ci_u32_e64 v2, null, s6, 0, s7
	v_add_co_u32 v3, s7, s3, v3
	v_add_co_ci_u32_e64 v4, null, s6, 0, s7
	v_add_co_u32 v5, s7, s3, v17
	s_delay_alu instid0(VALU_DEP_1) | instskip(SKIP_1) | instid1(VALU_DEP_1)
	v_add_co_ci_u32_e64 v6, null, s6, 0, s7
	v_add_co_u32 v7, s7, s3, v16
	v_add_co_ci_u32_e64 v8, null, s6, 0, s7
	v_add_co_u32 v9, s7, s3, v15
	v_lshlrev_b32_e32 v14, 3, v0
	v_add_co_u32 v11, s3, s3, v13
	v_add_co_ci_u32_e64 v10, null, s6, 0, s7
	v_add_co_ci_u32_e64 v12, null, s6, 0, s3
	ds_store_2addr_stride64_b64 v14, v[1:2], v[3:4] offset1:2
	ds_store_2addr_stride64_b64 v14, v[5:6], v[7:8] offset0:4 offset1:6
	ds_store_2addr_stride64_b64 v14, v[9:10], v[11:12] offset0:8 offset1:10
	s_waitcnt lgkmcnt(0)
	s_barrier
.LBB540_8:
	v_mul_u32_u24_e32 v1, 6, v0
	buffer_gl0_inv
	s_lshl_b64 s[6:7], s[18:19], 4
	s_mov_b32 s19, -1
	s_add_u32 s3, s4, s6
	v_lshlrev_b32_e32 v14, 3, v1
	s_addc_u32 s4, s5, s7
	s_lshl_b64 s[0:1], s[0:1], 4
	ds_load_b128 v[9:12], v14
	ds_load_b128 v[5:8], v14 offset:16
	ds_load_b128 v[1:4], v14 offset:32
	s_add_u32 s16, s3, s0
	s_addc_u32 s17, s4, s1
	s_and_b32 vcc_lo, exec_lo, s26
	s_waitcnt lgkmcnt(0)
	s_barrier
	buffer_gl0_inv
	s_cbranch_vccz .LBB540_10
; %bb.9:
	v_lshlrev_b32_e32 v22, 4, v0
	s_mov_b32 s19, 0
	s_delay_alu instid0(VALU_DEP_1) | instskip(NEXT) | instid1(VALU_DEP_1)
	v_add_co_u32 v32, s0, s16, v22
	v_add_co_ci_u32_e64 v33, null, s17, 0, s0
	s_clause 0x1
	global_load_b128 v[18:21], v22, s[16:17]
	global_load_b128 v[22:25], v22, s[16:17] offset:2048
	v_add_co_u32 v34, vcc_lo, v32, 0x2000
	v_add_co_ci_u32_e32 v35, vcc_lo, 0, v33, vcc_lo
	v_add_co_u32 v30, vcc_lo, 0x1000, v32
	v_add_co_ci_u32_e32 v31, vcc_lo, 0, v33, vcc_lo
	v_add_co_u32 v38, vcc_lo, 0x2000, v32
	global_load_b128 v[26:29], v[34:35], off offset:-4096
	v_add_co_ci_u32_e32 v39, vcc_lo, 0, v33, vcc_lo
	s_clause 0x2
	global_load_b128 v[30:33], v[30:31], off offset:2048
	global_load_b128 v[34:37], v[34:35], off
	global_load_b128 v[38:41], v[38:39], off offset:2048
	s_waitcnt vmcnt(5)
	v_cmp_neq_f64_e32 vcc_lo, 0, v[18:19]
	v_cmp_neq_f64_e64 s0, 0, v[20:21]
	s_waitcnt vmcnt(4)
	v_cmp_neq_f64_e64 s1, 0, v[22:23]
	v_cmp_neq_f64_e64 s3, 0, v[24:25]
	s_waitcnt vmcnt(3)
	v_cmp_neq_f64_e64 s4, 0, v[26:27]
	;; [unrolled: 3-line block ×5, first 2 shown]
	v_cmp_neq_f64_e64 s11, 0, v[40:41]
	s_or_b32 s0, vcc_lo, s0
	s_delay_alu instid0(SALU_CYCLE_1) | instskip(SKIP_1) | instid1(SALU_CYCLE_1)
	v_cndmask_b32_e64 v18, 0, 1, s0
	s_or_b32 s0, s1, s3
	v_cndmask_b32_e64 v19, 0, 1, s0
	s_or_b32 s0, s4, s5
	s_delay_alu instid0(SALU_CYCLE_1) | instskip(SKIP_1) | instid1(SALU_CYCLE_1)
	v_cndmask_b32_e64 v20, 0, 1, s0
	s_or_b32 s0, s6, s7
	v_cndmask_b32_e64 v21, 0, 1, s0
	s_or_b32 s0, s8, s9
	s_delay_alu instid0(SALU_CYCLE_1) | instskip(SKIP_1) | instid1(SALU_CYCLE_1)
	v_cndmask_b32_e64 v22, 0, 1, s0
	s_or_b32 s0, s10, s11
	v_cndmask_b32_e64 v23, 0, 1, s0
	ds_store_b8 v0, v18
	ds_store_b8 v0, v19 offset:128
	ds_store_b8 v0, v20 offset:256
	;; [unrolled: 1-line block ×5, first 2 shown]
	s_waitcnt lgkmcnt(0)
	s_barrier
.LBB540_10:
	s_and_not1_b32 vcc_lo, exec_lo, s19
	s_cbranch_vccnz .LBB540_24
; %bb.11:
	s_add_i32 s28, s28, s18
	v_dual_mov_b32 v18, 0 :: v_dual_mov_b32 v19, 0
	s_sub_i32 s1, s24, s28
	s_mov_b32 s3, exec_lo
	s_addk_i32 s1, 0x300
	s_delay_alu instid0(SALU_CYCLE_1)
	v_cmpx_gt_u32_e64 s1, v0
	s_cbranch_execz .LBB540_13
; %bb.12:
	v_lshlrev_b32_e32 v19, 4, v0
	global_load_b128 v[19:22], v19, s[16:17]
	s_waitcnt vmcnt(0)
	v_cmp_neq_f64_e32 vcc_lo, 0, v[19:20]
	v_cmp_neq_f64_e64 s0, 0, v[21:22]
	s_delay_alu instid0(VALU_DEP_1) | instskip(NEXT) | instid1(SALU_CYCLE_1)
	s_or_b32 s0, vcc_lo, s0
	v_cndmask_b32_e64 v19, 0, 1, s0
.LBB540_13:
	s_or_b32 exec_lo, exec_lo, s3
	v_or_b32_e32 v20, 0x80, v0
	s_mov_b32 s3, exec_lo
	s_delay_alu instid0(VALU_DEP_1)
	v_cmpx_gt_u32_e64 s1, v20
	s_cbranch_execz .LBB540_15
; %bb.14:
	v_lshlrev_b32_e32 v18, 4, v0
	global_load_b128 v[20:23], v18, s[16:17] offset:2048
	s_waitcnt vmcnt(0)
	v_cmp_neq_f64_e32 vcc_lo, 0, v[20:21]
	v_cmp_neq_f64_e64 s0, 0, v[22:23]
	s_delay_alu instid0(VALU_DEP_1) | instskip(NEXT) | instid1(SALU_CYCLE_1)
	s_or_b32 s0, vcc_lo, s0
	v_cndmask_b32_e64 v18, 0, 1, s0
.LBB540_15:
	s_or_b32 exec_lo, exec_lo, s3
	v_dual_mov_b32 v20, 0 :: v_dual_mov_b32 v21, 0
	s_mov_b32 s3, exec_lo
	v_cmpx_gt_u32_e64 s1, v17
	s_cbranch_execz .LBB540_17
; %bb.16:
	v_lshlrev_b32_e32 v17, 4, v17
	global_load_b128 v[21:24], v17, s[16:17]
	s_waitcnt vmcnt(0)
	v_cmp_neq_f64_e32 vcc_lo, 0, v[21:22]
	v_cmp_neq_f64_e64 s0, 0, v[23:24]
	s_delay_alu instid0(VALU_DEP_1) | instskip(NEXT) | instid1(SALU_CYCLE_1)
	s_or_b32 s0, vcc_lo, s0
	v_cndmask_b32_e64 v21, 0, 1, s0
.LBB540_17:
	s_or_b32 exec_lo, exec_lo, s3
	s_delay_alu instid0(SALU_CYCLE_1)
	s_mov_b32 s3, exec_lo
	v_cmpx_gt_u32_e64 s1, v16
	s_cbranch_execz .LBB540_19
; %bb.18:
	v_lshlrev_b32_e32 v16, 4, v16
	global_load_b128 v[22:25], v16, s[16:17]
	s_waitcnt vmcnt(0)
	v_cmp_neq_f64_e32 vcc_lo, 0, v[22:23]
	v_cmp_neq_f64_e64 s0, 0, v[24:25]
	s_delay_alu instid0(VALU_DEP_1) | instskip(NEXT) | instid1(SALU_CYCLE_1)
	s_or_b32 s0, vcc_lo, s0
	v_cndmask_b32_e64 v20, 0, 1, s0
.LBB540_19:
	s_or_b32 exec_lo, exec_lo, s3
	v_dual_mov_b32 v16, 0 :: v_dual_mov_b32 v17, 0
	s_mov_b32 s3, exec_lo
	v_cmpx_gt_u32_e64 s1, v15
	s_cbranch_execz .LBB540_21
; %bb.20:
	v_lshlrev_b32_e32 v15, 4, v15
	global_load_b128 v[22:25], v15, s[16:17]
	s_waitcnt vmcnt(0)
	v_cmp_neq_f64_e32 vcc_lo, 0, v[22:23]
	v_cmp_neq_f64_e64 s0, 0, v[24:25]
	s_delay_alu instid0(VALU_DEP_1) | instskip(NEXT) | instid1(SALU_CYCLE_1)
	s_or_b32 s0, vcc_lo, s0
	v_cndmask_b32_e64 v17, 0, 1, s0
.LBB540_21:
	s_or_b32 exec_lo, exec_lo, s3
	v_cmp_gt_u32_e32 vcc_lo, s1, v13
	s_and_saveexec_b32 s1, vcc_lo
	s_cbranch_execz .LBB540_23
; %bb.22:
	v_lshlrev_b32_e32 v13, 4, v13
	global_load_b128 v[22:25], v13, s[16:17]
	s_waitcnt vmcnt(0)
	v_cmp_neq_f64_e32 vcc_lo, 0, v[22:23]
	v_cmp_neq_f64_e64 s0, 0, v[24:25]
	s_delay_alu instid0(VALU_DEP_1) | instskip(NEXT) | instid1(SALU_CYCLE_1)
	s_or_b32 s0, vcc_lo, s0
	v_cndmask_b32_e64 v16, 0, 1, s0
.LBB540_23:
	s_or_b32 exec_lo, exec_lo, s1
	ds_store_b8 v0, v19
	ds_store_b8 v0, v18 offset:128
	ds_store_b8 v0, v21 offset:256
	;; [unrolled: 1-line block ×5, first 2 shown]
	s_waitcnt lgkmcnt(0)
	s_barrier
.LBB540_24:
	v_mad_i32_i24 v43, 0xffffffd6, v0, v14
	buffer_gl0_inv
	v_mbcnt_lo_u32_b32 v42, -1, 0
	s_cmp_lg_u32 s27, 0
	s_mov_b32 s1, -1
	ds_load_u16 v36, v43
	ds_load_u16 v33, v43 offset:2
	ds_load_u16 v31, v43 offset:4
	v_mov_b32_e32 v14, 0
	v_and_b32_e32 v44, 15, v42
	s_waitcnt lgkmcnt(0)
	s_barrier
	buffer_gl0_inv
	v_and_b32_e32 v41, 0xff, v36
	v_lshrrev_b16 v34, 8, v36
	v_lshrrev_b16 v35, 8, v33
	v_and_b32_e32 v39, 0xff, v33
	v_lshrrev_b16 v32, 8, v31
	v_and_b32_e32 v37, 0xff, v31
	v_and_b32_e32 v40, 0xffff, v34
	v_and_b32_e32 v38, 0xffff, v35
	s_delay_alu instid0(VALU_DEP_4) | instskip(NEXT) | instid1(VALU_DEP_3)
	v_and_b32_e32 v16, 0xffff, v32
	v_add_co_u32 v13, s0, v40, v41
	s_delay_alu instid0(VALU_DEP_1) | instskip(SKIP_1) | instid1(VALU_DEP_3)
	v_add_co_ci_u32_e64 v15, null, 0, 0, s0
	v_cmp_ne_u32_e64 s0, 0, v44
	v_add_co_u32 v13, vcc_lo, v13, v39
	s_delay_alu instid0(VALU_DEP_3) | instskip(NEXT) | instid1(VALU_DEP_2)
	v_add_co_ci_u32_e32 v15, vcc_lo, 0, v15, vcc_lo
	v_add_co_u32 v13, vcc_lo, v13, v38
	s_delay_alu instid0(VALU_DEP_2) | instskip(NEXT) | instid1(VALU_DEP_2)
	v_add_co_ci_u32_e32 v15, vcc_lo, 0, v15, vcc_lo
	v_add_co_u32 v13, vcc_lo, v13, v37
	s_delay_alu instid0(VALU_DEP_2) | instskip(NEXT) | instid1(VALU_DEP_2)
	v_add_co_ci_u32_e32 v15, vcc_lo, 0, v15, vcc_lo
	v_add_co_u32 v21, vcc_lo, v13, v16
	s_delay_alu instid0(VALU_DEP_2)
	v_add_co_ci_u32_e32 v22, vcc_lo, 0, v15, vcc_lo
	s_cbranch_scc0 .LBB540_93
; %bb.25:
	s_delay_alu instid0(VALU_DEP_2)
	v_mov_b32_e32 v15, v21
	v_mov_b32_dpp v13, v21 row_shr:1 row_mask:0xf bank_mask:0xf
	v_mov_b32_dpp v18, v14 row_shr:1 row_mask:0xf bank_mask:0xf
	v_dual_mov_b32 v17, v21 :: v_dual_mov_b32 v16, v22
	s_and_saveexec_b32 s1, s0
; %bb.26:
	s_delay_alu instid0(VALU_DEP_3) | instskip(SKIP_1) | instid1(VALU_DEP_2)
	v_add_co_u32 v17, vcc_lo, v21, v13
	v_add_co_ci_u32_e32 v14, vcc_lo, 0, v22, vcc_lo
	v_add_co_u32 v13, vcc_lo, 0, v17
	s_delay_alu instid0(VALU_DEP_2) | instskip(NEXT) | instid1(VALU_DEP_1)
	v_add_co_ci_u32_e32 v14, vcc_lo, v18, v14, vcc_lo
	v_dual_mov_b32 v16, v14 :: v_dual_mov_b32 v15, v13
; %bb.27:
	s_or_b32 exec_lo, exec_lo, s1
	v_mov_b32_dpp v13, v17 row_shr:2 row_mask:0xf bank_mask:0xf
	v_mov_b32_dpp v18, v14 row_shr:2 row_mask:0xf bank_mask:0xf
	s_mov_b32 s1, exec_lo
	v_cmpx_lt_u32_e32 1, v44
; %bb.28:
	s_delay_alu instid0(VALU_DEP_3) | instskip(SKIP_1) | instid1(VALU_DEP_2)
	v_add_co_u32 v17, vcc_lo, v15, v13
	v_add_co_ci_u32_e32 v14, vcc_lo, 0, v16, vcc_lo
	v_add_co_u32 v13, vcc_lo, 0, v17
	s_delay_alu instid0(VALU_DEP_2) | instskip(NEXT) | instid1(VALU_DEP_1)
	v_add_co_ci_u32_e32 v14, vcc_lo, v18, v14, vcc_lo
	v_dual_mov_b32 v16, v14 :: v_dual_mov_b32 v15, v13
; %bb.29:
	s_or_b32 exec_lo, exec_lo, s1
	v_mov_b32_dpp v13, v17 row_shr:4 row_mask:0xf bank_mask:0xf
	v_mov_b32_dpp v18, v14 row_shr:4 row_mask:0xf bank_mask:0xf
	s_mov_b32 s1, exec_lo
	v_cmpx_lt_u32_e32 3, v44
	;; [unrolled: 14-line block ×3, first 2 shown]
; %bb.32:
	s_delay_alu instid0(VALU_DEP_3) | instskip(SKIP_1) | instid1(VALU_DEP_2)
	v_add_co_u32 v17, vcc_lo, v15, v18
	v_add_co_ci_u32_e32 v14, vcc_lo, 0, v16, vcc_lo
	v_add_co_u32 v15, vcc_lo, 0, v17
	s_delay_alu instid0(VALU_DEP_2) | instskip(NEXT) | instid1(VALU_DEP_1)
	v_add_co_ci_u32_e32 v16, vcc_lo, v13, v14, vcc_lo
	v_mov_b32_e32 v14, v16
; %bb.33:
	s_or_b32 exec_lo, exec_lo, s1
	ds_swizzle_b32 v13, v17 offset:swizzle(BROADCAST,32,15)
	ds_swizzle_b32 v18, v14 offset:swizzle(BROADCAST,32,15)
	v_and_b32_e32 v19, 16, v42
	s_mov_b32 s1, exec_lo
	s_delay_alu instid0(VALU_DEP_1)
	v_cmpx_ne_u32_e32 0, v19
	s_cbranch_execz .LBB540_35
; %bb.34:
	s_waitcnt lgkmcnt(1)
	v_add_co_u32 v17, vcc_lo, v15, v13
	v_add_co_ci_u32_e32 v14, vcc_lo, 0, v16, vcc_lo
	s_delay_alu instid0(VALU_DEP_2) | instskip(SKIP_1) | instid1(VALU_DEP_2)
	v_add_co_u32 v13, vcc_lo, 0, v17
	s_waitcnt lgkmcnt(0)
	v_add_co_ci_u32_e32 v14, vcc_lo, v18, v14, vcc_lo
	s_delay_alu instid0(VALU_DEP_1)
	v_dual_mov_b32 v16, v14 :: v_dual_mov_b32 v15, v13
.LBB540_35:
	s_or_b32 exec_lo, exec_lo, s1
	s_waitcnt lgkmcnt(0)
	v_or_b32_e32 v18, 31, v0
	v_lshrrev_b32_e32 v13, 5, v0
	s_mov_b32 s1, exec_lo
	s_delay_alu instid0(VALU_DEP_2)
	v_cmpx_eq_u32_e64 v18, v0
	s_cbranch_execz .LBB540_37
; %bb.36:
	s_delay_alu instid0(VALU_DEP_2)
	v_lshlrev_b32_e32 v18, 3, v13
	ds_store_b64 v18, v[15:16]
.LBB540_37:
	s_or_b32 exec_lo, exec_lo, s1
	s_delay_alu instid0(SALU_CYCLE_1)
	s_mov_b32 s1, exec_lo
	s_waitcnt lgkmcnt(0)
	s_barrier
	buffer_gl0_inv
	v_cmpx_gt_u32_e32 4, v0
	s_cbranch_execz .LBB540_43
; %bb.38:
	v_lshlrev_b32_e32 v18, 3, v0
	s_mov_b32 s3, exec_lo
	ds_load_b64 v[15:16], v18
	s_waitcnt lgkmcnt(0)
	v_dual_mov_b32 v20, v15 :: v_dual_and_b32 v19, 3, v42
	v_mov_b32_dpp v24, v15 row_shr:1 row_mask:0xf bank_mask:0xf
	v_mov_b32_dpp v23, v16 row_shr:1 row_mask:0xf bank_mask:0xf
	s_delay_alu instid0(VALU_DEP_3)
	v_cmpx_ne_u32_e32 0, v19
; %bb.39:
	s_delay_alu instid0(VALU_DEP_3) | instskip(SKIP_1) | instid1(VALU_DEP_2)
	v_add_co_u32 v20, vcc_lo, v15, v24
	v_add_co_ci_u32_e32 v16, vcc_lo, 0, v16, vcc_lo
	v_add_co_u32 v15, vcc_lo, 0, v20
	s_delay_alu instid0(VALU_DEP_2)
	v_add_co_ci_u32_e32 v16, vcc_lo, v23, v16, vcc_lo
; %bb.40:
	s_or_b32 exec_lo, exec_lo, s3
	v_mov_b32_dpp v23, v20 row_shr:2 row_mask:0xf bank_mask:0xf
	s_delay_alu instid0(VALU_DEP_2)
	v_mov_b32_dpp v20, v16 row_shr:2 row_mask:0xf bank_mask:0xf
	s_mov_b32 s3, exec_lo
	v_cmpx_lt_u32_e32 1, v19
; %bb.41:
	s_delay_alu instid0(VALU_DEP_3) | instskip(SKIP_1) | instid1(VALU_DEP_2)
	v_add_co_u32 v15, vcc_lo, v15, v23
	v_add_co_ci_u32_e32 v16, vcc_lo, 0, v16, vcc_lo
	v_add_co_u32 v15, vcc_lo, v15, 0
	s_delay_alu instid0(VALU_DEP_2)
	v_add_co_ci_u32_e32 v16, vcc_lo, v16, v20, vcc_lo
; %bb.42:
	s_or_b32 exec_lo, exec_lo, s3
	ds_store_b64 v18, v[15:16]
.LBB540_43:
	s_or_b32 exec_lo, exec_lo, s1
	v_cmp_gt_u32_e32 vcc_lo, 32, v0
	s_mov_b32 s3, exec_lo
	s_waitcnt lgkmcnt(0)
	s_barrier
	buffer_gl0_inv
                                        ; implicit-def: $vgpr23_vgpr24
	v_cmpx_lt_u32_e32 31, v0
	s_cbranch_execz .LBB540_45
; %bb.44:
	v_lshl_add_u32 v13, v13, 3, -8
	ds_load_b64 v[23:24], v13
	s_waitcnt lgkmcnt(0)
	v_add_co_u32 v17, s1, v17, v23
	s_delay_alu instid0(VALU_DEP_1)
	v_add_co_ci_u32_e64 v14, s1, v14, v24, s1
.LBB540_45:
	s_or_b32 exec_lo, exec_lo, s3
	v_add_nc_u32_e32 v13, -1, v42
	s_delay_alu instid0(VALU_DEP_1) | instskip(NEXT) | instid1(VALU_DEP_1)
	v_cmp_gt_i32_e64 s1, 0, v13
	v_cndmask_b32_e64 v13, v13, v42, s1
	v_cmp_eq_u32_e64 s1, 0, v42
	s_delay_alu instid0(VALU_DEP_2)
	v_lshlrev_b32_e32 v13, 2, v13
	ds_bpermute_b32 v29, v13, v17
	ds_bpermute_b32 v30, v13, v14
	s_and_saveexec_b32 s3, vcc_lo
	s_cbranch_execz .LBB540_88
; %bb.46:
	v_mov_b32_e32 v16, 0
	ds_load_b64 v[13:14], v16 offset:24
	s_and_saveexec_b32 s4, s1
	s_cbranch_execz .LBB540_48
; %bb.47:
	s_add_i32 s6, s27, 32
	s_mov_b32 s7, 0
	s_delay_alu instid0(SALU_CYCLE_1) | instskip(NEXT) | instid1(SALU_CYCLE_1)
	s_lshl_b64 s[6:7], s[6:7], 4
	s_add_u32 s6, s22, s6
	s_addc_u32 s7, s23, s7
	s_delay_alu instid0(SALU_CYCLE_1)
	v_dual_mov_b32 v15, 1 :: v_dual_mov_b32 v18, s7
	v_mov_b32_e32 v17, s6
	s_waitcnt lgkmcnt(0)
	;;#ASMSTART
	global_store_dwordx4 v[17:18], v[13:16] off	
s_waitcnt vmcnt(0)
	;;#ASMEND
.LBB540_48:
	s_or_b32 exec_lo, exec_lo, s4
	v_xad_u32 v25, v42, -1, s27
	s_mov_b32 s5, 0
	s_mov_b32 s4, exec_lo
	s_delay_alu instid0(VALU_DEP_1) | instskip(NEXT) | instid1(VALU_DEP_1)
	v_add_nc_u32_e32 v15, 32, v25
	v_lshlrev_b64 v[15:16], 4, v[15:16]
	s_delay_alu instid0(VALU_DEP_1) | instskip(NEXT) | instid1(VALU_DEP_2)
	v_add_co_u32 v15, vcc_lo, s22, v15
	v_add_co_ci_u32_e32 v16, vcc_lo, s23, v16, vcc_lo
	;;#ASMSTART
	global_load_dwordx4 v[17:20], v[15:16] off glc	
s_waitcnt vmcnt(0)
	;;#ASMEND
	v_and_b32_e32 v20, 0xff, v18
	v_and_b32_e32 v26, 0xff00, v18
	v_or3_b32 v17, v17, 0, 0
	v_and_b32_e32 v27, 0xff000000, v18
	v_and_b32_e32 v18, 0xff0000, v18
	s_delay_alu instid0(VALU_DEP_4) | instskip(SKIP_2) | instid1(VALU_DEP_3)
	v_or3_b32 v20, 0, v20, v26
	v_and_b32_e32 v26, 0xff, v19
	v_or3_b32 v17, v17, 0, 0
	v_or3_b32 v18, v20, v18, v27
	s_delay_alu instid0(VALU_DEP_3)
	v_cmpx_eq_u16_e32 0, v26
	s_cbranch_execz .LBB540_54
; %bb.49:
	s_mov_b32 s6, 1
	.p2align	6
.LBB540_50:                             ; =>This Loop Header: Depth=1
                                        ;     Child Loop BB540_51 Depth 2
	s_delay_alu instid0(SALU_CYCLE_1)
	s_max_u32 s7, s6, 1
.LBB540_51:                             ;   Parent Loop BB540_50 Depth=1
                                        ; =>  This Inner Loop Header: Depth=2
	s_delay_alu instid0(SALU_CYCLE_1)
	s_add_i32 s7, s7, -1
	s_sleep 1
	s_cmp_eq_u32 s7, 0
	s_cbranch_scc0 .LBB540_51
; %bb.52:                               ;   in Loop: Header=BB540_50 Depth=1
	;;#ASMSTART
	global_load_dwordx4 v[17:20], v[15:16] off glc	
s_waitcnt vmcnt(0)
	;;#ASMEND
	v_and_b32_e32 v20, 0xff, v19
	s_cmp_lt_u32 s6, 32
	s_cselect_b32 s7, -1, 0
	s_delay_alu instid0(SALU_CYCLE_1) | instskip(NEXT) | instid1(VALU_DEP_1)
	s_cmp_lg_u32 s7, 0
	v_cmp_ne_u16_e32 vcc_lo, 0, v20
	s_addc_u32 s6, s6, 0
	s_or_b32 s5, vcc_lo, s5
	s_delay_alu instid0(SALU_CYCLE_1)
	s_and_not1_b32 exec_lo, exec_lo, s5
	s_cbranch_execnz .LBB540_50
; %bb.53:
	s_or_b32 exec_lo, exec_lo, s5
.LBB540_54:
	s_delay_alu instid0(SALU_CYCLE_1)
	s_or_b32 exec_lo, exec_lo, s4
	v_cmp_ne_u32_e32 vcc_lo, 31, v42
	v_and_b32_e32 v16, 0xff, v19
	v_lshlrev_b32_e64 v46, v42, -1
	s_mov_b32 s4, exec_lo
	v_add_co_ci_u32_e32 v15, vcc_lo, 0, v42, vcc_lo
	s_delay_alu instid0(VALU_DEP_3) | instskip(NEXT) | instid1(VALU_DEP_2)
	v_cmp_eq_u16_e32 vcc_lo, 2, v16
	v_dual_mov_b32 v16, v17 :: v_dual_lshlrev_b32 v45, 2, v15
	v_and_or_b32 v15, vcc_lo, v46, 0x80000000
	ds_bpermute_b32 v26, v45, v17
	ds_bpermute_b32 v20, v45, v18
	v_ctz_i32_b32_e32 v15, v15
	s_delay_alu instid0(VALU_DEP_1)
	v_cmpx_lt_u32_e64 v42, v15
	s_cbranch_execz .LBB540_56
; %bb.55:
	s_waitcnt lgkmcnt(1)
	v_add_co_u32 v16, vcc_lo, v17, v26
	v_add_co_ci_u32_e32 v18, vcc_lo, 0, v18, vcc_lo
	s_delay_alu instid0(VALU_DEP_2) | instskip(SKIP_1) | instid1(VALU_DEP_2)
	v_add_co_u32 v17, vcc_lo, 0, v16
	s_waitcnt lgkmcnt(0)
	v_add_co_ci_u32_e32 v18, vcc_lo, v20, v18, vcc_lo
.LBB540_56:
	s_or_b32 exec_lo, exec_lo, s4
	v_cmp_gt_u32_e32 vcc_lo, 30, v42
	v_add_nc_u32_e32 v48, 2, v42
	s_mov_b32 s4, exec_lo
	s_waitcnt lgkmcnt(0)
	v_cndmask_b32_e64 v20, 0, 1, vcc_lo
	s_delay_alu instid0(VALU_DEP_1) | instskip(NEXT) | instid1(VALU_DEP_1)
	v_lshlrev_b32_e32 v20, 1, v20
	v_add_lshl_u32 v47, v20, v42, 2
	ds_bpermute_b32 v26, v47, v16
	ds_bpermute_b32 v20, v47, v18
	v_cmpx_le_u32_e64 v48, v15
	s_cbranch_execz .LBB540_58
; %bb.57:
	s_waitcnt lgkmcnt(1)
	v_add_co_u32 v16, vcc_lo, v17, v26
	v_add_co_ci_u32_e32 v18, vcc_lo, 0, v18, vcc_lo
	s_delay_alu instid0(VALU_DEP_2) | instskip(SKIP_1) | instid1(VALU_DEP_2)
	v_add_co_u32 v17, vcc_lo, 0, v16
	s_waitcnt lgkmcnt(0)
	v_add_co_ci_u32_e32 v18, vcc_lo, v20, v18, vcc_lo
.LBB540_58:
	s_or_b32 exec_lo, exec_lo, s4
	v_cmp_gt_u32_e32 vcc_lo, 28, v42
	v_add_nc_u32_e32 v50, 4, v42
	s_mov_b32 s4, exec_lo
	s_waitcnt lgkmcnt(0)
	v_cndmask_b32_e64 v20, 0, 1, vcc_lo
	s_delay_alu instid0(VALU_DEP_1) | instskip(NEXT) | instid1(VALU_DEP_1)
	v_lshlrev_b32_e32 v20, 2, v20
	v_add_lshl_u32 v49, v20, v42, 2
	ds_bpermute_b32 v26, v49, v16
	ds_bpermute_b32 v20, v49, v18
	v_cmpx_le_u32_e64 v50, v15
	;; [unrolled: 22-line block ×4, first 2 shown]
	s_cbranch_execz .LBB540_64
; %bb.63:
	s_waitcnt lgkmcnt(1)
	v_add_co_u32 v15, vcc_lo, v17, v20
	v_add_co_ci_u32_e32 v18, vcc_lo, 0, v18, vcc_lo
	s_delay_alu instid0(VALU_DEP_2) | instskip(SKIP_1) | instid1(VALU_DEP_2)
	v_add_co_u32 v17, vcc_lo, v15, 0
	s_waitcnt lgkmcnt(0)
	v_add_co_ci_u32_e32 v18, vcc_lo, v18, v16, vcc_lo
.LBB540_64:
	s_or_b32 exec_lo, exec_lo, s4
	v_mov_b32_e32 v26, 0
	s_branch .LBB540_66
.LBB540_65:                             ;   in Loop: Header=BB540_66 Depth=1
	s_or_b32 exec_lo, exec_lo, s4
	v_add_co_u32 v17, vcc_lo, v17, v15
	v_subrev_nc_u32_e32 v25, 32, v25
	v_add_co_ci_u32_e32 v18, vcc_lo, v18, v16, vcc_lo
.LBB540_66:                             ; =>This Loop Header: Depth=1
                                        ;     Child Loop BB540_69 Depth 2
                                        ;       Child Loop BB540_70 Depth 3
	v_and_b32_e32 v15, 0xff, v19
	s_delay_alu instid0(VALU_DEP_1) | instskip(SKIP_2) | instid1(VALU_DEP_1)
	v_cmp_ne_u16_e32 vcc_lo, 2, v15
	v_cndmask_b32_e64 v15, 0, 1, vcc_lo
	;;#ASMSTART
	;;#ASMEND
	v_cmp_ne_u32_e32 vcc_lo, 0, v15
	s_waitcnt lgkmcnt(0)
	v_dual_mov_b32 v15, v17 :: v_dual_mov_b32 v16, v18
	s_cmp_lg_u32 vcc_lo, exec_lo
	s_cbranch_scc1 .LBB540_83
; %bb.67:                               ;   in Loop: Header=BB540_66 Depth=1
	v_lshlrev_b64 v[17:18], 4, v[25:26]
	s_mov_b32 s4, exec_lo
	s_delay_alu instid0(VALU_DEP_1) | instskip(NEXT) | instid1(VALU_DEP_2)
	v_add_co_u32 v27, vcc_lo, s22, v17
	v_add_co_ci_u32_e32 v28, vcc_lo, s23, v18, vcc_lo
	;;#ASMSTART
	global_load_dwordx4 v[17:20], v[27:28] off glc	
s_waitcnt vmcnt(0)
	;;#ASMEND
	v_and_b32_e32 v20, 0xff, v18
	v_and_b32_e32 v55, 0xff00, v18
	v_or3_b32 v17, v17, 0, 0
	v_and_b32_e32 v56, 0xff000000, v18
	v_and_b32_e32 v18, 0xff0000, v18
	s_delay_alu instid0(VALU_DEP_4) | instskip(SKIP_2) | instid1(VALU_DEP_3)
	v_or3_b32 v20, 0, v20, v55
	v_and_b32_e32 v55, 0xff, v19
	v_or3_b32 v17, v17, 0, 0
	v_or3_b32 v18, v20, v18, v56
	s_delay_alu instid0(VALU_DEP_3)
	v_cmpx_eq_u16_e32 0, v55
	s_cbranch_execz .LBB540_73
; %bb.68:                               ;   in Loop: Header=BB540_66 Depth=1
	s_mov_b32 s6, 1
	s_mov_b32 s5, 0
	.p2align	6
.LBB540_69:                             ;   Parent Loop BB540_66 Depth=1
                                        ; =>  This Loop Header: Depth=2
                                        ;       Child Loop BB540_70 Depth 3
	s_max_u32 s7, s6, 1
.LBB540_70:                             ;   Parent Loop BB540_66 Depth=1
                                        ;     Parent Loop BB540_69 Depth=2
                                        ; =>    This Inner Loop Header: Depth=3
	s_delay_alu instid0(SALU_CYCLE_1)
	s_add_i32 s7, s7, -1
	s_sleep 1
	s_cmp_eq_u32 s7, 0
	s_cbranch_scc0 .LBB540_70
; %bb.71:                               ;   in Loop: Header=BB540_69 Depth=2
	;;#ASMSTART
	global_load_dwordx4 v[17:20], v[27:28] off glc	
s_waitcnt vmcnt(0)
	;;#ASMEND
	v_and_b32_e32 v20, 0xff, v19
	s_cmp_lt_u32 s6, 32
	s_cselect_b32 s7, -1, 0
	s_delay_alu instid0(SALU_CYCLE_1) | instskip(NEXT) | instid1(VALU_DEP_1)
	s_cmp_lg_u32 s7, 0
	v_cmp_ne_u16_e32 vcc_lo, 0, v20
	s_addc_u32 s6, s6, 0
	s_or_b32 s5, vcc_lo, s5
	s_delay_alu instid0(SALU_CYCLE_1)
	s_and_not1_b32 exec_lo, exec_lo, s5
	s_cbranch_execnz .LBB540_69
; %bb.72:                               ;   in Loop: Header=BB540_66 Depth=1
	s_or_b32 exec_lo, exec_lo, s5
.LBB540_73:                             ;   in Loop: Header=BB540_66 Depth=1
	s_delay_alu instid0(SALU_CYCLE_1)
	s_or_b32 exec_lo, exec_lo, s4
	v_dual_mov_b32 v27, v17 :: v_dual_and_b32 v20, 0xff, v19
	ds_bpermute_b32 v55, v45, v17
	ds_bpermute_b32 v28, v45, v18
	s_mov_b32 s4, exec_lo
	v_cmp_eq_u16_e32 vcc_lo, 2, v20
	v_and_or_b32 v20, vcc_lo, v46, 0x80000000
	s_delay_alu instid0(VALU_DEP_1) | instskip(NEXT) | instid1(VALU_DEP_1)
	v_ctz_i32_b32_e32 v20, v20
	v_cmpx_lt_u32_e64 v42, v20
	s_cbranch_execz .LBB540_75
; %bb.74:                               ;   in Loop: Header=BB540_66 Depth=1
	s_waitcnt lgkmcnt(1)
	v_add_co_u32 v27, vcc_lo, v17, v55
	v_add_co_ci_u32_e32 v18, vcc_lo, 0, v18, vcc_lo
	s_delay_alu instid0(VALU_DEP_2) | instskip(SKIP_1) | instid1(VALU_DEP_2)
	v_add_co_u32 v17, vcc_lo, 0, v27
	s_waitcnt lgkmcnt(0)
	v_add_co_ci_u32_e32 v18, vcc_lo, v28, v18, vcc_lo
.LBB540_75:                             ;   in Loop: Header=BB540_66 Depth=1
	s_or_b32 exec_lo, exec_lo, s4
	s_waitcnt lgkmcnt(1)
	ds_bpermute_b32 v55, v47, v27
	s_waitcnt lgkmcnt(1)
	ds_bpermute_b32 v28, v47, v18
	s_mov_b32 s4, exec_lo
	v_cmpx_le_u32_e64 v48, v20
	s_cbranch_execz .LBB540_77
; %bb.76:                               ;   in Loop: Header=BB540_66 Depth=1
	s_waitcnt lgkmcnt(1)
	v_add_co_u32 v27, vcc_lo, v17, v55
	v_add_co_ci_u32_e32 v18, vcc_lo, 0, v18, vcc_lo
	s_delay_alu instid0(VALU_DEP_2) | instskip(SKIP_1) | instid1(VALU_DEP_2)
	v_add_co_u32 v17, vcc_lo, 0, v27
	s_waitcnt lgkmcnt(0)
	v_add_co_ci_u32_e32 v18, vcc_lo, v28, v18, vcc_lo
.LBB540_77:                             ;   in Loop: Header=BB540_66 Depth=1
	s_or_b32 exec_lo, exec_lo, s4
	s_waitcnt lgkmcnt(1)
	ds_bpermute_b32 v55, v49, v27
	s_waitcnt lgkmcnt(1)
	ds_bpermute_b32 v28, v49, v18
	s_mov_b32 s4, exec_lo
	v_cmpx_le_u32_e64 v50, v20
	;; [unrolled: 17-line block ×3, first 2 shown]
	s_cbranch_execz .LBB540_81
; %bb.80:                               ;   in Loop: Header=BB540_66 Depth=1
	s_waitcnt lgkmcnt(1)
	v_add_co_u32 v27, vcc_lo, v17, v55
	v_add_co_ci_u32_e32 v18, vcc_lo, 0, v18, vcc_lo
	s_delay_alu instid0(VALU_DEP_2) | instskip(SKIP_1) | instid1(VALU_DEP_2)
	v_add_co_u32 v17, vcc_lo, 0, v27
	s_waitcnt lgkmcnt(0)
	v_add_co_ci_u32_e32 v18, vcc_lo, v28, v18, vcc_lo
.LBB540_81:                             ;   in Loop: Header=BB540_66 Depth=1
	s_or_b32 exec_lo, exec_lo, s4
	s_waitcnt lgkmcnt(0)
	ds_bpermute_b32 v28, v53, v27
	ds_bpermute_b32 v27, v53, v18
	s_mov_b32 s4, exec_lo
	v_cmpx_le_u32_e64 v54, v20
	s_cbranch_execz .LBB540_65
; %bb.82:                               ;   in Loop: Header=BB540_66 Depth=1
	s_waitcnt lgkmcnt(1)
	v_add_co_u32 v17, vcc_lo, v17, v28
	v_add_co_ci_u32_e32 v18, vcc_lo, 0, v18, vcc_lo
	s_delay_alu instid0(VALU_DEP_2) | instskip(SKIP_1) | instid1(VALU_DEP_2)
	v_add_co_u32 v17, vcc_lo, v17, 0
	s_waitcnt lgkmcnt(0)
	v_add_co_ci_u32_e32 v18, vcc_lo, v18, v27, vcc_lo
	s_branch .LBB540_65
.LBB540_83:                             ;   in Loop: Header=BB540_66 Depth=1
                                        ; implicit-def: $vgpr17_vgpr18
	s_cbranch_execz .LBB540_66
; %bb.84:
	s_and_saveexec_b32 s4, s1
	s_cbranch_execz .LBB540_86
; %bb.85:
	s_add_i32 s6, s27, 32
	s_mov_b32 s7, 0
	v_add_co_u32 v17, vcc_lo, v15, v13
	s_lshl_b64 s[6:7], s[6:7], 4
	v_dual_mov_b32 v19, 2 :: v_dual_mov_b32 v20, 0
	s_add_u32 s6, s22, s6
	s_addc_u32 s7, s23, s7
	v_add_co_ci_u32_e32 v18, vcc_lo, v16, v14, vcc_lo
	v_dual_mov_b32 v26, s7 :: v_dual_mov_b32 v25, s6
	;;#ASMSTART
	global_store_dwordx4 v[25:26], v[17:20] off	
s_waitcnt vmcnt(0)
	;;#ASMEND
	ds_store_b128 v20, v[13:16] offset:6144
.LBB540_86:
	s_or_b32 exec_lo, exec_lo, s4
	s_delay_alu instid0(SALU_CYCLE_1)
	s_and_b32 exec_lo, exec_lo, s2
	s_cbranch_execz .LBB540_88
; %bb.87:
	v_mov_b32_e32 v13, 0
	ds_store_b64 v13, v[15:16] offset:24
.LBB540_88:
	s_or_b32 exec_lo, exec_lo, s3
	v_mov_b32_e32 v15, 0
	s_waitcnt lgkmcnt(0)
	s_barrier
	buffer_gl0_inv
	v_cndmask_b32_e64 v16, v29, v23, s1
	ds_load_b64 v[13:14], v15 offset:24
	v_cndmask_b32_e64 v17, v30, v24, s1
	s_waitcnt lgkmcnt(0)
	s_barrier
	v_cndmask_b32_e64 v16, v16, 0, s2
	buffer_gl0_inv
	v_cndmask_b32_e64 v17, v17, 0, s2
	v_add_co_u32 v29, vcc_lo, v13, v16
	s_delay_alu instid0(VALU_DEP_2) | instskip(SKIP_3) | instid1(VALU_DEP_2)
	v_add_co_ci_u32_e32 v30, vcc_lo, v14, v17, vcc_lo
	ds_load_b128 v[13:16], v15 offset:6144
	v_add_co_u32 v27, vcc_lo, v29, v41
	v_add_co_ci_u32_e32 v28, vcc_lo, 0, v30, vcc_lo
	v_add_co_u32 v25, vcc_lo, v27, v40
	s_delay_alu instid0(VALU_DEP_2) | instskip(NEXT) | instid1(VALU_DEP_2)
	v_add_co_ci_u32_e32 v26, vcc_lo, 0, v28, vcc_lo
	v_add_co_u32 v23, vcc_lo, v25, v39
	s_delay_alu instid0(VALU_DEP_2) | instskip(NEXT) | instid1(VALU_DEP_2)
	;; [unrolled: 3-line block ×3, first 2 shown]
	v_add_co_ci_u32_e32 v20, vcc_lo, 0, v24, vcc_lo
	v_add_co_u32 v17, vcc_lo, v19, v37
	s_delay_alu instid0(VALU_DEP_2)
	v_add_co_ci_u32_e32 v18, vcc_lo, 0, v20, vcc_lo
.LBB540_89:
	s_waitcnt lgkmcnt(0)
	v_cmp_gt_u64_e32 vcc_lo, 0x81, v[13:14]
	s_mov_b32 s0, -1
	s_cbranch_vccnz .LBB540_117
.LBB540_90:
	s_and_b32 vcc_lo, exec_lo, s0
	s_cbranch_vccnz .LBB540_136
.LBB540_91:
	s_and_b32 s0, s2, s25
	s_delay_alu instid0(SALU_CYCLE_1)
	s_and_saveexec_b32 s1, s0
	s_cbranch_execnz .LBB540_152
.LBB540_92:
	s_nop 0
	s_sendmsg sendmsg(MSG_DEALLOC_VGPRS)
	s_endpgm
.LBB540_93:
                                        ; kill: def $vgpr13_vgpr14 killed $sgpr0_sgpr1 killed $exec
                                        ; implicit-def: $vgpr17_vgpr18
                                        ; implicit-def: $vgpr19_vgpr20
                                        ; implicit-def: $vgpr23_vgpr24
                                        ; implicit-def: $vgpr25_vgpr26
                                        ; implicit-def: $vgpr27_vgpr28
                                        ; implicit-def: $vgpr29_vgpr30
                                        ; implicit-def: $vgpr15_vgpr16
	s_and_b32 vcc_lo, exec_lo, s1
	s_cbranch_vccz .LBB540_89
; %bb.94:
	s_waitcnt lgkmcnt(0)
	v_dual_mov_b32 v14, 0 :: v_dual_mov_b32 v15, v21
	v_mov_b32_dpp v16, v21 row_shr:1 row_mask:0xf bank_mask:0xf
	s_delay_alu instid0(VALU_DEP_2)
	v_mov_b32_dpp v13, v14 row_shr:1 row_mask:0xf bank_mask:0xf
	s_and_saveexec_b32 s1, s0
; %bb.95:
	s_delay_alu instid0(VALU_DEP_2) | instskip(SKIP_1) | instid1(VALU_DEP_2)
	v_add_co_u32 v15, vcc_lo, v21, v16
	v_add_co_ci_u32_e32 v14, vcc_lo, 0, v22, vcc_lo
	v_add_co_u32 v21, vcc_lo, 0, v15
	s_delay_alu instid0(VALU_DEP_2) | instskip(NEXT) | instid1(VALU_DEP_1)
	v_add_co_ci_u32_e32 v22, vcc_lo, v13, v14, vcc_lo
	v_mov_b32_e32 v14, v22
; %bb.96:
	s_or_b32 exec_lo, exec_lo, s1
	v_mov_b32_dpp v13, v15 row_shr:2 row_mask:0xf bank_mask:0xf
	s_delay_alu instid0(VALU_DEP_2)
	v_mov_b32_dpp v16, v14 row_shr:2 row_mask:0xf bank_mask:0xf
	s_mov_b32 s0, exec_lo
	v_cmpx_lt_u32_e32 1, v44
; %bb.97:
	s_delay_alu instid0(VALU_DEP_3) | instskip(SKIP_1) | instid1(VALU_DEP_2)
	v_add_co_u32 v15, vcc_lo, v21, v13
	v_add_co_ci_u32_e32 v14, vcc_lo, 0, v22, vcc_lo
	v_add_co_u32 v13, vcc_lo, 0, v15
	s_delay_alu instid0(VALU_DEP_2) | instskip(NEXT) | instid1(VALU_DEP_1)
	v_add_co_ci_u32_e32 v14, vcc_lo, v16, v14, vcc_lo
	v_dual_mov_b32 v22, v14 :: v_dual_mov_b32 v21, v13
; %bb.98:
	s_or_b32 exec_lo, exec_lo, s0
	v_mov_b32_dpp v13, v15 row_shr:4 row_mask:0xf bank_mask:0xf
	v_mov_b32_dpp v16, v14 row_shr:4 row_mask:0xf bank_mask:0xf
	s_mov_b32 s0, exec_lo
	v_cmpx_lt_u32_e32 3, v44
; %bb.99:
	s_delay_alu instid0(VALU_DEP_3) | instskip(SKIP_1) | instid1(VALU_DEP_2)
	v_add_co_u32 v15, vcc_lo, v21, v13
	v_add_co_ci_u32_e32 v14, vcc_lo, 0, v22, vcc_lo
	v_add_co_u32 v13, vcc_lo, 0, v15
	s_delay_alu instid0(VALU_DEP_2) | instskip(NEXT) | instid1(VALU_DEP_1)
	v_add_co_ci_u32_e32 v14, vcc_lo, v16, v14, vcc_lo
	v_dual_mov_b32 v22, v14 :: v_dual_mov_b32 v21, v13
; %bb.100:
	s_or_b32 exec_lo, exec_lo, s0
	v_mov_b32_dpp v16, v15 row_shr:8 row_mask:0xf bank_mask:0xf
	v_mov_b32_dpp v13, v14 row_shr:8 row_mask:0xf bank_mask:0xf
	s_mov_b32 s0, exec_lo
	v_cmpx_lt_u32_e32 7, v44
; %bb.101:
	s_delay_alu instid0(VALU_DEP_3) | instskip(SKIP_1) | instid1(VALU_DEP_2)
	v_add_co_u32 v15, vcc_lo, v21, v16
	v_add_co_ci_u32_e32 v14, vcc_lo, 0, v22, vcc_lo
	v_add_co_u32 v21, vcc_lo, 0, v15
	s_delay_alu instid0(VALU_DEP_2) | instskip(NEXT) | instid1(VALU_DEP_1)
	v_add_co_ci_u32_e32 v22, vcc_lo, v13, v14, vcc_lo
	v_mov_b32_e32 v14, v22
; %bb.102:
	s_or_b32 exec_lo, exec_lo, s0
	ds_swizzle_b32 v15, v15 offset:swizzle(BROADCAST,32,15)
	ds_swizzle_b32 v13, v14 offset:swizzle(BROADCAST,32,15)
	v_and_b32_e32 v14, 16, v42
	s_mov_b32 s0, exec_lo
	s_delay_alu instid0(VALU_DEP_1)
	v_cmpx_ne_u32_e32 0, v14
	s_cbranch_execz .LBB540_104
; %bb.103:
	s_waitcnt lgkmcnt(1)
	v_add_co_u32 v14, vcc_lo, v21, v15
	v_add_co_ci_u32_e32 v15, vcc_lo, 0, v22, vcc_lo
	s_delay_alu instid0(VALU_DEP_2) | instskip(SKIP_1) | instid1(VALU_DEP_2)
	v_add_co_u32 v21, vcc_lo, v14, 0
	s_waitcnt lgkmcnt(0)
	v_add_co_ci_u32_e32 v22, vcc_lo, v15, v13, vcc_lo
.LBB540_104:
	s_or_b32 exec_lo, exec_lo, s0
	s_waitcnt lgkmcnt(0)
	v_or_b32_e32 v13, 31, v0
	v_lshrrev_b32_e32 v15, 5, v0
	s_mov_b32 s0, exec_lo
	s_delay_alu instid0(VALU_DEP_2)
	v_cmpx_eq_u32_e64 v13, v0
	s_cbranch_execz .LBB540_106
; %bb.105:
	s_delay_alu instid0(VALU_DEP_2)
	v_lshlrev_b32_e32 v13, 3, v15
	ds_store_b64 v13, v[21:22]
.LBB540_106:
	s_or_b32 exec_lo, exec_lo, s0
	s_delay_alu instid0(SALU_CYCLE_1)
	s_mov_b32 s0, exec_lo
	s_waitcnt lgkmcnt(0)
	s_barrier
	buffer_gl0_inv
	v_cmpx_gt_u32_e32 4, v0
	s_cbranch_execz .LBB540_112
; %bb.107:
	v_lshlrev_b32_e32 v13, 1, v0
	s_mov_b32 s1, exec_lo
	s_delay_alu instid0(VALU_DEP_1)
	v_add_nc_u32_e32 v16, v43, v13
	ds_load_b64 v[13:14], v16
	s_waitcnt lgkmcnt(0)
	v_dual_mov_b32 v18, v13 :: v_dual_and_b32 v17, 3, v42
	v_mov_b32_dpp v20, v13 row_shr:1 row_mask:0xf bank_mask:0xf
	v_mov_b32_dpp v19, v14 row_shr:1 row_mask:0xf bank_mask:0xf
	s_delay_alu instid0(VALU_DEP_3)
	v_cmpx_ne_u32_e32 0, v17
; %bb.108:
	s_delay_alu instid0(VALU_DEP_3) | instskip(SKIP_1) | instid1(VALU_DEP_2)
	v_add_co_u32 v18, vcc_lo, v13, v20
	v_add_co_ci_u32_e32 v14, vcc_lo, 0, v14, vcc_lo
	v_add_co_u32 v13, vcc_lo, 0, v18
	s_delay_alu instid0(VALU_DEP_2)
	v_add_co_ci_u32_e32 v14, vcc_lo, v19, v14, vcc_lo
; %bb.109:
	s_or_b32 exec_lo, exec_lo, s1
	v_mov_b32_dpp v19, v18 row_shr:2 row_mask:0xf bank_mask:0xf
	s_delay_alu instid0(VALU_DEP_2)
	v_mov_b32_dpp v18, v14 row_shr:2 row_mask:0xf bank_mask:0xf
	s_mov_b32 s1, exec_lo
	v_cmpx_lt_u32_e32 1, v17
; %bb.110:
	s_delay_alu instid0(VALU_DEP_3) | instskip(SKIP_1) | instid1(VALU_DEP_2)
	v_add_co_u32 v13, vcc_lo, v13, v19
	v_add_co_ci_u32_e32 v14, vcc_lo, 0, v14, vcc_lo
	v_add_co_u32 v13, vcc_lo, v13, 0
	s_delay_alu instid0(VALU_DEP_2)
	v_add_co_ci_u32_e32 v14, vcc_lo, v14, v18, vcc_lo
; %bb.111:
	s_or_b32 exec_lo, exec_lo, s1
	ds_store_b64 v16, v[13:14]
.LBB540_112:
	s_or_b32 exec_lo, exec_lo, s0
	v_mov_b32_e32 v17, 0
	v_mov_b32_e32 v18, 0
	s_mov_b32 s0, exec_lo
	s_waitcnt lgkmcnt(0)
	s_barrier
	buffer_gl0_inv
	v_cmpx_lt_u32_e32 31, v0
	s_cbranch_execz .LBB540_114
; %bb.113:
	v_lshl_add_u32 v13, v15, 3, -8
	ds_load_b64 v[17:18], v13
.LBB540_114:
	s_or_b32 exec_lo, exec_lo, s0
	v_dual_mov_b32 v16, 0 :: v_dual_add_nc_u32 v13, -1, v42
	s_delay_alu instid0(VALU_DEP_1) | instskip(SKIP_4) | instid1(VALU_DEP_3)
	v_cmp_gt_i32_e32 vcc_lo, 0, v13
	v_cndmask_b32_e32 v13, v13, v42, vcc_lo
	s_waitcnt lgkmcnt(0)
	v_add_co_u32 v14, vcc_lo, v17, v21
	v_add_co_ci_u32_e32 v15, vcc_lo, v18, v22, vcc_lo
	v_lshlrev_b32_e32 v13, 2, v13
	ds_bpermute_b32 v19, v13, v14
	ds_bpermute_b32 v20, v13, v15
	ds_load_b64 v[13:14], v16 offset:24
	s_and_saveexec_b32 s0, s2
	s_cbranch_execz .LBB540_116
; %bb.115:
	s_add_u32 s4, s22, 0x200
	s_addc_u32 s5, s23, 0
	s_delay_alu instid0(SALU_CYCLE_1)
	v_dual_mov_b32 v15, 2 :: v_dual_mov_b32 v22, s5
	v_mov_b32_e32 v21, s4
	s_waitcnt lgkmcnt(0)
	;;#ASMSTART
	global_store_dwordx4 v[21:22], v[13:16] off	
s_waitcnt vmcnt(0)
	;;#ASMEND
.LBB540_116:
	s_or_b32 exec_lo, exec_lo, s0
	v_cmp_eq_u32_e32 vcc_lo, 0, v42
	s_waitcnt lgkmcnt(0)
	s_barrier
	buffer_gl0_inv
	v_dual_cndmask_b32 v15, v19, v17 :: v_dual_cndmask_b32 v16, v20, v18
	s_delay_alu instid0(VALU_DEP_1) | instskip(NEXT) | instid1(VALU_DEP_2)
	v_cndmask_b32_e64 v29, v15, 0, s2
	v_cndmask_b32_e64 v30, v16, 0, s2
	v_mov_b32_e32 v15, 0
	v_mov_b32_e32 v16, 0
	s_delay_alu instid0(VALU_DEP_4) | instskip(NEXT) | instid1(VALU_DEP_4)
	v_add_co_u32 v27, vcc_lo, v29, v41
	v_add_co_ci_u32_e32 v28, vcc_lo, 0, v30, vcc_lo
	s_delay_alu instid0(VALU_DEP_2) | instskip(NEXT) | instid1(VALU_DEP_2)
	v_add_co_u32 v25, vcc_lo, v27, v40
	v_add_co_ci_u32_e32 v26, vcc_lo, 0, v28, vcc_lo
	s_delay_alu instid0(VALU_DEP_2) | instskip(NEXT) | instid1(VALU_DEP_2)
	;; [unrolled: 3-line block ×4, first 2 shown]
	v_add_co_u32 v17, vcc_lo, v19, v37
	v_add_co_ci_u32_e32 v18, vcc_lo, 0, v20, vcc_lo
	v_cmp_gt_u64_e32 vcc_lo, 0x81, v[13:14]
	s_mov_b32 s0, -1
	s_cbranch_vccz .LBB540_90
.LBB540_117:
	v_add_co_u32 v21, vcc_lo, v15, v13
	v_add_co_ci_u32_e32 v22, vcc_lo, v16, v14, vcc_lo
	s_delay_alu instid0(VALU_DEP_1) | instskip(SKIP_1) | instid1(SALU_CYCLE_1)
	v_cmp_lt_u64_e32 vcc_lo, v[29:30], v[21:22]
	s_or_b32 s1, s26, vcc_lo
	s_and_saveexec_b32 s0, s1
	s_cbranch_execz .LBB540_120
; %bb.118:
	v_and_b32_e32 v37, 1, v36
	s_delay_alu instid0(VALU_DEP_1)
	v_cmp_eq_u32_e32 vcc_lo, 1, v37
	s_and_b32 exec_lo, exec_lo, vcc_lo
	s_cbranch_execz .LBB540_120
; %bb.119:
	v_lshlrev_b64 v[37:38], 3, v[29:30]
	s_lshl_b64 s[4:5], s[14:15], 3
	s_delay_alu instid0(SALU_CYCLE_1) | instskip(SKIP_1) | instid1(VALU_DEP_1)
	s_add_u32 s1, s20, s4
	s_addc_u32 s3, s21, s5
	v_add_co_u32 v37, vcc_lo, s1, v37
	s_delay_alu instid0(VALU_DEP_2)
	v_add_co_ci_u32_e32 v38, vcc_lo, s3, v38, vcc_lo
	global_store_b64 v[37:38], v[9:10], off
.LBB540_120:
	s_or_b32 exec_lo, exec_lo, s0
	v_cmp_lt_u64_e32 vcc_lo, v[27:28], v[21:22]
	s_or_b32 s1, s26, vcc_lo
	s_delay_alu instid0(SALU_CYCLE_1)
	s_and_saveexec_b32 s0, s1
	s_cbranch_execz .LBB540_123
; %bb.121:
	v_and_b32_e32 v30, 1, v34
	s_delay_alu instid0(VALU_DEP_1)
	v_cmp_eq_u32_e32 vcc_lo, 1, v30
	s_and_b32 exec_lo, exec_lo, vcc_lo
	s_cbranch_execz .LBB540_123
; %bb.122:
	v_lshlrev_b64 v[37:38], 3, v[27:28]
	s_lshl_b64 s[4:5], s[14:15], 3
	s_delay_alu instid0(SALU_CYCLE_1) | instskip(SKIP_1) | instid1(VALU_DEP_1)
	s_add_u32 s1, s20, s4
	s_addc_u32 s3, s21, s5
	v_add_co_u32 v37, vcc_lo, s1, v37
	s_delay_alu instid0(VALU_DEP_2)
	v_add_co_ci_u32_e32 v38, vcc_lo, s3, v38, vcc_lo
	global_store_b64 v[37:38], v[11:12], off
.LBB540_123:
	s_or_b32 exec_lo, exec_lo, s0
	v_cmp_lt_u64_e32 vcc_lo, v[25:26], v[21:22]
	s_or_b32 s1, s26, vcc_lo
	s_delay_alu instid0(SALU_CYCLE_1)
	;; [unrolled: 23-line block ×5, first 2 shown]
	s_and_saveexec_b32 s0, s1
	s_cbranch_execz .LBB540_135
; %bb.133:
	v_and_b32_e32 v20, 1, v32
	s_delay_alu instid0(VALU_DEP_1)
	v_cmp_eq_u32_e32 vcc_lo, 1, v20
	s_and_b32 exec_lo, exec_lo, vcc_lo
	s_cbranch_execz .LBB540_135
; %bb.134:
	v_lshlrev_b64 v[20:21], 3, v[17:18]
	s_lshl_b64 s[4:5], s[14:15], 3
	s_delay_alu instid0(SALU_CYCLE_1) | instskip(SKIP_1) | instid1(VALU_DEP_1)
	s_add_u32 s1, s20, s4
	s_addc_u32 s3, s21, s5
	v_add_co_u32 v20, vcc_lo, s1, v20
	s_delay_alu instid0(VALU_DEP_2)
	v_add_co_ci_u32_e32 v21, vcc_lo, s3, v21, vcc_lo
	global_store_b64 v[20:21], v[3:4], off
.LBB540_135:
	s_or_b32 exec_lo, exec_lo, s0
	s_branch .LBB540_91
.LBB540_136:
	v_and_b32_e32 v18, 1, v36
	s_mov_b32 s0, exec_lo
	s_delay_alu instid0(VALU_DEP_1)
	v_cmpx_eq_u32_e32 1, v18
	s_cbranch_execz .LBB540_138
; %bb.137:
	v_sub_nc_u32_e32 v18, v29, v15
	s_delay_alu instid0(VALU_DEP_1)
	v_lshlrev_b32_e32 v18, 3, v18
	ds_store_b64 v18, v[9:10]
.LBB540_138:
	s_or_b32 exec_lo, exec_lo, s0
	v_and_b32_e32 v9, 1, v34
	s_mov_b32 s0, exec_lo
	s_delay_alu instid0(VALU_DEP_1)
	v_cmpx_eq_u32_e32 1, v9
	s_cbranch_execz .LBB540_140
; %bb.139:
	v_sub_nc_u32_e32 v9, v27, v15
	s_delay_alu instid0(VALU_DEP_1)
	v_lshlrev_b32_e32 v9, 3, v9
	ds_store_b64 v9, v[11:12]
.LBB540_140:
	s_or_b32 exec_lo, exec_lo, s0
	;; [unrolled: 12-line block ×6, first 2 shown]
	v_mov_b32_e32 v1, 0
	s_mov_b32 s1, exec_lo
	s_waitcnt lgkmcnt(0)
	s_waitcnt_vscnt null, 0x0
	s_barrier
	buffer_gl0_inv
	v_cmpx_gt_u64_e64 v[13:14], v[0:1]
	s_cbranch_execz .LBB540_151
; %bb.149:
	v_lshlrev_b64 v[4:5], 3, v[15:16]
	s_lshl_b64 s[4:5], s[14:15], 3
	v_dual_mov_b32 v3, v1 :: v_dual_mov_b32 v2, v0
	v_or_b32_e32 v0, 0x80, v0
	s_mov_b32 s3, 0
	s_delay_alu instid0(VALU_DEP_3) | instskip(SKIP_1) | instid1(VALU_DEP_2)
	v_add_co_u32 v4, vcc_lo, s20, v4
	v_add_co_ci_u32_e32 v5, vcc_lo, s21, v5, vcc_lo
	v_add_co_u32 v4, vcc_lo, v4, s4
	s_delay_alu instid0(VALU_DEP_2)
	v_add_co_ci_u32_e32 v5, vcc_lo, s5, v5, vcc_lo
	.p2align	6
.LBB540_150:                            ; =>This Inner Loop Header: Depth=1
	v_lshlrev_b32_e32 v6, 3, v2
	v_lshlrev_b64 v[8:9], 3, v[2:3]
	v_mov_b32_e32 v3, v1
	v_cmp_le_u64_e32 vcc_lo, v[13:14], v[0:1]
	v_mov_b32_e32 v2, v0
	ds_load_b64 v[6:7], v6
	v_add_nc_u32_e32 v0, 0x80, v0
	v_add_co_u32 v8, s0, v4, v8
	s_delay_alu instid0(VALU_DEP_1)
	v_add_co_ci_u32_e64 v9, s0, v5, v9, s0
	s_or_b32 s3, vcc_lo, s3
	s_waitcnt lgkmcnt(0)
	global_store_b64 v[8:9], v[6:7], off
	s_and_not1_b32 exec_lo, exec_lo, s3
	s_cbranch_execnz .LBB540_150
.LBB540_151:
	s_or_b32 exec_lo, exec_lo, s1
	s_and_b32 s0, s2, s25
	s_delay_alu instid0(SALU_CYCLE_1)
	s_and_saveexec_b32 s1, s0
	s_cbranch_execz .LBB540_92
.LBB540_152:
	v_add_co_u32 v0, vcc_lo, v15, v13
	v_add_co_ci_u32_e32 v1, vcc_lo, v16, v14, vcc_lo
	v_mov_b32_e32 v2, 0
	s_delay_alu instid0(VALU_DEP_3) | instskip(NEXT) | instid1(VALU_DEP_3)
	v_add_co_u32 v0, vcc_lo, v0, s14
	v_add_co_ci_u32_e32 v1, vcc_lo, s15, v1, vcc_lo
	global_store_b64 v2, v[0:1], s[12:13]
	s_nop 0
	s_sendmsg sendmsg(MSG_DEALLOC_VGPRS)
	s_endpgm
	.section	.rodata,"a",@progbits
	.p2align	6, 0x0
	.amdhsa_kernel _ZN7rocprim17ROCPRIM_400000_NS6detail17trampoline_kernelINS0_14default_configENS1_25partition_config_selectorILNS1_17partition_subalgoE5ElNS0_10empty_typeEbEEZZNS1_14partition_implILS5_5ELb0ES3_mN6hipcub16HIPCUB_304000_NS21CountingInputIteratorIllEEPS6_NSA_22TransformInputIteratorIbN2at6native12_GLOBAL__N_19NonZeroOpIN3c107complexIdEEEEPKSL_lEENS0_5tupleIJPlS6_EEENSQ_IJSD_SD_EEES6_PiJS6_EEE10hipError_tPvRmT3_T4_T5_T6_T7_T9_mT8_P12ihipStream_tbDpT10_ENKUlT_T0_E_clISt17integral_constantIbLb1EES1E_EEDaS19_S1A_EUlS19_E_NS1_11comp_targetILNS1_3genE9ELNS1_11target_archE1100ELNS1_3gpuE3ELNS1_3repE0EEENS1_30default_config_static_selectorELNS0_4arch9wavefront6targetE0EEEvT1_
		.amdhsa_group_segment_fixed_size 6160
		.amdhsa_private_segment_fixed_size 0
		.amdhsa_kernarg_size 136
		.amdhsa_user_sgpr_count 15
		.amdhsa_user_sgpr_dispatch_ptr 0
		.amdhsa_user_sgpr_queue_ptr 0
		.amdhsa_user_sgpr_kernarg_segment_ptr 1
		.amdhsa_user_sgpr_dispatch_id 0
		.amdhsa_user_sgpr_private_segment_size 0
		.amdhsa_wavefront_size32 1
		.amdhsa_uses_dynamic_stack 0
		.amdhsa_enable_private_segment 0
		.amdhsa_system_sgpr_workgroup_id_x 1
		.amdhsa_system_sgpr_workgroup_id_y 0
		.amdhsa_system_sgpr_workgroup_id_z 0
		.amdhsa_system_sgpr_workgroup_info 0
		.amdhsa_system_vgpr_workitem_id 0
		.amdhsa_next_free_vgpr 57
		.amdhsa_next_free_sgpr 29
		.amdhsa_reserve_vcc 1
		.amdhsa_float_round_mode_32 0
		.amdhsa_float_round_mode_16_64 0
		.amdhsa_float_denorm_mode_32 3
		.amdhsa_float_denorm_mode_16_64 3
		.amdhsa_dx10_clamp 1
		.amdhsa_ieee_mode 1
		.amdhsa_fp16_overflow 0
		.amdhsa_workgroup_processor_mode 1
		.amdhsa_memory_ordered 1
		.amdhsa_forward_progress 0
		.amdhsa_shared_vgpr_count 0
		.amdhsa_exception_fp_ieee_invalid_op 0
		.amdhsa_exception_fp_denorm_src 0
		.amdhsa_exception_fp_ieee_div_zero 0
		.amdhsa_exception_fp_ieee_overflow 0
		.amdhsa_exception_fp_ieee_underflow 0
		.amdhsa_exception_fp_ieee_inexact 0
		.amdhsa_exception_int_div_zero 0
	.end_amdhsa_kernel
	.section	.text._ZN7rocprim17ROCPRIM_400000_NS6detail17trampoline_kernelINS0_14default_configENS1_25partition_config_selectorILNS1_17partition_subalgoE5ElNS0_10empty_typeEbEEZZNS1_14partition_implILS5_5ELb0ES3_mN6hipcub16HIPCUB_304000_NS21CountingInputIteratorIllEEPS6_NSA_22TransformInputIteratorIbN2at6native12_GLOBAL__N_19NonZeroOpIN3c107complexIdEEEEPKSL_lEENS0_5tupleIJPlS6_EEENSQ_IJSD_SD_EEES6_PiJS6_EEE10hipError_tPvRmT3_T4_T5_T6_T7_T9_mT8_P12ihipStream_tbDpT10_ENKUlT_T0_E_clISt17integral_constantIbLb1EES1E_EEDaS19_S1A_EUlS19_E_NS1_11comp_targetILNS1_3genE9ELNS1_11target_archE1100ELNS1_3gpuE3ELNS1_3repE0EEENS1_30default_config_static_selectorELNS0_4arch9wavefront6targetE0EEEvT1_,"axG",@progbits,_ZN7rocprim17ROCPRIM_400000_NS6detail17trampoline_kernelINS0_14default_configENS1_25partition_config_selectorILNS1_17partition_subalgoE5ElNS0_10empty_typeEbEEZZNS1_14partition_implILS5_5ELb0ES3_mN6hipcub16HIPCUB_304000_NS21CountingInputIteratorIllEEPS6_NSA_22TransformInputIteratorIbN2at6native12_GLOBAL__N_19NonZeroOpIN3c107complexIdEEEEPKSL_lEENS0_5tupleIJPlS6_EEENSQ_IJSD_SD_EEES6_PiJS6_EEE10hipError_tPvRmT3_T4_T5_T6_T7_T9_mT8_P12ihipStream_tbDpT10_ENKUlT_T0_E_clISt17integral_constantIbLb1EES1E_EEDaS19_S1A_EUlS19_E_NS1_11comp_targetILNS1_3genE9ELNS1_11target_archE1100ELNS1_3gpuE3ELNS1_3repE0EEENS1_30default_config_static_selectorELNS0_4arch9wavefront6targetE0EEEvT1_,comdat
.Lfunc_end540:
	.size	_ZN7rocprim17ROCPRIM_400000_NS6detail17trampoline_kernelINS0_14default_configENS1_25partition_config_selectorILNS1_17partition_subalgoE5ElNS0_10empty_typeEbEEZZNS1_14partition_implILS5_5ELb0ES3_mN6hipcub16HIPCUB_304000_NS21CountingInputIteratorIllEEPS6_NSA_22TransformInputIteratorIbN2at6native12_GLOBAL__N_19NonZeroOpIN3c107complexIdEEEEPKSL_lEENS0_5tupleIJPlS6_EEENSQ_IJSD_SD_EEES6_PiJS6_EEE10hipError_tPvRmT3_T4_T5_T6_T7_T9_mT8_P12ihipStream_tbDpT10_ENKUlT_T0_E_clISt17integral_constantIbLb1EES1E_EEDaS19_S1A_EUlS19_E_NS1_11comp_targetILNS1_3genE9ELNS1_11target_archE1100ELNS1_3gpuE3ELNS1_3repE0EEENS1_30default_config_static_selectorELNS0_4arch9wavefront6targetE0EEEvT1_, .Lfunc_end540-_ZN7rocprim17ROCPRIM_400000_NS6detail17trampoline_kernelINS0_14default_configENS1_25partition_config_selectorILNS1_17partition_subalgoE5ElNS0_10empty_typeEbEEZZNS1_14partition_implILS5_5ELb0ES3_mN6hipcub16HIPCUB_304000_NS21CountingInputIteratorIllEEPS6_NSA_22TransformInputIteratorIbN2at6native12_GLOBAL__N_19NonZeroOpIN3c107complexIdEEEEPKSL_lEENS0_5tupleIJPlS6_EEENSQ_IJSD_SD_EEES6_PiJS6_EEE10hipError_tPvRmT3_T4_T5_T6_T7_T9_mT8_P12ihipStream_tbDpT10_ENKUlT_T0_E_clISt17integral_constantIbLb1EES1E_EEDaS19_S1A_EUlS19_E_NS1_11comp_targetILNS1_3genE9ELNS1_11target_archE1100ELNS1_3gpuE3ELNS1_3repE0EEENS1_30default_config_static_selectorELNS0_4arch9wavefront6targetE0EEEvT1_
                                        ; -- End function
	.section	.AMDGPU.csdata,"",@progbits
; Kernel info:
; codeLenInByte = 6884
; NumSgprs: 31
; NumVgprs: 57
; ScratchSize: 0
; MemoryBound: 0
; FloatMode: 240
; IeeeMode: 1
; LDSByteSize: 6160 bytes/workgroup (compile time only)
; SGPRBlocks: 3
; VGPRBlocks: 7
; NumSGPRsForWavesPerEU: 31
; NumVGPRsForWavesPerEU: 57
; Occupancy: 16
; WaveLimiterHint : 1
; COMPUTE_PGM_RSRC2:SCRATCH_EN: 0
; COMPUTE_PGM_RSRC2:USER_SGPR: 15
; COMPUTE_PGM_RSRC2:TRAP_HANDLER: 0
; COMPUTE_PGM_RSRC2:TGID_X_EN: 1
; COMPUTE_PGM_RSRC2:TGID_Y_EN: 0
; COMPUTE_PGM_RSRC2:TGID_Z_EN: 0
; COMPUTE_PGM_RSRC2:TIDIG_COMP_CNT: 0
	.section	.text._ZN7rocprim17ROCPRIM_400000_NS6detail17trampoline_kernelINS0_14default_configENS1_25partition_config_selectorILNS1_17partition_subalgoE5ElNS0_10empty_typeEbEEZZNS1_14partition_implILS5_5ELb0ES3_mN6hipcub16HIPCUB_304000_NS21CountingInputIteratorIllEEPS6_NSA_22TransformInputIteratorIbN2at6native12_GLOBAL__N_19NonZeroOpIN3c107complexIdEEEEPKSL_lEENS0_5tupleIJPlS6_EEENSQ_IJSD_SD_EEES6_PiJS6_EEE10hipError_tPvRmT3_T4_T5_T6_T7_T9_mT8_P12ihipStream_tbDpT10_ENKUlT_T0_E_clISt17integral_constantIbLb1EES1E_EEDaS19_S1A_EUlS19_E_NS1_11comp_targetILNS1_3genE8ELNS1_11target_archE1030ELNS1_3gpuE2ELNS1_3repE0EEENS1_30default_config_static_selectorELNS0_4arch9wavefront6targetE0EEEvT1_,"axG",@progbits,_ZN7rocprim17ROCPRIM_400000_NS6detail17trampoline_kernelINS0_14default_configENS1_25partition_config_selectorILNS1_17partition_subalgoE5ElNS0_10empty_typeEbEEZZNS1_14partition_implILS5_5ELb0ES3_mN6hipcub16HIPCUB_304000_NS21CountingInputIteratorIllEEPS6_NSA_22TransformInputIteratorIbN2at6native12_GLOBAL__N_19NonZeroOpIN3c107complexIdEEEEPKSL_lEENS0_5tupleIJPlS6_EEENSQ_IJSD_SD_EEES6_PiJS6_EEE10hipError_tPvRmT3_T4_T5_T6_T7_T9_mT8_P12ihipStream_tbDpT10_ENKUlT_T0_E_clISt17integral_constantIbLb1EES1E_EEDaS19_S1A_EUlS19_E_NS1_11comp_targetILNS1_3genE8ELNS1_11target_archE1030ELNS1_3gpuE2ELNS1_3repE0EEENS1_30default_config_static_selectorELNS0_4arch9wavefront6targetE0EEEvT1_,comdat
	.globl	_ZN7rocprim17ROCPRIM_400000_NS6detail17trampoline_kernelINS0_14default_configENS1_25partition_config_selectorILNS1_17partition_subalgoE5ElNS0_10empty_typeEbEEZZNS1_14partition_implILS5_5ELb0ES3_mN6hipcub16HIPCUB_304000_NS21CountingInputIteratorIllEEPS6_NSA_22TransformInputIteratorIbN2at6native12_GLOBAL__N_19NonZeroOpIN3c107complexIdEEEEPKSL_lEENS0_5tupleIJPlS6_EEENSQ_IJSD_SD_EEES6_PiJS6_EEE10hipError_tPvRmT3_T4_T5_T6_T7_T9_mT8_P12ihipStream_tbDpT10_ENKUlT_T0_E_clISt17integral_constantIbLb1EES1E_EEDaS19_S1A_EUlS19_E_NS1_11comp_targetILNS1_3genE8ELNS1_11target_archE1030ELNS1_3gpuE2ELNS1_3repE0EEENS1_30default_config_static_selectorELNS0_4arch9wavefront6targetE0EEEvT1_ ; -- Begin function _ZN7rocprim17ROCPRIM_400000_NS6detail17trampoline_kernelINS0_14default_configENS1_25partition_config_selectorILNS1_17partition_subalgoE5ElNS0_10empty_typeEbEEZZNS1_14partition_implILS5_5ELb0ES3_mN6hipcub16HIPCUB_304000_NS21CountingInputIteratorIllEEPS6_NSA_22TransformInputIteratorIbN2at6native12_GLOBAL__N_19NonZeroOpIN3c107complexIdEEEEPKSL_lEENS0_5tupleIJPlS6_EEENSQ_IJSD_SD_EEES6_PiJS6_EEE10hipError_tPvRmT3_T4_T5_T6_T7_T9_mT8_P12ihipStream_tbDpT10_ENKUlT_T0_E_clISt17integral_constantIbLb1EES1E_EEDaS19_S1A_EUlS19_E_NS1_11comp_targetILNS1_3genE8ELNS1_11target_archE1030ELNS1_3gpuE2ELNS1_3repE0EEENS1_30default_config_static_selectorELNS0_4arch9wavefront6targetE0EEEvT1_
	.p2align	8
	.type	_ZN7rocprim17ROCPRIM_400000_NS6detail17trampoline_kernelINS0_14default_configENS1_25partition_config_selectorILNS1_17partition_subalgoE5ElNS0_10empty_typeEbEEZZNS1_14partition_implILS5_5ELb0ES3_mN6hipcub16HIPCUB_304000_NS21CountingInputIteratorIllEEPS6_NSA_22TransformInputIteratorIbN2at6native12_GLOBAL__N_19NonZeroOpIN3c107complexIdEEEEPKSL_lEENS0_5tupleIJPlS6_EEENSQ_IJSD_SD_EEES6_PiJS6_EEE10hipError_tPvRmT3_T4_T5_T6_T7_T9_mT8_P12ihipStream_tbDpT10_ENKUlT_T0_E_clISt17integral_constantIbLb1EES1E_EEDaS19_S1A_EUlS19_E_NS1_11comp_targetILNS1_3genE8ELNS1_11target_archE1030ELNS1_3gpuE2ELNS1_3repE0EEENS1_30default_config_static_selectorELNS0_4arch9wavefront6targetE0EEEvT1_,@function
_ZN7rocprim17ROCPRIM_400000_NS6detail17trampoline_kernelINS0_14default_configENS1_25partition_config_selectorILNS1_17partition_subalgoE5ElNS0_10empty_typeEbEEZZNS1_14partition_implILS5_5ELb0ES3_mN6hipcub16HIPCUB_304000_NS21CountingInputIteratorIllEEPS6_NSA_22TransformInputIteratorIbN2at6native12_GLOBAL__N_19NonZeroOpIN3c107complexIdEEEEPKSL_lEENS0_5tupleIJPlS6_EEENSQ_IJSD_SD_EEES6_PiJS6_EEE10hipError_tPvRmT3_T4_T5_T6_T7_T9_mT8_P12ihipStream_tbDpT10_ENKUlT_T0_E_clISt17integral_constantIbLb1EES1E_EEDaS19_S1A_EUlS19_E_NS1_11comp_targetILNS1_3genE8ELNS1_11target_archE1030ELNS1_3gpuE2ELNS1_3repE0EEENS1_30default_config_static_selectorELNS0_4arch9wavefront6targetE0EEEvT1_: ; @_ZN7rocprim17ROCPRIM_400000_NS6detail17trampoline_kernelINS0_14default_configENS1_25partition_config_selectorILNS1_17partition_subalgoE5ElNS0_10empty_typeEbEEZZNS1_14partition_implILS5_5ELb0ES3_mN6hipcub16HIPCUB_304000_NS21CountingInputIteratorIllEEPS6_NSA_22TransformInputIteratorIbN2at6native12_GLOBAL__N_19NonZeroOpIN3c107complexIdEEEEPKSL_lEENS0_5tupleIJPlS6_EEENSQ_IJSD_SD_EEES6_PiJS6_EEE10hipError_tPvRmT3_T4_T5_T6_T7_T9_mT8_P12ihipStream_tbDpT10_ENKUlT_T0_E_clISt17integral_constantIbLb1EES1E_EEDaS19_S1A_EUlS19_E_NS1_11comp_targetILNS1_3genE8ELNS1_11target_archE1030ELNS1_3gpuE2ELNS1_3repE0EEENS1_30default_config_static_selectorELNS0_4arch9wavefront6targetE0EEEvT1_
; %bb.0:
	.section	.rodata,"a",@progbits
	.p2align	6, 0x0
	.amdhsa_kernel _ZN7rocprim17ROCPRIM_400000_NS6detail17trampoline_kernelINS0_14default_configENS1_25partition_config_selectorILNS1_17partition_subalgoE5ElNS0_10empty_typeEbEEZZNS1_14partition_implILS5_5ELb0ES3_mN6hipcub16HIPCUB_304000_NS21CountingInputIteratorIllEEPS6_NSA_22TransformInputIteratorIbN2at6native12_GLOBAL__N_19NonZeroOpIN3c107complexIdEEEEPKSL_lEENS0_5tupleIJPlS6_EEENSQ_IJSD_SD_EEES6_PiJS6_EEE10hipError_tPvRmT3_T4_T5_T6_T7_T9_mT8_P12ihipStream_tbDpT10_ENKUlT_T0_E_clISt17integral_constantIbLb1EES1E_EEDaS19_S1A_EUlS19_E_NS1_11comp_targetILNS1_3genE8ELNS1_11target_archE1030ELNS1_3gpuE2ELNS1_3repE0EEENS1_30default_config_static_selectorELNS0_4arch9wavefront6targetE0EEEvT1_
		.amdhsa_group_segment_fixed_size 0
		.amdhsa_private_segment_fixed_size 0
		.amdhsa_kernarg_size 136
		.amdhsa_user_sgpr_count 15
		.amdhsa_user_sgpr_dispatch_ptr 0
		.amdhsa_user_sgpr_queue_ptr 0
		.amdhsa_user_sgpr_kernarg_segment_ptr 1
		.amdhsa_user_sgpr_dispatch_id 0
		.amdhsa_user_sgpr_private_segment_size 0
		.amdhsa_wavefront_size32 1
		.amdhsa_uses_dynamic_stack 0
		.amdhsa_enable_private_segment 0
		.amdhsa_system_sgpr_workgroup_id_x 1
		.amdhsa_system_sgpr_workgroup_id_y 0
		.amdhsa_system_sgpr_workgroup_id_z 0
		.amdhsa_system_sgpr_workgroup_info 0
		.amdhsa_system_vgpr_workitem_id 0
		.amdhsa_next_free_vgpr 1
		.amdhsa_next_free_sgpr 1
		.amdhsa_reserve_vcc 0
		.amdhsa_float_round_mode_32 0
		.amdhsa_float_round_mode_16_64 0
		.amdhsa_float_denorm_mode_32 3
		.amdhsa_float_denorm_mode_16_64 3
		.amdhsa_dx10_clamp 1
		.amdhsa_ieee_mode 1
		.amdhsa_fp16_overflow 0
		.amdhsa_workgroup_processor_mode 1
		.amdhsa_memory_ordered 1
		.amdhsa_forward_progress 0
		.amdhsa_shared_vgpr_count 0
		.amdhsa_exception_fp_ieee_invalid_op 0
		.amdhsa_exception_fp_denorm_src 0
		.amdhsa_exception_fp_ieee_div_zero 0
		.amdhsa_exception_fp_ieee_overflow 0
		.amdhsa_exception_fp_ieee_underflow 0
		.amdhsa_exception_fp_ieee_inexact 0
		.amdhsa_exception_int_div_zero 0
	.end_amdhsa_kernel
	.section	.text._ZN7rocprim17ROCPRIM_400000_NS6detail17trampoline_kernelINS0_14default_configENS1_25partition_config_selectorILNS1_17partition_subalgoE5ElNS0_10empty_typeEbEEZZNS1_14partition_implILS5_5ELb0ES3_mN6hipcub16HIPCUB_304000_NS21CountingInputIteratorIllEEPS6_NSA_22TransformInputIteratorIbN2at6native12_GLOBAL__N_19NonZeroOpIN3c107complexIdEEEEPKSL_lEENS0_5tupleIJPlS6_EEENSQ_IJSD_SD_EEES6_PiJS6_EEE10hipError_tPvRmT3_T4_T5_T6_T7_T9_mT8_P12ihipStream_tbDpT10_ENKUlT_T0_E_clISt17integral_constantIbLb1EES1E_EEDaS19_S1A_EUlS19_E_NS1_11comp_targetILNS1_3genE8ELNS1_11target_archE1030ELNS1_3gpuE2ELNS1_3repE0EEENS1_30default_config_static_selectorELNS0_4arch9wavefront6targetE0EEEvT1_,"axG",@progbits,_ZN7rocprim17ROCPRIM_400000_NS6detail17trampoline_kernelINS0_14default_configENS1_25partition_config_selectorILNS1_17partition_subalgoE5ElNS0_10empty_typeEbEEZZNS1_14partition_implILS5_5ELb0ES3_mN6hipcub16HIPCUB_304000_NS21CountingInputIteratorIllEEPS6_NSA_22TransformInputIteratorIbN2at6native12_GLOBAL__N_19NonZeroOpIN3c107complexIdEEEEPKSL_lEENS0_5tupleIJPlS6_EEENSQ_IJSD_SD_EEES6_PiJS6_EEE10hipError_tPvRmT3_T4_T5_T6_T7_T9_mT8_P12ihipStream_tbDpT10_ENKUlT_T0_E_clISt17integral_constantIbLb1EES1E_EEDaS19_S1A_EUlS19_E_NS1_11comp_targetILNS1_3genE8ELNS1_11target_archE1030ELNS1_3gpuE2ELNS1_3repE0EEENS1_30default_config_static_selectorELNS0_4arch9wavefront6targetE0EEEvT1_,comdat
.Lfunc_end541:
	.size	_ZN7rocprim17ROCPRIM_400000_NS6detail17trampoline_kernelINS0_14default_configENS1_25partition_config_selectorILNS1_17partition_subalgoE5ElNS0_10empty_typeEbEEZZNS1_14partition_implILS5_5ELb0ES3_mN6hipcub16HIPCUB_304000_NS21CountingInputIteratorIllEEPS6_NSA_22TransformInputIteratorIbN2at6native12_GLOBAL__N_19NonZeroOpIN3c107complexIdEEEEPKSL_lEENS0_5tupleIJPlS6_EEENSQ_IJSD_SD_EEES6_PiJS6_EEE10hipError_tPvRmT3_T4_T5_T6_T7_T9_mT8_P12ihipStream_tbDpT10_ENKUlT_T0_E_clISt17integral_constantIbLb1EES1E_EEDaS19_S1A_EUlS19_E_NS1_11comp_targetILNS1_3genE8ELNS1_11target_archE1030ELNS1_3gpuE2ELNS1_3repE0EEENS1_30default_config_static_selectorELNS0_4arch9wavefront6targetE0EEEvT1_, .Lfunc_end541-_ZN7rocprim17ROCPRIM_400000_NS6detail17trampoline_kernelINS0_14default_configENS1_25partition_config_selectorILNS1_17partition_subalgoE5ElNS0_10empty_typeEbEEZZNS1_14partition_implILS5_5ELb0ES3_mN6hipcub16HIPCUB_304000_NS21CountingInputIteratorIllEEPS6_NSA_22TransformInputIteratorIbN2at6native12_GLOBAL__N_19NonZeroOpIN3c107complexIdEEEEPKSL_lEENS0_5tupleIJPlS6_EEENSQ_IJSD_SD_EEES6_PiJS6_EEE10hipError_tPvRmT3_T4_T5_T6_T7_T9_mT8_P12ihipStream_tbDpT10_ENKUlT_T0_E_clISt17integral_constantIbLb1EES1E_EEDaS19_S1A_EUlS19_E_NS1_11comp_targetILNS1_3genE8ELNS1_11target_archE1030ELNS1_3gpuE2ELNS1_3repE0EEENS1_30default_config_static_selectorELNS0_4arch9wavefront6targetE0EEEvT1_
                                        ; -- End function
	.section	.AMDGPU.csdata,"",@progbits
; Kernel info:
; codeLenInByte = 0
; NumSgprs: 0
; NumVgprs: 0
; ScratchSize: 0
; MemoryBound: 0
; FloatMode: 240
; IeeeMode: 1
; LDSByteSize: 0 bytes/workgroup (compile time only)
; SGPRBlocks: 0
; VGPRBlocks: 0
; NumSGPRsForWavesPerEU: 1
; NumVGPRsForWavesPerEU: 1
; Occupancy: 16
; WaveLimiterHint : 0
; COMPUTE_PGM_RSRC2:SCRATCH_EN: 0
; COMPUTE_PGM_RSRC2:USER_SGPR: 15
; COMPUTE_PGM_RSRC2:TRAP_HANDLER: 0
; COMPUTE_PGM_RSRC2:TGID_X_EN: 1
; COMPUTE_PGM_RSRC2:TGID_Y_EN: 0
; COMPUTE_PGM_RSRC2:TGID_Z_EN: 0
; COMPUTE_PGM_RSRC2:TIDIG_COMP_CNT: 0
	.section	.text._ZN7rocprim17ROCPRIM_400000_NS6detail17trampoline_kernelINS0_14default_configENS1_25partition_config_selectorILNS1_17partition_subalgoE5ElNS0_10empty_typeEbEEZZNS1_14partition_implILS5_5ELb0ES3_mN6hipcub16HIPCUB_304000_NS21CountingInputIteratorIllEEPS6_NSA_22TransformInputIteratorIbN2at6native12_GLOBAL__N_19NonZeroOpIN3c107complexIdEEEEPKSL_lEENS0_5tupleIJPlS6_EEENSQ_IJSD_SD_EEES6_PiJS6_EEE10hipError_tPvRmT3_T4_T5_T6_T7_T9_mT8_P12ihipStream_tbDpT10_ENKUlT_T0_E_clISt17integral_constantIbLb1EES1D_IbLb0EEEEDaS19_S1A_EUlS19_E_NS1_11comp_targetILNS1_3genE0ELNS1_11target_archE4294967295ELNS1_3gpuE0ELNS1_3repE0EEENS1_30default_config_static_selectorELNS0_4arch9wavefront6targetE0EEEvT1_,"axG",@progbits,_ZN7rocprim17ROCPRIM_400000_NS6detail17trampoline_kernelINS0_14default_configENS1_25partition_config_selectorILNS1_17partition_subalgoE5ElNS0_10empty_typeEbEEZZNS1_14partition_implILS5_5ELb0ES3_mN6hipcub16HIPCUB_304000_NS21CountingInputIteratorIllEEPS6_NSA_22TransformInputIteratorIbN2at6native12_GLOBAL__N_19NonZeroOpIN3c107complexIdEEEEPKSL_lEENS0_5tupleIJPlS6_EEENSQ_IJSD_SD_EEES6_PiJS6_EEE10hipError_tPvRmT3_T4_T5_T6_T7_T9_mT8_P12ihipStream_tbDpT10_ENKUlT_T0_E_clISt17integral_constantIbLb1EES1D_IbLb0EEEEDaS19_S1A_EUlS19_E_NS1_11comp_targetILNS1_3genE0ELNS1_11target_archE4294967295ELNS1_3gpuE0ELNS1_3repE0EEENS1_30default_config_static_selectorELNS0_4arch9wavefront6targetE0EEEvT1_,comdat
	.globl	_ZN7rocprim17ROCPRIM_400000_NS6detail17trampoline_kernelINS0_14default_configENS1_25partition_config_selectorILNS1_17partition_subalgoE5ElNS0_10empty_typeEbEEZZNS1_14partition_implILS5_5ELb0ES3_mN6hipcub16HIPCUB_304000_NS21CountingInputIteratorIllEEPS6_NSA_22TransformInputIteratorIbN2at6native12_GLOBAL__N_19NonZeroOpIN3c107complexIdEEEEPKSL_lEENS0_5tupleIJPlS6_EEENSQ_IJSD_SD_EEES6_PiJS6_EEE10hipError_tPvRmT3_T4_T5_T6_T7_T9_mT8_P12ihipStream_tbDpT10_ENKUlT_T0_E_clISt17integral_constantIbLb1EES1D_IbLb0EEEEDaS19_S1A_EUlS19_E_NS1_11comp_targetILNS1_3genE0ELNS1_11target_archE4294967295ELNS1_3gpuE0ELNS1_3repE0EEENS1_30default_config_static_selectorELNS0_4arch9wavefront6targetE0EEEvT1_ ; -- Begin function _ZN7rocprim17ROCPRIM_400000_NS6detail17trampoline_kernelINS0_14default_configENS1_25partition_config_selectorILNS1_17partition_subalgoE5ElNS0_10empty_typeEbEEZZNS1_14partition_implILS5_5ELb0ES3_mN6hipcub16HIPCUB_304000_NS21CountingInputIteratorIllEEPS6_NSA_22TransformInputIteratorIbN2at6native12_GLOBAL__N_19NonZeroOpIN3c107complexIdEEEEPKSL_lEENS0_5tupleIJPlS6_EEENSQ_IJSD_SD_EEES6_PiJS6_EEE10hipError_tPvRmT3_T4_T5_T6_T7_T9_mT8_P12ihipStream_tbDpT10_ENKUlT_T0_E_clISt17integral_constantIbLb1EES1D_IbLb0EEEEDaS19_S1A_EUlS19_E_NS1_11comp_targetILNS1_3genE0ELNS1_11target_archE4294967295ELNS1_3gpuE0ELNS1_3repE0EEENS1_30default_config_static_selectorELNS0_4arch9wavefront6targetE0EEEvT1_
	.p2align	8
	.type	_ZN7rocprim17ROCPRIM_400000_NS6detail17trampoline_kernelINS0_14default_configENS1_25partition_config_selectorILNS1_17partition_subalgoE5ElNS0_10empty_typeEbEEZZNS1_14partition_implILS5_5ELb0ES3_mN6hipcub16HIPCUB_304000_NS21CountingInputIteratorIllEEPS6_NSA_22TransformInputIteratorIbN2at6native12_GLOBAL__N_19NonZeroOpIN3c107complexIdEEEEPKSL_lEENS0_5tupleIJPlS6_EEENSQ_IJSD_SD_EEES6_PiJS6_EEE10hipError_tPvRmT3_T4_T5_T6_T7_T9_mT8_P12ihipStream_tbDpT10_ENKUlT_T0_E_clISt17integral_constantIbLb1EES1D_IbLb0EEEEDaS19_S1A_EUlS19_E_NS1_11comp_targetILNS1_3genE0ELNS1_11target_archE4294967295ELNS1_3gpuE0ELNS1_3repE0EEENS1_30default_config_static_selectorELNS0_4arch9wavefront6targetE0EEEvT1_,@function
_ZN7rocprim17ROCPRIM_400000_NS6detail17trampoline_kernelINS0_14default_configENS1_25partition_config_selectorILNS1_17partition_subalgoE5ElNS0_10empty_typeEbEEZZNS1_14partition_implILS5_5ELb0ES3_mN6hipcub16HIPCUB_304000_NS21CountingInputIteratorIllEEPS6_NSA_22TransformInputIteratorIbN2at6native12_GLOBAL__N_19NonZeroOpIN3c107complexIdEEEEPKSL_lEENS0_5tupleIJPlS6_EEENSQ_IJSD_SD_EEES6_PiJS6_EEE10hipError_tPvRmT3_T4_T5_T6_T7_T9_mT8_P12ihipStream_tbDpT10_ENKUlT_T0_E_clISt17integral_constantIbLb1EES1D_IbLb0EEEEDaS19_S1A_EUlS19_E_NS1_11comp_targetILNS1_3genE0ELNS1_11target_archE4294967295ELNS1_3gpuE0ELNS1_3repE0EEENS1_30default_config_static_selectorELNS0_4arch9wavefront6targetE0EEEvT1_: ; @_ZN7rocprim17ROCPRIM_400000_NS6detail17trampoline_kernelINS0_14default_configENS1_25partition_config_selectorILNS1_17partition_subalgoE5ElNS0_10empty_typeEbEEZZNS1_14partition_implILS5_5ELb0ES3_mN6hipcub16HIPCUB_304000_NS21CountingInputIteratorIllEEPS6_NSA_22TransformInputIteratorIbN2at6native12_GLOBAL__N_19NonZeroOpIN3c107complexIdEEEEPKSL_lEENS0_5tupleIJPlS6_EEENSQ_IJSD_SD_EEES6_PiJS6_EEE10hipError_tPvRmT3_T4_T5_T6_T7_T9_mT8_P12ihipStream_tbDpT10_ENKUlT_T0_E_clISt17integral_constantIbLb1EES1D_IbLb0EEEEDaS19_S1A_EUlS19_E_NS1_11comp_targetILNS1_3genE0ELNS1_11target_archE4294967295ELNS1_3gpuE0ELNS1_3repE0EEENS1_30default_config_static_selectorELNS0_4arch9wavefront6targetE0EEEvT1_
; %bb.0:
	.section	.rodata,"a",@progbits
	.p2align	6, 0x0
	.amdhsa_kernel _ZN7rocprim17ROCPRIM_400000_NS6detail17trampoline_kernelINS0_14default_configENS1_25partition_config_selectorILNS1_17partition_subalgoE5ElNS0_10empty_typeEbEEZZNS1_14partition_implILS5_5ELb0ES3_mN6hipcub16HIPCUB_304000_NS21CountingInputIteratorIllEEPS6_NSA_22TransformInputIteratorIbN2at6native12_GLOBAL__N_19NonZeroOpIN3c107complexIdEEEEPKSL_lEENS0_5tupleIJPlS6_EEENSQ_IJSD_SD_EEES6_PiJS6_EEE10hipError_tPvRmT3_T4_T5_T6_T7_T9_mT8_P12ihipStream_tbDpT10_ENKUlT_T0_E_clISt17integral_constantIbLb1EES1D_IbLb0EEEEDaS19_S1A_EUlS19_E_NS1_11comp_targetILNS1_3genE0ELNS1_11target_archE4294967295ELNS1_3gpuE0ELNS1_3repE0EEENS1_30default_config_static_selectorELNS0_4arch9wavefront6targetE0EEEvT1_
		.amdhsa_group_segment_fixed_size 0
		.amdhsa_private_segment_fixed_size 0
		.amdhsa_kernarg_size 120
		.amdhsa_user_sgpr_count 15
		.amdhsa_user_sgpr_dispatch_ptr 0
		.amdhsa_user_sgpr_queue_ptr 0
		.amdhsa_user_sgpr_kernarg_segment_ptr 1
		.amdhsa_user_sgpr_dispatch_id 0
		.amdhsa_user_sgpr_private_segment_size 0
		.amdhsa_wavefront_size32 1
		.amdhsa_uses_dynamic_stack 0
		.amdhsa_enable_private_segment 0
		.amdhsa_system_sgpr_workgroup_id_x 1
		.amdhsa_system_sgpr_workgroup_id_y 0
		.amdhsa_system_sgpr_workgroup_id_z 0
		.amdhsa_system_sgpr_workgroup_info 0
		.amdhsa_system_vgpr_workitem_id 0
		.amdhsa_next_free_vgpr 1
		.amdhsa_next_free_sgpr 1
		.amdhsa_reserve_vcc 0
		.amdhsa_float_round_mode_32 0
		.amdhsa_float_round_mode_16_64 0
		.amdhsa_float_denorm_mode_32 3
		.amdhsa_float_denorm_mode_16_64 3
		.amdhsa_dx10_clamp 1
		.amdhsa_ieee_mode 1
		.amdhsa_fp16_overflow 0
		.amdhsa_workgroup_processor_mode 1
		.amdhsa_memory_ordered 1
		.amdhsa_forward_progress 0
		.amdhsa_shared_vgpr_count 0
		.amdhsa_exception_fp_ieee_invalid_op 0
		.amdhsa_exception_fp_denorm_src 0
		.amdhsa_exception_fp_ieee_div_zero 0
		.amdhsa_exception_fp_ieee_overflow 0
		.amdhsa_exception_fp_ieee_underflow 0
		.amdhsa_exception_fp_ieee_inexact 0
		.amdhsa_exception_int_div_zero 0
	.end_amdhsa_kernel
	.section	.text._ZN7rocprim17ROCPRIM_400000_NS6detail17trampoline_kernelINS0_14default_configENS1_25partition_config_selectorILNS1_17partition_subalgoE5ElNS0_10empty_typeEbEEZZNS1_14partition_implILS5_5ELb0ES3_mN6hipcub16HIPCUB_304000_NS21CountingInputIteratorIllEEPS6_NSA_22TransformInputIteratorIbN2at6native12_GLOBAL__N_19NonZeroOpIN3c107complexIdEEEEPKSL_lEENS0_5tupleIJPlS6_EEENSQ_IJSD_SD_EEES6_PiJS6_EEE10hipError_tPvRmT3_T4_T5_T6_T7_T9_mT8_P12ihipStream_tbDpT10_ENKUlT_T0_E_clISt17integral_constantIbLb1EES1D_IbLb0EEEEDaS19_S1A_EUlS19_E_NS1_11comp_targetILNS1_3genE0ELNS1_11target_archE4294967295ELNS1_3gpuE0ELNS1_3repE0EEENS1_30default_config_static_selectorELNS0_4arch9wavefront6targetE0EEEvT1_,"axG",@progbits,_ZN7rocprim17ROCPRIM_400000_NS6detail17trampoline_kernelINS0_14default_configENS1_25partition_config_selectorILNS1_17partition_subalgoE5ElNS0_10empty_typeEbEEZZNS1_14partition_implILS5_5ELb0ES3_mN6hipcub16HIPCUB_304000_NS21CountingInputIteratorIllEEPS6_NSA_22TransformInputIteratorIbN2at6native12_GLOBAL__N_19NonZeroOpIN3c107complexIdEEEEPKSL_lEENS0_5tupleIJPlS6_EEENSQ_IJSD_SD_EEES6_PiJS6_EEE10hipError_tPvRmT3_T4_T5_T6_T7_T9_mT8_P12ihipStream_tbDpT10_ENKUlT_T0_E_clISt17integral_constantIbLb1EES1D_IbLb0EEEEDaS19_S1A_EUlS19_E_NS1_11comp_targetILNS1_3genE0ELNS1_11target_archE4294967295ELNS1_3gpuE0ELNS1_3repE0EEENS1_30default_config_static_selectorELNS0_4arch9wavefront6targetE0EEEvT1_,comdat
.Lfunc_end542:
	.size	_ZN7rocprim17ROCPRIM_400000_NS6detail17trampoline_kernelINS0_14default_configENS1_25partition_config_selectorILNS1_17partition_subalgoE5ElNS0_10empty_typeEbEEZZNS1_14partition_implILS5_5ELb0ES3_mN6hipcub16HIPCUB_304000_NS21CountingInputIteratorIllEEPS6_NSA_22TransformInputIteratorIbN2at6native12_GLOBAL__N_19NonZeroOpIN3c107complexIdEEEEPKSL_lEENS0_5tupleIJPlS6_EEENSQ_IJSD_SD_EEES6_PiJS6_EEE10hipError_tPvRmT3_T4_T5_T6_T7_T9_mT8_P12ihipStream_tbDpT10_ENKUlT_T0_E_clISt17integral_constantIbLb1EES1D_IbLb0EEEEDaS19_S1A_EUlS19_E_NS1_11comp_targetILNS1_3genE0ELNS1_11target_archE4294967295ELNS1_3gpuE0ELNS1_3repE0EEENS1_30default_config_static_selectorELNS0_4arch9wavefront6targetE0EEEvT1_, .Lfunc_end542-_ZN7rocprim17ROCPRIM_400000_NS6detail17trampoline_kernelINS0_14default_configENS1_25partition_config_selectorILNS1_17partition_subalgoE5ElNS0_10empty_typeEbEEZZNS1_14partition_implILS5_5ELb0ES3_mN6hipcub16HIPCUB_304000_NS21CountingInputIteratorIllEEPS6_NSA_22TransformInputIteratorIbN2at6native12_GLOBAL__N_19NonZeroOpIN3c107complexIdEEEEPKSL_lEENS0_5tupleIJPlS6_EEENSQ_IJSD_SD_EEES6_PiJS6_EEE10hipError_tPvRmT3_T4_T5_T6_T7_T9_mT8_P12ihipStream_tbDpT10_ENKUlT_T0_E_clISt17integral_constantIbLb1EES1D_IbLb0EEEEDaS19_S1A_EUlS19_E_NS1_11comp_targetILNS1_3genE0ELNS1_11target_archE4294967295ELNS1_3gpuE0ELNS1_3repE0EEENS1_30default_config_static_selectorELNS0_4arch9wavefront6targetE0EEEvT1_
                                        ; -- End function
	.section	.AMDGPU.csdata,"",@progbits
; Kernel info:
; codeLenInByte = 0
; NumSgprs: 0
; NumVgprs: 0
; ScratchSize: 0
; MemoryBound: 0
; FloatMode: 240
; IeeeMode: 1
; LDSByteSize: 0 bytes/workgroup (compile time only)
; SGPRBlocks: 0
; VGPRBlocks: 0
; NumSGPRsForWavesPerEU: 1
; NumVGPRsForWavesPerEU: 1
; Occupancy: 16
; WaveLimiterHint : 0
; COMPUTE_PGM_RSRC2:SCRATCH_EN: 0
; COMPUTE_PGM_RSRC2:USER_SGPR: 15
; COMPUTE_PGM_RSRC2:TRAP_HANDLER: 0
; COMPUTE_PGM_RSRC2:TGID_X_EN: 1
; COMPUTE_PGM_RSRC2:TGID_Y_EN: 0
; COMPUTE_PGM_RSRC2:TGID_Z_EN: 0
; COMPUTE_PGM_RSRC2:TIDIG_COMP_CNT: 0
	.section	.text._ZN7rocprim17ROCPRIM_400000_NS6detail17trampoline_kernelINS0_14default_configENS1_25partition_config_selectorILNS1_17partition_subalgoE5ElNS0_10empty_typeEbEEZZNS1_14partition_implILS5_5ELb0ES3_mN6hipcub16HIPCUB_304000_NS21CountingInputIteratorIllEEPS6_NSA_22TransformInputIteratorIbN2at6native12_GLOBAL__N_19NonZeroOpIN3c107complexIdEEEEPKSL_lEENS0_5tupleIJPlS6_EEENSQ_IJSD_SD_EEES6_PiJS6_EEE10hipError_tPvRmT3_T4_T5_T6_T7_T9_mT8_P12ihipStream_tbDpT10_ENKUlT_T0_E_clISt17integral_constantIbLb1EES1D_IbLb0EEEEDaS19_S1A_EUlS19_E_NS1_11comp_targetILNS1_3genE5ELNS1_11target_archE942ELNS1_3gpuE9ELNS1_3repE0EEENS1_30default_config_static_selectorELNS0_4arch9wavefront6targetE0EEEvT1_,"axG",@progbits,_ZN7rocprim17ROCPRIM_400000_NS6detail17trampoline_kernelINS0_14default_configENS1_25partition_config_selectorILNS1_17partition_subalgoE5ElNS0_10empty_typeEbEEZZNS1_14partition_implILS5_5ELb0ES3_mN6hipcub16HIPCUB_304000_NS21CountingInputIteratorIllEEPS6_NSA_22TransformInputIteratorIbN2at6native12_GLOBAL__N_19NonZeroOpIN3c107complexIdEEEEPKSL_lEENS0_5tupleIJPlS6_EEENSQ_IJSD_SD_EEES6_PiJS6_EEE10hipError_tPvRmT3_T4_T5_T6_T7_T9_mT8_P12ihipStream_tbDpT10_ENKUlT_T0_E_clISt17integral_constantIbLb1EES1D_IbLb0EEEEDaS19_S1A_EUlS19_E_NS1_11comp_targetILNS1_3genE5ELNS1_11target_archE942ELNS1_3gpuE9ELNS1_3repE0EEENS1_30default_config_static_selectorELNS0_4arch9wavefront6targetE0EEEvT1_,comdat
	.globl	_ZN7rocprim17ROCPRIM_400000_NS6detail17trampoline_kernelINS0_14default_configENS1_25partition_config_selectorILNS1_17partition_subalgoE5ElNS0_10empty_typeEbEEZZNS1_14partition_implILS5_5ELb0ES3_mN6hipcub16HIPCUB_304000_NS21CountingInputIteratorIllEEPS6_NSA_22TransformInputIteratorIbN2at6native12_GLOBAL__N_19NonZeroOpIN3c107complexIdEEEEPKSL_lEENS0_5tupleIJPlS6_EEENSQ_IJSD_SD_EEES6_PiJS6_EEE10hipError_tPvRmT3_T4_T5_T6_T7_T9_mT8_P12ihipStream_tbDpT10_ENKUlT_T0_E_clISt17integral_constantIbLb1EES1D_IbLb0EEEEDaS19_S1A_EUlS19_E_NS1_11comp_targetILNS1_3genE5ELNS1_11target_archE942ELNS1_3gpuE9ELNS1_3repE0EEENS1_30default_config_static_selectorELNS0_4arch9wavefront6targetE0EEEvT1_ ; -- Begin function _ZN7rocprim17ROCPRIM_400000_NS6detail17trampoline_kernelINS0_14default_configENS1_25partition_config_selectorILNS1_17partition_subalgoE5ElNS0_10empty_typeEbEEZZNS1_14partition_implILS5_5ELb0ES3_mN6hipcub16HIPCUB_304000_NS21CountingInputIteratorIllEEPS6_NSA_22TransformInputIteratorIbN2at6native12_GLOBAL__N_19NonZeroOpIN3c107complexIdEEEEPKSL_lEENS0_5tupleIJPlS6_EEENSQ_IJSD_SD_EEES6_PiJS6_EEE10hipError_tPvRmT3_T4_T5_T6_T7_T9_mT8_P12ihipStream_tbDpT10_ENKUlT_T0_E_clISt17integral_constantIbLb1EES1D_IbLb0EEEEDaS19_S1A_EUlS19_E_NS1_11comp_targetILNS1_3genE5ELNS1_11target_archE942ELNS1_3gpuE9ELNS1_3repE0EEENS1_30default_config_static_selectorELNS0_4arch9wavefront6targetE0EEEvT1_
	.p2align	8
	.type	_ZN7rocprim17ROCPRIM_400000_NS6detail17trampoline_kernelINS0_14default_configENS1_25partition_config_selectorILNS1_17partition_subalgoE5ElNS0_10empty_typeEbEEZZNS1_14partition_implILS5_5ELb0ES3_mN6hipcub16HIPCUB_304000_NS21CountingInputIteratorIllEEPS6_NSA_22TransformInputIteratorIbN2at6native12_GLOBAL__N_19NonZeroOpIN3c107complexIdEEEEPKSL_lEENS0_5tupleIJPlS6_EEENSQ_IJSD_SD_EEES6_PiJS6_EEE10hipError_tPvRmT3_T4_T5_T6_T7_T9_mT8_P12ihipStream_tbDpT10_ENKUlT_T0_E_clISt17integral_constantIbLb1EES1D_IbLb0EEEEDaS19_S1A_EUlS19_E_NS1_11comp_targetILNS1_3genE5ELNS1_11target_archE942ELNS1_3gpuE9ELNS1_3repE0EEENS1_30default_config_static_selectorELNS0_4arch9wavefront6targetE0EEEvT1_,@function
_ZN7rocprim17ROCPRIM_400000_NS6detail17trampoline_kernelINS0_14default_configENS1_25partition_config_selectorILNS1_17partition_subalgoE5ElNS0_10empty_typeEbEEZZNS1_14partition_implILS5_5ELb0ES3_mN6hipcub16HIPCUB_304000_NS21CountingInputIteratorIllEEPS6_NSA_22TransformInputIteratorIbN2at6native12_GLOBAL__N_19NonZeroOpIN3c107complexIdEEEEPKSL_lEENS0_5tupleIJPlS6_EEENSQ_IJSD_SD_EEES6_PiJS6_EEE10hipError_tPvRmT3_T4_T5_T6_T7_T9_mT8_P12ihipStream_tbDpT10_ENKUlT_T0_E_clISt17integral_constantIbLb1EES1D_IbLb0EEEEDaS19_S1A_EUlS19_E_NS1_11comp_targetILNS1_3genE5ELNS1_11target_archE942ELNS1_3gpuE9ELNS1_3repE0EEENS1_30default_config_static_selectorELNS0_4arch9wavefront6targetE0EEEvT1_: ; @_ZN7rocprim17ROCPRIM_400000_NS6detail17trampoline_kernelINS0_14default_configENS1_25partition_config_selectorILNS1_17partition_subalgoE5ElNS0_10empty_typeEbEEZZNS1_14partition_implILS5_5ELb0ES3_mN6hipcub16HIPCUB_304000_NS21CountingInputIteratorIllEEPS6_NSA_22TransformInputIteratorIbN2at6native12_GLOBAL__N_19NonZeroOpIN3c107complexIdEEEEPKSL_lEENS0_5tupleIJPlS6_EEENSQ_IJSD_SD_EEES6_PiJS6_EEE10hipError_tPvRmT3_T4_T5_T6_T7_T9_mT8_P12ihipStream_tbDpT10_ENKUlT_T0_E_clISt17integral_constantIbLb1EES1D_IbLb0EEEEDaS19_S1A_EUlS19_E_NS1_11comp_targetILNS1_3genE5ELNS1_11target_archE942ELNS1_3gpuE9ELNS1_3repE0EEENS1_30default_config_static_selectorELNS0_4arch9wavefront6targetE0EEEvT1_
; %bb.0:
	.section	.rodata,"a",@progbits
	.p2align	6, 0x0
	.amdhsa_kernel _ZN7rocprim17ROCPRIM_400000_NS6detail17trampoline_kernelINS0_14default_configENS1_25partition_config_selectorILNS1_17partition_subalgoE5ElNS0_10empty_typeEbEEZZNS1_14partition_implILS5_5ELb0ES3_mN6hipcub16HIPCUB_304000_NS21CountingInputIteratorIllEEPS6_NSA_22TransformInputIteratorIbN2at6native12_GLOBAL__N_19NonZeroOpIN3c107complexIdEEEEPKSL_lEENS0_5tupleIJPlS6_EEENSQ_IJSD_SD_EEES6_PiJS6_EEE10hipError_tPvRmT3_T4_T5_T6_T7_T9_mT8_P12ihipStream_tbDpT10_ENKUlT_T0_E_clISt17integral_constantIbLb1EES1D_IbLb0EEEEDaS19_S1A_EUlS19_E_NS1_11comp_targetILNS1_3genE5ELNS1_11target_archE942ELNS1_3gpuE9ELNS1_3repE0EEENS1_30default_config_static_selectorELNS0_4arch9wavefront6targetE0EEEvT1_
		.amdhsa_group_segment_fixed_size 0
		.amdhsa_private_segment_fixed_size 0
		.amdhsa_kernarg_size 120
		.amdhsa_user_sgpr_count 15
		.amdhsa_user_sgpr_dispatch_ptr 0
		.amdhsa_user_sgpr_queue_ptr 0
		.amdhsa_user_sgpr_kernarg_segment_ptr 1
		.amdhsa_user_sgpr_dispatch_id 0
		.amdhsa_user_sgpr_private_segment_size 0
		.amdhsa_wavefront_size32 1
		.amdhsa_uses_dynamic_stack 0
		.amdhsa_enable_private_segment 0
		.amdhsa_system_sgpr_workgroup_id_x 1
		.amdhsa_system_sgpr_workgroup_id_y 0
		.amdhsa_system_sgpr_workgroup_id_z 0
		.amdhsa_system_sgpr_workgroup_info 0
		.amdhsa_system_vgpr_workitem_id 0
		.amdhsa_next_free_vgpr 1
		.amdhsa_next_free_sgpr 1
		.amdhsa_reserve_vcc 0
		.amdhsa_float_round_mode_32 0
		.amdhsa_float_round_mode_16_64 0
		.amdhsa_float_denorm_mode_32 3
		.amdhsa_float_denorm_mode_16_64 3
		.amdhsa_dx10_clamp 1
		.amdhsa_ieee_mode 1
		.amdhsa_fp16_overflow 0
		.amdhsa_workgroup_processor_mode 1
		.amdhsa_memory_ordered 1
		.amdhsa_forward_progress 0
		.amdhsa_shared_vgpr_count 0
		.amdhsa_exception_fp_ieee_invalid_op 0
		.amdhsa_exception_fp_denorm_src 0
		.amdhsa_exception_fp_ieee_div_zero 0
		.amdhsa_exception_fp_ieee_overflow 0
		.amdhsa_exception_fp_ieee_underflow 0
		.amdhsa_exception_fp_ieee_inexact 0
		.amdhsa_exception_int_div_zero 0
	.end_amdhsa_kernel
	.section	.text._ZN7rocprim17ROCPRIM_400000_NS6detail17trampoline_kernelINS0_14default_configENS1_25partition_config_selectorILNS1_17partition_subalgoE5ElNS0_10empty_typeEbEEZZNS1_14partition_implILS5_5ELb0ES3_mN6hipcub16HIPCUB_304000_NS21CountingInputIteratorIllEEPS6_NSA_22TransformInputIteratorIbN2at6native12_GLOBAL__N_19NonZeroOpIN3c107complexIdEEEEPKSL_lEENS0_5tupleIJPlS6_EEENSQ_IJSD_SD_EEES6_PiJS6_EEE10hipError_tPvRmT3_T4_T5_T6_T7_T9_mT8_P12ihipStream_tbDpT10_ENKUlT_T0_E_clISt17integral_constantIbLb1EES1D_IbLb0EEEEDaS19_S1A_EUlS19_E_NS1_11comp_targetILNS1_3genE5ELNS1_11target_archE942ELNS1_3gpuE9ELNS1_3repE0EEENS1_30default_config_static_selectorELNS0_4arch9wavefront6targetE0EEEvT1_,"axG",@progbits,_ZN7rocprim17ROCPRIM_400000_NS6detail17trampoline_kernelINS0_14default_configENS1_25partition_config_selectorILNS1_17partition_subalgoE5ElNS0_10empty_typeEbEEZZNS1_14partition_implILS5_5ELb0ES3_mN6hipcub16HIPCUB_304000_NS21CountingInputIteratorIllEEPS6_NSA_22TransformInputIteratorIbN2at6native12_GLOBAL__N_19NonZeroOpIN3c107complexIdEEEEPKSL_lEENS0_5tupleIJPlS6_EEENSQ_IJSD_SD_EEES6_PiJS6_EEE10hipError_tPvRmT3_T4_T5_T6_T7_T9_mT8_P12ihipStream_tbDpT10_ENKUlT_T0_E_clISt17integral_constantIbLb1EES1D_IbLb0EEEEDaS19_S1A_EUlS19_E_NS1_11comp_targetILNS1_3genE5ELNS1_11target_archE942ELNS1_3gpuE9ELNS1_3repE0EEENS1_30default_config_static_selectorELNS0_4arch9wavefront6targetE0EEEvT1_,comdat
.Lfunc_end543:
	.size	_ZN7rocprim17ROCPRIM_400000_NS6detail17trampoline_kernelINS0_14default_configENS1_25partition_config_selectorILNS1_17partition_subalgoE5ElNS0_10empty_typeEbEEZZNS1_14partition_implILS5_5ELb0ES3_mN6hipcub16HIPCUB_304000_NS21CountingInputIteratorIllEEPS6_NSA_22TransformInputIteratorIbN2at6native12_GLOBAL__N_19NonZeroOpIN3c107complexIdEEEEPKSL_lEENS0_5tupleIJPlS6_EEENSQ_IJSD_SD_EEES6_PiJS6_EEE10hipError_tPvRmT3_T4_T5_T6_T7_T9_mT8_P12ihipStream_tbDpT10_ENKUlT_T0_E_clISt17integral_constantIbLb1EES1D_IbLb0EEEEDaS19_S1A_EUlS19_E_NS1_11comp_targetILNS1_3genE5ELNS1_11target_archE942ELNS1_3gpuE9ELNS1_3repE0EEENS1_30default_config_static_selectorELNS0_4arch9wavefront6targetE0EEEvT1_, .Lfunc_end543-_ZN7rocprim17ROCPRIM_400000_NS6detail17trampoline_kernelINS0_14default_configENS1_25partition_config_selectorILNS1_17partition_subalgoE5ElNS0_10empty_typeEbEEZZNS1_14partition_implILS5_5ELb0ES3_mN6hipcub16HIPCUB_304000_NS21CountingInputIteratorIllEEPS6_NSA_22TransformInputIteratorIbN2at6native12_GLOBAL__N_19NonZeroOpIN3c107complexIdEEEEPKSL_lEENS0_5tupleIJPlS6_EEENSQ_IJSD_SD_EEES6_PiJS6_EEE10hipError_tPvRmT3_T4_T5_T6_T7_T9_mT8_P12ihipStream_tbDpT10_ENKUlT_T0_E_clISt17integral_constantIbLb1EES1D_IbLb0EEEEDaS19_S1A_EUlS19_E_NS1_11comp_targetILNS1_3genE5ELNS1_11target_archE942ELNS1_3gpuE9ELNS1_3repE0EEENS1_30default_config_static_selectorELNS0_4arch9wavefront6targetE0EEEvT1_
                                        ; -- End function
	.section	.AMDGPU.csdata,"",@progbits
; Kernel info:
; codeLenInByte = 0
; NumSgprs: 0
; NumVgprs: 0
; ScratchSize: 0
; MemoryBound: 0
; FloatMode: 240
; IeeeMode: 1
; LDSByteSize: 0 bytes/workgroup (compile time only)
; SGPRBlocks: 0
; VGPRBlocks: 0
; NumSGPRsForWavesPerEU: 1
; NumVGPRsForWavesPerEU: 1
; Occupancy: 16
; WaveLimiterHint : 0
; COMPUTE_PGM_RSRC2:SCRATCH_EN: 0
; COMPUTE_PGM_RSRC2:USER_SGPR: 15
; COMPUTE_PGM_RSRC2:TRAP_HANDLER: 0
; COMPUTE_PGM_RSRC2:TGID_X_EN: 1
; COMPUTE_PGM_RSRC2:TGID_Y_EN: 0
; COMPUTE_PGM_RSRC2:TGID_Z_EN: 0
; COMPUTE_PGM_RSRC2:TIDIG_COMP_CNT: 0
	.section	.text._ZN7rocprim17ROCPRIM_400000_NS6detail17trampoline_kernelINS0_14default_configENS1_25partition_config_selectorILNS1_17partition_subalgoE5ElNS0_10empty_typeEbEEZZNS1_14partition_implILS5_5ELb0ES3_mN6hipcub16HIPCUB_304000_NS21CountingInputIteratorIllEEPS6_NSA_22TransformInputIteratorIbN2at6native12_GLOBAL__N_19NonZeroOpIN3c107complexIdEEEEPKSL_lEENS0_5tupleIJPlS6_EEENSQ_IJSD_SD_EEES6_PiJS6_EEE10hipError_tPvRmT3_T4_T5_T6_T7_T9_mT8_P12ihipStream_tbDpT10_ENKUlT_T0_E_clISt17integral_constantIbLb1EES1D_IbLb0EEEEDaS19_S1A_EUlS19_E_NS1_11comp_targetILNS1_3genE4ELNS1_11target_archE910ELNS1_3gpuE8ELNS1_3repE0EEENS1_30default_config_static_selectorELNS0_4arch9wavefront6targetE0EEEvT1_,"axG",@progbits,_ZN7rocprim17ROCPRIM_400000_NS6detail17trampoline_kernelINS0_14default_configENS1_25partition_config_selectorILNS1_17partition_subalgoE5ElNS0_10empty_typeEbEEZZNS1_14partition_implILS5_5ELb0ES3_mN6hipcub16HIPCUB_304000_NS21CountingInputIteratorIllEEPS6_NSA_22TransformInputIteratorIbN2at6native12_GLOBAL__N_19NonZeroOpIN3c107complexIdEEEEPKSL_lEENS0_5tupleIJPlS6_EEENSQ_IJSD_SD_EEES6_PiJS6_EEE10hipError_tPvRmT3_T4_T5_T6_T7_T9_mT8_P12ihipStream_tbDpT10_ENKUlT_T0_E_clISt17integral_constantIbLb1EES1D_IbLb0EEEEDaS19_S1A_EUlS19_E_NS1_11comp_targetILNS1_3genE4ELNS1_11target_archE910ELNS1_3gpuE8ELNS1_3repE0EEENS1_30default_config_static_selectorELNS0_4arch9wavefront6targetE0EEEvT1_,comdat
	.globl	_ZN7rocprim17ROCPRIM_400000_NS6detail17trampoline_kernelINS0_14default_configENS1_25partition_config_selectorILNS1_17partition_subalgoE5ElNS0_10empty_typeEbEEZZNS1_14partition_implILS5_5ELb0ES3_mN6hipcub16HIPCUB_304000_NS21CountingInputIteratorIllEEPS6_NSA_22TransformInputIteratorIbN2at6native12_GLOBAL__N_19NonZeroOpIN3c107complexIdEEEEPKSL_lEENS0_5tupleIJPlS6_EEENSQ_IJSD_SD_EEES6_PiJS6_EEE10hipError_tPvRmT3_T4_T5_T6_T7_T9_mT8_P12ihipStream_tbDpT10_ENKUlT_T0_E_clISt17integral_constantIbLb1EES1D_IbLb0EEEEDaS19_S1A_EUlS19_E_NS1_11comp_targetILNS1_3genE4ELNS1_11target_archE910ELNS1_3gpuE8ELNS1_3repE0EEENS1_30default_config_static_selectorELNS0_4arch9wavefront6targetE0EEEvT1_ ; -- Begin function _ZN7rocprim17ROCPRIM_400000_NS6detail17trampoline_kernelINS0_14default_configENS1_25partition_config_selectorILNS1_17partition_subalgoE5ElNS0_10empty_typeEbEEZZNS1_14partition_implILS5_5ELb0ES3_mN6hipcub16HIPCUB_304000_NS21CountingInputIteratorIllEEPS6_NSA_22TransformInputIteratorIbN2at6native12_GLOBAL__N_19NonZeroOpIN3c107complexIdEEEEPKSL_lEENS0_5tupleIJPlS6_EEENSQ_IJSD_SD_EEES6_PiJS6_EEE10hipError_tPvRmT3_T4_T5_T6_T7_T9_mT8_P12ihipStream_tbDpT10_ENKUlT_T0_E_clISt17integral_constantIbLb1EES1D_IbLb0EEEEDaS19_S1A_EUlS19_E_NS1_11comp_targetILNS1_3genE4ELNS1_11target_archE910ELNS1_3gpuE8ELNS1_3repE0EEENS1_30default_config_static_selectorELNS0_4arch9wavefront6targetE0EEEvT1_
	.p2align	8
	.type	_ZN7rocprim17ROCPRIM_400000_NS6detail17trampoline_kernelINS0_14default_configENS1_25partition_config_selectorILNS1_17partition_subalgoE5ElNS0_10empty_typeEbEEZZNS1_14partition_implILS5_5ELb0ES3_mN6hipcub16HIPCUB_304000_NS21CountingInputIteratorIllEEPS6_NSA_22TransformInputIteratorIbN2at6native12_GLOBAL__N_19NonZeroOpIN3c107complexIdEEEEPKSL_lEENS0_5tupleIJPlS6_EEENSQ_IJSD_SD_EEES6_PiJS6_EEE10hipError_tPvRmT3_T4_T5_T6_T7_T9_mT8_P12ihipStream_tbDpT10_ENKUlT_T0_E_clISt17integral_constantIbLb1EES1D_IbLb0EEEEDaS19_S1A_EUlS19_E_NS1_11comp_targetILNS1_3genE4ELNS1_11target_archE910ELNS1_3gpuE8ELNS1_3repE0EEENS1_30default_config_static_selectorELNS0_4arch9wavefront6targetE0EEEvT1_,@function
_ZN7rocprim17ROCPRIM_400000_NS6detail17trampoline_kernelINS0_14default_configENS1_25partition_config_selectorILNS1_17partition_subalgoE5ElNS0_10empty_typeEbEEZZNS1_14partition_implILS5_5ELb0ES3_mN6hipcub16HIPCUB_304000_NS21CountingInputIteratorIllEEPS6_NSA_22TransformInputIteratorIbN2at6native12_GLOBAL__N_19NonZeroOpIN3c107complexIdEEEEPKSL_lEENS0_5tupleIJPlS6_EEENSQ_IJSD_SD_EEES6_PiJS6_EEE10hipError_tPvRmT3_T4_T5_T6_T7_T9_mT8_P12ihipStream_tbDpT10_ENKUlT_T0_E_clISt17integral_constantIbLb1EES1D_IbLb0EEEEDaS19_S1A_EUlS19_E_NS1_11comp_targetILNS1_3genE4ELNS1_11target_archE910ELNS1_3gpuE8ELNS1_3repE0EEENS1_30default_config_static_selectorELNS0_4arch9wavefront6targetE0EEEvT1_: ; @_ZN7rocprim17ROCPRIM_400000_NS6detail17trampoline_kernelINS0_14default_configENS1_25partition_config_selectorILNS1_17partition_subalgoE5ElNS0_10empty_typeEbEEZZNS1_14partition_implILS5_5ELb0ES3_mN6hipcub16HIPCUB_304000_NS21CountingInputIteratorIllEEPS6_NSA_22TransformInputIteratorIbN2at6native12_GLOBAL__N_19NonZeroOpIN3c107complexIdEEEEPKSL_lEENS0_5tupleIJPlS6_EEENSQ_IJSD_SD_EEES6_PiJS6_EEE10hipError_tPvRmT3_T4_T5_T6_T7_T9_mT8_P12ihipStream_tbDpT10_ENKUlT_T0_E_clISt17integral_constantIbLb1EES1D_IbLb0EEEEDaS19_S1A_EUlS19_E_NS1_11comp_targetILNS1_3genE4ELNS1_11target_archE910ELNS1_3gpuE8ELNS1_3repE0EEENS1_30default_config_static_selectorELNS0_4arch9wavefront6targetE0EEEvT1_
; %bb.0:
	.section	.rodata,"a",@progbits
	.p2align	6, 0x0
	.amdhsa_kernel _ZN7rocprim17ROCPRIM_400000_NS6detail17trampoline_kernelINS0_14default_configENS1_25partition_config_selectorILNS1_17partition_subalgoE5ElNS0_10empty_typeEbEEZZNS1_14partition_implILS5_5ELb0ES3_mN6hipcub16HIPCUB_304000_NS21CountingInputIteratorIllEEPS6_NSA_22TransformInputIteratorIbN2at6native12_GLOBAL__N_19NonZeroOpIN3c107complexIdEEEEPKSL_lEENS0_5tupleIJPlS6_EEENSQ_IJSD_SD_EEES6_PiJS6_EEE10hipError_tPvRmT3_T4_T5_T6_T7_T9_mT8_P12ihipStream_tbDpT10_ENKUlT_T0_E_clISt17integral_constantIbLb1EES1D_IbLb0EEEEDaS19_S1A_EUlS19_E_NS1_11comp_targetILNS1_3genE4ELNS1_11target_archE910ELNS1_3gpuE8ELNS1_3repE0EEENS1_30default_config_static_selectorELNS0_4arch9wavefront6targetE0EEEvT1_
		.amdhsa_group_segment_fixed_size 0
		.amdhsa_private_segment_fixed_size 0
		.amdhsa_kernarg_size 120
		.amdhsa_user_sgpr_count 15
		.amdhsa_user_sgpr_dispatch_ptr 0
		.amdhsa_user_sgpr_queue_ptr 0
		.amdhsa_user_sgpr_kernarg_segment_ptr 1
		.amdhsa_user_sgpr_dispatch_id 0
		.amdhsa_user_sgpr_private_segment_size 0
		.amdhsa_wavefront_size32 1
		.amdhsa_uses_dynamic_stack 0
		.amdhsa_enable_private_segment 0
		.amdhsa_system_sgpr_workgroup_id_x 1
		.amdhsa_system_sgpr_workgroup_id_y 0
		.amdhsa_system_sgpr_workgroup_id_z 0
		.amdhsa_system_sgpr_workgroup_info 0
		.amdhsa_system_vgpr_workitem_id 0
		.amdhsa_next_free_vgpr 1
		.amdhsa_next_free_sgpr 1
		.amdhsa_reserve_vcc 0
		.amdhsa_float_round_mode_32 0
		.amdhsa_float_round_mode_16_64 0
		.amdhsa_float_denorm_mode_32 3
		.amdhsa_float_denorm_mode_16_64 3
		.amdhsa_dx10_clamp 1
		.amdhsa_ieee_mode 1
		.amdhsa_fp16_overflow 0
		.amdhsa_workgroup_processor_mode 1
		.amdhsa_memory_ordered 1
		.amdhsa_forward_progress 0
		.amdhsa_shared_vgpr_count 0
		.amdhsa_exception_fp_ieee_invalid_op 0
		.amdhsa_exception_fp_denorm_src 0
		.amdhsa_exception_fp_ieee_div_zero 0
		.amdhsa_exception_fp_ieee_overflow 0
		.amdhsa_exception_fp_ieee_underflow 0
		.amdhsa_exception_fp_ieee_inexact 0
		.amdhsa_exception_int_div_zero 0
	.end_amdhsa_kernel
	.section	.text._ZN7rocprim17ROCPRIM_400000_NS6detail17trampoline_kernelINS0_14default_configENS1_25partition_config_selectorILNS1_17partition_subalgoE5ElNS0_10empty_typeEbEEZZNS1_14partition_implILS5_5ELb0ES3_mN6hipcub16HIPCUB_304000_NS21CountingInputIteratorIllEEPS6_NSA_22TransformInputIteratorIbN2at6native12_GLOBAL__N_19NonZeroOpIN3c107complexIdEEEEPKSL_lEENS0_5tupleIJPlS6_EEENSQ_IJSD_SD_EEES6_PiJS6_EEE10hipError_tPvRmT3_T4_T5_T6_T7_T9_mT8_P12ihipStream_tbDpT10_ENKUlT_T0_E_clISt17integral_constantIbLb1EES1D_IbLb0EEEEDaS19_S1A_EUlS19_E_NS1_11comp_targetILNS1_3genE4ELNS1_11target_archE910ELNS1_3gpuE8ELNS1_3repE0EEENS1_30default_config_static_selectorELNS0_4arch9wavefront6targetE0EEEvT1_,"axG",@progbits,_ZN7rocprim17ROCPRIM_400000_NS6detail17trampoline_kernelINS0_14default_configENS1_25partition_config_selectorILNS1_17partition_subalgoE5ElNS0_10empty_typeEbEEZZNS1_14partition_implILS5_5ELb0ES3_mN6hipcub16HIPCUB_304000_NS21CountingInputIteratorIllEEPS6_NSA_22TransformInputIteratorIbN2at6native12_GLOBAL__N_19NonZeroOpIN3c107complexIdEEEEPKSL_lEENS0_5tupleIJPlS6_EEENSQ_IJSD_SD_EEES6_PiJS6_EEE10hipError_tPvRmT3_T4_T5_T6_T7_T9_mT8_P12ihipStream_tbDpT10_ENKUlT_T0_E_clISt17integral_constantIbLb1EES1D_IbLb0EEEEDaS19_S1A_EUlS19_E_NS1_11comp_targetILNS1_3genE4ELNS1_11target_archE910ELNS1_3gpuE8ELNS1_3repE0EEENS1_30default_config_static_selectorELNS0_4arch9wavefront6targetE0EEEvT1_,comdat
.Lfunc_end544:
	.size	_ZN7rocprim17ROCPRIM_400000_NS6detail17trampoline_kernelINS0_14default_configENS1_25partition_config_selectorILNS1_17partition_subalgoE5ElNS0_10empty_typeEbEEZZNS1_14partition_implILS5_5ELb0ES3_mN6hipcub16HIPCUB_304000_NS21CountingInputIteratorIllEEPS6_NSA_22TransformInputIteratorIbN2at6native12_GLOBAL__N_19NonZeroOpIN3c107complexIdEEEEPKSL_lEENS0_5tupleIJPlS6_EEENSQ_IJSD_SD_EEES6_PiJS6_EEE10hipError_tPvRmT3_T4_T5_T6_T7_T9_mT8_P12ihipStream_tbDpT10_ENKUlT_T0_E_clISt17integral_constantIbLb1EES1D_IbLb0EEEEDaS19_S1A_EUlS19_E_NS1_11comp_targetILNS1_3genE4ELNS1_11target_archE910ELNS1_3gpuE8ELNS1_3repE0EEENS1_30default_config_static_selectorELNS0_4arch9wavefront6targetE0EEEvT1_, .Lfunc_end544-_ZN7rocprim17ROCPRIM_400000_NS6detail17trampoline_kernelINS0_14default_configENS1_25partition_config_selectorILNS1_17partition_subalgoE5ElNS0_10empty_typeEbEEZZNS1_14partition_implILS5_5ELb0ES3_mN6hipcub16HIPCUB_304000_NS21CountingInputIteratorIllEEPS6_NSA_22TransformInputIteratorIbN2at6native12_GLOBAL__N_19NonZeroOpIN3c107complexIdEEEEPKSL_lEENS0_5tupleIJPlS6_EEENSQ_IJSD_SD_EEES6_PiJS6_EEE10hipError_tPvRmT3_T4_T5_T6_T7_T9_mT8_P12ihipStream_tbDpT10_ENKUlT_T0_E_clISt17integral_constantIbLb1EES1D_IbLb0EEEEDaS19_S1A_EUlS19_E_NS1_11comp_targetILNS1_3genE4ELNS1_11target_archE910ELNS1_3gpuE8ELNS1_3repE0EEENS1_30default_config_static_selectorELNS0_4arch9wavefront6targetE0EEEvT1_
                                        ; -- End function
	.section	.AMDGPU.csdata,"",@progbits
; Kernel info:
; codeLenInByte = 0
; NumSgprs: 0
; NumVgprs: 0
; ScratchSize: 0
; MemoryBound: 0
; FloatMode: 240
; IeeeMode: 1
; LDSByteSize: 0 bytes/workgroup (compile time only)
; SGPRBlocks: 0
; VGPRBlocks: 0
; NumSGPRsForWavesPerEU: 1
; NumVGPRsForWavesPerEU: 1
; Occupancy: 15
; WaveLimiterHint : 0
; COMPUTE_PGM_RSRC2:SCRATCH_EN: 0
; COMPUTE_PGM_RSRC2:USER_SGPR: 15
; COMPUTE_PGM_RSRC2:TRAP_HANDLER: 0
; COMPUTE_PGM_RSRC2:TGID_X_EN: 1
; COMPUTE_PGM_RSRC2:TGID_Y_EN: 0
; COMPUTE_PGM_RSRC2:TGID_Z_EN: 0
; COMPUTE_PGM_RSRC2:TIDIG_COMP_CNT: 0
	.section	.text._ZN7rocprim17ROCPRIM_400000_NS6detail17trampoline_kernelINS0_14default_configENS1_25partition_config_selectorILNS1_17partition_subalgoE5ElNS0_10empty_typeEbEEZZNS1_14partition_implILS5_5ELb0ES3_mN6hipcub16HIPCUB_304000_NS21CountingInputIteratorIllEEPS6_NSA_22TransformInputIteratorIbN2at6native12_GLOBAL__N_19NonZeroOpIN3c107complexIdEEEEPKSL_lEENS0_5tupleIJPlS6_EEENSQ_IJSD_SD_EEES6_PiJS6_EEE10hipError_tPvRmT3_T4_T5_T6_T7_T9_mT8_P12ihipStream_tbDpT10_ENKUlT_T0_E_clISt17integral_constantIbLb1EES1D_IbLb0EEEEDaS19_S1A_EUlS19_E_NS1_11comp_targetILNS1_3genE3ELNS1_11target_archE908ELNS1_3gpuE7ELNS1_3repE0EEENS1_30default_config_static_selectorELNS0_4arch9wavefront6targetE0EEEvT1_,"axG",@progbits,_ZN7rocprim17ROCPRIM_400000_NS6detail17trampoline_kernelINS0_14default_configENS1_25partition_config_selectorILNS1_17partition_subalgoE5ElNS0_10empty_typeEbEEZZNS1_14partition_implILS5_5ELb0ES3_mN6hipcub16HIPCUB_304000_NS21CountingInputIteratorIllEEPS6_NSA_22TransformInputIteratorIbN2at6native12_GLOBAL__N_19NonZeroOpIN3c107complexIdEEEEPKSL_lEENS0_5tupleIJPlS6_EEENSQ_IJSD_SD_EEES6_PiJS6_EEE10hipError_tPvRmT3_T4_T5_T6_T7_T9_mT8_P12ihipStream_tbDpT10_ENKUlT_T0_E_clISt17integral_constantIbLb1EES1D_IbLb0EEEEDaS19_S1A_EUlS19_E_NS1_11comp_targetILNS1_3genE3ELNS1_11target_archE908ELNS1_3gpuE7ELNS1_3repE0EEENS1_30default_config_static_selectorELNS0_4arch9wavefront6targetE0EEEvT1_,comdat
	.globl	_ZN7rocprim17ROCPRIM_400000_NS6detail17trampoline_kernelINS0_14default_configENS1_25partition_config_selectorILNS1_17partition_subalgoE5ElNS0_10empty_typeEbEEZZNS1_14partition_implILS5_5ELb0ES3_mN6hipcub16HIPCUB_304000_NS21CountingInputIteratorIllEEPS6_NSA_22TransformInputIteratorIbN2at6native12_GLOBAL__N_19NonZeroOpIN3c107complexIdEEEEPKSL_lEENS0_5tupleIJPlS6_EEENSQ_IJSD_SD_EEES6_PiJS6_EEE10hipError_tPvRmT3_T4_T5_T6_T7_T9_mT8_P12ihipStream_tbDpT10_ENKUlT_T0_E_clISt17integral_constantIbLb1EES1D_IbLb0EEEEDaS19_S1A_EUlS19_E_NS1_11comp_targetILNS1_3genE3ELNS1_11target_archE908ELNS1_3gpuE7ELNS1_3repE0EEENS1_30default_config_static_selectorELNS0_4arch9wavefront6targetE0EEEvT1_ ; -- Begin function _ZN7rocprim17ROCPRIM_400000_NS6detail17trampoline_kernelINS0_14default_configENS1_25partition_config_selectorILNS1_17partition_subalgoE5ElNS0_10empty_typeEbEEZZNS1_14partition_implILS5_5ELb0ES3_mN6hipcub16HIPCUB_304000_NS21CountingInputIteratorIllEEPS6_NSA_22TransformInputIteratorIbN2at6native12_GLOBAL__N_19NonZeroOpIN3c107complexIdEEEEPKSL_lEENS0_5tupleIJPlS6_EEENSQ_IJSD_SD_EEES6_PiJS6_EEE10hipError_tPvRmT3_T4_T5_T6_T7_T9_mT8_P12ihipStream_tbDpT10_ENKUlT_T0_E_clISt17integral_constantIbLb1EES1D_IbLb0EEEEDaS19_S1A_EUlS19_E_NS1_11comp_targetILNS1_3genE3ELNS1_11target_archE908ELNS1_3gpuE7ELNS1_3repE0EEENS1_30default_config_static_selectorELNS0_4arch9wavefront6targetE0EEEvT1_
	.p2align	8
	.type	_ZN7rocprim17ROCPRIM_400000_NS6detail17trampoline_kernelINS0_14default_configENS1_25partition_config_selectorILNS1_17partition_subalgoE5ElNS0_10empty_typeEbEEZZNS1_14partition_implILS5_5ELb0ES3_mN6hipcub16HIPCUB_304000_NS21CountingInputIteratorIllEEPS6_NSA_22TransformInputIteratorIbN2at6native12_GLOBAL__N_19NonZeroOpIN3c107complexIdEEEEPKSL_lEENS0_5tupleIJPlS6_EEENSQ_IJSD_SD_EEES6_PiJS6_EEE10hipError_tPvRmT3_T4_T5_T6_T7_T9_mT8_P12ihipStream_tbDpT10_ENKUlT_T0_E_clISt17integral_constantIbLb1EES1D_IbLb0EEEEDaS19_S1A_EUlS19_E_NS1_11comp_targetILNS1_3genE3ELNS1_11target_archE908ELNS1_3gpuE7ELNS1_3repE0EEENS1_30default_config_static_selectorELNS0_4arch9wavefront6targetE0EEEvT1_,@function
_ZN7rocprim17ROCPRIM_400000_NS6detail17trampoline_kernelINS0_14default_configENS1_25partition_config_selectorILNS1_17partition_subalgoE5ElNS0_10empty_typeEbEEZZNS1_14partition_implILS5_5ELb0ES3_mN6hipcub16HIPCUB_304000_NS21CountingInputIteratorIllEEPS6_NSA_22TransformInputIteratorIbN2at6native12_GLOBAL__N_19NonZeroOpIN3c107complexIdEEEEPKSL_lEENS0_5tupleIJPlS6_EEENSQ_IJSD_SD_EEES6_PiJS6_EEE10hipError_tPvRmT3_T4_T5_T6_T7_T9_mT8_P12ihipStream_tbDpT10_ENKUlT_T0_E_clISt17integral_constantIbLb1EES1D_IbLb0EEEEDaS19_S1A_EUlS19_E_NS1_11comp_targetILNS1_3genE3ELNS1_11target_archE908ELNS1_3gpuE7ELNS1_3repE0EEENS1_30default_config_static_selectorELNS0_4arch9wavefront6targetE0EEEvT1_: ; @_ZN7rocprim17ROCPRIM_400000_NS6detail17trampoline_kernelINS0_14default_configENS1_25partition_config_selectorILNS1_17partition_subalgoE5ElNS0_10empty_typeEbEEZZNS1_14partition_implILS5_5ELb0ES3_mN6hipcub16HIPCUB_304000_NS21CountingInputIteratorIllEEPS6_NSA_22TransformInputIteratorIbN2at6native12_GLOBAL__N_19NonZeroOpIN3c107complexIdEEEEPKSL_lEENS0_5tupleIJPlS6_EEENSQ_IJSD_SD_EEES6_PiJS6_EEE10hipError_tPvRmT3_T4_T5_T6_T7_T9_mT8_P12ihipStream_tbDpT10_ENKUlT_T0_E_clISt17integral_constantIbLb1EES1D_IbLb0EEEEDaS19_S1A_EUlS19_E_NS1_11comp_targetILNS1_3genE3ELNS1_11target_archE908ELNS1_3gpuE7ELNS1_3repE0EEENS1_30default_config_static_selectorELNS0_4arch9wavefront6targetE0EEEvT1_
; %bb.0:
	.section	.rodata,"a",@progbits
	.p2align	6, 0x0
	.amdhsa_kernel _ZN7rocprim17ROCPRIM_400000_NS6detail17trampoline_kernelINS0_14default_configENS1_25partition_config_selectorILNS1_17partition_subalgoE5ElNS0_10empty_typeEbEEZZNS1_14partition_implILS5_5ELb0ES3_mN6hipcub16HIPCUB_304000_NS21CountingInputIteratorIllEEPS6_NSA_22TransformInputIteratorIbN2at6native12_GLOBAL__N_19NonZeroOpIN3c107complexIdEEEEPKSL_lEENS0_5tupleIJPlS6_EEENSQ_IJSD_SD_EEES6_PiJS6_EEE10hipError_tPvRmT3_T4_T5_T6_T7_T9_mT8_P12ihipStream_tbDpT10_ENKUlT_T0_E_clISt17integral_constantIbLb1EES1D_IbLb0EEEEDaS19_S1A_EUlS19_E_NS1_11comp_targetILNS1_3genE3ELNS1_11target_archE908ELNS1_3gpuE7ELNS1_3repE0EEENS1_30default_config_static_selectorELNS0_4arch9wavefront6targetE0EEEvT1_
		.amdhsa_group_segment_fixed_size 0
		.amdhsa_private_segment_fixed_size 0
		.amdhsa_kernarg_size 120
		.amdhsa_user_sgpr_count 15
		.amdhsa_user_sgpr_dispatch_ptr 0
		.amdhsa_user_sgpr_queue_ptr 0
		.amdhsa_user_sgpr_kernarg_segment_ptr 1
		.amdhsa_user_sgpr_dispatch_id 0
		.amdhsa_user_sgpr_private_segment_size 0
		.amdhsa_wavefront_size32 1
		.amdhsa_uses_dynamic_stack 0
		.amdhsa_enable_private_segment 0
		.amdhsa_system_sgpr_workgroup_id_x 1
		.amdhsa_system_sgpr_workgroup_id_y 0
		.amdhsa_system_sgpr_workgroup_id_z 0
		.amdhsa_system_sgpr_workgroup_info 0
		.amdhsa_system_vgpr_workitem_id 0
		.amdhsa_next_free_vgpr 1
		.amdhsa_next_free_sgpr 1
		.amdhsa_reserve_vcc 0
		.amdhsa_float_round_mode_32 0
		.amdhsa_float_round_mode_16_64 0
		.amdhsa_float_denorm_mode_32 3
		.amdhsa_float_denorm_mode_16_64 3
		.amdhsa_dx10_clamp 1
		.amdhsa_ieee_mode 1
		.amdhsa_fp16_overflow 0
		.amdhsa_workgroup_processor_mode 1
		.amdhsa_memory_ordered 1
		.amdhsa_forward_progress 0
		.amdhsa_shared_vgpr_count 0
		.amdhsa_exception_fp_ieee_invalid_op 0
		.amdhsa_exception_fp_denorm_src 0
		.amdhsa_exception_fp_ieee_div_zero 0
		.amdhsa_exception_fp_ieee_overflow 0
		.amdhsa_exception_fp_ieee_underflow 0
		.amdhsa_exception_fp_ieee_inexact 0
		.amdhsa_exception_int_div_zero 0
	.end_amdhsa_kernel
	.section	.text._ZN7rocprim17ROCPRIM_400000_NS6detail17trampoline_kernelINS0_14default_configENS1_25partition_config_selectorILNS1_17partition_subalgoE5ElNS0_10empty_typeEbEEZZNS1_14partition_implILS5_5ELb0ES3_mN6hipcub16HIPCUB_304000_NS21CountingInputIteratorIllEEPS6_NSA_22TransformInputIteratorIbN2at6native12_GLOBAL__N_19NonZeroOpIN3c107complexIdEEEEPKSL_lEENS0_5tupleIJPlS6_EEENSQ_IJSD_SD_EEES6_PiJS6_EEE10hipError_tPvRmT3_T4_T5_T6_T7_T9_mT8_P12ihipStream_tbDpT10_ENKUlT_T0_E_clISt17integral_constantIbLb1EES1D_IbLb0EEEEDaS19_S1A_EUlS19_E_NS1_11comp_targetILNS1_3genE3ELNS1_11target_archE908ELNS1_3gpuE7ELNS1_3repE0EEENS1_30default_config_static_selectorELNS0_4arch9wavefront6targetE0EEEvT1_,"axG",@progbits,_ZN7rocprim17ROCPRIM_400000_NS6detail17trampoline_kernelINS0_14default_configENS1_25partition_config_selectorILNS1_17partition_subalgoE5ElNS0_10empty_typeEbEEZZNS1_14partition_implILS5_5ELb0ES3_mN6hipcub16HIPCUB_304000_NS21CountingInputIteratorIllEEPS6_NSA_22TransformInputIteratorIbN2at6native12_GLOBAL__N_19NonZeroOpIN3c107complexIdEEEEPKSL_lEENS0_5tupleIJPlS6_EEENSQ_IJSD_SD_EEES6_PiJS6_EEE10hipError_tPvRmT3_T4_T5_T6_T7_T9_mT8_P12ihipStream_tbDpT10_ENKUlT_T0_E_clISt17integral_constantIbLb1EES1D_IbLb0EEEEDaS19_S1A_EUlS19_E_NS1_11comp_targetILNS1_3genE3ELNS1_11target_archE908ELNS1_3gpuE7ELNS1_3repE0EEENS1_30default_config_static_selectorELNS0_4arch9wavefront6targetE0EEEvT1_,comdat
.Lfunc_end545:
	.size	_ZN7rocprim17ROCPRIM_400000_NS6detail17trampoline_kernelINS0_14default_configENS1_25partition_config_selectorILNS1_17partition_subalgoE5ElNS0_10empty_typeEbEEZZNS1_14partition_implILS5_5ELb0ES3_mN6hipcub16HIPCUB_304000_NS21CountingInputIteratorIllEEPS6_NSA_22TransformInputIteratorIbN2at6native12_GLOBAL__N_19NonZeroOpIN3c107complexIdEEEEPKSL_lEENS0_5tupleIJPlS6_EEENSQ_IJSD_SD_EEES6_PiJS6_EEE10hipError_tPvRmT3_T4_T5_T6_T7_T9_mT8_P12ihipStream_tbDpT10_ENKUlT_T0_E_clISt17integral_constantIbLb1EES1D_IbLb0EEEEDaS19_S1A_EUlS19_E_NS1_11comp_targetILNS1_3genE3ELNS1_11target_archE908ELNS1_3gpuE7ELNS1_3repE0EEENS1_30default_config_static_selectorELNS0_4arch9wavefront6targetE0EEEvT1_, .Lfunc_end545-_ZN7rocprim17ROCPRIM_400000_NS6detail17trampoline_kernelINS0_14default_configENS1_25partition_config_selectorILNS1_17partition_subalgoE5ElNS0_10empty_typeEbEEZZNS1_14partition_implILS5_5ELb0ES3_mN6hipcub16HIPCUB_304000_NS21CountingInputIteratorIllEEPS6_NSA_22TransformInputIteratorIbN2at6native12_GLOBAL__N_19NonZeroOpIN3c107complexIdEEEEPKSL_lEENS0_5tupleIJPlS6_EEENSQ_IJSD_SD_EEES6_PiJS6_EEE10hipError_tPvRmT3_T4_T5_T6_T7_T9_mT8_P12ihipStream_tbDpT10_ENKUlT_T0_E_clISt17integral_constantIbLb1EES1D_IbLb0EEEEDaS19_S1A_EUlS19_E_NS1_11comp_targetILNS1_3genE3ELNS1_11target_archE908ELNS1_3gpuE7ELNS1_3repE0EEENS1_30default_config_static_selectorELNS0_4arch9wavefront6targetE0EEEvT1_
                                        ; -- End function
	.section	.AMDGPU.csdata,"",@progbits
; Kernel info:
; codeLenInByte = 0
; NumSgprs: 0
; NumVgprs: 0
; ScratchSize: 0
; MemoryBound: 0
; FloatMode: 240
; IeeeMode: 1
; LDSByteSize: 0 bytes/workgroup (compile time only)
; SGPRBlocks: 0
; VGPRBlocks: 0
; NumSGPRsForWavesPerEU: 1
; NumVGPRsForWavesPerEU: 1
; Occupancy: 16
; WaveLimiterHint : 0
; COMPUTE_PGM_RSRC2:SCRATCH_EN: 0
; COMPUTE_PGM_RSRC2:USER_SGPR: 15
; COMPUTE_PGM_RSRC2:TRAP_HANDLER: 0
; COMPUTE_PGM_RSRC2:TGID_X_EN: 1
; COMPUTE_PGM_RSRC2:TGID_Y_EN: 0
; COMPUTE_PGM_RSRC2:TGID_Z_EN: 0
; COMPUTE_PGM_RSRC2:TIDIG_COMP_CNT: 0
	.section	.text._ZN7rocprim17ROCPRIM_400000_NS6detail17trampoline_kernelINS0_14default_configENS1_25partition_config_selectorILNS1_17partition_subalgoE5ElNS0_10empty_typeEbEEZZNS1_14partition_implILS5_5ELb0ES3_mN6hipcub16HIPCUB_304000_NS21CountingInputIteratorIllEEPS6_NSA_22TransformInputIteratorIbN2at6native12_GLOBAL__N_19NonZeroOpIN3c107complexIdEEEEPKSL_lEENS0_5tupleIJPlS6_EEENSQ_IJSD_SD_EEES6_PiJS6_EEE10hipError_tPvRmT3_T4_T5_T6_T7_T9_mT8_P12ihipStream_tbDpT10_ENKUlT_T0_E_clISt17integral_constantIbLb1EES1D_IbLb0EEEEDaS19_S1A_EUlS19_E_NS1_11comp_targetILNS1_3genE2ELNS1_11target_archE906ELNS1_3gpuE6ELNS1_3repE0EEENS1_30default_config_static_selectorELNS0_4arch9wavefront6targetE0EEEvT1_,"axG",@progbits,_ZN7rocprim17ROCPRIM_400000_NS6detail17trampoline_kernelINS0_14default_configENS1_25partition_config_selectorILNS1_17partition_subalgoE5ElNS0_10empty_typeEbEEZZNS1_14partition_implILS5_5ELb0ES3_mN6hipcub16HIPCUB_304000_NS21CountingInputIteratorIllEEPS6_NSA_22TransformInputIteratorIbN2at6native12_GLOBAL__N_19NonZeroOpIN3c107complexIdEEEEPKSL_lEENS0_5tupleIJPlS6_EEENSQ_IJSD_SD_EEES6_PiJS6_EEE10hipError_tPvRmT3_T4_T5_T6_T7_T9_mT8_P12ihipStream_tbDpT10_ENKUlT_T0_E_clISt17integral_constantIbLb1EES1D_IbLb0EEEEDaS19_S1A_EUlS19_E_NS1_11comp_targetILNS1_3genE2ELNS1_11target_archE906ELNS1_3gpuE6ELNS1_3repE0EEENS1_30default_config_static_selectorELNS0_4arch9wavefront6targetE0EEEvT1_,comdat
	.globl	_ZN7rocprim17ROCPRIM_400000_NS6detail17trampoline_kernelINS0_14default_configENS1_25partition_config_selectorILNS1_17partition_subalgoE5ElNS0_10empty_typeEbEEZZNS1_14partition_implILS5_5ELb0ES3_mN6hipcub16HIPCUB_304000_NS21CountingInputIteratorIllEEPS6_NSA_22TransformInputIteratorIbN2at6native12_GLOBAL__N_19NonZeroOpIN3c107complexIdEEEEPKSL_lEENS0_5tupleIJPlS6_EEENSQ_IJSD_SD_EEES6_PiJS6_EEE10hipError_tPvRmT3_T4_T5_T6_T7_T9_mT8_P12ihipStream_tbDpT10_ENKUlT_T0_E_clISt17integral_constantIbLb1EES1D_IbLb0EEEEDaS19_S1A_EUlS19_E_NS1_11comp_targetILNS1_3genE2ELNS1_11target_archE906ELNS1_3gpuE6ELNS1_3repE0EEENS1_30default_config_static_selectorELNS0_4arch9wavefront6targetE0EEEvT1_ ; -- Begin function _ZN7rocprim17ROCPRIM_400000_NS6detail17trampoline_kernelINS0_14default_configENS1_25partition_config_selectorILNS1_17partition_subalgoE5ElNS0_10empty_typeEbEEZZNS1_14partition_implILS5_5ELb0ES3_mN6hipcub16HIPCUB_304000_NS21CountingInputIteratorIllEEPS6_NSA_22TransformInputIteratorIbN2at6native12_GLOBAL__N_19NonZeroOpIN3c107complexIdEEEEPKSL_lEENS0_5tupleIJPlS6_EEENSQ_IJSD_SD_EEES6_PiJS6_EEE10hipError_tPvRmT3_T4_T5_T6_T7_T9_mT8_P12ihipStream_tbDpT10_ENKUlT_T0_E_clISt17integral_constantIbLb1EES1D_IbLb0EEEEDaS19_S1A_EUlS19_E_NS1_11comp_targetILNS1_3genE2ELNS1_11target_archE906ELNS1_3gpuE6ELNS1_3repE0EEENS1_30default_config_static_selectorELNS0_4arch9wavefront6targetE0EEEvT1_
	.p2align	8
	.type	_ZN7rocprim17ROCPRIM_400000_NS6detail17trampoline_kernelINS0_14default_configENS1_25partition_config_selectorILNS1_17partition_subalgoE5ElNS0_10empty_typeEbEEZZNS1_14partition_implILS5_5ELb0ES3_mN6hipcub16HIPCUB_304000_NS21CountingInputIteratorIllEEPS6_NSA_22TransformInputIteratorIbN2at6native12_GLOBAL__N_19NonZeroOpIN3c107complexIdEEEEPKSL_lEENS0_5tupleIJPlS6_EEENSQ_IJSD_SD_EEES6_PiJS6_EEE10hipError_tPvRmT3_T4_T5_T6_T7_T9_mT8_P12ihipStream_tbDpT10_ENKUlT_T0_E_clISt17integral_constantIbLb1EES1D_IbLb0EEEEDaS19_S1A_EUlS19_E_NS1_11comp_targetILNS1_3genE2ELNS1_11target_archE906ELNS1_3gpuE6ELNS1_3repE0EEENS1_30default_config_static_selectorELNS0_4arch9wavefront6targetE0EEEvT1_,@function
_ZN7rocprim17ROCPRIM_400000_NS6detail17trampoline_kernelINS0_14default_configENS1_25partition_config_selectorILNS1_17partition_subalgoE5ElNS0_10empty_typeEbEEZZNS1_14partition_implILS5_5ELb0ES3_mN6hipcub16HIPCUB_304000_NS21CountingInputIteratorIllEEPS6_NSA_22TransformInputIteratorIbN2at6native12_GLOBAL__N_19NonZeroOpIN3c107complexIdEEEEPKSL_lEENS0_5tupleIJPlS6_EEENSQ_IJSD_SD_EEES6_PiJS6_EEE10hipError_tPvRmT3_T4_T5_T6_T7_T9_mT8_P12ihipStream_tbDpT10_ENKUlT_T0_E_clISt17integral_constantIbLb1EES1D_IbLb0EEEEDaS19_S1A_EUlS19_E_NS1_11comp_targetILNS1_3genE2ELNS1_11target_archE906ELNS1_3gpuE6ELNS1_3repE0EEENS1_30default_config_static_selectorELNS0_4arch9wavefront6targetE0EEEvT1_: ; @_ZN7rocprim17ROCPRIM_400000_NS6detail17trampoline_kernelINS0_14default_configENS1_25partition_config_selectorILNS1_17partition_subalgoE5ElNS0_10empty_typeEbEEZZNS1_14partition_implILS5_5ELb0ES3_mN6hipcub16HIPCUB_304000_NS21CountingInputIteratorIllEEPS6_NSA_22TransformInputIteratorIbN2at6native12_GLOBAL__N_19NonZeroOpIN3c107complexIdEEEEPKSL_lEENS0_5tupleIJPlS6_EEENSQ_IJSD_SD_EEES6_PiJS6_EEE10hipError_tPvRmT3_T4_T5_T6_T7_T9_mT8_P12ihipStream_tbDpT10_ENKUlT_T0_E_clISt17integral_constantIbLb1EES1D_IbLb0EEEEDaS19_S1A_EUlS19_E_NS1_11comp_targetILNS1_3genE2ELNS1_11target_archE906ELNS1_3gpuE6ELNS1_3repE0EEENS1_30default_config_static_selectorELNS0_4arch9wavefront6targetE0EEEvT1_
; %bb.0:
	.section	.rodata,"a",@progbits
	.p2align	6, 0x0
	.amdhsa_kernel _ZN7rocprim17ROCPRIM_400000_NS6detail17trampoline_kernelINS0_14default_configENS1_25partition_config_selectorILNS1_17partition_subalgoE5ElNS0_10empty_typeEbEEZZNS1_14partition_implILS5_5ELb0ES3_mN6hipcub16HIPCUB_304000_NS21CountingInputIteratorIllEEPS6_NSA_22TransformInputIteratorIbN2at6native12_GLOBAL__N_19NonZeroOpIN3c107complexIdEEEEPKSL_lEENS0_5tupleIJPlS6_EEENSQ_IJSD_SD_EEES6_PiJS6_EEE10hipError_tPvRmT3_T4_T5_T6_T7_T9_mT8_P12ihipStream_tbDpT10_ENKUlT_T0_E_clISt17integral_constantIbLb1EES1D_IbLb0EEEEDaS19_S1A_EUlS19_E_NS1_11comp_targetILNS1_3genE2ELNS1_11target_archE906ELNS1_3gpuE6ELNS1_3repE0EEENS1_30default_config_static_selectorELNS0_4arch9wavefront6targetE0EEEvT1_
		.amdhsa_group_segment_fixed_size 0
		.amdhsa_private_segment_fixed_size 0
		.amdhsa_kernarg_size 120
		.amdhsa_user_sgpr_count 15
		.amdhsa_user_sgpr_dispatch_ptr 0
		.amdhsa_user_sgpr_queue_ptr 0
		.amdhsa_user_sgpr_kernarg_segment_ptr 1
		.amdhsa_user_sgpr_dispatch_id 0
		.amdhsa_user_sgpr_private_segment_size 0
		.amdhsa_wavefront_size32 1
		.amdhsa_uses_dynamic_stack 0
		.amdhsa_enable_private_segment 0
		.amdhsa_system_sgpr_workgroup_id_x 1
		.amdhsa_system_sgpr_workgroup_id_y 0
		.amdhsa_system_sgpr_workgroup_id_z 0
		.amdhsa_system_sgpr_workgroup_info 0
		.amdhsa_system_vgpr_workitem_id 0
		.amdhsa_next_free_vgpr 1
		.amdhsa_next_free_sgpr 1
		.amdhsa_reserve_vcc 0
		.amdhsa_float_round_mode_32 0
		.amdhsa_float_round_mode_16_64 0
		.amdhsa_float_denorm_mode_32 3
		.amdhsa_float_denorm_mode_16_64 3
		.amdhsa_dx10_clamp 1
		.amdhsa_ieee_mode 1
		.amdhsa_fp16_overflow 0
		.amdhsa_workgroup_processor_mode 1
		.amdhsa_memory_ordered 1
		.amdhsa_forward_progress 0
		.amdhsa_shared_vgpr_count 0
		.amdhsa_exception_fp_ieee_invalid_op 0
		.amdhsa_exception_fp_denorm_src 0
		.amdhsa_exception_fp_ieee_div_zero 0
		.amdhsa_exception_fp_ieee_overflow 0
		.amdhsa_exception_fp_ieee_underflow 0
		.amdhsa_exception_fp_ieee_inexact 0
		.amdhsa_exception_int_div_zero 0
	.end_amdhsa_kernel
	.section	.text._ZN7rocprim17ROCPRIM_400000_NS6detail17trampoline_kernelINS0_14default_configENS1_25partition_config_selectorILNS1_17partition_subalgoE5ElNS0_10empty_typeEbEEZZNS1_14partition_implILS5_5ELb0ES3_mN6hipcub16HIPCUB_304000_NS21CountingInputIteratorIllEEPS6_NSA_22TransformInputIteratorIbN2at6native12_GLOBAL__N_19NonZeroOpIN3c107complexIdEEEEPKSL_lEENS0_5tupleIJPlS6_EEENSQ_IJSD_SD_EEES6_PiJS6_EEE10hipError_tPvRmT3_T4_T5_T6_T7_T9_mT8_P12ihipStream_tbDpT10_ENKUlT_T0_E_clISt17integral_constantIbLb1EES1D_IbLb0EEEEDaS19_S1A_EUlS19_E_NS1_11comp_targetILNS1_3genE2ELNS1_11target_archE906ELNS1_3gpuE6ELNS1_3repE0EEENS1_30default_config_static_selectorELNS0_4arch9wavefront6targetE0EEEvT1_,"axG",@progbits,_ZN7rocprim17ROCPRIM_400000_NS6detail17trampoline_kernelINS0_14default_configENS1_25partition_config_selectorILNS1_17partition_subalgoE5ElNS0_10empty_typeEbEEZZNS1_14partition_implILS5_5ELb0ES3_mN6hipcub16HIPCUB_304000_NS21CountingInputIteratorIllEEPS6_NSA_22TransformInputIteratorIbN2at6native12_GLOBAL__N_19NonZeroOpIN3c107complexIdEEEEPKSL_lEENS0_5tupleIJPlS6_EEENSQ_IJSD_SD_EEES6_PiJS6_EEE10hipError_tPvRmT3_T4_T5_T6_T7_T9_mT8_P12ihipStream_tbDpT10_ENKUlT_T0_E_clISt17integral_constantIbLb1EES1D_IbLb0EEEEDaS19_S1A_EUlS19_E_NS1_11comp_targetILNS1_3genE2ELNS1_11target_archE906ELNS1_3gpuE6ELNS1_3repE0EEENS1_30default_config_static_selectorELNS0_4arch9wavefront6targetE0EEEvT1_,comdat
.Lfunc_end546:
	.size	_ZN7rocprim17ROCPRIM_400000_NS6detail17trampoline_kernelINS0_14default_configENS1_25partition_config_selectorILNS1_17partition_subalgoE5ElNS0_10empty_typeEbEEZZNS1_14partition_implILS5_5ELb0ES3_mN6hipcub16HIPCUB_304000_NS21CountingInputIteratorIllEEPS6_NSA_22TransformInputIteratorIbN2at6native12_GLOBAL__N_19NonZeroOpIN3c107complexIdEEEEPKSL_lEENS0_5tupleIJPlS6_EEENSQ_IJSD_SD_EEES6_PiJS6_EEE10hipError_tPvRmT3_T4_T5_T6_T7_T9_mT8_P12ihipStream_tbDpT10_ENKUlT_T0_E_clISt17integral_constantIbLb1EES1D_IbLb0EEEEDaS19_S1A_EUlS19_E_NS1_11comp_targetILNS1_3genE2ELNS1_11target_archE906ELNS1_3gpuE6ELNS1_3repE0EEENS1_30default_config_static_selectorELNS0_4arch9wavefront6targetE0EEEvT1_, .Lfunc_end546-_ZN7rocprim17ROCPRIM_400000_NS6detail17trampoline_kernelINS0_14default_configENS1_25partition_config_selectorILNS1_17partition_subalgoE5ElNS0_10empty_typeEbEEZZNS1_14partition_implILS5_5ELb0ES3_mN6hipcub16HIPCUB_304000_NS21CountingInputIteratorIllEEPS6_NSA_22TransformInputIteratorIbN2at6native12_GLOBAL__N_19NonZeroOpIN3c107complexIdEEEEPKSL_lEENS0_5tupleIJPlS6_EEENSQ_IJSD_SD_EEES6_PiJS6_EEE10hipError_tPvRmT3_T4_T5_T6_T7_T9_mT8_P12ihipStream_tbDpT10_ENKUlT_T0_E_clISt17integral_constantIbLb1EES1D_IbLb0EEEEDaS19_S1A_EUlS19_E_NS1_11comp_targetILNS1_3genE2ELNS1_11target_archE906ELNS1_3gpuE6ELNS1_3repE0EEENS1_30default_config_static_selectorELNS0_4arch9wavefront6targetE0EEEvT1_
                                        ; -- End function
	.section	.AMDGPU.csdata,"",@progbits
; Kernel info:
; codeLenInByte = 0
; NumSgprs: 0
; NumVgprs: 0
; ScratchSize: 0
; MemoryBound: 0
; FloatMode: 240
; IeeeMode: 1
; LDSByteSize: 0 bytes/workgroup (compile time only)
; SGPRBlocks: 0
; VGPRBlocks: 0
; NumSGPRsForWavesPerEU: 1
; NumVGPRsForWavesPerEU: 1
; Occupancy: 16
; WaveLimiterHint : 0
; COMPUTE_PGM_RSRC2:SCRATCH_EN: 0
; COMPUTE_PGM_RSRC2:USER_SGPR: 15
; COMPUTE_PGM_RSRC2:TRAP_HANDLER: 0
; COMPUTE_PGM_RSRC2:TGID_X_EN: 1
; COMPUTE_PGM_RSRC2:TGID_Y_EN: 0
; COMPUTE_PGM_RSRC2:TGID_Z_EN: 0
; COMPUTE_PGM_RSRC2:TIDIG_COMP_CNT: 0
	.section	.text._ZN7rocprim17ROCPRIM_400000_NS6detail17trampoline_kernelINS0_14default_configENS1_25partition_config_selectorILNS1_17partition_subalgoE5ElNS0_10empty_typeEbEEZZNS1_14partition_implILS5_5ELb0ES3_mN6hipcub16HIPCUB_304000_NS21CountingInputIteratorIllEEPS6_NSA_22TransformInputIteratorIbN2at6native12_GLOBAL__N_19NonZeroOpIN3c107complexIdEEEEPKSL_lEENS0_5tupleIJPlS6_EEENSQ_IJSD_SD_EEES6_PiJS6_EEE10hipError_tPvRmT3_T4_T5_T6_T7_T9_mT8_P12ihipStream_tbDpT10_ENKUlT_T0_E_clISt17integral_constantIbLb1EES1D_IbLb0EEEEDaS19_S1A_EUlS19_E_NS1_11comp_targetILNS1_3genE10ELNS1_11target_archE1200ELNS1_3gpuE4ELNS1_3repE0EEENS1_30default_config_static_selectorELNS0_4arch9wavefront6targetE0EEEvT1_,"axG",@progbits,_ZN7rocprim17ROCPRIM_400000_NS6detail17trampoline_kernelINS0_14default_configENS1_25partition_config_selectorILNS1_17partition_subalgoE5ElNS0_10empty_typeEbEEZZNS1_14partition_implILS5_5ELb0ES3_mN6hipcub16HIPCUB_304000_NS21CountingInputIteratorIllEEPS6_NSA_22TransformInputIteratorIbN2at6native12_GLOBAL__N_19NonZeroOpIN3c107complexIdEEEEPKSL_lEENS0_5tupleIJPlS6_EEENSQ_IJSD_SD_EEES6_PiJS6_EEE10hipError_tPvRmT3_T4_T5_T6_T7_T9_mT8_P12ihipStream_tbDpT10_ENKUlT_T0_E_clISt17integral_constantIbLb1EES1D_IbLb0EEEEDaS19_S1A_EUlS19_E_NS1_11comp_targetILNS1_3genE10ELNS1_11target_archE1200ELNS1_3gpuE4ELNS1_3repE0EEENS1_30default_config_static_selectorELNS0_4arch9wavefront6targetE0EEEvT1_,comdat
	.globl	_ZN7rocprim17ROCPRIM_400000_NS6detail17trampoline_kernelINS0_14default_configENS1_25partition_config_selectorILNS1_17partition_subalgoE5ElNS0_10empty_typeEbEEZZNS1_14partition_implILS5_5ELb0ES3_mN6hipcub16HIPCUB_304000_NS21CountingInputIteratorIllEEPS6_NSA_22TransformInputIteratorIbN2at6native12_GLOBAL__N_19NonZeroOpIN3c107complexIdEEEEPKSL_lEENS0_5tupleIJPlS6_EEENSQ_IJSD_SD_EEES6_PiJS6_EEE10hipError_tPvRmT3_T4_T5_T6_T7_T9_mT8_P12ihipStream_tbDpT10_ENKUlT_T0_E_clISt17integral_constantIbLb1EES1D_IbLb0EEEEDaS19_S1A_EUlS19_E_NS1_11comp_targetILNS1_3genE10ELNS1_11target_archE1200ELNS1_3gpuE4ELNS1_3repE0EEENS1_30default_config_static_selectorELNS0_4arch9wavefront6targetE0EEEvT1_ ; -- Begin function _ZN7rocprim17ROCPRIM_400000_NS6detail17trampoline_kernelINS0_14default_configENS1_25partition_config_selectorILNS1_17partition_subalgoE5ElNS0_10empty_typeEbEEZZNS1_14partition_implILS5_5ELb0ES3_mN6hipcub16HIPCUB_304000_NS21CountingInputIteratorIllEEPS6_NSA_22TransformInputIteratorIbN2at6native12_GLOBAL__N_19NonZeroOpIN3c107complexIdEEEEPKSL_lEENS0_5tupleIJPlS6_EEENSQ_IJSD_SD_EEES6_PiJS6_EEE10hipError_tPvRmT3_T4_T5_T6_T7_T9_mT8_P12ihipStream_tbDpT10_ENKUlT_T0_E_clISt17integral_constantIbLb1EES1D_IbLb0EEEEDaS19_S1A_EUlS19_E_NS1_11comp_targetILNS1_3genE10ELNS1_11target_archE1200ELNS1_3gpuE4ELNS1_3repE0EEENS1_30default_config_static_selectorELNS0_4arch9wavefront6targetE0EEEvT1_
	.p2align	8
	.type	_ZN7rocprim17ROCPRIM_400000_NS6detail17trampoline_kernelINS0_14default_configENS1_25partition_config_selectorILNS1_17partition_subalgoE5ElNS0_10empty_typeEbEEZZNS1_14partition_implILS5_5ELb0ES3_mN6hipcub16HIPCUB_304000_NS21CountingInputIteratorIllEEPS6_NSA_22TransformInputIteratorIbN2at6native12_GLOBAL__N_19NonZeroOpIN3c107complexIdEEEEPKSL_lEENS0_5tupleIJPlS6_EEENSQ_IJSD_SD_EEES6_PiJS6_EEE10hipError_tPvRmT3_T4_T5_T6_T7_T9_mT8_P12ihipStream_tbDpT10_ENKUlT_T0_E_clISt17integral_constantIbLb1EES1D_IbLb0EEEEDaS19_S1A_EUlS19_E_NS1_11comp_targetILNS1_3genE10ELNS1_11target_archE1200ELNS1_3gpuE4ELNS1_3repE0EEENS1_30default_config_static_selectorELNS0_4arch9wavefront6targetE0EEEvT1_,@function
_ZN7rocprim17ROCPRIM_400000_NS6detail17trampoline_kernelINS0_14default_configENS1_25partition_config_selectorILNS1_17partition_subalgoE5ElNS0_10empty_typeEbEEZZNS1_14partition_implILS5_5ELb0ES3_mN6hipcub16HIPCUB_304000_NS21CountingInputIteratorIllEEPS6_NSA_22TransformInputIteratorIbN2at6native12_GLOBAL__N_19NonZeroOpIN3c107complexIdEEEEPKSL_lEENS0_5tupleIJPlS6_EEENSQ_IJSD_SD_EEES6_PiJS6_EEE10hipError_tPvRmT3_T4_T5_T6_T7_T9_mT8_P12ihipStream_tbDpT10_ENKUlT_T0_E_clISt17integral_constantIbLb1EES1D_IbLb0EEEEDaS19_S1A_EUlS19_E_NS1_11comp_targetILNS1_3genE10ELNS1_11target_archE1200ELNS1_3gpuE4ELNS1_3repE0EEENS1_30default_config_static_selectorELNS0_4arch9wavefront6targetE0EEEvT1_: ; @_ZN7rocprim17ROCPRIM_400000_NS6detail17trampoline_kernelINS0_14default_configENS1_25partition_config_selectorILNS1_17partition_subalgoE5ElNS0_10empty_typeEbEEZZNS1_14partition_implILS5_5ELb0ES3_mN6hipcub16HIPCUB_304000_NS21CountingInputIteratorIllEEPS6_NSA_22TransformInputIteratorIbN2at6native12_GLOBAL__N_19NonZeroOpIN3c107complexIdEEEEPKSL_lEENS0_5tupleIJPlS6_EEENSQ_IJSD_SD_EEES6_PiJS6_EEE10hipError_tPvRmT3_T4_T5_T6_T7_T9_mT8_P12ihipStream_tbDpT10_ENKUlT_T0_E_clISt17integral_constantIbLb1EES1D_IbLb0EEEEDaS19_S1A_EUlS19_E_NS1_11comp_targetILNS1_3genE10ELNS1_11target_archE1200ELNS1_3gpuE4ELNS1_3repE0EEENS1_30default_config_static_selectorELNS0_4arch9wavefront6targetE0EEEvT1_
; %bb.0:
	.section	.rodata,"a",@progbits
	.p2align	6, 0x0
	.amdhsa_kernel _ZN7rocprim17ROCPRIM_400000_NS6detail17trampoline_kernelINS0_14default_configENS1_25partition_config_selectorILNS1_17partition_subalgoE5ElNS0_10empty_typeEbEEZZNS1_14partition_implILS5_5ELb0ES3_mN6hipcub16HIPCUB_304000_NS21CountingInputIteratorIllEEPS6_NSA_22TransformInputIteratorIbN2at6native12_GLOBAL__N_19NonZeroOpIN3c107complexIdEEEEPKSL_lEENS0_5tupleIJPlS6_EEENSQ_IJSD_SD_EEES6_PiJS6_EEE10hipError_tPvRmT3_T4_T5_T6_T7_T9_mT8_P12ihipStream_tbDpT10_ENKUlT_T0_E_clISt17integral_constantIbLb1EES1D_IbLb0EEEEDaS19_S1A_EUlS19_E_NS1_11comp_targetILNS1_3genE10ELNS1_11target_archE1200ELNS1_3gpuE4ELNS1_3repE0EEENS1_30default_config_static_selectorELNS0_4arch9wavefront6targetE0EEEvT1_
		.amdhsa_group_segment_fixed_size 0
		.amdhsa_private_segment_fixed_size 0
		.amdhsa_kernarg_size 120
		.amdhsa_user_sgpr_count 15
		.amdhsa_user_sgpr_dispatch_ptr 0
		.amdhsa_user_sgpr_queue_ptr 0
		.amdhsa_user_sgpr_kernarg_segment_ptr 1
		.amdhsa_user_sgpr_dispatch_id 0
		.amdhsa_user_sgpr_private_segment_size 0
		.amdhsa_wavefront_size32 1
		.amdhsa_uses_dynamic_stack 0
		.amdhsa_enable_private_segment 0
		.amdhsa_system_sgpr_workgroup_id_x 1
		.amdhsa_system_sgpr_workgroup_id_y 0
		.amdhsa_system_sgpr_workgroup_id_z 0
		.amdhsa_system_sgpr_workgroup_info 0
		.amdhsa_system_vgpr_workitem_id 0
		.amdhsa_next_free_vgpr 1
		.amdhsa_next_free_sgpr 1
		.amdhsa_reserve_vcc 0
		.amdhsa_float_round_mode_32 0
		.amdhsa_float_round_mode_16_64 0
		.amdhsa_float_denorm_mode_32 3
		.amdhsa_float_denorm_mode_16_64 3
		.amdhsa_dx10_clamp 1
		.amdhsa_ieee_mode 1
		.amdhsa_fp16_overflow 0
		.amdhsa_workgroup_processor_mode 1
		.amdhsa_memory_ordered 1
		.amdhsa_forward_progress 0
		.amdhsa_shared_vgpr_count 0
		.amdhsa_exception_fp_ieee_invalid_op 0
		.amdhsa_exception_fp_denorm_src 0
		.amdhsa_exception_fp_ieee_div_zero 0
		.amdhsa_exception_fp_ieee_overflow 0
		.amdhsa_exception_fp_ieee_underflow 0
		.amdhsa_exception_fp_ieee_inexact 0
		.amdhsa_exception_int_div_zero 0
	.end_amdhsa_kernel
	.section	.text._ZN7rocprim17ROCPRIM_400000_NS6detail17trampoline_kernelINS0_14default_configENS1_25partition_config_selectorILNS1_17partition_subalgoE5ElNS0_10empty_typeEbEEZZNS1_14partition_implILS5_5ELb0ES3_mN6hipcub16HIPCUB_304000_NS21CountingInputIteratorIllEEPS6_NSA_22TransformInputIteratorIbN2at6native12_GLOBAL__N_19NonZeroOpIN3c107complexIdEEEEPKSL_lEENS0_5tupleIJPlS6_EEENSQ_IJSD_SD_EEES6_PiJS6_EEE10hipError_tPvRmT3_T4_T5_T6_T7_T9_mT8_P12ihipStream_tbDpT10_ENKUlT_T0_E_clISt17integral_constantIbLb1EES1D_IbLb0EEEEDaS19_S1A_EUlS19_E_NS1_11comp_targetILNS1_3genE10ELNS1_11target_archE1200ELNS1_3gpuE4ELNS1_3repE0EEENS1_30default_config_static_selectorELNS0_4arch9wavefront6targetE0EEEvT1_,"axG",@progbits,_ZN7rocprim17ROCPRIM_400000_NS6detail17trampoline_kernelINS0_14default_configENS1_25partition_config_selectorILNS1_17partition_subalgoE5ElNS0_10empty_typeEbEEZZNS1_14partition_implILS5_5ELb0ES3_mN6hipcub16HIPCUB_304000_NS21CountingInputIteratorIllEEPS6_NSA_22TransformInputIteratorIbN2at6native12_GLOBAL__N_19NonZeroOpIN3c107complexIdEEEEPKSL_lEENS0_5tupleIJPlS6_EEENSQ_IJSD_SD_EEES6_PiJS6_EEE10hipError_tPvRmT3_T4_T5_T6_T7_T9_mT8_P12ihipStream_tbDpT10_ENKUlT_T0_E_clISt17integral_constantIbLb1EES1D_IbLb0EEEEDaS19_S1A_EUlS19_E_NS1_11comp_targetILNS1_3genE10ELNS1_11target_archE1200ELNS1_3gpuE4ELNS1_3repE0EEENS1_30default_config_static_selectorELNS0_4arch9wavefront6targetE0EEEvT1_,comdat
.Lfunc_end547:
	.size	_ZN7rocprim17ROCPRIM_400000_NS6detail17trampoline_kernelINS0_14default_configENS1_25partition_config_selectorILNS1_17partition_subalgoE5ElNS0_10empty_typeEbEEZZNS1_14partition_implILS5_5ELb0ES3_mN6hipcub16HIPCUB_304000_NS21CountingInputIteratorIllEEPS6_NSA_22TransformInputIteratorIbN2at6native12_GLOBAL__N_19NonZeroOpIN3c107complexIdEEEEPKSL_lEENS0_5tupleIJPlS6_EEENSQ_IJSD_SD_EEES6_PiJS6_EEE10hipError_tPvRmT3_T4_T5_T6_T7_T9_mT8_P12ihipStream_tbDpT10_ENKUlT_T0_E_clISt17integral_constantIbLb1EES1D_IbLb0EEEEDaS19_S1A_EUlS19_E_NS1_11comp_targetILNS1_3genE10ELNS1_11target_archE1200ELNS1_3gpuE4ELNS1_3repE0EEENS1_30default_config_static_selectorELNS0_4arch9wavefront6targetE0EEEvT1_, .Lfunc_end547-_ZN7rocprim17ROCPRIM_400000_NS6detail17trampoline_kernelINS0_14default_configENS1_25partition_config_selectorILNS1_17partition_subalgoE5ElNS0_10empty_typeEbEEZZNS1_14partition_implILS5_5ELb0ES3_mN6hipcub16HIPCUB_304000_NS21CountingInputIteratorIllEEPS6_NSA_22TransformInputIteratorIbN2at6native12_GLOBAL__N_19NonZeroOpIN3c107complexIdEEEEPKSL_lEENS0_5tupleIJPlS6_EEENSQ_IJSD_SD_EEES6_PiJS6_EEE10hipError_tPvRmT3_T4_T5_T6_T7_T9_mT8_P12ihipStream_tbDpT10_ENKUlT_T0_E_clISt17integral_constantIbLb1EES1D_IbLb0EEEEDaS19_S1A_EUlS19_E_NS1_11comp_targetILNS1_3genE10ELNS1_11target_archE1200ELNS1_3gpuE4ELNS1_3repE0EEENS1_30default_config_static_selectorELNS0_4arch9wavefront6targetE0EEEvT1_
                                        ; -- End function
	.section	.AMDGPU.csdata,"",@progbits
; Kernel info:
; codeLenInByte = 0
; NumSgprs: 0
; NumVgprs: 0
; ScratchSize: 0
; MemoryBound: 0
; FloatMode: 240
; IeeeMode: 1
; LDSByteSize: 0 bytes/workgroup (compile time only)
; SGPRBlocks: 0
; VGPRBlocks: 0
; NumSGPRsForWavesPerEU: 1
; NumVGPRsForWavesPerEU: 1
; Occupancy: 16
; WaveLimiterHint : 0
; COMPUTE_PGM_RSRC2:SCRATCH_EN: 0
; COMPUTE_PGM_RSRC2:USER_SGPR: 15
; COMPUTE_PGM_RSRC2:TRAP_HANDLER: 0
; COMPUTE_PGM_RSRC2:TGID_X_EN: 1
; COMPUTE_PGM_RSRC2:TGID_Y_EN: 0
; COMPUTE_PGM_RSRC2:TGID_Z_EN: 0
; COMPUTE_PGM_RSRC2:TIDIG_COMP_CNT: 0
	.section	.text._ZN7rocprim17ROCPRIM_400000_NS6detail17trampoline_kernelINS0_14default_configENS1_25partition_config_selectorILNS1_17partition_subalgoE5ElNS0_10empty_typeEbEEZZNS1_14partition_implILS5_5ELb0ES3_mN6hipcub16HIPCUB_304000_NS21CountingInputIteratorIllEEPS6_NSA_22TransformInputIteratorIbN2at6native12_GLOBAL__N_19NonZeroOpIN3c107complexIdEEEEPKSL_lEENS0_5tupleIJPlS6_EEENSQ_IJSD_SD_EEES6_PiJS6_EEE10hipError_tPvRmT3_T4_T5_T6_T7_T9_mT8_P12ihipStream_tbDpT10_ENKUlT_T0_E_clISt17integral_constantIbLb1EES1D_IbLb0EEEEDaS19_S1A_EUlS19_E_NS1_11comp_targetILNS1_3genE9ELNS1_11target_archE1100ELNS1_3gpuE3ELNS1_3repE0EEENS1_30default_config_static_selectorELNS0_4arch9wavefront6targetE0EEEvT1_,"axG",@progbits,_ZN7rocprim17ROCPRIM_400000_NS6detail17trampoline_kernelINS0_14default_configENS1_25partition_config_selectorILNS1_17partition_subalgoE5ElNS0_10empty_typeEbEEZZNS1_14partition_implILS5_5ELb0ES3_mN6hipcub16HIPCUB_304000_NS21CountingInputIteratorIllEEPS6_NSA_22TransformInputIteratorIbN2at6native12_GLOBAL__N_19NonZeroOpIN3c107complexIdEEEEPKSL_lEENS0_5tupleIJPlS6_EEENSQ_IJSD_SD_EEES6_PiJS6_EEE10hipError_tPvRmT3_T4_T5_T6_T7_T9_mT8_P12ihipStream_tbDpT10_ENKUlT_T0_E_clISt17integral_constantIbLb1EES1D_IbLb0EEEEDaS19_S1A_EUlS19_E_NS1_11comp_targetILNS1_3genE9ELNS1_11target_archE1100ELNS1_3gpuE3ELNS1_3repE0EEENS1_30default_config_static_selectorELNS0_4arch9wavefront6targetE0EEEvT1_,comdat
	.globl	_ZN7rocprim17ROCPRIM_400000_NS6detail17trampoline_kernelINS0_14default_configENS1_25partition_config_selectorILNS1_17partition_subalgoE5ElNS0_10empty_typeEbEEZZNS1_14partition_implILS5_5ELb0ES3_mN6hipcub16HIPCUB_304000_NS21CountingInputIteratorIllEEPS6_NSA_22TransformInputIteratorIbN2at6native12_GLOBAL__N_19NonZeroOpIN3c107complexIdEEEEPKSL_lEENS0_5tupleIJPlS6_EEENSQ_IJSD_SD_EEES6_PiJS6_EEE10hipError_tPvRmT3_T4_T5_T6_T7_T9_mT8_P12ihipStream_tbDpT10_ENKUlT_T0_E_clISt17integral_constantIbLb1EES1D_IbLb0EEEEDaS19_S1A_EUlS19_E_NS1_11comp_targetILNS1_3genE9ELNS1_11target_archE1100ELNS1_3gpuE3ELNS1_3repE0EEENS1_30default_config_static_selectorELNS0_4arch9wavefront6targetE0EEEvT1_ ; -- Begin function _ZN7rocprim17ROCPRIM_400000_NS6detail17trampoline_kernelINS0_14default_configENS1_25partition_config_selectorILNS1_17partition_subalgoE5ElNS0_10empty_typeEbEEZZNS1_14partition_implILS5_5ELb0ES3_mN6hipcub16HIPCUB_304000_NS21CountingInputIteratorIllEEPS6_NSA_22TransformInputIteratorIbN2at6native12_GLOBAL__N_19NonZeroOpIN3c107complexIdEEEEPKSL_lEENS0_5tupleIJPlS6_EEENSQ_IJSD_SD_EEES6_PiJS6_EEE10hipError_tPvRmT3_T4_T5_T6_T7_T9_mT8_P12ihipStream_tbDpT10_ENKUlT_T0_E_clISt17integral_constantIbLb1EES1D_IbLb0EEEEDaS19_S1A_EUlS19_E_NS1_11comp_targetILNS1_3genE9ELNS1_11target_archE1100ELNS1_3gpuE3ELNS1_3repE0EEENS1_30default_config_static_selectorELNS0_4arch9wavefront6targetE0EEEvT1_
	.p2align	8
	.type	_ZN7rocprim17ROCPRIM_400000_NS6detail17trampoline_kernelINS0_14default_configENS1_25partition_config_selectorILNS1_17partition_subalgoE5ElNS0_10empty_typeEbEEZZNS1_14partition_implILS5_5ELb0ES3_mN6hipcub16HIPCUB_304000_NS21CountingInputIteratorIllEEPS6_NSA_22TransformInputIteratorIbN2at6native12_GLOBAL__N_19NonZeroOpIN3c107complexIdEEEEPKSL_lEENS0_5tupleIJPlS6_EEENSQ_IJSD_SD_EEES6_PiJS6_EEE10hipError_tPvRmT3_T4_T5_T6_T7_T9_mT8_P12ihipStream_tbDpT10_ENKUlT_T0_E_clISt17integral_constantIbLb1EES1D_IbLb0EEEEDaS19_S1A_EUlS19_E_NS1_11comp_targetILNS1_3genE9ELNS1_11target_archE1100ELNS1_3gpuE3ELNS1_3repE0EEENS1_30default_config_static_selectorELNS0_4arch9wavefront6targetE0EEEvT1_,@function
_ZN7rocprim17ROCPRIM_400000_NS6detail17trampoline_kernelINS0_14default_configENS1_25partition_config_selectorILNS1_17partition_subalgoE5ElNS0_10empty_typeEbEEZZNS1_14partition_implILS5_5ELb0ES3_mN6hipcub16HIPCUB_304000_NS21CountingInputIteratorIllEEPS6_NSA_22TransformInputIteratorIbN2at6native12_GLOBAL__N_19NonZeroOpIN3c107complexIdEEEEPKSL_lEENS0_5tupleIJPlS6_EEENSQ_IJSD_SD_EEES6_PiJS6_EEE10hipError_tPvRmT3_T4_T5_T6_T7_T9_mT8_P12ihipStream_tbDpT10_ENKUlT_T0_E_clISt17integral_constantIbLb1EES1D_IbLb0EEEEDaS19_S1A_EUlS19_E_NS1_11comp_targetILNS1_3genE9ELNS1_11target_archE1100ELNS1_3gpuE3ELNS1_3repE0EEENS1_30default_config_static_selectorELNS0_4arch9wavefront6targetE0EEEvT1_: ; @_ZN7rocprim17ROCPRIM_400000_NS6detail17trampoline_kernelINS0_14default_configENS1_25partition_config_selectorILNS1_17partition_subalgoE5ElNS0_10empty_typeEbEEZZNS1_14partition_implILS5_5ELb0ES3_mN6hipcub16HIPCUB_304000_NS21CountingInputIteratorIllEEPS6_NSA_22TransformInputIteratorIbN2at6native12_GLOBAL__N_19NonZeroOpIN3c107complexIdEEEEPKSL_lEENS0_5tupleIJPlS6_EEENSQ_IJSD_SD_EEES6_PiJS6_EEE10hipError_tPvRmT3_T4_T5_T6_T7_T9_mT8_P12ihipStream_tbDpT10_ENKUlT_T0_E_clISt17integral_constantIbLb1EES1D_IbLb0EEEEDaS19_S1A_EUlS19_E_NS1_11comp_targetILNS1_3genE9ELNS1_11target_archE1100ELNS1_3gpuE3ELNS1_3repE0EEENS1_30default_config_static_selectorELNS0_4arch9wavefront6targetE0EEEvT1_
; %bb.0:
	s_clause 0x4
	s_load_b128 s[20:23], s[0:1], 0x8
	s_load_b128 s[16:19], s[0:1], 0x48
	s_load_b32 s4, s[0:1], 0x70
	s_load_b64 s[24:25], s[0:1], 0x58
	s_load_b64 s[2:3], s[0:1], 0x20
	s_waitcnt lgkmcnt(0)
	s_add_u32 s6, s22, s20
	s_load_b64 s[18:19], s[18:19], 0x0
	s_mul_i32 s26, s4, 0x300
	s_addc_u32 s7, s23, s21
	s_add_i32 s8, s4, -1
	s_add_u32 s4, s22, s26
	s_addc_u32 s5, s23, 0
	s_cmp_eq_u32 s15, s8
	v_cmp_ge_u64_e64 s4, s[4:5], s[24:25]
	s_cselect_b32 s13, -1, 0
	s_mov_b32 s8, -1
	s_delay_alu instid0(VALU_DEP_1)
	s_and_b32 s5, s13, s4
	s_mul_i32 s4, s15, 0x300
	s_xor_b32 s14, s5, -1
	s_mov_b32 s5, 0
	s_and_b32 vcc_lo, exec_lo, s14
	s_cbranch_vccz .LBB548_2
; %bb.1:
	s_add_u32 s8, s6, s4
	s_addc_u32 s9, s7, 0
	v_add_co_u32 v1, s8, s8, v0
	s_delay_alu instid0(VALU_DEP_1) | instskip(SKIP_1) | instid1(VALU_DEP_3)
	v_add_co_ci_u32_e64 v2, null, s9, 0, s8
	v_lshlrev_b32_e32 v13, 3, v0
	v_add_co_u32 v3, vcc_lo, 0x80, v1
	s_delay_alu instid0(VALU_DEP_3)
	v_add_co_ci_u32_e32 v4, vcc_lo, 0, v2, vcc_lo
	v_add_co_u32 v5, vcc_lo, 0x100, v1
	v_add_co_ci_u32_e32 v6, vcc_lo, 0, v2, vcc_lo
	v_add_co_u32 v7, vcc_lo, 0x180, v1
	;; [unrolled: 2-line block ×4, first 2 shown]
	v_add_co_ci_u32_e32 v12, vcc_lo, 0, v2, vcc_lo
	ds_store_2addr_stride64_b64 v13, v[1:2], v[3:4] offset1:2
	ds_store_2addr_stride64_b64 v13, v[5:6], v[7:8] offset0:4 offset1:6
	ds_store_2addr_stride64_b64 v13, v[9:10], v[11:12] offset0:8 offset1:10
	s_waitcnt lgkmcnt(0)
	s_mov_b32 s8, s5
	s_barrier
.LBB548_2:
	v_or_b32_e32 v17, 0x100, v0
	v_or_b32_e32 v16, 0x180, v0
	;; [unrolled: 1-line block ×4, first 2 shown]
	s_and_not1_b32 vcc_lo, exec_lo, s8
	s_cbranch_vccnz .LBB548_4
; %bb.3:
	v_or_b32_e32 v3, 0x80, v0
	s_add_u32 s6, s6, s4
	s_addc_u32 s7, s7, 0
	v_add_co_u32 v1, s8, s6, v0
	s_delay_alu instid0(VALU_DEP_1) | instskip(SKIP_1) | instid1(VALU_DEP_1)
	v_add_co_ci_u32_e64 v2, null, s7, 0, s8
	v_add_co_u32 v3, s8, s6, v3
	v_add_co_ci_u32_e64 v4, null, s7, 0, s8
	v_add_co_u32 v5, s8, s6, v17
	s_delay_alu instid0(VALU_DEP_1) | instskip(SKIP_1) | instid1(VALU_DEP_1)
	v_add_co_ci_u32_e64 v6, null, s7, 0, s8
	v_add_co_u32 v7, s8, s6, v16
	v_add_co_ci_u32_e64 v8, null, s7, 0, s8
	v_add_co_u32 v9, s8, s6, v15
	v_lshlrev_b32_e32 v14, 3, v0
	v_add_co_u32 v11, s6, s6, v13
	v_add_co_ci_u32_e64 v10, null, s7, 0, s8
	v_add_co_ci_u32_e64 v12, null, s7, 0, s6
	ds_store_2addr_stride64_b64 v14, v[1:2], v[3:4] offset1:2
	ds_store_2addr_stride64_b64 v14, v[5:6], v[7:8] offset0:4 offset1:6
	ds_store_2addr_stride64_b64 v14, v[9:10], v[11:12] offset0:8 offset1:10
	s_waitcnt lgkmcnt(0)
	s_barrier
.LBB548_4:
	v_mul_u32_u24_e32 v1, 6, v0
	s_waitcnt lgkmcnt(0)
	buffer_gl0_inv
	s_lshl_b64 s[6:7], s[22:23], 4
	s_mov_b32 s23, -1
	s_add_u32 s6, s2, s6
	v_lshlrev_b32_e32 v14, 3, v1
	s_addc_u32 s7, s3, s7
	s_lshl_b64 s[2:3], s[4:5], 4
	ds_load_b128 v[9:12], v14
	ds_load_b128 v[5:8], v14 offset:16
	ds_load_b128 v[1:4], v14 offset:32
	s_add_u32 s20, s6, s2
	s_addc_u32 s21, s7, s3
	s_and_b32 vcc_lo, exec_lo, s14
	s_waitcnt lgkmcnt(0)
	s_barrier
	buffer_gl0_inv
	s_cbranch_vccz .LBB548_6
; %bb.5:
	v_lshlrev_b32_e32 v22, 4, v0
	s_mov_b32 s23, 0
	s_delay_alu instid0(VALU_DEP_1) | instskip(NEXT) | instid1(VALU_DEP_1)
	v_add_co_u32 v32, s2, s20, v22
	v_add_co_ci_u32_e64 v33, null, s21, 0, s2
	s_clause 0x1
	global_load_b128 v[18:21], v22, s[20:21]
	global_load_b128 v[22:25], v22, s[20:21] offset:2048
	v_add_co_u32 v34, vcc_lo, v32, 0x2000
	v_add_co_ci_u32_e32 v35, vcc_lo, 0, v33, vcc_lo
	v_add_co_u32 v30, vcc_lo, 0x1000, v32
	v_add_co_ci_u32_e32 v31, vcc_lo, 0, v33, vcc_lo
	v_add_co_u32 v38, vcc_lo, 0x2000, v32
	global_load_b128 v[26:29], v[34:35], off offset:-4096
	v_add_co_ci_u32_e32 v39, vcc_lo, 0, v33, vcc_lo
	s_clause 0x2
	global_load_b128 v[30:33], v[30:31], off offset:2048
	global_load_b128 v[34:37], v[34:35], off
	global_load_b128 v[38:41], v[38:39], off offset:2048
	s_waitcnt vmcnt(5)
	v_cmp_neq_f64_e32 vcc_lo, 0, v[18:19]
	v_cmp_neq_f64_e64 s2, 0, v[20:21]
	s_waitcnt vmcnt(4)
	v_cmp_neq_f64_e64 s3, 0, v[22:23]
	v_cmp_neq_f64_e64 s4, 0, v[24:25]
	s_waitcnt vmcnt(3)
	v_cmp_neq_f64_e64 s5, 0, v[26:27]
	;; [unrolled: 3-line block ×5, first 2 shown]
	v_cmp_neq_f64_e64 s12, 0, v[40:41]
	s_or_b32 s2, vcc_lo, s2
	s_delay_alu instid0(SALU_CYCLE_1) | instskip(SKIP_1) | instid1(SALU_CYCLE_1)
	v_cndmask_b32_e64 v18, 0, 1, s2
	s_or_b32 s2, s3, s4
	v_cndmask_b32_e64 v19, 0, 1, s2
	s_or_b32 s2, s5, s6
	s_delay_alu instid0(SALU_CYCLE_1) | instskip(SKIP_1) | instid1(SALU_CYCLE_1)
	v_cndmask_b32_e64 v20, 0, 1, s2
	s_or_b32 s2, s7, s8
	v_cndmask_b32_e64 v21, 0, 1, s2
	s_or_b32 s2, s9, s10
	s_delay_alu instid0(SALU_CYCLE_1) | instskip(SKIP_1) | instid1(SALU_CYCLE_1)
	v_cndmask_b32_e64 v22, 0, 1, s2
	s_or_b32 s2, s11, s12
	v_cndmask_b32_e64 v23, 0, 1, s2
	ds_store_b8 v0, v18
	ds_store_b8 v0, v19 offset:128
	ds_store_b8 v0, v20 offset:256
	;; [unrolled: 1-line block ×5, first 2 shown]
	s_waitcnt lgkmcnt(0)
	s_barrier
.LBB548_6:
	s_load_b64 s[4:5], s[0:1], 0x68
	s_and_not1_b32 vcc_lo, exec_lo, s23
	s_cbranch_vccnz .LBB548_20
; %bb.7:
	s_add_i32 s26, s26, s22
	v_dual_mov_b32 v18, 0 :: v_dual_mov_b32 v19, 0
	s_sub_i32 s3, s24, s26
	s_mov_b32 s6, exec_lo
	s_addk_i32 s3, 0x300
	s_delay_alu instid0(SALU_CYCLE_1)
	v_cmpx_gt_u32_e64 s3, v0
	s_cbranch_execz .LBB548_9
; %bb.8:
	v_lshlrev_b32_e32 v19, 4, v0
	global_load_b128 v[19:22], v19, s[20:21]
	s_waitcnt vmcnt(0)
	v_cmp_neq_f64_e32 vcc_lo, 0, v[19:20]
	v_cmp_neq_f64_e64 s2, 0, v[21:22]
	s_delay_alu instid0(VALU_DEP_1) | instskip(NEXT) | instid1(SALU_CYCLE_1)
	s_or_b32 s2, vcc_lo, s2
	v_cndmask_b32_e64 v19, 0, 1, s2
.LBB548_9:
	s_or_b32 exec_lo, exec_lo, s6
	v_or_b32_e32 v20, 0x80, v0
	s_mov_b32 s6, exec_lo
	s_delay_alu instid0(VALU_DEP_1)
	v_cmpx_gt_u32_e64 s3, v20
	s_cbranch_execz .LBB548_11
; %bb.10:
	v_lshlrev_b32_e32 v18, 4, v0
	global_load_b128 v[20:23], v18, s[20:21] offset:2048
	s_waitcnt vmcnt(0)
	v_cmp_neq_f64_e32 vcc_lo, 0, v[20:21]
	v_cmp_neq_f64_e64 s2, 0, v[22:23]
	s_delay_alu instid0(VALU_DEP_1) | instskip(NEXT) | instid1(SALU_CYCLE_1)
	s_or_b32 s2, vcc_lo, s2
	v_cndmask_b32_e64 v18, 0, 1, s2
.LBB548_11:
	s_or_b32 exec_lo, exec_lo, s6
	v_dual_mov_b32 v20, 0 :: v_dual_mov_b32 v21, 0
	s_mov_b32 s6, exec_lo
	v_cmpx_gt_u32_e64 s3, v17
	s_cbranch_execz .LBB548_13
; %bb.12:
	v_lshlrev_b32_e32 v17, 4, v17
	global_load_b128 v[21:24], v17, s[20:21]
	s_waitcnt vmcnt(0)
	v_cmp_neq_f64_e32 vcc_lo, 0, v[21:22]
	v_cmp_neq_f64_e64 s2, 0, v[23:24]
	s_delay_alu instid0(VALU_DEP_1) | instskip(NEXT) | instid1(SALU_CYCLE_1)
	s_or_b32 s2, vcc_lo, s2
	v_cndmask_b32_e64 v21, 0, 1, s2
.LBB548_13:
	s_or_b32 exec_lo, exec_lo, s6
	s_delay_alu instid0(SALU_CYCLE_1)
	s_mov_b32 s6, exec_lo
	v_cmpx_gt_u32_e64 s3, v16
	s_cbranch_execz .LBB548_15
; %bb.14:
	v_lshlrev_b32_e32 v16, 4, v16
	global_load_b128 v[22:25], v16, s[20:21]
	s_waitcnt vmcnt(0)
	v_cmp_neq_f64_e32 vcc_lo, 0, v[22:23]
	v_cmp_neq_f64_e64 s2, 0, v[24:25]
	s_delay_alu instid0(VALU_DEP_1) | instskip(NEXT) | instid1(SALU_CYCLE_1)
	s_or_b32 s2, vcc_lo, s2
	v_cndmask_b32_e64 v20, 0, 1, s2
.LBB548_15:
	s_or_b32 exec_lo, exec_lo, s6
	v_dual_mov_b32 v16, 0 :: v_dual_mov_b32 v17, 0
	s_mov_b32 s6, exec_lo
	v_cmpx_gt_u32_e64 s3, v15
	s_cbranch_execz .LBB548_17
; %bb.16:
	v_lshlrev_b32_e32 v15, 4, v15
	global_load_b128 v[22:25], v15, s[20:21]
	s_waitcnt vmcnt(0)
	v_cmp_neq_f64_e32 vcc_lo, 0, v[22:23]
	v_cmp_neq_f64_e64 s2, 0, v[24:25]
	s_delay_alu instid0(VALU_DEP_1) | instskip(NEXT) | instid1(SALU_CYCLE_1)
	s_or_b32 s2, vcc_lo, s2
	v_cndmask_b32_e64 v17, 0, 1, s2
.LBB548_17:
	s_or_b32 exec_lo, exec_lo, s6
	v_cmp_gt_u32_e32 vcc_lo, s3, v13
	s_and_saveexec_b32 s3, vcc_lo
	s_cbranch_execz .LBB548_19
; %bb.18:
	v_lshlrev_b32_e32 v13, 4, v13
	global_load_b128 v[22:25], v13, s[20:21]
	s_waitcnt vmcnt(0)
	v_cmp_neq_f64_e32 vcc_lo, 0, v[22:23]
	v_cmp_neq_f64_e64 s2, 0, v[24:25]
	s_delay_alu instid0(VALU_DEP_1) | instskip(NEXT) | instid1(SALU_CYCLE_1)
	s_or_b32 s2, vcc_lo, s2
	v_cndmask_b32_e64 v16, 0, 1, s2
.LBB548_19:
	s_or_b32 exec_lo, exec_lo, s3
	ds_store_b8 v0, v19
	ds_store_b8 v0, v18 offset:128
	ds_store_b8 v0, v21 offset:256
	;; [unrolled: 1-line block ×5, first 2 shown]
	s_waitcnt lgkmcnt(0)
	s_barrier
.LBB548_20:
	v_mad_i32_i24 v43, 0xffffffd6, v0, v14
	s_waitcnt lgkmcnt(0)
	buffer_gl0_inv
	v_mbcnt_lo_u32_b32 v42, -1, 0
	s_cmp_lg_u32 s15, 0
	s_mov_b32 s3, -1
	ds_load_u16 v36, v43
	ds_load_u16 v33, v43 offset:2
	ds_load_u16 v31, v43 offset:4
	v_mov_b32_e32 v14, 0
	v_and_b32_e32 v44, 15, v42
	s_waitcnt lgkmcnt(0)
	s_barrier
	buffer_gl0_inv
	v_and_b32_e32 v41, 0xff, v36
	v_lshrrev_b16 v34, 8, v36
	v_lshrrev_b16 v35, 8, v33
	v_and_b32_e32 v39, 0xff, v33
	v_lshrrev_b16 v32, 8, v31
	v_and_b32_e32 v37, 0xff, v31
	v_and_b32_e32 v40, 0xffff, v34
	;; [unrolled: 1-line block ×3, first 2 shown]
	s_delay_alu instid0(VALU_DEP_4) | instskip(NEXT) | instid1(VALU_DEP_3)
	v_and_b32_e32 v16, 0xffff, v32
	v_add_co_u32 v13, s2, v40, v41
	s_delay_alu instid0(VALU_DEP_1) | instskip(SKIP_1) | instid1(VALU_DEP_3)
	v_add_co_ci_u32_e64 v15, null, 0, 0, s2
	v_cmp_ne_u32_e64 s2, 0, v44
	v_add_co_u32 v13, vcc_lo, v13, v39
	s_delay_alu instid0(VALU_DEP_3) | instskip(NEXT) | instid1(VALU_DEP_2)
	v_add_co_ci_u32_e32 v15, vcc_lo, 0, v15, vcc_lo
	v_add_co_u32 v13, vcc_lo, v13, v38
	s_delay_alu instid0(VALU_DEP_2) | instskip(NEXT) | instid1(VALU_DEP_2)
	v_add_co_ci_u32_e32 v15, vcc_lo, 0, v15, vcc_lo
	v_add_co_u32 v13, vcc_lo, v13, v37
	s_delay_alu instid0(VALU_DEP_2) | instskip(NEXT) | instid1(VALU_DEP_2)
	v_add_co_ci_u32_e32 v15, vcc_lo, 0, v15, vcc_lo
	v_add_co_u32 v21, vcc_lo, v13, v16
	s_delay_alu instid0(VALU_DEP_2)
	v_add_co_ci_u32_e32 v22, vcc_lo, 0, v15, vcc_lo
	s_cbranch_scc0 .LBB548_89
; %bb.21:
	s_delay_alu instid0(VALU_DEP_2)
	v_mov_b32_e32 v15, v21
	v_mov_b32_dpp v13, v21 row_shr:1 row_mask:0xf bank_mask:0xf
	v_mov_b32_dpp v18, v14 row_shr:1 row_mask:0xf bank_mask:0xf
	v_dual_mov_b32 v17, v21 :: v_dual_mov_b32 v16, v22
	s_and_saveexec_b32 s3, s2
; %bb.22:
	s_delay_alu instid0(VALU_DEP_3) | instskip(SKIP_1) | instid1(VALU_DEP_2)
	v_add_co_u32 v17, vcc_lo, v21, v13
	v_add_co_ci_u32_e32 v14, vcc_lo, 0, v22, vcc_lo
	v_add_co_u32 v13, vcc_lo, 0, v17
	s_delay_alu instid0(VALU_DEP_2) | instskip(NEXT) | instid1(VALU_DEP_1)
	v_add_co_ci_u32_e32 v14, vcc_lo, v18, v14, vcc_lo
	v_dual_mov_b32 v16, v14 :: v_dual_mov_b32 v15, v13
; %bb.23:
	s_or_b32 exec_lo, exec_lo, s3
	v_mov_b32_dpp v13, v17 row_shr:2 row_mask:0xf bank_mask:0xf
	v_mov_b32_dpp v18, v14 row_shr:2 row_mask:0xf bank_mask:0xf
	s_mov_b32 s3, exec_lo
	v_cmpx_lt_u32_e32 1, v44
; %bb.24:
	s_delay_alu instid0(VALU_DEP_3) | instskip(SKIP_1) | instid1(VALU_DEP_2)
	v_add_co_u32 v17, vcc_lo, v15, v13
	v_add_co_ci_u32_e32 v14, vcc_lo, 0, v16, vcc_lo
	v_add_co_u32 v13, vcc_lo, 0, v17
	s_delay_alu instid0(VALU_DEP_2) | instskip(NEXT) | instid1(VALU_DEP_1)
	v_add_co_ci_u32_e32 v14, vcc_lo, v18, v14, vcc_lo
	v_dual_mov_b32 v16, v14 :: v_dual_mov_b32 v15, v13
; %bb.25:
	s_or_b32 exec_lo, exec_lo, s3
	v_mov_b32_dpp v13, v17 row_shr:4 row_mask:0xf bank_mask:0xf
	v_mov_b32_dpp v18, v14 row_shr:4 row_mask:0xf bank_mask:0xf
	s_mov_b32 s3, exec_lo
	v_cmpx_lt_u32_e32 3, v44
	;; [unrolled: 14-line block ×3, first 2 shown]
; %bb.28:
	s_delay_alu instid0(VALU_DEP_3) | instskip(SKIP_1) | instid1(VALU_DEP_2)
	v_add_co_u32 v17, vcc_lo, v15, v18
	v_add_co_ci_u32_e32 v14, vcc_lo, 0, v16, vcc_lo
	v_add_co_u32 v15, vcc_lo, 0, v17
	s_delay_alu instid0(VALU_DEP_2) | instskip(NEXT) | instid1(VALU_DEP_1)
	v_add_co_ci_u32_e32 v16, vcc_lo, v13, v14, vcc_lo
	v_mov_b32_e32 v14, v16
; %bb.29:
	s_or_b32 exec_lo, exec_lo, s3
	ds_swizzle_b32 v13, v17 offset:swizzle(BROADCAST,32,15)
	ds_swizzle_b32 v18, v14 offset:swizzle(BROADCAST,32,15)
	v_and_b32_e32 v19, 16, v42
	s_mov_b32 s3, exec_lo
	s_delay_alu instid0(VALU_DEP_1)
	v_cmpx_ne_u32_e32 0, v19
	s_cbranch_execz .LBB548_31
; %bb.30:
	s_waitcnt lgkmcnt(1)
	v_add_co_u32 v17, vcc_lo, v15, v13
	v_add_co_ci_u32_e32 v14, vcc_lo, 0, v16, vcc_lo
	s_delay_alu instid0(VALU_DEP_2) | instskip(SKIP_1) | instid1(VALU_DEP_2)
	v_add_co_u32 v13, vcc_lo, 0, v17
	s_waitcnt lgkmcnt(0)
	v_add_co_ci_u32_e32 v14, vcc_lo, v18, v14, vcc_lo
	s_delay_alu instid0(VALU_DEP_1)
	v_dual_mov_b32 v16, v14 :: v_dual_mov_b32 v15, v13
.LBB548_31:
	s_or_b32 exec_lo, exec_lo, s3
	s_waitcnt lgkmcnt(0)
	v_or_b32_e32 v18, 31, v0
	v_lshrrev_b32_e32 v13, 5, v0
	s_mov_b32 s3, exec_lo
	s_delay_alu instid0(VALU_DEP_2)
	v_cmpx_eq_u32_e64 v18, v0
	s_cbranch_execz .LBB548_33
; %bb.32:
	s_delay_alu instid0(VALU_DEP_2)
	v_lshlrev_b32_e32 v18, 3, v13
	ds_store_b64 v18, v[15:16]
.LBB548_33:
	s_or_b32 exec_lo, exec_lo, s3
	s_delay_alu instid0(SALU_CYCLE_1)
	s_mov_b32 s3, exec_lo
	s_waitcnt lgkmcnt(0)
	s_barrier
	buffer_gl0_inv
	v_cmpx_gt_u32_e32 4, v0
	s_cbranch_execz .LBB548_39
; %bb.34:
	v_lshlrev_b32_e32 v18, 3, v0
	s_mov_b32 s6, exec_lo
	ds_load_b64 v[15:16], v18
	s_waitcnt lgkmcnt(0)
	v_dual_mov_b32 v20, v15 :: v_dual_and_b32 v19, 3, v42
	v_mov_b32_dpp v24, v15 row_shr:1 row_mask:0xf bank_mask:0xf
	v_mov_b32_dpp v23, v16 row_shr:1 row_mask:0xf bank_mask:0xf
	s_delay_alu instid0(VALU_DEP_3)
	v_cmpx_ne_u32_e32 0, v19
; %bb.35:
	s_delay_alu instid0(VALU_DEP_3) | instskip(SKIP_1) | instid1(VALU_DEP_2)
	v_add_co_u32 v20, vcc_lo, v15, v24
	v_add_co_ci_u32_e32 v16, vcc_lo, 0, v16, vcc_lo
	v_add_co_u32 v15, vcc_lo, 0, v20
	s_delay_alu instid0(VALU_DEP_2)
	v_add_co_ci_u32_e32 v16, vcc_lo, v23, v16, vcc_lo
; %bb.36:
	s_or_b32 exec_lo, exec_lo, s6
	v_mov_b32_dpp v23, v20 row_shr:2 row_mask:0xf bank_mask:0xf
	s_delay_alu instid0(VALU_DEP_2)
	v_mov_b32_dpp v20, v16 row_shr:2 row_mask:0xf bank_mask:0xf
	s_mov_b32 s6, exec_lo
	v_cmpx_lt_u32_e32 1, v19
; %bb.37:
	s_delay_alu instid0(VALU_DEP_3) | instskip(SKIP_1) | instid1(VALU_DEP_2)
	v_add_co_u32 v15, vcc_lo, v15, v23
	v_add_co_ci_u32_e32 v16, vcc_lo, 0, v16, vcc_lo
	v_add_co_u32 v15, vcc_lo, v15, 0
	s_delay_alu instid0(VALU_DEP_2)
	v_add_co_ci_u32_e32 v16, vcc_lo, v16, v20, vcc_lo
; %bb.38:
	s_or_b32 exec_lo, exec_lo, s6
	ds_store_b64 v18, v[15:16]
.LBB548_39:
	s_or_b32 exec_lo, exec_lo, s3
	v_cmp_gt_u32_e32 vcc_lo, 32, v0
	s_mov_b32 s6, exec_lo
	s_waitcnt lgkmcnt(0)
	s_barrier
	buffer_gl0_inv
                                        ; implicit-def: $vgpr23_vgpr24
	v_cmpx_lt_u32_e32 31, v0
	s_cbranch_execz .LBB548_41
; %bb.40:
	v_lshl_add_u32 v13, v13, 3, -8
	ds_load_b64 v[23:24], v13
	s_waitcnt lgkmcnt(0)
	v_add_co_u32 v17, s3, v17, v23
	s_delay_alu instid0(VALU_DEP_1)
	v_add_co_ci_u32_e64 v14, s3, v14, v24, s3
.LBB548_41:
	s_or_b32 exec_lo, exec_lo, s6
	v_add_nc_u32_e32 v13, -1, v42
	s_delay_alu instid0(VALU_DEP_1) | instskip(NEXT) | instid1(VALU_DEP_1)
	v_cmp_gt_i32_e64 s3, 0, v13
	v_cndmask_b32_e64 v13, v13, v42, s3
	v_cmp_eq_u32_e64 s3, 0, v42
	s_delay_alu instid0(VALU_DEP_2)
	v_lshlrev_b32_e32 v13, 2, v13
	ds_bpermute_b32 v29, v13, v17
	ds_bpermute_b32 v30, v13, v14
	s_and_saveexec_b32 s6, vcc_lo
	s_cbranch_execz .LBB548_84
; %bb.42:
	v_mov_b32_e32 v16, 0
	ds_load_b64 v[13:14], v16 offset:24
	s_and_saveexec_b32 s7, s3
	s_cbranch_execz .LBB548_44
; %bb.43:
	s_add_i32 s8, s15, 32
	s_mov_b32 s9, 0
	s_delay_alu instid0(SALU_CYCLE_1) | instskip(NEXT) | instid1(SALU_CYCLE_1)
	s_lshl_b64 s[8:9], s[8:9], 4
	s_add_u32 s8, s4, s8
	s_addc_u32 s9, s5, s9
	s_delay_alu instid0(SALU_CYCLE_1)
	v_dual_mov_b32 v15, 1 :: v_dual_mov_b32 v18, s9
	v_mov_b32_e32 v17, s8
	s_waitcnt lgkmcnt(0)
	;;#ASMSTART
	global_store_dwordx4 v[17:18], v[13:16] off	
s_waitcnt vmcnt(0)
	;;#ASMEND
.LBB548_44:
	s_or_b32 exec_lo, exec_lo, s7
	v_xad_u32 v25, v42, -1, s15
	s_mov_b32 s8, 0
	s_mov_b32 s7, exec_lo
	s_delay_alu instid0(VALU_DEP_1) | instskip(NEXT) | instid1(VALU_DEP_1)
	v_add_nc_u32_e32 v15, 32, v25
	v_lshlrev_b64 v[15:16], 4, v[15:16]
	s_delay_alu instid0(VALU_DEP_1) | instskip(NEXT) | instid1(VALU_DEP_2)
	v_add_co_u32 v15, vcc_lo, s4, v15
	v_add_co_ci_u32_e32 v16, vcc_lo, s5, v16, vcc_lo
	;;#ASMSTART
	global_load_dwordx4 v[17:20], v[15:16] off glc	
s_waitcnt vmcnt(0)
	;;#ASMEND
	v_and_b32_e32 v20, 0xff, v18
	v_and_b32_e32 v26, 0xff00, v18
	v_or3_b32 v17, v17, 0, 0
	v_and_b32_e32 v27, 0xff000000, v18
	v_and_b32_e32 v18, 0xff0000, v18
	s_delay_alu instid0(VALU_DEP_4) | instskip(SKIP_2) | instid1(VALU_DEP_3)
	v_or3_b32 v20, 0, v20, v26
	v_and_b32_e32 v26, 0xff, v19
	v_or3_b32 v17, v17, 0, 0
	v_or3_b32 v18, v20, v18, v27
	s_delay_alu instid0(VALU_DEP_3)
	v_cmpx_eq_u16_e32 0, v26
	s_cbranch_execz .LBB548_50
; %bb.45:
	s_mov_b32 s9, 1
	.p2align	6
.LBB548_46:                             ; =>This Loop Header: Depth=1
                                        ;     Child Loop BB548_47 Depth 2
	s_delay_alu instid0(SALU_CYCLE_1)
	s_max_u32 s10, s9, 1
.LBB548_47:                             ;   Parent Loop BB548_46 Depth=1
                                        ; =>  This Inner Loop Header: Depth=2
	s_delay_alu instid0(SALU_CYCLE_1)
	s_add_i32 s10, s10, -1
	s_sleep 1
	s_cmp_eq_u32 s10, 0
	s_cbranch_scc0 .LBB548_47
; %bb.48:                               ;   in Loop: Header=BB548_46 Depth=1
	;;#ASMSTART
	global_load_dwordx4 v[17:20], v[15:16] off glc	
s_waitcnt vmcnt(0)
	;;#ASMEND
	v_and_b32_e32 v20, 0xff, v19
	s_cmp_lt_u32 s9, 32
	s_cselect_b32 s10, -1, 0
	s_delay_alu instid0(SALU_CYCLE_1) | instskip(NEXT) | instid1(VALU_DEP_1)
	s_cmp_lg_u32 s10, 0
	v_cmp_ne_u16_e32 vcc_lo, 0, v20
	s_addc_u32 s9, s9, 0
	s_or_b32 s8, vcc_lo, s8
	s_delay_alu instid0(SALU_CYCLE_1)
	s_and_not1_b32 exec_lo, exec_lo, s8
	s_cbranch_execnz .LBB548_46
; %bb.49:
	s_or_b32 exec_lo, exec_lo, s8
.LBB548_50:
	s_delay_alu instid0(SALU_CYCLE_1)
	s_or_b32 exec_lo, exec_lo, s7
	v_cmp_ne_u32_e32 vcc_lo, 31, v42
	v_and_b32_e32 v16, 0xff, v19
	v_lshlrev_b32_e64 v46, v42, -1
	s_mov_b32 s7, exec_lo
	v_add_co_ci_u32_e32 v15, vcc_lo, 0, v42, vcc_lo
	s_delay_alu instid0(VALU_DEP_3) | instskip(NEXT) | instid1(VALU_DEP_2)
	v_cmp_eq_u16_e32 vcc_lo, 2, v16
	v_dual_mov_b32 v16, v17 :: v_dual_lshlrev_b32 v45, 2, v15
	v_and_or_b32 v15, vcc_lo, v46, 0x80000000
	ds_bpermute_b32 v26, v45, v17
	ds_bpermute_b32 v20, v45, v18
	v_ctz_i32_b32_e32 v15, v15
	s_delay_alu instid0(VALU_DEP_1)
	v_cmpx_lt_u32_e64 v42, v15
	s_cbranch_execz .LBB548_52
; %bb.51:
	s_waitcnt lgkmcnt(1)
	v_add_co_u32 v16, vcc_lo, v17, v26
	v_add_co_ci_u32_e32 v18, vcc_lo, 0, v18, vcc_lo
	s_delay_alu instid0(VALU_DEP_2) | instskip(SKIP_1) | instid1(VALU_DEP_2)
	v_add_co_u32 v17, vcc_lo, 0, v16
	s_waitcnt lgkmcnt(0)
	v_add_co_ci_u32_e32 v18, vcc_lo, v20, v18, vcc_lo
.LBB548_52:
	s_or_b32 exec_lo, exec_lo, s7
	v_cmp_gt_u32_e32 vcc_lo, 30, v42
	v_add_nc_u32_e32 v48, 2, v42
	s_mov_b32 s7, exec_lo
	s_waitcnt lgkmcnt(0)
	v_cndmask_b32_e64 v20, 0, 1, vcc_lo
	s_delay_alu instid0(VALU_DEP_1) | instskip(NEXT) | instid1(VALU_DEP_1)
	v_lshlrev_b32_e32 v20, 1, v20
	v_add_lshl_u32 v47, v20, v42, 2
	ds_bpermute_b32 v26, v47, v16
	ds_bpermute_b32 v20, v47, v18
	v_cmpx_le_u32_e64 v48, v15
	s_cbranch_execz .LBB548_54
; %bb.53:
	s_waitcnt lgkmcnt(1)
	v_add_co_u32 v16, vcc_lo, v17, v26
	v_add_co_ci_u32_e32 v18, vcc_lo, 0, v18, vcc_lo
	s_delay_alu instid0(VALU_DEP_2) | instskip(SKIP_1) | instid1(VALU_DEP_2)
	v_add_co_u32 v17, vcc_lo, 0, v16
	s_waitcnt lgkmcnt(0)
	v_add_co_ci_u32_e32 v18, vcc_lo, v20, v18, vcc_lo
.LBB548_54:
	s_or_b32 exec_lo, exec_lo, s7
	v_cmp_gt_u32_e32 vcc_lo, 28, v42
	v_add_nc_u32_e32 v50, 4, v42
	s_mov_b32 s7, exec_lo
	s_waitcnt lgkmcnt(0)
	v_cndmask_b32_e64 v20, 0, 1, vcc_lo
	s_delay_alu instid0(VALU_DEP_1) | instskip(NEXT) | instid1(VALU_DEP_1)
	v_lshlrev_b32_e32 v20, 2, v20
	v_add_lshl_u32 v49, v20, v42, 2
	ds_bpermute_b32 v26, v49, v16
	ds_bpermute_b32 v20, v49, v18
	v_cmpx_le_u32_e64 v50, v15
	;; [unrolled: 22-line block ×4, first 2 shown]
	s_cbranch_execz .LBB548_60
; %bb.59:
	s_waitcnt lgkmcnt(1)
	v_add_co_u32 v15, vcc_lo, v17, v20
	v_add_co_ci_u32_e32 v18, vcc_lo, 0, v18, vcc_lo
	s_delay_alu instid0(VALU_DEP_2) | instskip(SKIP_1) | instid1(VALU_DEP_2)
	v_add_co_u32 v17, vcc_lo, v15, 0
	s_waitcnt lgkmcnt(0)
	v_add_co_ci_u32_e32 v18, vcc_lo, v18, v16, vcc_lo
.LBB548_60:
	s_or_b32 exec_lo, exec_lo, s7
	v_mov_b32_e32 v26, 0
	s_branch .LBB548_62
.LBB548_61:                             ;   in Loop: Header=BB548_62 Depth=1
	s_or_b32 exec_lo, exec_lo, s7
	v_add_co_u32 v17, vcc_lo, v17, v15
	v_subrev_nc_u32_e32 v25, 32, v25
	v_add_co_ci_u32_e32 v18, vcc_lo, v18, v16, vcc_lo
.LBB548_62:                             ; =>This Loop Header: Depth=1
                                        ;     Child Loop BB548_65 Depth 2
                                        ;       Child Loop BB548_66 Depth 3
	v_and_b32_e32 v15, 0xff, v19
	s_delay_alu instid0(VALU_DEP_1) | instskip(SKIP_2) | instid1(VALU_DEP_1)
	v_cmp_ne_u16_e32 vcc_lo, 2, v15
	v_cndmask_b32_e64 v15, 0, 1, vcc_lo
	;;#ASMSTART
	;;#ASMEND
	v_cmp_ne_u32_e32 vcc_lo, 0, v15
	s_waitcnt lgkmcnt(0)
	v_dual_mov_b32 v15, v17 :: v_dual_mov_b32 v16, v18
	s_cmp_lg_u32 vcc_lo, exec_lo
	s_cbranch_scc1 .LBB548_79
; %bb.63:                               ;   in Loop: Header=BB548_62 Depth=1
	v_lshlrev_b64 v[17:18], 4, v[25:26]
	s_mov_b32 s7, exec_lo
	s_delay_alu instid0(VALU_DEP_1) | instskip(NEXT) | instid1(VALU_DEP_2)
	v_add_co_u32 v27, vcc_lo, s4, v17
	v_add_co_ci_u32_e32 v28, vcc_lo, s5, v18, vcc_lo
	;;#ASMSTART
	global_load_dwordx4 v[17:20], v[27:28] off glc	
s_waitcnt vmcnt(0)
	;;#ASMEND
	v_and_b32_e32 v20, 0xff, v18
	v_and_b32_e32 v55, 0xff00, v18
	v_or3_b32 v17, v17, 0, 0
	v_and_b32_e32 v56, 0xff000000, v18
	v_and_b32_e32 v18, 0xff0000, v18
	s_delay_alu instid0(VALU_DEP_4) | instskip(SKIP_2) | instid1(VALU_DEP_3)
	v_or3_b32 v20, 0, v20, v55
	v_and_b32_e32 v55, 0xff, v19
	v_or3_b32 v17, v17, 0, 0
	v_or3_b32 v18, v20, v18, v56
	s_delay_alu instid0(VALU_DEP_3)
	v_cmpx_eq_u16_e32 0, v55
	s_cbranch_execz .LBB548_69
; %bb.64:                               ;   in Loop: Header=BB548_62 Depth=1
	s_mov_b32 s9, 1
	s_mov_b32 s8, 0
	.p2align	6
.LBB548_65:                             ;   Parent Loop BB548_62 Depth=1
                                        ; =>  This Loop Header: Depth=2
                                        ;       Child Loop BB548_66 Depth 3
	s_max_u32 s10, s9, 1
.LBB548_66:                             ;   Parent Loop BB548_62 Depth=1
                                        ;     Parent Loop BB548_65 Depth=2
                                        ; =>    This Inner Loop Header: Depth=3
	s_delay_alu instid0(SALU_CYCLE_1)
	s_add_i32 s10, s10, -1
	s_sleep 1
	s_cmp_eq_u32 s10, 0
	s_cbranch_scc0 .LBB548_66
; %bb.67:                               ;   in Loop: Header=BB548_65 Depth=2
	;;#ASMSTART
	global_load_dwordx4 v[17:20], v[27:28] off glc	
s_waitcnt vmcnt(0)
	;;#ASMEND
	v_and_b32_e32 v20, 0xff, v19
	s_cmp_lt_u32 s9, 32
	s_cselect_b32 s10, -1, 0
	s_delay_alu instid0(SALU_CYCLE_1) | instskip(NEXT) | instid1(VALU_DEP_1)
	s_cmp_lg_u32 s10, 0
	v_cmp_ne_u16_e32 vcc_lo, 0, v20
	s_addc_u32 s9, s9, 0
	s_or_b32 s8, vcc_lo, s8
	s_delay_alu instid0(SALU_CYCLE_1)
	s_and_not1_b32 exec_lo, exec_lo, s8
	s_cbranch_execnz .LBB548_65
; %bb.68:                               ;   in Loop: Header=BB548_62 Depth=1
	s_or_b32 exec_lo, exec_lo, s8
.LBB548_69:                             ;   in Loop: Header=BB548_62 Depth=1
	s_delay_alu instid0(SALU_CYCLE_1)
	s_or_b32 exec_lo, exec_lo, s7
	v_dual_mov_b32 v27, v17 :: v_dual_and_b32 v20, 0xff, v19
	ds_bpermute_b32 v55, v45, v17
	ds_bpermute_b32 v28, v45, v18
	s_mov_b32 s7, exec_lo
	v_cmp_eq_u16_e32 vcc_lo, 2, v20
	v_and_or_b32 v20, vcc_lo, v46, 0x80000000
	s_delay_alu instid0(VALU_DEP_1) | instskip(NEXT) | instid1(VALU_DEP_1)
	v_ctz_i32_b32_e32 v20, v20
	v_cmpx_lt_u32_e64 v42, v20
	s_cbranch_execz .LBB548_71
; %bb.70:                               ;   in Loop: Header=BB548_62 Depth=1
	s_waitcnt lgkmcnt(1)
	v_add_co_u32 v27, vcc_lo, v17, v55
	v_add_co_ci_u32_e32 v18, vcc_lo, 0, v18, vcc_lo
	s_delay_alu instid0(VALU_DEP_2) | instskip(SKIP_1) | instid1(VALU_DEP_2)
	v_add_co_u32 v17, vcc_lo, 0, v27
	s_waitcnt lgkmcnt(0)
	v_add_co_ci_u32_e32 v18, vcc_lo, v28, v18, vcc_lo
.LBB548_71:                             ;   in Loop: Header=BB548_62 Depth=1
	s_or_b32 exec_lo, exec_lo, s7
	s_waitcnt lgkmcnt(1)
	ds_bpermute_b32 v55, v47, v27
	s_waitcnt lgkmcnt(1)
	ds_bpermute_b32 v28, v47, v18
	s_mov_b32 s7, exec_lo
	v_cmpx_le_u32_e64 v48, v20
	s_cbranch_execz .LBB548_73
; %bb.72:                               ;   in Loop: Header=BB548_62 Depth=1
	s_waitcnt lgkmcnt(1)
	v_add_co_u32 v27, vcc_lo, v17, v55
	v_add_co_ci_u32_e32 v18, vcc_lo, 0, v18, vcc_lo
	s_delay_alu instid0(VALU_DEP_2) | instskip(SKIP_1) | instid1(VALU_DEP_2)
	v_add_co_u32 v17, vcc_lo, 0, v27
	s_waitcnt lgkmcnt(0)
	v_add_co_ci_u32_e32 v18, vcc_lo, v28, v18, vcc_lo
.LBB548_73:                             ;   in Loop: Header=BB548_62 Depth=1
	s_or_b32 exec_lo, exec_lo, s7
	s_waitcnt lgkmcnt(1)
	ds_bpermute_b32 v55, v49, v27
	s_waitcnt lgkmcnt(1)
	ds_bpermute_b32 v28, v49, v18
	s_mov_b32 s7, exec_lo
	v_cmpx_le_u32_e64 v50, v20
	;; [unrolled: 17-line block ×3, first 2 shown]
	s_cbranch_execz .LBB548_77
; %bb.76:                               ;   in Loop: Header=BB548_62 Depth=1
	s_waitcnt lgkmcnt(1)
	v_add_co_u32 v27, vcc_lo, v17, v55
	v_add_co_ci_u32_e32 v18, vcc_lo, 0, v18, vcc_lo
	s_delay_alu instid0(VALU_DEP_2) | instskip(SKIP_1) | instid1(VALU_DEP_2)
	v_add_co_u32 v17, vcc_lo, 0, v27
	s_waitcnt lgkmcnt(0)
	v_add_co_ci_u32_e32 v18, vcc_lo, v28, v18, vcc_lo
.LBB548_77:                             ;   in Loop: Header=BB548_62 Depth=1
	s_or_b32 exec_lo, exec_lo, s7
	s_waitcnt lgkmcnt(0)
	ds_bpermute_b32 v28, v53, v27
	ds_bpermute_b32 v27, v53, v18
	s_mov_b32 s7, exec_lo
	v_cmpx_le_u32_e64 v54, v20
	s_cbranch_execz .LBB548_61
; %bb.78:                               ;   in Loop: Header=BB548_62 Depth=1
	s_waitcnt lgkmcnt(1)
	v_add_co_u32 v17, vcc_lo, v17, v28
	v_add_co_ci_u32_e32 v18, vcc_lo, 0, v18, vcc_lo
	s_delay_alu instid0(VALU_DEP_2) | instskip(SKIP_1) | instid1(VALU_DEP_2)
	v_add_co_u32 v17, vcc_lo, v17, 0
	s_waitcnt lgkmcnt(0)
	v_add_co_ci_u32_e32 v18, vcc_lo, v18, v27, vcc_lo
	s_branch .LBB548_61
.LBB548_79:                             ;   in Loop: Header=BB548_62 Depth=1
                                        ; implicit-def: $vgpr17_vgpr18
	s_cbranch_execz .LBB548_62
; %bb.80:
	s_and_saveexec_b32 s7, s3
	s_cbranch_execz .LBB548_82
; %bb.81:
	s_add_i32 s8, s15, 32
	s_mov_b32 s9, 0
	v_add_co_u32 v17, vcc_lo, v15, v13
	s_lshl_b64 s[8:9], s[8:9], 4
	v_dual_mov_b32 v19, 2 :: v_dual_mov_b32 v20, 0
	s_add_u32 s8, s4, s8
	s_addc_u32 s9, s5, s9
	v_add_co_ci_u32_e32 v18, vcc_lo, v16, v14, vcc_lo
	v_dual_mov_b32 v26, s9 :: v_dual_mov_b32 v25, s8
	;;#ASMSTART
	global_store_dwordx4 v[25:26], v[17:20] off	
s_waitcnt vmcnt(0)
	;;#ASMEND
	ds_store_b128 v20, v[13:16] offset:6144
.LBB548_82:
	s_or_b32 exec_lo, exec_lo, s7
	v_cmp_eq_u32_e32 vcc_lo, 0, v0
	s_and_b32 exec_lo, exec_lo, vcc_lo
	s_cbranch_execz .LBB548_84
; %bb.83:
	v_mov_b32_e32 v13, 0
	ds_store_b64 v13, v[15:16] offset:24
.LBB548_84:
	s_or_b32 exec_lo, exec_lo, s6
	s_waitcnt lgkmcnt(1)
	v_cndmask_b32_e64 v16, v29, v23, s3
	v_cmp_ne_u32_e32 vcc_lo, 0, v0
	v_mov_b32_e32 v15, 0
	s_waitcnt lgkmcnt(0)
	s_barrier
	buffer_gl0_inv
	v_cndmask_b32_e32 v16, 0, v16, vcc_lo
	ds_load_b64 v[13:14], v15 offset:24
	v_cndmask_b32_e64 v17, v30, v24, s3
	s_waitcnt lgkmcnt(0)
	s_barrier
	buffer_gl0_inv
	v_cndmask_b32_e32 v17, 0, v17, vcc_lo
	v_add_co_u32 v29, vcc_lo, v13, v16
	s_delay_alu instid0(VALU_DEP_2) | instskip(SKIP_3) | instid1(VALU_DEP_2)
	v_add_co_ci_u32_e32 v30, vcc_lo, v14, v17, vcc_lo
	ds_load_b128 v[13:16], v15 offset:6144
	v_add_co_u32 v27, vcc_lo, v29, v41
	v_add_co_ci_u32_e32 v28, vcc_lo, 0, v30, vcc_lo
	v_add_co_u32 v25, vcc_lo, v27, v40
	s_delay_alu instid0(VALU_DEP_2) | instskip(NEXT) | instid1(VALU_DEP_2)
	v_add_co_ci_u32_e32 v26, vcc_lo, 0, v28, vcc_lo
	v_add_co_u32 v23, vcc_lo, v25, v39
	s_delay_alu instid0(VALU_DEP_2) | instskip(NEXT) | instid1(VALU_DEP_2)
	;; [unrolled: 3-line block ×3, first 2 shown]
	v_add_co_ci_u32_e32 v20, vcc_lo, 0, v24, vcc_lo
	v_add_co_u32 v17, vcc_lo, v19, v37
	s_delay_alu instid0(VALU_DEP_2)
	v_add_co_ci_u32_e32 v18, vcc_lo, 0, v20, vcc_lo
	s_load_b64 s[6:7], s[0:1], 0x30
.LBB548_85:
	s_waitcnt lgkmcnt(0)
	v_cmp_gt_u64_e32 vcc_lo, 0x81, v[13:14]
	s_mov_b32 s0, -1
	s_cbranch_vccnz .LBB548_113
.LBB548_86:
	s_and_b32 vcc_lo, exec_lo, s0
	s_cbranch_vccnz .LBB548_132
.LBB548_87:
	v_cmp_eq_u32_e32 vcc_lo, 0, v0
	s_and_b32 s0, vcc_lo, s13
	s_delay_alu instid0(SALU_CYCLE_1)
	s_and_saveexec_b32 s1, s0
	s_cbranch_execnz .LBB548_148
.LBB548_88:
	s_nop 0
	s_sendmsg sendmsg(MSG_DEALLOC_VGPRS)
	s_endpgm
.LBB548_89:
                                        ; kill: def $vgpr13_vgpr14 killed $sgpr0_sgpr1 killed $exec
                                        ; implicit-def: $vgpr17_vgpr18
                                        ; implicit-def: $vgpr19_vgpr20
                                        ; implicit-def: $vgpr23_vgpr24
                                        ; implicit-def: $vgpr25_vgpr26
                                        ; implicit-def: $vgpr27_vgpr28
                                        ; implicit-def: $vgpr29_vgpr30
                                        ; implicit-def: $vgpr15_vgpr16
	s_load_b64 s[6:7], s[0:1], 0x30
	s_and_b32 vcc_lo, exec_lo, s3
	s_cbranch_vccz .LBB548_85
; %bb.90:
	s_waitcnt lgkmcnt(0)
	v_dual_mov_b32 v14, 0 :: v_dual_mov_b32 v15, v21
	v_mov_b32_dpp v16, v21 row_shr:1 row_mask:0xf bank_mask:0xf
	s_delay_alu instid0(VALU_DEP_2)
	v_mov_b32_dpp v13, v14 row_shr:1 row_mask:0xf bank_mask:0xf
	s_and_saveexec_b32 s0, s2
; %bb.91:
	s_delay_alu instid0(VALU_DEP_2) | instskip(SKIP_1) | instid1(VALU_DEP_2)
	v_add_co_u32 v15, vcc_lo, v21, v16
	v_add_co_ci_u32_e32 v14, vcc_lo, 0, v22, vcc_lo
	v_add_co_u32 v21, vcc_lo, 0, v15
	s_delay_alu instid0(VALU_DEP_2) | instskip(NEXT) | instid1(VALU_DEP_1)
	v_add_co_ci_u32_e32 v22, vcc_lo, v13, v14, vcc_lo
	v_mov_b32_e32 v14, v22
; %bb.92:
	s_or_b32 exec_lo, exec_lo, s0
	v_mov_b32_dpp v13, v15 row_shr:2 row_mask:0xf bank_mask:0xf
	s_delay_alu instid0(VALU_DEP_2)
	v_mov_b32_dpp v16, v14 row_shr:2 row_mask:0xf bank_mask:0xf
	s_mov_b32 s0, exec_lo
	v_cmpx_lt_u32_e32 1, v44
; %bb.93:
	s_delay_alu instid0(VALU_DEP_3) | instskip(SKIP_1) | instid1(VALU_DEP_2)
	v_add_co_u32 v15, vcc_lo, v21, v13
	v_add_co_ci_u32_e32 v14, vcc_lo, 0, v22, vcc_lo
	v_add_co_u32 v13, vcc_lo, 0, v15
	s_delay_alu instid0(VALU_DEP_2) | instskip(NEXT) | instid1(VALU_DEP_1)
	v_add_co_ci_u32_e32 v14, vcc_lo, v16, v14, vcc_lo
	v_dual_mov_b32 v22, v14 :: v_dual_mov_b32 v21, v13
; %bb.94:
	s_or_b32 exec_lo, exec_lo, s0
	v_mov_b32_dpp v13, v15 row_shr:4 row_mask:0xf bank_mask:0xf
	v_mov_b32_dpp v16, v14 row_shr:4 row_mask:0xf bank_mask:0xf
	s_mov_b32 s0, exec_lo
	v_cmpx_lt_u32_e32 3, v44
; %bb.95:
	s_delay_alu instid0(VALU_DEP_3) | instskip(SKIP_1) | instid1(VALU_DEP_2)
	v_add_co_u32 v15, vcc_lo, v21, v13
	v_add_co_ci_u32_e32 v14, vcc_lo, 0, v22, vcc_lo
	v_add_co_u32 v13, vcc_lo, 0, v15
	s_delay_alu instid0(VALU_DEP_2) | instskip(NEXT) | instid1(VALU_DEP_1)
	v_add_co_ci_u32_e32 v14, vcc_lo, v16, v14, vcc_lo
	v_dual_mov_b32 v22, v14 :: v_dual_mov_b32 v21, v13
; %bb.96:
	s_or_b32 exec_lo, exec_lo, s0
	v_mov_b32_dpp v16, v15 row_shr:8 row_mask:0xf bank_mask:0xf
	v_mov_b32_dpp v13, v14 row_shr:8 row_mask:0xf bank_mask:0xf
	s_mov_b32 s0, exec_lo
	v_cmpx_lt_u32_e32 7, v44
; %bb.97:
	s_delay_alu instid0(VALU_DEP_3) | instskip(SKIP_1) | instid1(VALU_DEP_2)
	v_add_co_u32 v15, vcc_lo, v21, v16
	v_add_co_ci_u32_e32 v14, vcc_lo, 0, v22, vcc_lo
	v_add_co_u32 v21, vcc_lo, 0, v15
	s_delay_alu instid0(VALU_DEP_2) | instskip(NEXT) | instid1(VALU_DEP_1)
	v_add_co_ci_u32_e32 v22, vcc_lo, v13, v14, vcc_lo
	v_mov_b32_e32 v14, v22
; %bb.98:
	s_or_b32 exec_lo, exec_lo, s0
	ds_swizzle_b32 v15, v15 offset:swizzle(BROADCAST,32,15)
	ds_swizzle_b32 v13, v14 offset:swizzle(BROADCAST,32,15)
	v_and_b32_e32 v14, 16, v42
	s_mov_b32 s0, exec_lo
	s_delay_alu instid0(VALU_DEP_1)
	v_cmpx_ne_u32_e32 0, v14
	s_cbranch_execz .LBB548_100
; %bb.99:
	s_waitcnt lgkmcnt(1)
	v_add_co_u32 v14, vcc_lo, v21, v15
	v_add_co_ci_u32_e32 v15, vcc_lo, 0, v22, vcc_lo
	s_delay_alu instid0(VALU_DEP_2) | instskip(SKIP_1) | instid1(VALU_DEP_2)
	v_add_co_u32 v21, vcc_lo, v14, 0
	s_waitcnt lgkmcnt(0)
	v_add_co_ci_u32_e32 v22, vcc_lo, v15, v13, vcc_lo
.LBB548_100:
	s_or_b32 exec_lo, exec_lo, s0
	s_waitcnt lgkmcnt(0)
	v_or_b32_e32 v13, 31, v0
	v_lshrrev_b32_e32 v15, 5, v0
	s_mov_b32 s0, exec_lo
	s_delay_alu instid0(VALU_DEP_2)
	v_cmpx_eq_u32_e64 v13, v0
	s_cbranch_execz .LBB548_102
; %bb.101:
	s_delay_alu instid0(VALU_DEP_2)
	v_lshlrev_b32_e32 v13, 3, v15
	ds_store_b64 v13, v[21:22]
.LBB548_102:
	s_or_b32 exec_lo, exec_lo, s0
	s_delay_alu instid0(SALU_CYCLE_1)
	s_mov_b32 s0, exec_lo
	s_waitcnt lgkmcnt(0)
	s_barrier
	buffer_gl0_inv
	v_cmpx_gt_u32_e32 4, v0
	s_cbranch_execz .LBB548_108
; %bb.103:
	v_lshlrev_b32_e32 v13, 1, v0
	s_mov_b32 s1, exec_lo
	s_delay_alu instid0(VALU_DEP_1)
	v_add_nc_u32_e32 v16, v43, v13
	ds_load_b64 v[13:14], v16
	s_waitcnt lgkmcnt(0)
	v_dual_mov_b32 v18, v13 :: v_dual_and_b32 v17, 3, v42
	v_mov_b32_dpp v20, v13 row_shr:1 row_mask:0xf bank_mask:0xf
	v_mov_b32_dpp v19, v14 row_shr:1 row_mask:0xf bank_mask:0xf
	s_delay_alu instid0(VALU_DEP_3)
	v_cmpx_ne_u32_e32 0, v17
; %bb.104:
	s_delay_alu instid0(VALU_DEP_3) | instskip(SKIP_1) | instid1(VALU_DEP_2)
	v_add_co_u32 v18, vcc_lo, v13, v20
	v_add_co_ci_u32_e32 v14, vcc_lo, 0, v14, vcc_lo
	v_add_co_u32 v13, vcc_lo, 0, v18
	s_delay_alu instid0(VALU_DEP_2)
	v_add_co_ci_u32_e32 v14, vcc_lo, v19, v14, vcc_lo
; %bb.105:
	s_or_b32 exec_lo, exec_lo, s1
	v_mov_b32_dpp v19, v18 row_shr:2 row_mask:0xf bank_mask:0xf
	s_delay_alu instid0(VALU_DEP_2)
	v_mov_b32_dpp v18, v14 row_shr:2 row_mask:0xf bank_mask:0xf
	s_mov_b32 s1, exec_lo
	v_cmpx_lt_u32_e32 1, v17
; %bb.106:
	s_delay_alu instid0(VALU_DEP_3) | instskip(SKIP_1) | instid1(VALU_DEP_2)
	v_add_co_u32 v13, vcc_lo, v13, v19
	v_add_co_ci_u32_e32 v14, vcc_lo, 0, v14, vcc_lo
	v_add_co_u32 v13, vcc_lo, v13, 0
	s_delay_alu instid0(VALU_DEP_2)
	v_add_co_ci_u32_e32 v14, vcc_lo, v14, v18, vcc_lo
; %bb.107:
	s_or_b32 exec_lo, exec_lo, s1
	ds_store_b64 v16, v[13:14]
.LBB548_108:
	s_or_b32 exec_lo, exec_lo, s0
	v_mov_b32_e32 v17, 0
	v_mov_b32_e32 v18, 0
	s_mov_b32 s0, exec_lo
	s_waitcnt lgkmcnt(0)
	s_barrier
	buffer_gl0_inv
	v_cmpx_lt_u32_e32 31, v0
	s_cbranch_execz .LBB548_110
; %bb.109:
	v_lshl_add_u32 v13, v15, 3, -8
	ds_load_b64 v[17:18], v13
.LBB548_110:
	s_or_b32 exec_lo, exec_lo, s0
	v_dual_mov_b32 v16, 0 :: v_dual_add_nc_u32 v13, -1, v42
	s_delay_alu instid0(VALU_DEP_1) | instskip(SKIP_4) | instid1(VALU_DEP_3)
	v_cmp_gt_i32_e32 vcc_lo, 0, v13
	v_cndmask_b32_e32 v13, v13, v42, vcc_lo
	s_waitcnt lgkmcnt(0)
	v_add_co_u32 v14, vcc_lo, v17, v21
	v_add_co_ci_u32_e32 v15, vcc_lo, v18, v22, vcc_lo
	v_lshlrev_b32_e32 v13, 2, v13
	v_cmp_eq_u32_e32 vcc_lo, 0, v0
	ds_bpermute_b32 v19, v13, v14
	ds_bpermute_b32 v20, v13, v15
	ds_load_b64 v[13:14], v16 offset:24
	s_and_saveexec_b32 s0, vcc_lo
	s_cbranch_execz .LBB548_112
; %bb.111:
	s_add_u32 s2, s4, 0x200
	s_addc_u32 s3, s5, 0
	s_delay_alu instid0(SALU_CYCLE_1)
	v_dual_mov_b32 v15, 2 :: v_dual_mov_b32 v22, s3
	v_mov_b32_e32 v21, s2
	s_waitcnt lgkmcnt(0)
	;;#ASMSTART
	global_store_dwordx4 v[21:22], v[13:16] off	
s_waitcnt vmcnt(0)
	;;#ASMEND
.LBB548_112:
	s_or_b32 exec_lo, exec_lo, s0
	v_cmp_eq_u32_e64 s0, 0, v42
	s_waitcnt lgkmcnt(0)
	s_barrier
	buffer_gl0_inv
	v_cndmask_b32_e64 v15, v19, v17, s0
	v_cndmask_b32_e64 v16, v20, v18, s0
	s_delay_alu instid0(VALU_DEP_2) | instskip(NEXT) | instid1(VALU_DEP_2)
	v_cndmask_b32_e64 v29, v15, 0, vcc_lo
	v_cndmask_b32_e64 v30, v16, 0, vcc_lo
	v_mov_b32_e32 v15, 0
	v_mov_b32_e32 v16, 0
	s_delay_alu instid0(VALU_DEP_4) | instskip(NEXT) | instid1(VALU_DEP_4)
	v_add_co_u32 v27, vcc_lo, v29, v41
	v_add_co_ci_u32_e32 v28, vcc_lo, 0, v30, vcc_lo
	s_delay_alu instid0(VALU_DEP_2) | instskip(NEXT) | instid1(VALU_DEP_2)
	v_add_co_u32 v25, vcc_lo, v27, v40
	v_add_co_ci_u32_e32 v26, vcc_lo, 0, v28, vcc_lo
	s_delay_alu instid0(VALU_DEP_2) | instskip(NEXT) | instid1(VALU_DEP_2)
	;; [unrolled: 3-line block ×4, first 2 shown]
	v_add_co_u32 v17, vcc_lo, v19, v37
	v_add_co_ci_u32_e32 v18, vcc_lo, 0, v20, vcc_lo
	v_cmp_gt_u64_e32 vcc_lo, 0x81, v[13:14]
	s_mov_b32 s0, -1
	s_cbranch_vccz .LBB548_86
.LBB548_113:
	v_add_co_u32 v21, vcc_lo, v15, v13
	v_add_co_ci_u32_e32 v22, vcc_lo, v16, v14, vcc_lo
	s_delay_alu instid0(VALU_DEP_1) | instskip(SKIP_1) | instid1(SALU_CYCLE_1)
	v_cmp_lt_u64_e32 vcc_lo, v[29:30], v[21:22]
	s_or_b32 s1, s14, vcc_lo
	s_and_saveexec_b32 s0, s1
	s_cbranch_execz .LBB548_116
; %bb.114:
	v_and_b32_e32 v37, 1, v36
	s_delay_alu instid0(VALU_DEP_1)
	v_cmp_eq_u32_e32 vcc_lo, 1, v37
	s_and_b32 exec_lo, exec_lo, vcc_lo
	s_cbranch_execz .LBB548_116
; %bb.115:
	v_lshlrev_b64 v[37:38], 3, v[29:30]
	s_lshl_b64 s[2:3], s[18:19], 3
	s_delay_alu instid0(SALU_CYCLE_1) | instskip(SKIP_1) | instid1(VALU_DEP_1)
	s_add_u32 s1, s6, s2
	s_addc_u32 s2, s7, s3
	v_add_co_u32 v37, vcc_lo, s1, v37
	s_delay_alu instid0(VALU_DEP_2)
	v_add_co_ci_u32_e32 v38, vcc_lo, s2, v38, vcc_lo
	global_store_b64 v[37:38], v[9:10], off
.LBB548_116:
	s_or_b32 exec_lo, exec_lo, s0
	v_cmp_lt_u64_e32 vcc_lo, v[27:28], v[21:22]
	s_or_b32 s1, s14, vcc_lo
	s_delay_alu instid0(SALU_CYCLE_1)
	s_and_saveexec_b32 s0, s1
	s_cbranch_execz .LBB548_119
; %bb.117:
	v_and_b32_e32 v30, 1, v34
	s_delay_alu instid0(VALU_DEP_1)
	v_cmp_eq_u32_e32 vcc_lo, 1, v30
	s_and_b32 exec_lo, exec_lo, vcc_lo
	s_cbranch_execz .LBB548_119
; %bb.118:
	v_lshlrev_b64 v[37:38], 3, v[27:28]
	s_lshl_b64 s[2:3], s[18:19], 3
	s_delay_alu instid0(SALU_CYCLE_1) | instskip(SKIP_1) | instid1(VALU_DEP_1)
	s_add_u32 s1, s6, s2
	s_addc_u32 s2, s7, s3
	v_add_co_u32 v37, vcc_lo, s1, v37
	s_delay_alu instid0(VALU_DEP_2)
	v_add_co_ci_u32_e32 v38, vcc_lo, s2, v38, vcc_lo
	global_store_b64 v[37:38], v[11:12], off
.LBB548_119:
	s_or_b32 exec_lo, exec_lo, s0
	v_cmp_lt_u64_e32 vcc_lo, v[25:26], v[21:22]
	s_or_b32 s1, s14, vcc_lo
	s_delay_alu instid0(SALU_CYCLE_1)
	;; [unrolled: 23-line block ×5, first 2 shown]
	s_and_saveexec_b32 s0, s1
	s_cbranch_execz .LBB548_131
; %bb.129:
	v_and_b32_e32 v20, 1, v32
	s_delay_alu instid0(VALU_DEP_1)
	v_cmp_eq_u32_e32 vcc_lo, 1, v20
	s_and_b32 exec_lo, exec_lo, vcc_lo
	s_cbranch_execz .LBB548_131
; %bb.130:
	v_lshlrev_b64 v[20:21], 3, v[17:18]
	s_lshl_b64 s[2:3], s[18:19], 3
	s_delay_alu instid0(SALU_CYCLE_1) | instskip(SKIP_1) | instid1(VALU_DEP_1)
	s_add_u32 s1, s6, s2
	s_addc_u32 s2, s7, s3
	v_add_co_u32 v20, vcc_lo, s1, v20
	s_delay_alu instid0(VALU_DEP_2)
	v_add_co_ci_u32_e32 v21, vcc_lo, s2, v21, vcc_lo
	global_store_b64 v[20:21], v[3:4], off
.LBB548_131:
	s_or_b32 exec_lo, exec_lo, s0
	s_branch .LBB548_87
.LBB548_132:
	v_and_b32_e32 v18, 1, v36
	s_mov_b32 s0, exec_lo
	s_delay_alu instid0(VALU_DEP_1)
	v_cmpx_eq_u32_e32 1, v18
	s_cbranch_execz .LBB548_134
; %bb.133:
	v_sub_nc_u32_e32 v18, v29, v15
	s_delay_alu instid0(VALU_DEP_1)
	v_lshlrev_b32_e32 v18, 3, v18
	ds_store_b64 v18, v[9:10]
.LBB548_134:
	s_or_b32 exec_lo, exec_lo, s0
	v_and_b32_e32 v9, 1, v34
	s_mov_b32 s0, exec_lo
	s_delay_alu instid0(VALU_DEP_1)
	v_cmpx_eq_u32_e32 1, v9
	s_cbranch_execz .LBB548_136
; %bb.135:
	v_sub_nc_u32_e32 v9, v27, v15
	s_delay_alu instid0(VALU_DEP_1)
	v_lshlrev_b32_e32 v9, 3, v9
	ds_store_b64 v9, v[11:12]
.LBB548_136:
	s_or_b32 exec_lo, exec_lo, s0
	;; [unrolled: 12-line block ×6, first 2 shown]
	v_mov_b32_e32 v3, 0
	s_mov_b32 s1, exec_lo
	s_waitcnt lgkmcnt(0)
	s_waitcnt_vscnt null, 0x0
	s_barrier
	buffer_gl0_inv
	v_mov_b32_e32 v1, v3
	s_delay_alu instid0(VALU_DEP_1)
	v_cmpx_gt_u64_e64 v[13:14], v[0:1]
	s_cbranch_execz .LBB548_147
; %bb.145:
	v_lshlrev_b64 v[4:5], 3, v[15:16]
	s_lshl_b64 s[2:3], s[18:19], 3
	v_or_b32_e32 v2, 0x80, v0
	s_delay_alu instid0(VALU_DEP_2) | instskip(NEXT) | instid1(VALU_DEP_3)
	v_add_co_u32 v4, vcc_lo, s6, v4
	v_add_co_ci_u32_e32 v5, vcc_lo, s7, v5, vcc_lo
	s_delay_alu instid0(VALU_DEP_2) | instskip(NEXT) | instid1(VALU_DEP_2)
	v_add_co_u32 v6, vcc_lo, v4, s2
	v_add_co_ci_u32_e32 v7, vcc_lo, s3, v5, vcc_lo
	v_dual_mov_b32 v5, v1 :: v_dual_mov_b32 v4, v0
	s_mov_b32 s2, 0
	.p2align	6
.LBB548_146:                            ; =>This Inner Loop Header: Depth=1
	s_delay_alu instid0(VALU_DEP_1) | instskip(NEXT) | instid1(VALU_DEP_2)
	v_lshlrev_b32_e32 v1, 3, v4
	v_lshlrev_b64 v[10:11], 3, v[4:5]
	v_dual_mov_b32 v5, v3 :: v_dual_mov_b32 v4, v2
	v_cmp_le_u64_e32 vcc_lo, v[13:14], v[2:3]
	v_add_nc_u32_e32 v2, 0x80, v2
	ds_load_b64 v[8:9], v1
	v_add_co_u32 v10, s0, v6, v10
	s_delay_alu instid0(VALU_DEP_1)
	v_add_co_ci_u32_e64 v11, s0, v7, v11, s0
	s_or_b32 s2, vcc_lo, s2
	s_waitcnt lgkmcnt(0)
	global_store_b64 v[10:11], v[8:9], off
	s_and_not1_b32 exec_lo, exec_lo, s2
	s_cbranch_execnz .LBB548_146
.LBB548_147:
	s_or_b32 exec_lo, exec_lo, s1
	v_cmp_eq_u32_e32 vcc_lo, 0, v0
	s_and_b32 s0, vcc_lo, s13
	s_delay_alu instid0(SALU_CYCLE_1)
	s_and_saveexec_b32 s1, s0
	s_cbranch_execz .LBB548_88
.LBB548_148:
	v_add_co_u32 v0, vcc_lo, v15, v13
	v_add_co_ci_u32_e32 v1, vcc_lo, v16, v14, vcc_lo
	v_mov_b32_e32 v2, 0
	s_delay_alu instid0(VALU_DEP_3) | instskip(NEXT) | instid1(VALU_DEP_3)
	v_add_co_u32 v0, vcc_lo, v0, s18
	v_add_co_ci_u32_e32 v1, vcc_lo, s19, v1, vcc_lo
	global_store_b64 v2, v[0:1], s[16:17]
	s_nop 0
	s_sendmsg sendmsg(MSG_DEALLOC_VGPRS)
	s_endpgm
	.section	.rodata,"a",@progbits
	.p2align	6, 0x0
	.amdhsa_kernel _ZN7rocprim17ROCPRIM_400000_NS6detail17trampoline_kernelINS0_14default_configENS1_25partition_config_selectorILNS1_17partition_subalgoE5ElNS0_10empty_typeEbEEZZNS1_14partition_implILS5_5ELb0ES3_mN6hipcub16HIPCUB_304000_NS21CountingInputIteratorIllEEPS6_NSA_22TransformInputIteratorIbN2at6native12_GLOBAL__N_19NonZeroOpIN3c107complexIdEEEEPKSL_lEENS0_5tupleIJPlS6_EEENSQ_IJSD_SD_EEES6_PiJS6_EEE10hipError_tPvRmT3_T4_T5_T6_T7_T9_mT8_P12ihipStream_tbDpT10_ENKUlT_T0_E_clISt17integral_constantIbLb1EES1D_IbLb0EEEEDaS19_S1A_EUlS19_E_NS1_11comp_targetILNS1_3genE9ELNS1_11target_archE1100ELNS1_3gpuE3ELNS1_3repE0EEENS1_30default_config_static_selectorELNS0_4arch9wavefront6targetE0EEEvT1_
		.amdhsa_group_segment_fixed_size 6160
		.amdhsa_private_segment_fixed_size 0
		.amdhsa_kernarg_size 120
		.amdhsa_user_sgpr_count 15
		.amdhsa_user_sgpr_dispatch_ptr 0
		.amdhsa_user_sgpr_queue_ptr 0
		.amdhsa_user_sgpr_kernarg_segment_ptr 1
		.amdhsa_user_sgpr_dispatch_id 0
		.amdhsa_user_sgpr_private_segment_size 0
		.amdhsa_wavefront_size32 1
		.amdhsa_uses_dynamic_stack 0
		.amdhsa_enable_private_segment 0
		.amdhsa_system_sgpr_workgroup_id_x 1
		.amdhsa_system_sgpr_workgroup_id_y 0
		.amdhsa_system_sgpr_workgroup_id_z 0
		.amdhsa_system_sgpr_workgroup_info 0
		.amdhsa_system_vgpr_workitem_id 0
		.amdhsa_next_free_vgpr 57
		.amdhsa_next_free_sgpr 27
		.amdhsa_reserve_vcc 1
		.amdhsa_float_round_mode_32 0
		.amdhsa_float_round_mode_16_64 0
		.amdhsa_float_denorm_mode_32 3
		.amdhsa_float_denorm_mode_16_64 3
		.amdhsa_dx10_clamp 1
		.amdhsa_ieee_mode 1
		.amdhsa_fp16_overflow 0
		.amdhsa_workgroup_processor_mode 1
		.amdhsa_memory_ordered 1
		.amdhsa_forward_progress 0
		.amdhsa_shared_vgpr_count 0
		.amdhsa_exception_fp_ieee_invalid_op 0
		.amdhsa_exception_fp_denorm_src 0
		.amdhsa_exception_fp_ieee_div_zero 0
		.amdhsa_exception_fp_ieee_overflow 0
		.amdhsa_exception_fp_ieee_underflow 0
		.amdhsa_exception_fp_ieee_inexact 0
		.amdhsa_exception_int_div_zero 0
	.end_amdhsa_kernel
	.section	.text._ZN7rocprim17ROCPRIM_400000_NS6detail17trampoline_kernelINS0_14default_configENS1_25partition_config_selectorILNS1_17partition_subalgoE5ElNS0_10empty_typeEbEEZZNS1_14partition_implILS5_5ELb0ES3_mN6hipcub16HIPCUB_304000_NS21CountingInputIteratorIllEEPS6_NSA_22TransformInputIteratorIbN2at6native12_GLOBAL__N_19NonZeroOpIN3c107complexIdEEEEPKSL_lEENS0_5tupleIJPlS6_EEENSQ_IJSD_SD_EEES6_PiJS6_EEE10hipError_tPvRmT3_T4_T5_T6_T7_T9_mT8_P12ihipStream_tbDpT10_ENKUlT_T0_E_clISt17integral_constantIbLb1EES1D_IbLb0EEEEDaS19_S1A_EUlS19_E_NS1_11comp_targetILNS1_3genE9ELNS1_11target_archE1100ELNS1_3gpuE3ELNS1_3repE0EEENS1_30default_config_static_selectorELNS0_4arch9wavefront6targetE0EEEvT1_,"axG",@progbits,_ZN7rocprim17ROCPRIM_400000_NS6detail17trampoline_kernelINS0_14default_configENS1_25partition_config_selectorILNS1_17partition_subalgoE5ElNS0_10empty_typeEbEEZZNS1_14partition_implILS5_5ELb0ES3_mN6hipcub16HIPCUB_304000_NS21CountingInputIteratorIllEEPS6_NSA_22TransformInputIteratorIbN2at6native12_GLOBAL__N_19NonZeroOpIN3c107complexIdEEEEPKSL_lEENS0_5tupleIJPlS6_EEENSQ_IJSD_SD_EEES6_PiJS6_EEE10hipError_tPvRmT3_T4_T5_T6_T7_T9_mT8_P12ihipStream_tbDpT10_ENKUlT_T0_E_clISt17integral_constantIbLb1EES1D_IbLb0EEEEDaS19_S1A_EUlS19_E_NS1_11comp_targetILNS1_3genE9ELNS1_11target_archE1100ELNS1_3gpuE3ELNS1_3repE0EEENS1_30default_config_static_selectorELNS0_4arch9wavefront6targetE0EEEvT1_,comdat
.Lfunc_end548:
	.size	_ZN7rocprim17ROCPRIM_400000_NS6detail17trampoline_kernelINS0_14default_configENS1_25partition_config_selectorILNS1_17partition_subalgoE5ElNS0_10empty_typeEbEEZZNS1_14partition_implILS5_5ELb0ES3_mN6hipcub16HIPCUB_304000_NS21CountingInputIteratorIllEEPS6_NSA_22TransformInputIteratorIbN2at6native12_GLOBAL__N_19NonZeroOpIN3c107complexIdEEEEPKSL_lEENS0_5tupleIJPlS6_EEENSQ_IJSD_SD_EEES6_PiJS6_EEE10hipError_tPvRmT3_T4_T5_T6_T7_T9_mT8_P12ihipStream_tbDpT10_ENKUlT_T0_E_clISt17integral_constantIbLb1EES1D_IbLb0EEEEDaS19_S1A_EUlS19_E_NS1_11comp_targetILNS1_3genE9ELNS1_11target_archE1100ELNS1_3gpuE3ELNS1_3repE0EEENS1_30default_config_static_selectorELNS0_4arch9wavefront6targetE0EEEvT1_, .Lfunc_end548-_ZN7rocprim17ROCPRIM_400000_NS6detail17trampoline_kernelINS0_14default_configENS1_25partition_config_selectorILNS1_17partition_subalgoE5ElNS0_10empty_typeEbEEZZNS1_14partition_implILS5_5ELb0ES3_mN6hipcub16HIPCUB_304000_NS21CountingInputIteratorIllEEPS6_NSA_22TransformInputIteratorIbN2at6native12_GLOBAL__N_19NonZeroOpIN3c107complexIdEEEEPKSL_lEENS0_5tupleIJPlS6_EEENSQ_IJSD_SD_EEES6_PiJS6_EEE10hipError_tPvRmT3_T4_T5_T6_T7_T9_mT8_P12ihipStream_tbDpT10_ENKUlT_T0_E_clISt17integral_constantIbLb1EES1D_IbLb0EEEEDaS19_S1A_EUlS19_E_NS1_11comp_targetILNS1_3genE9ELNS1_11target_archE1100ELNS1_3gpuE3ELNS1_3repE0EEENS1_30default_config_static_selectorELNS0_4arch9wavefront6targetE0EEEvT1_
                                        ; -- End function
	.section	.AMDGPU.csdata,"",@progbits
; Kernel info:
; codeLenInByte = 6752
; NumSgprs: 29
; NumVgprs: 57
; ScratchSize: 0
; MemoryBound: 0
; FloatMode: 240
; IeeeMode: 1
; LDSByteSize: 6160 bytes/workgroup (compile time only)
; SGPRBlocks: 3
; VGPRBlocks: 7
; NumSGPRsForWavesPerEU: 29
; NumVGPRsForWavesPerEU: 57
; Occupancy: 16
; WaveLimiterHint : 1
; COMPUTE_PGM_RSRC2:SCRATCH_EN: 0
; COMPUTE_PGM_RSRC2:USER_SGPR: 15
; COMPUTE_PGM_RSRC2:TRAP_HANDLER: 0
; COMPUTE_PGM_RSRC2:TGID_X_EN: 1
; COMPUTE_PGM_RSRC2:TGID_Y_EN: 0
; COMPUTE_PGM_RSRC2:TGID_Z_EN: 0
; COMPUTE_PGM_RSRC2:TIDIG_COMP_CNT: 0
	.section	.text._ZN7rocprim17ROCPRIM_400000_NS6detail17trampoline_kernelINS0_14default_configENS1_25partition_config_selectorILNS1_17partition_subalgoE5ElNS0_10empty_typeEbEEZZNS1_14partition_implILS5_5ELb0ES3_mN6hipcub16HIPCUB_304000_NS21CountingInputIteratorIllEEPS6_NSA_22TransformInputIteratorIbN2at6native12_GLOBAL__N_19NonZeroOpIN3c107complexIdEEEEPKSL_lEENS0_5tupleIJPlS6_EEENSQ_IJSD_SD_EEES6_PiJS6_EEE10hipError_tPvRmT3_T4_T5_T6_T7_T9_mT8_P12ihipStream_tbDpT10_ENKUlT_T0_E_clISt17integral_constantIbLb1EES1D_IbLb0EEEEDaS19_S1A_EUlS19_E_NS1_11comp_targetILNS1_3genE8ELNS1_11target_archE1030ELNS1_3gpuE2ELNS1_3repE0EEENS1_30default_config_static_selectorELNS0_4arch9wavefront6targetE0EEEvT1_,"axG",@progbits,_ZN7rocprim17ROCPRIM_400000_NS6detail17trampoline_kernelINS0_14default_configENS1_25partition_config_selectorILNS1_17partition_subalgoE5ElNS0_10empty_typeEbEEZZNS1_14partition_implILS5_5ELb0ES3_mN6hipcub16HIPCUB_304000_NS21CountingInputIteratorIllEEPS6_NSA_22TransformInputIteratorIbN2at6native12_GLOBAL__N_19NonZeroOpIN3c107complexIdEEEEPKSL_lEENS0_5tupleIJPlS6_EEENSQ_IJSD_SD_EEES6_PiJS6_EEE10hipError_tPvRmT3_T4_T5_T6_T7_T9_mT8_P12ihipStream_tbDpT10_ENKUlT_T0_E_clISt17integral_constantIbLb1EES1D_IbLb0EEEEDaS19_S1A_EUlS19_E_NS1_11comp_targetILNS1_3genE8ELNS1_11target_archE1030ELNS1_3gpuE2ELNS1_3repE0EEENS1_30default_config_static_selectorELNS0_4arch9wavefront6targetE0EEEvT1_,comdat
	.globl	_ZN7rocprim17ROCPRIM_400000_NS6detail17trampoline_kernelINS0_14default_configENS1_25partition_config_selectorILNS1_17partition_subalgoE5ElNS0_10empty_typeEbEEZZNS1_14partition_implILS5_5ELb0ES3_mN6hipcub16HIPCUB_304000_NS21CountingInputIteratorIllEEPS6_NSA_22TransformInputIteratorIbN2at6native12_GLOBAL__N_19NonZeroOpIN3c107complexIdEEEEPKSL_lEENS0_5tupleIJPlS6_EEENSQ_IJSD_SD_EEES6_PiJS6_EEE10hipError_tPvRmT3_T4_T5_T6_T7_T9_mT8_P12ihipStream_tbDpT10_ENKUlT_T0_E_clISt17integral_constantIbLb1EES1D_IbLb0EEEEDaS19_S1A_EUlS19_E_NS1_11comp_targetILNS1_3genE8ELNS1_11target_archE1030ELNS1_3gpuE2ELNS1_3repE0EEENS1_30default_config_static_selectorELNS0_4arch9wavefront6targetE0EEEvT1_ ; -- Begin function _ZN7rocprim17ROCPRIM_400000_NS6detail17trampoline_kernelINS0_14default_configENS1_25partition_config_selectorILNS1_17partition_subalgoE5ElNS0_10empty_typeEbEEZZNS1_14partition_implILS5_5ELb0ES3_mN6hipcub16HIPCUB_304000_NS21CountingInputIteratorIllEEPS6_NSA_22TransformInputIteratorIbN2at6native12_GLOBAL__N_19NonZeroOpIN3c107complexIdEEEEPKSL_lEENS0_5tupleIJPlS6_EEENSQ_IJSD_SD_EEES6_PiJS6_EEE10hipError_tPvRmT3_T4_T5_T6_T7_T9_mT8_P12ihipStream_tbDpT10_ENKUlT_T0_E_clISt17integral_constantIbLb1EES1D_IbLb0EEEEDaS19_S1A_EUlS19_E_NS1_11comp_targetILNS1_3genE8ELNS1_11target_archE1030ELNS1_3gpuE2ELNS1_3repE0EEENS1_30default_config_static_selectorELNS0_4arch9wavefront6targetE0EEEvT1_
	.p2align	8
	.type	_ZN7rocprim17ROCPRIM_400000_NS6detail17trampoline_kernelINS0_14default_configENS1_25partition_config_selectorILNS1_17partition_subalgoE5ElNS0_10empty_typeEbEEZZNS1_14partition_implILS5_5ELb0ES3_mN6hipcub16HIPCUB_304000_NS21CountingInputIteratorIllEEPS6_NSA_22TransformInputIteratorIbN2at6native12_GLOBAL__N_19NonZeroOpIN3c107complexIdEEEEPKSL_lEENS0_5tupleIJPlS6_EEENSQ_IJSD_SD_EEES6_PiJS6_EEE10hipError_tPvRmT3_T4_T5_T6_T7_T9_mT8_P12ihipStream_tbDpT10_ENKUlT_T0_E_clISt17integral_constantIbLb1EES1D_IbLb0EEEEDaS19_S1A_EUlS19_E_NS1_11comp_targetILNS1_3genE8ELNS1_11target_archE1030ELNS1_3gpuE2ELNS1_3repE0EEENS1_30default_config_static_selectorELNS0_4arch9wavefront6targetE0EEEvT1_,@function
_ZN7rocprim17ROCPRIM_400000_NS6detail17trampoline_kernelINS0_14default_configENS1_25partition_config_selectorILNS1_17partition_subalgoE5ElNS0_10empty_typeEbEEZZNS1_14partition_implILS5_5ELb0ES3_mN6hipcub16HIPCUB_304000_NS21CountingInputIteratorIllEEPS6_NSA_22TransformInputIteratorIbN2at6native12_GLOBAL__N_19NonZeroOpIN3c107complexIdEEEEPKSL_lEENS0_5tupleIJPlS6_EEENSQ_IJSD_SD_EEES6_PiJS6_EEE10hipError_tPvRmT3_T4_T5_T6_T7_T9_mT8_P12ihipStream_tbDpT10_ENKUlT_T0_E_clISt17integral_constantIbLb1EES1D_IbLb0EEEEDaS19_S1A_EUlS19_E_NS1_11comp_targetILNS1_3genE8ELNS1_11target_archE1030ELNS1_3gpuE2ELNS1_3repE0EEENS1_30default_config_static_selectorELNS0_4arch9wavefront6targetE0EEEvT1_: ; @_ZN7rocprim17ROCPRIM_400000_NS6detail17trampoline_kernelINS0_14default_configENS1_25partition_config_selectorILNS1_17partition_subalgoE5ElNS0_10empty_typeEbEEZZNS1_14partition_implILS5_5ELb0ES3_mN6hipcub16HIPCUB_304000_NS21CountingInputIteratorIllEEPS6_NSA_22TransformInputIteratorIbN2at6native12_GLOBAL__N_19NonZeroOpIN3c107complexIdEEEEPKSL_lEENS0_5tupleIJPlS6_EEENSQ_IJSD_SD_EEES6_PiJS6_EEE10hipError_tPvRmT3_T4_T5_T6_T7_T9_mT8_P12ihipStream_tbDpT10_ENKUlT_T0_E_clISt17integral_constantIbLb1EES1D_IbLb0EEEEDaS19_S1A_EUlS19_E_NS1_11comp_targetILNS1_3genE8ELNS1_11target_archE1030ELNS1_3gpuE2ELNS1_3repE0EEENS1_30default_config_static_selectorELNS0_4arch9wavefront6targetE0EEEvT1_
; %bb.0:
	.section	.rodata,"a",@progbits
	.p2align	6, 0x0
	.amdhsa_kernel _ZN7rocprim17ROCPRIM_400000_NS6detail17trampoline_kernelINS0_14default_configENS1_25partition_config_selectorILNS1_17partition_subalgoE5ElNS0_10empty_typeEbEEZZNS1_14partition_implILS5_5ELb0ES3_mN6hipcub16HIPCUB_304000_NS21CountingInputIteratorIllEEPS6_NSA_22TransformInputIteratorIbN2at6native12_GLOBAL__N_19NonZeroOpIN3c107complexIdEEEEPKSL_lEENS0_5tupleIJPlS6_EEENSQ_IJSD_SD_EEES6_PiJS6_EEE10hipError_tPvRmT3_T4_T5_T6_T7_T9_mT8_P12ihipStream_tbDpT10_ENKUlT_T0_E_clISt17integral_constantIbLb1EES1D_IbLb0EEEEDaS19_S1A_EUlS19_E_NS1_11comp_targetILNS1_3genE8ELNS1_11target_archE1030ELNS1_3gpuE2ELNS1_3repE0EEENS1_30default_config_static_selectorELNS0_4arch9wavefront6targetE0EEEvT1_
		.amdhsa_group_segment_fixed_size 0
		.amdhsa_private_segment_fixed_size 0
		.amdhsa_kernarg_size 120
		.amdhsa_user_sgpr_count 15
		.amdhsa_user_sgpr_dispatch_ptr 0
		.amdhsa_user_sgpr_queue_ptr 0
		.amdhsa_user_sgpr_kernarg_segment_ptr 1
		.amdhsa_user_sgpr_dispatch_id 0
		.amdhsa_user_sgpr_private_segment_size 0
		.amdhsa_wavefront_size32 1
		.amdhsa_uses_dynamic_stack 0
		.amdhsa_enable_private_segment 0
		.amdhsa_system_sgpr_workgroup_id_x 1
		.amdhsa_system_sgpr_workgroup_id_y 0
		.amdhsa_system_sgpr_workgroup_id_z 0
		.amdhsa_system_sgpr_workgroup_info 0
		.amdhsa_system_vgpr_workitem_id 0
		.amdhsa_next_free_vgpr 1
		.amdhsa_next_free_sgpr 1
		.amdhsa_reserve_vcc 0
		.amdhsa_float_round_mode_32 0
		.amdhsa_float_round_mode_16_64 0
		.amdhsa_float_denorm_mode_32 3
		.amdhsa_float_denorm_mode_16_64 3
		.amdhsa_dx10_clamp 1
		.amdhsa_ieee_mode 1
		.amdhsa_fp16_overflow 0
		.amdhsa_workgroup_processor_mode 1
		.amdhsa_memory_ordered 1
		.amdhsa_forward_progress 0
		.amdhsa_shared_vgpr_count 0
		.amdhsa_exception_fp_ieee_invalid_op 0
		.amdhsa_exception_fp_denorm_src 0
		.amdhsa_exception_fp_ieee_div_zero 0
		.amdhsa_exception_fp_ieee_overflow 0
		.amdhsa_exception_fp_ieee_underflow 0
		.amdhsa_exception_fp_ieee_inexact 0
		.amdhsa_exception_int_div_zero 0
	.end_amdhsa_kernel
	.section	.text._ZN7rocprim17ROCPRIM_400000_NS6detail17trampoline_kernelINS0_14default_configENS1_25partition_config_selectorILNS1_17partition_subalgoE5ElNS0_10empty_typeEbEEZZNS1_14partition_implILS5_5ELb0ES3_mN6hipcub16HIPCUB_304000_NS21CountingInputIteratorIllEEPS6_NSA_22TransformInputIteratorIbN2at6native12_GLOBAL__N_19NonZeroOpIN3c107complexIdEEEEPKSL_lEENS0_5tupleIJPlS6_EEENSQ_IJSD_SD_EEES6_PiJS6_EEE10hipError_tPvRmT3_T4_T5_T6_T7_T9_mT8_P12ihipStream_tbDpT10_ENKUlT_T0_E_clISt17integral_constantIbLb1EES1D_IbLb0EEEEDaS19_S1A_EUlS19_E_NS1_11comp_targetILNS1_3genE8ELNS1_11target_archE1030ELNS1_3gpuE2ELNS1_3repE0EEENS1_30default_config_static_selectorELNS0_4arch9wavefront6targetE0EEEvT1_,"axG",@progbits,_ZN7rocprim17ROCPRIM_400000_NS6detail17trampoline_kernelINS0_14default_configENS1_25partition_config_selectorILNS1_17partition_subalgoE5ElNS0_10empty_typeEbEEZZNS1_14partition_implILS5_5ELb0ES3_mN6hipcub16HIPCUB_304000_NS21CountingInputIteratorIllEEPS6_NSA_22TransformInputIteratorIbN2at6native12_GLOBAL__N_19NonZeroOpIN3c107complexIdEEEEPKSL_lEENS0_5tupleIJPlS6_EEENSQ_IJSD_SD_EEES6_PiJS6_EEE10hipError_tPvRmT3_T4_T5_T6_T7_T9_mT8_P12ihipStream_tbDpT10_ENKUlT_T0_E_clISt17integral_constantIbLb1EES1D_IbLb0EEEEDaS19_S1A_EUlS19_E_NS1_11comp_targetILNS1_3genE8ELNS1_11target_archE1030ELNS1_3gpuE2ELNS1_3repE0EEENS1_30default_config_static_selectorELNS0_4arch9wavefront6targetE0EEEvT1_,comdat
.Lfunc_end549:
	.size	_ZN7rocprim17ROCPRIM_400000_NS6detail17trampoline_kernelINS0_14default_configENS1_25partition_config_selectorILNS1_17partition_subalgoE5ElNS0_10empty_typeEbEEZZNS1_14partition_implILS5_5ELb0ES3_mN6hipcub16HIPCUB_304000_NS21CountingInputIteratorIllEEPS6_NSA_22TransformInputIteratorIbN2at6native12_GLOBAL__N_19NonZeroOpIN3c107complexIdEEEEPKSL_lEENS0_5tupleIJPlS6_EEENSQ_IJSD_SD_EEES6_PiJS6_EEE10hipError_tPvRmT3_T4_T5_T6_T7_T9_mT8_P12ihipStream_tbDpT10_ENKUlT_T0_E_clISt17integral_constantIbLb1EES1D_IbLb0EEEEDaS19_S1A_EUlS19_E_NS1_11comp_targetILNS1_3genE8ELNS1_11target_archE1030ELNS1_3gpuE2ELNS1_3repE0EEENS1_30default_config_static_selectorELNS0_4arch9wavefront6targetE0EEEvT1_, .Lfunc_end549-_ZN7rocprim17ROCPRIM_400000_NS6detail17trampoline_kernelINS0_14default_configENS1_25partition_config_selectorILNS1_17partition_subalgoE5ElNS0_10empty_typeEbEEZZNS1_14partition_implILS5_5ELb0ES3_mN6hipcub16HIPCUB_304000_NS21CountingInputIteratorIllEEPS6_NSA_22TransformInputIteratorIbN2at6native12_GLOBAL__N_19NonZeroOpIN3c107complexIdEEEEPKSL_lEENS0_5tupleIJPlS6_EEENSQ_IJSD_SD_EEES6_PiJS6_EEE10hipError_tPvRmT3_T4_T5_T6_T7_T9_mT8_P12ihipStream_tbDpT10_ENKUlT_T0_E_clISt17integral_constantIbLb1EES1D_IbLb0EEEEDaS19_S1A_EUlS19_E_NS1_11comp_targetILNS1_3genE8ELNS1_11target_archE1030ELNS1_3gpuE2ELNS1_3repE0EEENS1_30default_config_static_selectorELNS0_4arch9wavefront6targetE0EEEvT1_
                                        ; -- End function
	.section	.AMDGPU.csdata,"",@progbits
; Kernel info:
; codeLenInByte = 0
; NumSgprs: 0
; NumVgprs: 0
; ScratchSize: 0
; MemoryBound: 0
; FloatMode: 240
; IeeeMode: 1
; LDSByteSize: 0 bytes/workgroup (compile time only)
; SGPRBlocks: 0
; VGPRBlocks: 0
; NumSGPRsForWavesPerEU: 1
; NumVGPRsForWavesPerEU: 1
; Occupancy: 16
; WaveLimiterHint : 0
; COMPUTE_PGM_RSRC2:SCRATCH_EN: 0
; COMPUTE_PGM_RSRC2:USER_SGPR: 15
; COMPUTE_PGM_RSRC2:TRAP_HANDLER: 0
; COMPUTE_PGM_RSRC2:TGID_X_EN: 1
; COMPUTE_PGM_RSRC2:TGID_Y_EN: 0
; COMPUTE_PGM_RSRC2:TGID_Z_EN: 0
; COMPUTE_PGM_RSRC2:TIDIG_COMP_CNT: 0
	.section	.text._ZN7rocprim17ROCPRIM_400000_NS6detail17trampoline_kernelINS0_14default_configENS1_25partition_config_selectorILNS1_17partition_subalgoE5ElNS0_10empty_typeEbEEZZNS1_14partition_implILS5_5ELb0ES3_mN6hipcub16HIPCUB_304000_NS21CountingInputIteratorIllEEPS6_NSA_22TransformInputIteratorIbN2at6native12_GLOBAL__N_19NonZeroOpIN3c107complexIdEEEEPKSL_lEENS0_5tupleIJPlS6_EEENSQ_IJSD_SD_EEES6_PiJS6_EEE10hipError_tPvRmT3_T4_T5_T6_T7_T9_mT8_P12ihipStream_tbDpT10_ENKUlT_T0_E_clISt17integral_constantIbLb0EES1D_IbLb1EEEEDaS19_S1A_EUlS19_E_NS1_11comp_targetILNS1_3genE0ELNS1_11target_archE4294967295ELNS1_3gpuE0ELNS1_3repE0EEENS1_30default_config_static_selectorELNS0_4arch9wavefront6targetE0EEEvT1_,"axG",@progbits,_ZN7rocprim17ROCPRIM_400000_NS6detail17trampoline_kernelINS0_14default_configENS1_25partition_config_selectorILNS1_17partition_subalgoE5ElNS0_10empty_typeEbEEZZNS1_14partition_implILS5_5ELb0ES3_mN6hipcub16HIPCUB_304000_NS21CountingInputIteratorIllEEPS6_NSA_22TransformInputIteratorIbN2at6native12_GLOBAL__N_19NonZeroOpIN3c107complexIdEEEEPKSL_lEENS0_5tupleIJPlS6_EEENSQ_IJSD_SD_EEES6_PiJS6_EEE10hipError_tPvRmT3_T4_T5_T6_T7_T9_mT8_P12ihipStream_tbDpT10_ENKUlT_T0_E_clISt17integral_constantIbLb0EES1D_IbLb1EEEEDaS19_S1A_EUlS19_E_NS1_11comp_targetILNS1_3genE0ELNS1_11target_archE4294967295ELNS1_3gpuE0ELNS1_3repE0EEENS1_30default_config_static_selectorELNS0_4arch9wavefront6targetE0EEEvT1_,comdat
	.globl	_ZN7rocprim17ROCPRIM_400000_NS6detail17trampoline_kernelINS0_14default_configENS1_25partition_config_selectorILNS1_17partition_subalgoE5ElNS0_10empty_typeEbEEZZNS1_14partition_implILS5_5ELb0ES3_mN6hipcub16HIPCUB_304000_NS21CountingInputIteratorIllEEPS6_NSA_22TransformInputIteratorIbN2at6native12_GLOBAL__N_19NonZeroOpIN3c107complexIdEEEEPKSL_lEENS0_5tupleIJPlS6_EEENSQ_IJSD_SD_EEES6_PiJS6_EEE10hipError_tPvRmT3_T4_T5_T6_T7_T9_mT8_P12ihipStream_tbDpT10_ENKUlT_T0_E_clISt17integral_constantIbLb0EES1D_IbLb1EEEEDaS19_S1A_EUlS19_E_NS1_11comp_targetILNS1_3genE0ELNS1_11target_archE4294967295ELNS1_3gpuE0ELNS1_3repE0EEENS1_30default_config_static_selectorELNS0_4arch9wavefront6targetE0EEEvT1_ ; -- Begin function _ZN7rocprim17ROCPRIM_400000_NS6detail17trampoline_kernelINS0_14default_configENS1_25partition_config_selectorILNS1_17partition_subalgoE5ElNS0_10empty_typeEbEEZZNS1_14partition_implILS5_5ELb0ES3_mN6hipcub16HIPCUB_304000_NS21CountingInputIteratorIllEEPS6_NSA_22TransformInputIteratorIbN2at6native12_GLOBAL__N_19NonZeroOpIN3c107complexIdEEEEPKSL_lEENS0_5tupleIJPlS6_EEENSQ_IJSD_SD_EEES6_PiJS6_EEE10hipError_tPvRmT3_T4_T5_T6_T7_T9_mT8_P12ihipStream_tbDpT10_ENKUlT_T0_E_clISt17integral_constantIbLb0EES1D_IbLb1EEEEDaS19_S1A_EUlS19_E_NS1_11comp_targetILNS1_3genE0ELNS1_11target_archE4294967295ELNS1_3gpuE0ELNS1_3repE0EEENS1_30default_config_static_selectorELNS0_4arch9wavefront6targetE0EEEvT1_
	.p2align	8
	.type	_ZN7rocprim17ROCPRIM_400000_NS6detail17trampoline_kernelINS0_14default_configENS1_25partition_config_selectorILNS1_17partition_subalgoE5ElNS0_10empty_typeEbEEZZNS1_14partition_implILS5_5ELb0ES3_mN6hipcub16HIPCUB_304000_NS21CountingInputIteratorIllEEPS6_NSA_22TransformInputIteratorIbN2at6native12_GLOBAL__N_19NonZeroOpIN3c107complexIdEEEEPKSL_lEENS0_5tupleIJPlS6_EEENSQ_IJSD_SD_EEES6_PiJS6_EEE10hipError_tPvRmT3_T4_T5_T6_T7_T9_mT8_P12ihipStream_tbDpT10_ENKUlT_T0_E_clISt17integral_constantIbLb0EES1D_IbLb1EEEEDaS19_S1A_EUlS19_E_NS1_11comp_targetILNS1_3genE0ELNS1_11target_archE4294967295ELNS1_3gpuE0ELNS1_3repE0EEENS1_30default_config_static_selectorELNS0_4arch9wavefront6targetE0EEEvT1_,@function
_ZN7rocprim17ROCPRIM_400000_NS6detail17trampoline_kernelINS0_14default_configENS1_25partition_config_selectorILNS1_17partition_subalgoE5ElNS0_10empty_typeEbEEZZNS1_14partition_implILS5_5ELb0ES3_mN6hipcub16HIPCUB_304000_NS21CountingInputIteratorIllEEPS6_NSA_22TransformInputIteratorIbN2at6native12_GLOBAL__N_19NonZeroOpIN3c107complexIdEEEEPKSL_lEENS0_5tupleIJPlS6_EEENSQ_IJSD_SD_EEES6_PiJS6_EEE10hipError_tPvRmT3_T4_T5_T6_T7_T9_mT8_P12ihipStream_tbDpT10_ENKUlT_T0_E_clISt17integral_constantIbLb0EES1D_IbLb1EEEEDaS19_S1A_EUlS19_E_NS1_11comp_targetILNS1_3genE0ELNS1_11target_archE4294967295ELNS1_3gpuE0ELNS1_3repE0EEENS1_30default_config_static_selectorELNS0_4arch9wavefront6targetE0EEEvT1_: ; @_ZN7rocprim17ROCPRIM_400000_NS6detail17trampoline_kernelINS0_14default_configENS1_25partition_config_selectorILNS1_17partition_subalgoE5ElNS0_10empty_typeEbEEZZNS1_14partition_implILS5_5ELb0ES3_mN6hipcub16HIPCUB_304000_NS21CountingInputIteratorIllEEPS6_NSA_22TransformInputIteratorIbN2at6native12_GLOBAL__N_19NonZeroOpIN3c107complexIdEEEEPKSL_lEENS0_5tupleIJPlS6_EEENSQ_IJSD_SD_EEES6_PiJS6_EEE10hipError_tPvRmT3_T4_T5_T6_T7_T9_mT8_P12ihipStream_tbDpT10_ENKUlT_T0_E_clISt17integral_constantIbLb0EES1D_IbLb1EEEEDaS19_S1A_EUlS19_E_NS1_11comp_targetILNS1_3genE0ELNS1_11target_archE4294967295ELNS1_3gpuE0ELNS1_3repE0EEENS1_30default_config_static_selectorELNS0_4arch9wavefront6targetE0EEEvT1_
; %bb.0:
	.section	.rodata,"a",@progbits
	.p2align	6, 0x0
	.amdhsa_kernel _ZN7rocprim17ROCPRIM_400000_NS6detail17trampoline_kernelINS0_14default_configENS1_25partition_config_selectorILNS1_17partition_subalgoE5ElNS0_10empty_typeEbEEZZNS1_14partition_implILS5_5ELb0ES3_mN6hipcub16HIPCUB_304000_NS21CountingInputIteratorIllEEPS6_NSA_22TransformInputIteratorIbN2at6native12_GLOBAL__N_19NonZeroOpIN3c107complexIdEEEEPKSL_lEENS0_5tupleIJPlS6_EEENSQ_IJSD_SD_EEES6_PiJS6_EEE10hipError_tPvRmT3_T4_T5_T6_T7_T9_mT8_P12ihipStream_tbDpT10_ENKUlT_T0_E_clISt17integral_constantIbLb0EES1D_IbLb1EEEEDaS19_S1A_EUlS19_E_NS1_11comp_targetILNS1_3genE0ELNS1_11target_archE4294967295ELNS1_3gpuE0ELNS1_3repE0EEENS1_30default_config_static_selectorELNS0_4arch9wavefront6targetE0EEEvT1_
		.amdhsa_group_segment_fixed_size 0
		.amdhsa_private_segment_fixed_size 0
		.amdhsa_kernarg_size 136
		.amdhsa_user_sgpr_count 15
		.amdhsa_user_sgpr_dispatch_ptr 0
		.amdhsa_user_sgpr_queue_ptr 0
		.amdhsa_user_sgpr_kernarg_segment_ptr 1
		.amdhsa_user_sgpr_dispatch_id 0
		.amdhsa_user_sgpr_private_segment_size 0
		.amdhsa_wavefront_size32 1
		.amdhsa_uses_dynamic_stack 0
		.amdhsa_enable_private_segment 0
		.amdhsa_system_sgpr_workgroup_id_x 1
		.amdhsa_system_sgpr_workgroup_id_y 0
		.amdhsa_system_sgpr_workgroup_id_z 0
		.amdhsa_system_sgpr_workgroup_info 0
		.amdhsa_system_vgpr_workitem_id 0
		.amdhsa_next_free_vgpr 1
		.amdhsa_next_free_sgpr 1
		.amdhsa_reserve_vcc 0
		.amdhsa_float_round_mode_32 0
		.amdhsa_float_round_mode_16_64 0
		.amdhsa_float_denorm_mode_32 3
		.amdhsa_float_denorm_mode_16_64 3
		.amdhsa_dx10_clamp 1
		.amdhsa_ieee_mode 1
		.amdhsa_fp16_overflow 0
		.amdhsa_workgroup_processor_mode 1
		.amdhsa_memory_ordered 1
		.amdhsa_forward_progress 0
		.amdhsa_shared_vgpr_count 0
		.amdhsa_exception_fp_ieee_invalid_op 0
		.amdhsa_exception_fp_denorm_src 0
		.amdhsa_exception_fp_ieee_div_zero 0
		.amdhsa_exception_fp_ieee_overflow 0
		.amdhsa_exception_fp_ieee_underflow 0
		.amdhsa_exception_fp_ieee_inexact 0
		.amdhsa_exception_int_div_zero 0
	.end_amdhsa_kernel
	.section	.text._ZN7rocprim17ROCPRIM_400000_NS6detail17trampoline_kernelINS0_14default_configENS1_25partition_config_selectorILNS1_17partition_subalgoE5ElNS0_10empty_typeEbEEZZNS1_14partition_implILS5_5ELb0ES3_mN6hipcub16HIPCUB_304000_NS21CountingInputIteratorIllEEPS6_NSA_22TransformInputIteratorIbN2at6native12_GLOBAL__N_19NonZeroOpIN3c107complexIdEEEEPKSL_lEENS0_5tupleIJPlS6_EEENSQ_IJSD_SD_EEES6_PiJS6_EEE10hipError_tPvRmT3_T4_T5_T6_T7_T9_mT8_P12ihipStream_tbDpT10_ENKUlT_T0_E_clISt17integral_constantIbLb0EES1D_IbLb1EEEEDaS19_S1A_EUlS19_E_NS1_11comp_targetILNS1_3genE0ELNS1_11target_archE4294967295ELNS1_3gpuE0ELNS1_3repE0EEENS1_30default_config_static_selectorELNS0_4arch9wavefront6targetE0EEEvT1_,"axG",@progbits,_ZN7rocprim17ROCPRIM_400000_NS6detail17trampoline_kernelINS0_14default_configENS1_25partition_config_selectorILNS1_17partition_subalgoE5ElNS0_10empty_typeEbEEZZNS1_14partition_implILS5_5ELb0ES3_mN6hipcub16HIPCUB_304000_NS21CountingInputIteratorIllEEPS6_NSA_22TransformInputIteratorIbN2at6native12_GLOBAL__N_19NonZeroOpIN3c107complexIdEEEEPKSL_lEENS0_5tupleIJPlS6_EEENSQ_IJSD_SD_EEES6_PiJS6_EEE10hipError_tPvRmT3_T4_T5_T6_T7_T9_mT8_P12ihipStream_tbDpT10_ENKUlT_T0_E_clISt17integral_constantIbLb0EES1D_IbLb1EEEEDaS19_S1A_EUlS19_E_NS1_11comp_targetILNS1_3genE0ELNS1_11target_archE4294967295ELNS1_3gpuE0ELNS1_3repE0EEENS1_30default_config_static_selectorELNS0_4arch9wavefront6targetE0EEEvT1_,comdat
.Lfunc_end550:
	.size	_ZN7rocprim17ROCPRIM_400000_NS6detail17trampoline_kernelINS0_14default_configENS1_25partition_config_selectorILNS1_17partition_subalgoE5ElNS0_10empty_typeEbEEZZNS1_14partition_implILS5_5ELb0ES3_mN6hipcub16HIPCUB_304000_NS21CountingInputIteratorIllEEPS6_NSA_22TransformInputIteratorIbN2at6native12_GLOBAL__N_19NonZeroOpIN3c107complexIdEEEEPKSL_lEENS0_5tupleIJPlS6_EEENSQ_IJSD_SD_EEES6_PiJS6_EEE10hipError_tPvRmT3_T4_T5_T6_T7_T9_mT8_P12ihipStream_tbDpT10_ENKUlT_T0_E_clISt17integral_constantIbLb0EES1D_IbLb1EEEEDaS19_S1A_EUlS19_E_NS1_11comp_targetILNS1_3genE0ELNS1_11target_archE4294967295ELNS1_3gpuE0ELNS1_3repE0EEENS1_30default_config_static_selectorELNS0_4arch9wavefront6targetE0EEEvT1_, .Lfunc_end550-_ZN7rocprim17ROCPRIM_400000_NS6detail17trampoline_kernelINS0_14default_configENS1_25partition_config_selectorILNS1_17partition_subalgoE5ElNS0_10empty_typeEbEEZZNS1_14partition_implILS5_5ELb0ES3_mN6hipcub16HIPCUB_304000_NS21CountingInputIteratorIllEEPS6_NSA_22TransformInputIteratorIbN2at6native12_GLOBAL__N_19NonZeroOpIN3c107complexIdEEEEPKSL_lEENS0_5tupleIJPlS6_EEENSQ_IJSD_SD_EEES6_PiJS6_EEE10hipError_tPvRmT3_T4_T5_T6_T7_T9_mT8_P12ihipStream_tbDpT10_ENKUlT_T0_E_clISt17integral_constantIbLb0EES1D_IbLb1EEEEDaS19_S1A_EUlS19_E_NS1_11comp_targetILNS1_3genE0ELNS1_11target_archE4294967295ELNS1_3gpuE0ELNS1_3repE0EEENS1_30default_config_static_selectorELNS0_4arch9wavefront6targetE0EEEvT1_
                                        ; -- End function
	.section	.AMDGPU.csdata,"",@progbits
; Kernel info:
; codeLenInByte = 0
; NumSgprs: 0
; NumVgprs: 0
; ScratchSize: 0
; MemoryBound: 0
; FloatMode: 240
; IeeeMode: 1
; LDSByteSize: 0 bytes/workgroup (compile time only)
; SGPRBlocks: 0
; VGPRBlocks: 0
; NumSGPRsForWavesPerEU: 1
; NumVGPRsForWavesPerEU: 1
; Occupancy: 16
; WaveLimiterHint : 0
; COMPUTE_PGM_RSRC2:SCRATCH_EN: 0
; COMPUTE_PGM_RSRC2:USER_SGPR: 15
; COMPUTE_PGM_RSRC2:TRAP_HANDLER: 0
; COMPUTE_PGM_RSRC2:TGID_X_EN: 1
; COMPUTE_PGM_RSRC2:TGID_Y_EN: 0
; COMPUTE_PGM_RSRC2:TGID_Z_EN: 0
; COMPUTE_PGM_RSRC2:TIDIG_COMP_CNT: 0
	.section	.text._ZN7rocprim17ROCPRIM_400000_NS6detail17trampoline_kernelINS0_14default_configENS1_25partition_config_selectorILNS1_17partition_subalgoE5ElNS0_10empty_typeEbEEZZNS1_14partition_implILS5_5ELb0ES3_mN6hipcub16HIPCUB_304000_NS21CountingInputIteratorIllEEPS6_NSA_22TransformInputIteratorIbN2at6native12_GLOBAL__N_19NonZeroOpIN3c107complexIdEEEEPKSL_lEENS0_5tupleIJPlS6_EEENSQ_IJSD_SD_EEES6_PiJS6_EEE10hipError_tPvRmT3_T4_T5_T6_T7_T9_mT8_P12ihipStream_tbDpT10_ENKUlT_T0_E_clISt17integral_constantIbLb0EES1D_IbLb1EEEEDaS19_S1A_EUlS19_E_NS1_11comp_targetILNS1_3genE5ELNS1_11target_archE942ELNS1_3gpuE9ELNS1_3repE0EEENS1_30default_config_static_selectorELNS0_4arch9wavefront6targetE0EEEvT1_,"axG",@progbits,_ZN7rocprim17ROCPRIM_400000_NS6detail17trampoline_kernelINS0_14default_configENS1_25partition_config_selectorILNS1_17partition_subalgoE5ElNS0_10empty_typeEbEEZZNS1_14partition_implILS5_5ELb0ES3_mN6hipcub16HIPCUB_304000_NS21CountingInputIteratorIllEEPS6_NSA_22TransformInputIteratorIbN2at6native12_GLOBAL__N_19NonZeroOpIN3c107complexIdEEEEPKSL_lEENS0_5tupleIJPlS6_EEENSQ_IJSD_SD_EEES6_PiJS6_EEE10hipError_tPvRmT3_T4_T5_T6_T7_T9_mT8_P12ihipStream_tbDpT10_ENKUlT_T0_E_clISt17integral_constantIbLb0EES1D_IbLb1EEEEDaS19_S1A_EUlS19_E_NS1_11comp_targetILNS1_3genE5ELNS1_11target_archE942ELNS1_3gpuE9ELNS1_3repE0EEENS1_30default_config_static_selectorELNS0_4arch9wavefront6targetE0EEEvT1_,comdat
	.globl	_ZN7rocprim17ROCPRIM_400000_NS6detail17trampoline_kernelINS0_14default_configENS1_25partition_config_selectorILNS1_17partition_subalgoE5ElNS0_10empty_typeEbEEZZNS1_14partition_implILS5_5ELb0ES3_mN6hipcub16HIPCUB_304000_NS21CountingInputIteratorIllEEPS6_NSA_22TransformInputIteratorIbN2at6native12_GLOBAL__N_19NonZeroOpIN3c107complexIdEEEEPKSL_lEENS0_5tupleIJPlS6_EEENSQ_IJSD_SD_EEES6_PiJS6_EEE10hipError_tPvRmT3_T4_T5_T6_T7_T9_mT8_P12ihipStream_tbDpT10_ENKUlT_T0_E_clISt17integral_constantIbLb0EES1D_IbLb1EEEEDaS19_S1A_EUlS19_E_NS1_11comp_targetILNS1_3genE5ELNS1_11target_archE942ELNS1_3gpuE9ELNS1_3repE0EEENS1_30default_config_static_selectorELNS0_4arch9wavefront6targetE0EEEvT1_ ; -- Begin function _ZN7rocprim17ROCPRIM_400000_NS6detail17trampoline_kernelINS0_14default_configENS1_25partition_config_selectorILNS1_17partition_subalgoE5ElNS0_10empty_typeEbEEZZNS1_14partition_implILS5_5ELb0ES3_mN6hipcub16HIPCUB_304000_NS21CountingInputIteratorIllEEPS6_NSA_22TransformInputIteratorIbN2at6native12_GLOBAL__N_19NonZeroOpIN3c107complexIdEEEEPKSL_lEENS0_5tupleIJPlS6_EEENSQ_IJSD_SD_EEES6_PiJS6_EEE10hipError_tPvRmT3_T4_T5_T6_T7_T9_mT8_P12ihipStream_tbDpT10_ENKUlT_T0_E_clISt17integral_constantIbLb0EES1D_IbLb1EEEEDaS19_S1A_EUlS19_E_NS1_11comp_targetILNS1_3genE5ELNS1_11target_archE942ELNS1_3gpuE9ELNS1_3repE0EEENS1_30default_config_static_selectorELNS0_4arch9wavefront6targetE0EEEvT1_
	.p2align	8
	.type	_ZN7rocprim17ROCPRIM_400000_NS6detail17trampoline_kernelINS0_14default_configENS1_25partition_config_selectorILNS1_17partition_subalgoE5ElNS0_10empty_typeEbEEZZNS1_14partition_implILS5_5ELb0ES3_mN6hipcub16HIPCUB_304000_NS21CountingInputIteratorIllEEPS6_NSA_22TransformInputIteratorIbN2at6native12_GLOBAL__N_19NonZeroOpIN3c107complexIdEEEEPKSL_lEENS0_5tupleIJPlS6_EEENSQ_IJSD_SD_EEES6_PiJS6_EEE10hipError_tPvRmT3_T4_T5_T6_T7_T9_mT8_P12ihipStream_tbDpT10_ENKUlT_T0_E_clISt17integral_constantIbLb0EES1D_IbLb1EEEEDaS19_S1A_EUlS19_E_NS1_11comp_targetILNS1_3genE5ELNS1_11target_archE942ELNS1_3gpuE9ELNS1_3repE0EEENS1_30default_config_static_selectorELNS0_4arch9wavefront6targetE0EEEvT1_,@function
_ZN7rocprim17ROCPRIM_400000_NS6detail17trampoline_kernelINS0_14default_configENS1_25partition_config_selectorILNS1_17partition_subalgoE5ElNS0_10empty_typeEbEEZZNS1_14partition_implILS5_5ELb0ES3_mN6hipcub16HIPCUB_304000_NS21CountingInputIteratorIllEEPS6_NSA_22TransformInputIteratorIbN2at6native12_GLOBAL__N_19NonZeroOpIN3c107complexIdEEEEPKSL_lEENS0_5tupleIJPlS6_EEENSQ_IJSD_SD_EEES6_PiJS6_EEE10hipError_tPvRmT3_T4_T5_T6_T7_T9_mT8_P12ihipStream_tbDpT10_ENKUlT_T0_E_clISt17integral_constantIbLb0EES1D_IbLb1EEEEDaS19_S1A_EUlS19_E_NS1_11comp_targetILNS1_3genE5ELNS1_11target_archE942ELNS1_3gpuE9ELNS1_3repE0EEENS1_30default_config_static_selectorELNS0_4arch9wavefront6targetE0EEEvT1_: ; @_ZN7rocprim17ROCPRIM_400000_NS6detail17trampoline_kernelINS0_14default_configENS1_25partition_config_selectorILNS1_17partition_subalgoE5ElNS0_10empty_typeEbEEZZNS1_14partition_implILS5_5ELb0ES3_mN6hipcub16HIPCUB_304000_NS21CountingInputIteratorIllEEPS6_NSA_22TransformInputIteratorIbN2at6native12_GLOBAL__N_19NonZeroOpIN3c107complexIdEEEEPKSL_lEENS0_5tupleIJPlS6_EEENSQ_IJSD_SD_EEES6_PiJS6_EEE10hipError_tPvRmT3_T4_T5_T6_T7_T9_mT8_P12ihipStream_tbDpT10_ENKUlT_T0_E_clISt17integral_constantIbLb0EES1D_IbLb1EEEEDaS19_S1A_EUlS19_E_NS1_11comp_targetILNS1_3genE5ELNS1_11target_archE942ELNS1_3gpuE9ELNS1_3repE0EEENS1_30default_config_static_selectorELNS0_4arch9wavefront6targetE0EEEvT1_
; %bb.0:
	.section	.rodata,"a",@progbits
	.p2align	6, 0x0
	.amdhsa_kernel _ZN7rocprim17ROCPRIM_400000_NS6detail17trampoline_kernelINS0_14default_configENS1_25partition_config_selectorILNS1_17partition_subalgoE5ElNS0_10empty_typeEbEEZZNS1_14partition_implILS5_5ELb0ES3_mN6hipcub16HIPCUB_304000_NS21CountingInputIteratorIllEEPS6_NSA_22TransformInputIteratorIbN2at6native12_GLOBAL__N_19NonZeroOpIN3c107complexIdEEEEPKSL_lEENS0_5tupleIJPlS6_EEENSQ_IJSD_SD_EEES6_PiJS6_EEE10hipError_tPvRmT3_T4_T5_T6_T7_T9_mT8_P12ihipStream_tbDpT10_ENKUlT_T0_E_clISt17integral_constantIbLb0EES1D_IbLb1EEEEDaS19_S1A_EUlS19_E_NS1_11comp_targetILNS1_3genE5ELNS1_11target_archE942ELNS1_3gpuE9ELNS1_3repE0EEENS1_30default_config_static_selectorELNS0_4arch9wavefront6targetE0EEEvT1_
		.amdhsa_group_segment_fixed_size 0
		.amdhsa_private_segment_fixed_size 0
		.amdhsa_kernarg_size 136
		.amdhsa_user_sgpr_count 15
		.amdhsa_user_sgpr_dispatch_ptr 0
		.amdhsa_user_sgpr_queue_ptr 0
		.amdhsa_user_sgpr_kernarg_segment_ptr 1
		.amdhsa_user_sgpr_dispatch_id 0
		.amdhsa_user_sgpr_private_segment_size 0
		.amdhsa_wavefront_size32 1
		.amdhsa_uses_dynamic_stack 0
		.amdhsa_enable_private_segment 0
		.amdhsa_system_sgpr_workgroup_id_x 1
		.amdhsa_system_sgpr_workgroup_id_y 0
		.amdhsa_system_sgpr_workgroup_id_z 0
		.amdhsa_system_sgpr_workgroup_info 0
		.amdhsa_system_vgpr_workitem_id 0
		.amdhsa_next_free_vgpr 1
		.amdhsa_next_free_sgpr 1
		.amdhsa_reserve_vcc 0
		.amdhsa_float_round_mode_32 0
		.amdhsa_float_round_mode_16_64 0
		.amdhsa_float_denorm_mode_32 3
		.amdhsa_float_denorm_mode_16_64 3
		.amdhsa_dx10_clamp 1
		.amdhsa_ieee_mode 1
		.amdhsa_fp16_overflow 0
		.amdhsa_workgroup_processor_mode 1
		.amdhsa_memory_ordered 1
		.amdhsa_forward_progress 0
		.amdhsa_shared_vgpr_count 0
		.amdhsa_exception_fp_ieee_invalid_op 0
		.amdhsa_exception_fp_denorm_src 0
		.amdhsa_exception_fp_ieee_div_zero 0
		.amdhsa_exception_fp_ieee_overflow 0
		.amdhsa_exception_fp_ieee_underflow 0
		.amdhsa_exception_fp_ieee_inexact 0
		.amdhsa_exception_int_div_zero 0
	.end_amdhsa_kernel
	.section	.text._ZN7rocprim17ROCPRIM_400000_NS6detail17trampoline_kernelINS0_14default_configENS1_25partition_config_selectorILNS1_17partition_subalgoE5ElNS0_10empty_typeEbEEZZNS1_14partition_implILS5_5ELb0ES3_mN6hipcub16HIPCUB_304000_NS21CountingInputIteratorIllEEPS6_NSA_22TransformInputIteratorIbN2at6native12_GLOBAL__N_19NonZeroOpIN3c107complexIdEEEEPKSL_lEENS0_5tupleIJPlS6_EEENSQ_IJSD_SD_EEES6_PiJS6_EEE10hipError_tPvRmT3_T4_T5_T6_T7_T9_mT8_P12ihipStream_tbDpT10_ENKUlT_T0_E_clISt17integral_constantIbLb0EES1D_IbLb1EEEEDaS19_S1A_EUlS19_E_NS1_11comp_targetILNS1_3genE5ELNS1_11target_archE942ELNS1_3gpuE9ELNS1_3repE0EEENS1_30default_config_static_selectorELNS0_4arch9wavefront6targetE0EEEvT1_,"axG",@progbits,_ZN7rocprim17ROCPRIM_400000_NS6detail17trampoline_kernelINS0_14default_configENS1_25partition_config_selectorILNS1_17partition_subalgoE5ElNS0_10empty_typeEbEEZZNS1_14partition_implILS5_5ELb0ES3_mN6hipcub16HIPCUB_304000_NS21CountingInputIteratorIllEEPS6_NSA_22TransformInputIteratorIbN2at6native12_GLOBAL__N_19NonZeroOpIN3c107complexIdEEEEPKSL_lEENS0_5tupleIJPlS6_EEENSQ_IJSD_SD_EEES6_PiJS6_EEE10hipError_tPvRmT3_T4_T5_T6_T7_T9_mT8_P12ihipStream_tbDpT10_ENKUlT_T0_E_clISt17integral_constantIbLb0EES1D_IbLb1EEEEDaS19_S1A_EUlS19_E_NS1_11comp_targetILNS1_3genE5ELNS1_11target_archE942ELNS1_3gpuE9ELNS1_3repE0EEENS1_30default_config_static_selectorELNS0_4arch9wavefront6targetE0EEEvT1_,comdat
.Lfunc_end551:
	.size	_ZN7rocprim17ROCPRIM_400000_NS6detail17trampoline_kernelINS0_14default_configENS1_25partition_config_selectorILNS1_17partition_subalgoE5ElNS0_10empty_typeEbEEZZNS1_14partition_implILS5_5ELb0ES3_mN6hipcub16HIPCUB_304000_NS21CountingInputIteratorIllEEPS6_NSA_22TransformInputIteratorIbN2at6native12_GLOBAL__N_19NonZeroOpIN3c107complexIdEEEEPKSL_lEENS0_5tupleIJPlS6_EEENSQ_IJSD_SD_EEES6_PiJS6_EEE10hipError_tPvRmT3_T4_T5_T6_T7_T9_mT8_P12ihipStream_tbDpT10_ENKUlT_T0_E_clISt17integral_constantIbLb0EES1D_IbLb1EEEEDaS19_S1A_EUlS19_E_NS1_11comp_targetILNS1_3genE5ELNS1_11target_archE942ELNS1_3gpuE9ELNS1_3repE0EEENS1_30default_config_static_selectorELNS0_4arch9wavefront6targetE0EEEvT1_, .Lfunc_end551-_ZN7rocprim17ROCPRIM_400000_NS6detail17trampoline_kernelINS0_14default_configENS1_25partition_config_selectorILNS1_17partition_subalgoE5ElNS0_10empty_typeEbEEZZNS1_14partition_implILS5_5ELb0ES3_mN6hipcub16HIPCUB_304000_NS21CountingInputIteratorIllEEPS6_NSA_22TransformInputIteratorIbN2at6native12_GLOBAL__N_19NonZeroOpIN3c107complexIdEEEEPKSL_lEENS0_5tupleIJPlS6_EEENSQ_IJSD_SD_EEES6_PiJS6_EEE10hipError_tPvRmT3_T4_T5_T6_T7_T9_mT8_P12ihipStream_tbDpT10_ENKUlT_T0_E_clISt17integral_constantIbLb0EES1D_IbLb1EEEEDaS19_S1A_EUlS19_E_NS1_11comp_targetILNS1_3genE5ELNS1_11target_archE942ELNS1_3gpuE9ELNS1_3repE0EEENS1_30default_config_static_selectorELNS0_4arch9wavefront6targetE0EEEvT1_
                                        ; -- End function
	.section	.AMDGPU.csdata,"",@progbits
; Kernel info:
; codeLenInByte = 0
; NumSgprs: 0
; NumVgprs: 0
; ScratchSize: 0
; MemoryBound: 0
; FloatMode: 240
; IeeeMode: 1
; LDSByteSize: 0 bytes/workgroup (compile time only)
; SGPRBlocks: 0
; VGPRBlocks: 0
; NumSGPRsForWavesPerEU: 1
; NumVGPRsForWavesPerEU: 1
; Occupancy: 16
; WaveLimiterHint : 0
; COMPUTE_PGM_RSRC2:SCRATCH_EN: 0
; COMPUTE_PGM_RSRC2:USER_SGPR: 15
; COMPUTE_PGM_RSRC2:TRAP_HANDLER: 0
; COMPUTE_PGM_RSRC2:TGID_X_EN: 1
; COMPUTE_PGM_RSRC2:TGID_Y_EN: 0
; COMPUTE_PGM_RSRC2:TGID_Z_EN: 0
; COMPUTE_PGM_RSRC2:TIDIG_COMP_CNT: 0
	.section	.text._ZN7rocprim17ROCPRIM_400000_NS6detail17trampoline_kernelINS0_14default_configENS1_25partition_config_selectorILNS1_17partition_subalgoE5ElNS0_10empty_typeEbEEZZNS1_14partition_implILS5_5ELb0ES3_mN6hipcub16HIPCUB_304000_NS21CountingInputIteratorIllEEPS6_NSA_22TransformInputIteratorIbN2at6native12_GLOBAL__N_19NonZeroOpIN3c107complexIdEEEEPKSL_lEENS0_5tupleIJPlS6_EEENSQ_IJSD_SD_EEES6_PiJS6_EEE10hipError_tPvRmT3_T4_T5_T6_T7_T9_mT8_P12ihipStream_tbDpT10_ENKUlT_T0_E_clISt17integral_constantIbLb0EES1D_IbLb1EEEEDaS19_S1A_EUlS19_E_NS1_11comp_targetILNS1_3genE4ELNS1_11target_archE910ELNS1_3gpuE8ELNS1_3repE0EEENS1_30default_config_static_selectorELNS0_4arch9wavefront6targetE0EEEvT1_,"axG",@progbits,_ZN7rocprim17ROCPRIM_400000_NS6detail17trampoline_kernelINS0_14default_configENS1_25partition_config_selectorILNS1_17partition_subalgoE5ElNS0_10empty_typeEbEEZZNS1_14partition_implILS5_5ELb0ES3_mN6hipcub16HIPCUB_304000_NS21CountingInputIteratorIllEEPS6_NSA_22TransformInputIteratorIbN2at6native12_GLOBAL__N_19NonZeroOpIN3c107complexIdEEEEPKSL_lEENS0_5tupleIJPlS6_EEENSQ_IJSD_SD_EEES6_PiJS6_EEE10hipError_tPvRmT3_T4_T5_T6_T7_T9_mT8_P12ihipStream_tbDpT10_ENKUlT_T0_E_clISt17integral_constantIbLb0EES1D_IbLb1EEEEDaS19_S1A_EUlS19_E_NS1_11comp_targetILNS1_3genE4ELNS1_11target_archE910ELNS1_3gpuE8ELNS1_3repE0EEENS1_30default_config_static_selectorELNS0_4arch9wavefront6targetE0EEEvT1_,comdat
	.globl	_ZN7rocprim17ROCPRIM_400000_NS6detail17trampoline_kernelINS0_14default_configENS1_25partition_config_selectorILNS1_17partition_subalgoE5ElNS0_10empty_typeEbEEZZNS1_14partition_implILS5_5ELb0ES3_mN6hipcub16HIPCUB_304000_NS21CountingInputIteratorIllEEPS6_NSA_22TransformInputIteratorIbN2at6native12_GLOBAL__N_19NonZeroOpIN3c107complexIdEEEEPKSL_lEENS0_5tupleIJPlS6_EEENSQ_IJSD_SD_EEES6_PiJS6_EEE10hipError_tPvRmT3_T4_T5_T6_T7_T9_mT8_P12ihipStream_tbDpT10_ENKUlT_T0_E_clISt17integral_constantIbLb0EES1D_IbLb1EEEEDaS19_S1A_EUlS19_E_NS1_11comp_targetILNS1_3genE4ELNS1_11target_archE910ELNS1_3gpuE8ELNS1_3repE0EEENS1_30default_config_static_selectorELNS0_4arch9wavefront6targetE0EEEvT1_ ; -- Begin function _ZN7rocprim17ROCPRIM_400000_NS6detail17trampoline_kernelINS0_14default_configENS1_25partition_config_selectorILNS1_17partition_subalgoE5ElNS0_10empty_typeEbEEZZNS1_14partition_implILS5_5ELb0ES3_mN6hipcub16HIPCUB_304000_NS21CountingInputIteratorIllEEPS6_NSA_22TransformInputIteratorIbN2at6native12_GLOBAL__N_19NonZeroOpIN3c107complexIdEEEEPKSL_lEENS0_5tupleIJPlS6_EEENSQ_IJSD_SD_EEES6_PiJS6_EEE10hipError_tPvRmT3_T4_T5_T6_T7_T9_mT8_P12ihipStream_tbDpT10_ENKUlT_T0_E_clISt17integral_constantIbLb0EES1D_IbLb1EEEEDaS19_S1A_EUlS19_E_NS1_11comp_targetILNS1_3genE4ELNS1_11target_archE910ELNS1_3gpuE8ELNS1_3repE0EEENS1_30default_config_static_selectorELNS0_4arch9wavefront6targetE0EEEvT1_
	.p2align	8
	.type	_ZN7rocprim17ROCPRIM_400000_NS6detail17trampoline_kernelINS0_14default_configENS1_25partition_config_selectorILNS1_17partition_subalgoE5ElNS0_10empty_typeEbEEZZNS1_14partition_implILS5_5ELb0ES3_mN6hipcub16HIPCUB_304000_NS21CountingInputIteratorIllEEPS6_NSA_22TransformInputIteratorIbN2at6native12_GLOBAL__N_19NonZeroOpIN3c107complexIdEEEEPKSL_lEENS0_5tupleIJPlS6_EEENSQ_IJSD_SD_EEES6_PiJS6_EEE10hipError_tPvRmT3_T4_T5_T6_T7_T9_mT8_P12ihipStream_tbDpT10_ENKUlT_T0_E_clISt17integral_constantIbLb0EES1D_IbLb1EEEEDaS19_S1A_EUlS19_E_NS1_11comp_targetILNS1_3genE4ELNS1_11target_archE910ELNS1_3gpuE8ELNS1_3repE0EEENS1_30default_config_static_selectorELNS0_4arch9wavefront6targetE0EEEvT1_,@function
_ZN7rocprim17ROCPRIM_400000_NS6detail17trampoline_kernelINS0_14default_configENS1_25partition_config_selectorILNS1_17partition_subalgoE5ElNS0_10empty_typeEbEEZZNS1_14partition_implILS5_5ELb0ES3_mN6hipcub16HIPCUB_304000_NS21CountingInputIteratorIllEEPS6_NSA_22TransformInputIteratorIbN2at6native12_GLOBAL__N_19NonZeroOpIN3c107complexIdEEEEPKSL_lEENS0_5tupleIJPlS6_EEENSQ_IJSD_SD_EEES6_PiJS6_EEE10hipError_tPvRmT3_T4_T5_T6_T7_T9_mT8_P12ihipStream_tbDpT10_ENKUlT_T0_E_clISt17integral_constantIbLb0EES1D_IbLb1EEEEDaS19_S1A_EUlS19_E_NS1_11comp_targetILNS1_3genE4ELNS1_11target_archE910ELNS1_3gpuE8ELNS1_3repE0EEENS1_30default_config_static_selectorELNS0_4arch9wavefront6targetE0EEEvT1_: ; @_ZN7rocprim17ROCPRIM_400000_NS6detail17trampoline_kernelINS0_14default_configENS1_25partition_config_selectorILNS1_17partition_subalgoE5ElNS0_10empty_typeEbEEZZNS1_14partition_implILS5_5ELb0ES3_mN6hipcub16HIPCUB_304000_NS21CountingInputIteratorIllEEPS6_NSA_22TransformInputIteratorIbN2at6native12_GLOBAL__N_19NonZeroOpIN3c107complexIdEEEEPKSL_lEENS0_5tupleIJPlS6_EEENSQ_IJSD_SD_EEES6_PiJS6_EEE10hipError_tPvRmT3_T4_T5_T6_T7_T9_mT8_P12ihipStream_tbDpT10_ENKUlT_T0_E_clISt17integral_constantIbLb0EES1D_IbLb1EEEEDaS19_S1A_EUlS19_E_NS1_11comp_targetILNS1_3genE4ELNS1_11target_archE910ELNS1_3gpuE8ELNS1_3repE0EEENS1_30default_config_static_selectorELNS0_4arch9wavefront6targetE0EEEvT1_
; %bb.0:
	.section	.rodata,"a",@progbits
	.p2align	6, 0x0
	.amdhsa_kernel _ZN7rocprim17ROCPRIM_400000_NS6detail17trampoline_kernelINS0_14default_configENS1_25partition_config_selectorILNS1_17partition_subalgoE5ElNS0_10empty_typeEbEEZZNS1_14partition_implILS5_5ELb0ES3_mN6hipcub16HIPCUB_304000_NS21CountingInputIteratorIllEEPS6_NSA_22TransformInputIteratorIbN2at6native12_GLOBAL__N_19NonZeroOpIN3c107complexIdEEEEPKSL_lEENS0_5tupleIJPlS6_EEENSQ_IJSD_SD_EEES6_PiJS6_EEE10hipError_tPvRmT3_T4_T5_T6_T7_T9_mT8_P12ihipStream_tbDpT10_ENKUlT_T0_E_clISt17integral_constantIbLb0EES1D_IbLb1EEEEDaS19_S1A_EUlS19_E_NS1_11comp_targetILNS1_3genE4ELNS1_11target_archE910ELNS1_3gpuE8ELNS1_3repE0EEENS1_30default_config_static_selectorELNS0_4arch9wavefront6targetE0EEEvT1_
		.amdhsa_group_segment_fixed_size 0
		.amdhsa_private_segment_fixed_size 0
		.amdhsa_kernarg_size 136
		.amdhsa_user_sgpr_count 15
		.amdhsa_user_sgpr_dispatch_ptr 0
		.amdhsa_user_sgpr_queue_ptr 0
		.amdhsa_user_sgpr_kernarg_segment_ptr 1
		.amdhsa_user_sgpr_dispatch_id 0
		.amdhsa_user_sgpr_private_segment_size 0
		.amdhsa_wavefront_size32 1
		.amdhsa_uses_dynamic_stack 0
		.amdhsa_enable_private_segment 0
		.amdhsa_system_sgpr_workgroup_id_x 1
		.amdhsa_system_sgpr_workgroup_id_y 0
		.amdhsa_system_sgpr_workgroup_id_z 0
		.amdhsa_system_sgpr_workgroup_info 0
		.amdhsa_system_vgpr_workitem_id 0
		.amdhsa_next_free_vgpr 1
		.amdhsa_next_free_sgpr 1
		.amdhsa_reserve_vcc 0
		.amdhsa_float_round_mode_32 0
		.amdhsa_float_round_mode_16_64 0
		.amdhsa_float_denorm_mode_32 3
		.amdhsa_float_denorm_mode_16_64 3
		.amdhsa_dx10_clamp 1
		.amdhsa_ieee_mode 1
		.amdhsa_fp16_overflow 0
		.amdhsa_workgroup_processor_mode 1
		.amdhsa_memory_ordered 1
		.amdhsa_forward_progress 0
		.amdhsa_shared_vgpr_count 0
		.amdhsa_exception_fp_ieee_invalid_op 0
		.amdhsa_exception_fp_denorm_src 0
		.amdhsa_exception_fp_ieee_div_zero 0
		.amdhsa_exception_fp_ieee_overflow 0
		.amdhsa_exception_fp_ieee_underflow 0
		.amdhsa_exception_fp_ieee_inexact 0
		.amdhsa_exception_int_div_zero 0
	.end_amdhsa_kernel
	.section	.text._ZN7rocprim17ROCPRIM_400000_NS6detail17trampoline_kernelINS0_14default_configENS1_25partition_config_selectorILNS1_17partition_subalgoE5ElNS0_10empty_typeEbEEZZNS1_14partition_implILS5_5ELb0ES3_mN6hipcub16HIPCUB_304000_NS21CountingInputIteratorIllEEPS6_NSA_22TransformInputIteratorIbN2at6native12_GLOBAL__N_19NonZeroOpIN3c107complexIdEEEEPKSL_lEENS0_5tupleIJPlS6_EEENSQ_IJSD_SD_EEES6_PiJS6_EEE10hipError_tPvRmT3_T4_T5_T6_T7_T9_mT8_P12ihipStream_tbDpT10_ENKUlT_T0_E_clISt17integral_constantIbLb0EES1D_IbLb1EEEEDaS19_S1A_EUlS19_E_NS1_11comp_targetILNS1_3genE4ELNS1_11target_archE910ELNS1_3gpuE8ELNS1_3repE0EEENS1_30default_config_static_selectorELNS0_4arch9wavefront6targetE0EEEvT1_,"axG",@progbits,_ZN7rocprim17ROCPRIM_400000_NS6detail17trampoline_kernelINS0_14default_configENS1_25partition_config_selectorILNS1_17partition_subalgoE5ElNS0_10empty_typeEbEEZZNS1_14partition_implILS5_5ELb0ES3_mN6hipcub16HIPCUB_304000_NS21CountingInputIteratorIllEEPS6_NSA_22TransformInputIteratorIbN2at6native12_GLOBAL__N_19NonZeroOpIN3c107complexIdEEEEPKSL_lEENS0_5tupleIJPlS6_EEENSQ_IJSD_SD_EEES6_PiJS6_EEE10hipError_tPvRmT3_T4_T5_T6_T7_T9_mT8_P12ihipStream_tbDpT10_ENKUlT_T0_E_clISt17integral_constantIbLb0EES1D_IbLb1EEEEDaS19_S1A_EUlS19_E_NS1_11comp_targetILNS1_3genE4ELNS1_11target_archE910ELNS1_3gpuE8ELNS1_3repE0EEENS1_30default_config_static_selectorELNS0_4arch9wavefront6targetE0EEEvT1_,comdat
.Lfunc_end552:
	.size	_ZN7rocprim17ROCPRIM_400000_NS6detail17trampoline_kernelINS0_14default_configENS1_25partition_config_selectorILNS1_17partition_subalgoE5ElNS0_10empty_typeEbEEZZNS1_14partition_implILS5_5ELb0ES3_mN6hipcub16HIPCUB_304000_NS21CountingInputIteratorIllEEPS6_NSA_22TransformInputIteratorIbN2at6native12_GLOBAL__N_19NonZeroOpIN3c107complexIdEEEEPKSL_lEENS0_5tupleIJPlS6_EEENSQ_IJSD_SD_EEES6_PiJS6_EEE10hipError_tPvRmT3_T4_T5_T6_T7_T9_mT8_P12ihipStream_tbDpT10_ENKUlT_T0_E_clISt17integral_constantIbLb0EES1D_IbLb1EEEEDaS19_S1A_EUlS19_E_NS1_11comp_targetILNS1_3genE4ELNS1_11target_archE910ELNS1_3gpuE8ELNS1_3repE0EEENS1_30default_config_static_selectorELNS0_4arch9wavefront6targetE0EEEvT1_, .Lfunc_end552-_ZN7rocprim17ROCPRIM_400000_NS6detail17trampoline_kernelINS0_14default_configENS1_25partition_config_selectorILNS1_17partition_subalgoE5ElNS0_10empty_typeEbEEZZNS1_14partition_implILS5_5ELb0ES3_mN6hipcub16HIPCUB_304000_NS21CountingInputIteratorIllEEPS6_NSA_22TransformInputIteratorIbN2at6native12_GLOBAL__N_19NonZeroOpIN3c107complexIdEEEEPKSL_lEENS0_5tupleIJPlS6_EEENSQ_IJSD_SD_EEES6_PiJS6_EEE10hipError_tPvRmT3_T4_T5_T6_T7_T9_mT8_P12ihipStream_tbDpT10_ENKUlT_T0_E_clISt17integral_constantIbLb0EES1D_IbLb1EEEEDaS19_S1A_EUlS19_E_NS1_11comp_targetILNS1_3genE4ELNS1_11target_archE910ELNS1_3gpuE8ELNS1_3repE0EEENS1_30default_config_static_selectorELNS0_4arch9wavefront6targetE0EEEvT1_
                                        ; -- End function
	.section	.AMDGPU.csdata,"",@progbits
; Kernel info:
; codeLenInByte = 0
; NumSgprs: 0
; NumVgprs: 0
; ScratchSize: 0
; MemoryBound: 0
; FloatMode: 240
; IeeeMode: 1
; LDSByteSize: 0 bytes/workgroup (compile time only)
; SGPRBlocks: 0
; VGPRBlocks: 0
; NumSGPRsForWavesPerEU: 1
; NumVGPRsForWavesPerEU: 1
; Occupancy: 15
; WaveLimiterHint : 0
; COMPUTE_PGM_RSRC2:SCRATCH_EN: 0
; COMPUTE_PGM_RSRC2:USER_SGPR: 15
; COMPUTE_PGM_RSRC2:TRAP_HANDLER: 0
; COMPUTE_PGM_RSRC2:TGID_X_EN: 1
; COMPUTE_PGM_RSRC2:TGID_Y_EN: 0
; COMPUTE_PGM_RSRC2:TGID_Z_EN: 0
; COMPUTE_PGM_RSRC2:TIDIG_COMP_CNT: 0
	.section	.text._ZN7rocprim17ROCPRIM_400000_NS6detail17trampoline_kernelINS0_14default_configENS1_25partition_config_selectorILNS1_17partition_subalgoE5ElNS0_10empty_typeEbEEZZNS1_14partition_implILS5_5ELb0ES3_mN6hipcub16HIPCUB_304000_NS21CountingInputIteratorIllEEPS6_NSA_22TransformInputIteratorIbN2at6native12_GLOBAL__N_19NonZeroOpIN3c107complexIdEEEEPKSL_lEENS0_5tupleIJPlS6_EEENSQ_IJSD_SD_EEES6_PiJS6_EEE10hipError_tPvRmT3_T4_T5_T6_T7_T9_mT8_P12ihipStream_tbDpT10_ENKUlT_T0_E_clISt17integral_constantIbLb0EES1D_IbLb1EEEEDaS19_S1A_EUlS19_E_NS1_11comp_targetILNS1_3genE3ELNS1_11target_archE908ELNS1_3gpuE7ELNS1_3repE0EEENS1_30default_config_static_selectorELNS0_4arch9wavefront6targetE0EEEvT1_,"axG",@progbits,_ZN7rocprim17ROCPRIM_400000_NS6detail17trampoline_kernelINS0_14default_configENS1_25partition_config_selectorILNS1_17partition_subalgoE5ElNS0_10empty_typeEbEEZZNS1_14partition_implILS5_5ELb0ES3_mN6hipcub16HIPCUB_304000_NS21CountingInputIteratorIllEEPS6_NSA_22TransformInputIteratorIbN2at6native12_GLOBAL__N_19NonZeroOpIN3c107complexIdEEEEPKSL_lEENS0_5tupleIJPlS6_EEENSQ_IJSD_SD_EEES6_PiJS6_EEE10hipError_tPvRmT3_T4_T5_T6_T7_T9_mT8_P12ihipStream_tbDpT10_ENKUlT_T0_E_clISt17integral_constantIbLb0EES1D_IbLb1EEEEDaS19_S1A_EUlS19_E_NS1_11comp_targetILNS1_3genE3ELNS1_11target_archE908ELNS1_3gpuE7ELNS1_3repE0EEENS1_30default_config_static_selectorELNS0_4arch9wavefront6targetE0EEEvT1_,comdat
	.globl	_ZN7rocprim17ROCPRIM_400000_NS6detail17trampoline_kernelINS0_14default_configENS1_25partition_config_selectorILNS1_17partition_subalgoE5ElNS0_10empty_typeEbEEZZNS1_14partition_implILS5_5ELb0ES3_mN6hipcub16HIPCUB_304000_NS21CountingInputIteratorIllEEPS6_NSA_22TransformInputIteratorIbN2at6native12_GLOBAL__N_19NonZeroOpIN3c107complexIdEEEEPKSL_lEENS0_5tupleIJPlS6_EEENSQ_IJSD_SD_EEES6_PiJS6_EEE10hipError_tPvRmT3_T4_T5_T6_T7_T9_mT8_P12ihipStream_tbDpT10_ENKUlT_T0_E_clISt17integral_constantIbLb0EES1D_IbLb1EEEEDaS19_S1A_EUlS19_E_NS1_11comp_targetILNS1_3genE3ELNS1_11target_archE908ELNS1_3gpuE7ELNS1_3repE0EEENS1_30default_config_static_selectorELNS0_4arch9wavefront6targetE0EEEvT1_ ; -- Begin function _ZN7rocprim17ROCPRIM_400000_NS6detail17trampoline_kernelINS0_14default_configENS1_25partition_config_selectorILNS1_17partition_subalgoE5ElNS0_10empty_typeEbEEZZNS1_14partition_implILS5_5ELb0ES3_mN6hipcub16HIPCUB_304000_NS21CountingInputIteratorIllEEPS6_NSA_22TransformInputIteratorIbN2at6native12_GLOBAL__N_19NonZeroOpIN3c107complexIdEEEEPKSL_lEENS0_5tupleIJPlS6_EEENSQ_IJSD_SD_EEES6_PiJS6_EEE10hipError_tPvRmT3_T4_T5_T6_T7_T9_mT8_P12ihipStream_tbDpT10_ENKUlT_T0_E_clISt17integral_constantIbLb0EES1D_IbLb1EEEEDaS19_S1A_EUlS19_E_NS1_11comp_targetILNS1_3genE3ELNS1_11target_archE908ELNS1_3gpuE7ELNS1_3repE0EEENS1_30default_config_static_selectorELNS0_4arch9wavefront6targetE0EEEvT1_
	.p2align	8
	.type	_ZN7rocprim17ROCPRIM_400000_NS6detail17trampoline_kernelINS0_14default_configENS1_25partition_config_selectorILNS1_17partition_subalgoE5ElNS0_10empty_typeEbEEZZNS1_14partition_implILS5_5ELb0ES3_mN6hipcub16HIPCUB_304000_NS21CountingInputIteratorIllEEPS6_NSA_22TransformInputIteratorIbN2at6native12_GLOBAL__N_19NonZeroOpIN3c107complexIdEEEEPKSL_lEENS0_5tupleIJPlS6_EEENSQ_IJSD_SD_EEES6_PiJS6_EEE10hipError_tPvRmT3_T4_T5_T6_T7_T9_mT8_P12ihipStream_tbDpT10_ENKUlT_T0_E_clISt17integral_constantIbLb0EES1D_IbLb1EEEEDaS19_S1A_EUlS19_E_NS1_11comp_targetILNS1_3genE3ELNS1_11target_archE908ELNS1_3gpuE7ELNS1_3repE0EEENS1_30default_config_static_selectorELNS0_4arch9wavefront6targetE0EEEvT1_,@function
_ZN7rocprim17ROCPRIM_400000_NS6detail17trampoline_kernelINS0_14default_configENS1_25partition_config_selectorILNS1_17partition_subalgoE5ElNS0_10empty_typeEbEEZZNS1_14partition_implILS5_5ELb0ES3_mN6hipcub16HIPCUB_304000_NS21CountingInputIteratorIllEEPS6_NSA_22TransformInputIteratorIbN2at6native12_GLOBAL__N_19NonZeroOpIN3c107complexIdEEEEPKSL_lEENS0_5tupleIJPlS6_EEENSQ_IJSD_SD_EEES6_PiJS6_EEE10hipError_tPvRmT3_T4_T5_T6_T7_T9_mT8_P12ihipStream_tbDpT10_ENKUlT_T0_E_clISt17integral_constantIbLb0EES1D_IbLb1EEEEDaS19_S1A_EUlS19_E_NS1_11comp_targetILNS1_3genE3ELNS1_11target_archE908ELNS1_3gpuE7ELNS1_3repE0EEENS1_30default_config_static_selectorELNS0_4arch9wavefront6targetE0EEEvT1_: ; @_ZN7rocprim17ROCPRIM_400000_NS6detail17trampoline_kernelINS0_14default_configENS1_25partition_config_selectorILNS1_17partition_subalgoE5ElNS0_10empty_typeEbEEZZNS1_14partition_implILS5_5ELb0ES3_mN6hipcub16HIPCUB_304000_NS21CountingInputIteratorIllEEPS6_NSA_22TransformInputIteratorIbN2at6native12_GLOBAL__N_19NonZeroOpIN3c107complexIdEEEEPKSL_lEENS0_5tupleIJPlS6_EEENSQ_IJSD_SD_EEES6_PiJS6_EEE10hipError_tPvRmT3_T4_T5_T6_T7_T9_mT8_P12ihipStream_tbDpT10_ENKUlT_T0_E_clISt17integral_constantIbLb0EES1D_IbLb1EEEEDaS19_S1A_EUlS19_E_NS1_11comp_targetILNS1_3genE3ELNS1_11target_archE908ELNS1_3gpuE7ELNS1_3repE0EEENS1_30default_config_static_selectorELNS0_4arch9wavefront6targetE0EEEvT1_
; %bb.0:
	.section	.rodata,"a",@progbits
	.p2align	6, 0x0
	.amdhsa_kernel _ZN7rocprim17ROCPRIM_400000_NS6detail17trampoline_kernelINS0_14default_configENS1_25partition_config_selectorILNS1_17partition_subalgoE5ElNS0_10empty_typeEbEEZZNS1_14partition_implILS5_5ELb0ES3_mN6hipcub16HIPCUB_304000_NS21CountingInputIteratorIllEEPS6_NSA_22TransformInputIteratorIbN2at6native12_GLOBAL__N_19NonZeroOpIN3c107complexIdEEEEPKSL_lEENS0_5tupleIJPlS6_EEENSQ_IJSD_SD_EEES6_PiJS6_EEE10hipError_tPvRmT3_T4_T5_T6_T7_T9_mT8_P12ihipStream_tbDpT10_ENKUlT_T0_E_clISt17integral_constantIbLb0EES1D_IbLb1EEEEDaS19_S1A_EUlS19_E_NS1_11comp_targetILNS1_3genE3ELNS1_11target_archE908ELNS1_3gpuE7ELNS1_3repE0EEENS1_30default_config_static_selectorELNS0_4arch9wavefront6targetE0EEEvT1_
		.amdhsa_group_segment_fixed_size 0
		.amdhsa_private_segment_fixed_size 0
		.amdhsa_kernarg_size 136
		.amdhsa_user_sgpr_count 15
		.amdhsa_user_sgpr_dispatch_ptr 0
		.amdhsa_user_sgpr_queue_ptr 0
		.amdhsa_user_sgpr_kernarg_segment_ptr 1
		.amdhsa_user_sgpr_dispatch_id 0
		.amdhsa_user_sgpr_private_segment_size 0
		.amdhsa_wavefront_size32 1
		.amdhsa_uses_dynamic_stack 0
		.amdhsa_enable_private_segment 0
		.amdhsa_system_sgpr_workgroup_id_x 1
		.amdhsa_system_sgpr_workgroup_id_y 0
		.amdhsa_system_sgpr_workgroup_id_z 0
		.amdhsa_system_sgpr_workgroup_info 0
		.amdhsa_system_vgpr_workitem_id 0
		.amdhsa_next_free_vgpr 1
		.amdhsa_next_free_sgpr 1
		.amdhsa_reserve_vcc 0
		.amdhsa_float_round_mode_32 0
		.amdhsa_float_round_mode_16_64 0
		.amdhsa_float_denorm_mode_32 3
		.amdhsa_float_denorm_mode_16_64 3
		.amdhsa_dx10_clamp 1
		.amdhsa_ieee_mode 1
		.amdhsa_fp16_overflow 0
		.amdhsa_workgroup_processor_mode 1
		.amdhsa_memory_ordered 1
		.amdhsa_forward_progress 0
		.amdhsa_shared_vgpr_count 0
		.amdhsa_exception_fp_ieee_invalid_op 0
		.amdhsa_exception_fp_denorm_src 0
		.amdhsa_exception_fp_ieee_div_zero 0
		.amdhsa_exception_fp_ieee_overflow 0
		.amdhsa_exception_fp_ieee_underflow 0
		.amdhsa_exception_fp_ieee_inexact 0
		.amdhsa_exception_int_div_zero 0
	.end_amdhsa_kernel
	.section	.text._ZN7rocprim17ROCPRIM_400000_NS6detail17trampoline_kernelINS0_14default_configENS1_25partition_config_selectorILNS1_17partition_subalgoE5ElNS0_10empty_typeEbEEZZNS1_14partition_implILS5_5ELb0ES3_mN6hipcub16HIPCUB_304000_NS21CountingInputIteratorIllEEPS6_NSA_22TransformInputIteratorIbN2at6native12_GLOBAL__N_19NonZeroOpIN3c107complexIdEEEEPKSL_lEENS0_5tupleIJPlS6_EEENSQ_IJSD_SD_EEES6_PiJS6_EEE10hipError_tPvRmT3_T4_T5_T6_T7_T9_mT8_P12ihipStream_tbDpT10_ENKUlT_T0_E_clISt17integral_constantIbLb0EES1D_IbLb1EEEEDaS19_S1A_EUlS19_E_NS1_11comp_targetILNS1_3genE3ELNS1_11target_archE908ELNS1_3gpuE7ELNS1_3repE0EEENS1_30default_config_static_selectorELNS0_4arch9wavefront6targetE0EEEvT1_,"axG",@progbits,_ZN7rocprim17ROCPRIM_400000_NS6detail17trampoline_kernelINS0_14default_configENS1_25partition_config_selectorILNS1_17partition_subalgoE5ElNS0_10empty_typeEbEEZZNS1_14partition_implILS5_5ELb0ES3_mN6hipcub16HIPCUB_304000_NS21CountingInputIteratorIllEEPS6_NSA_22TransformInputIteratorIbN2at6native12_GLOBAL__N_19NonZeroOpIN3c107complexIdEEEEPKSL_lEENS0_5tupleIJPlS6_EEENSQ_IJSD_SD_EEES6_PiJS6_EEE10hipError_tPvRmT3_T4_T5_T6_T7_T9_mT8_P12ihipStream_tbDpT10_ENKUlT_T0_E_clISt17integral_constantIbLb0EES1D_IbLb1EEEEDaS19_S1A_EUlS19_E_NS1_11comp_targetILNS1_3genE3ELNS1_11target_archE908ELNS1_3gpuE7ELNS1_3repE0EEENS1_30default_config_static_selectorELNS0_4arch9wavefront6targetE0EEEvT1_,comdat
.Lfunc_end553:
	.size	_ZN7rocprim17ROCPRIM_400000_NS6detail17trampoline_kernelINS0_14default_configENS1_25partition_config_selectorILNS1_17partition_subalgoE5ElNS0_10empty_typeEbEEZZNS1_14partition_implILS5_5ELb0ES3_mN6hipcub16HIPCUB_304000_NS21CountingInputIteratorIllEEPS6_NSA_22TransformInputIteratorIbN2at6native12_GLOBAL__N_19NonZeroOpIN3c107complexIdEEEEPKSL_lEENS0_5tupleIJPlS6_EEENSQ_IJSD_SD_EEES6_PiJS6_EEE10hipError_tPvRmT3_T4_T5_T6_T7_T9_mT8_P12ihipStream_tbDpT10_ENKUlT_T0_E_clISt17integral_constantIbLb0EES1D_IbLb1EEEEDaS19_S1A_EUlS19_E_NS1_11comp_targetILNS1_3genE3ELNS1_11target_archE908ELNS1_3gpuE7ELNS1_3repE0EEENS1_30default_config_static_selectorELNS0_4arch9wavefront6targetE0EEEvT1_, .Lfunc_end553-_ZN7rocprim17ROCPRIM_400000_NS6detail17trampoline_kernelINS0_14default_configENS1_25partition_config_selectorILNS1_17partition_subalgoE5ElNS0_10empty_typeEbEEZZNS1_14partition_implILS5_5ELb0ES3_mN6hipcub16HIPCUB_304000_NS21CountingInputIteratorIllEEPS6_NSA_22TransformInputIteratorIbN2at6native12_GLOBAL__N_19NonZeroOpIN3c107complexIdEEEEPKSL_lEENS0_5tupleIJPlS6_EEENSQ_IJSD_SD_EEES6_PiJS6_EEE10hipError_tPvRmT3_T4_T5_T6_T7_T9_mT8_P12ihipStream_tbDpT10_ENKUlT_T0_E_clISt17integral_constantIbLb0EES1D_IbLb1EEEEDaS19_S1A_EUlS19_E_NS1_11comp_targetILNS1_3genE3ELNS1_11target_archE908ELNS1_3gpuE7ELNS1_3repE0EEENS1_30default_config_static_selectorELNS0_4arch9wavefront6targetE0EEEvT1_
                                        ; -- End function
	.section	.AMDGPU.csdata,"",@progbits
; Kernel info:
; codeLenInByte = 0
; NumSgprs: 0
; NumVgprs: 0
; ScratchSize: 0
; MemoryBound: 0
; FloatMode: 240
; IeeeMode: 1
; LDSByteSize: 0 bytes/workgroup (compile time only)
; SGPRBlocks: 0
; VGPRBlocks: 0
; NumSGPRsForWavesPerEU: 1
; NumVGPRsForWavesPerEU: 1
; Occupancy: 16
; WaveLimiterHint : 0
; COMPUTE_PGM_RSRC2:SCRATCH_EN: 0
; COMPUTE_PGM_RSRC2:USER_SGPR: 15
; COMPUTE_PGM_RSRC2:TRAP_HANDLER: 0
; COMPUTE_PGM_RSRC2:TGID_X_EN: 1
; COMPUTE_PGM_RSRC2:TGID_Y_EN: 0
; COMPUTE_PGM_RSRC2:TGID_Z_EN: 0
; COMPUTE_PGM_RSRC2:TIDIG_COMP_CNT: 0
	.section	.text._ZN7rocprim17ROCPRIM_400000_NS6detail17trampoline_kernelINS0_14default_configENS1_25partition_config_selectorILNS1_17partition_subalgoE5ElNS0_10empty_typeEbEEZZNS1_14partition_implILS5_5ELb0ES3_mN6hipcub16HIPCUB_304000_NS21CountingInputIteratorIllEEPS6_NSA_22TransformInputIteratorIbN2at6native12_GLOBAL__N_19NonZeroOpIN3c107complexIdEEEEPKSL_lEENS0_5tupleIJPlS6_EEENSQ_IJSD_SD_EEES6_PiJS6_EEE10hipError_tPvRmT3_T4_T5_T6_T7_T9_mT8_P12ihipStream_tbDpT10_ENKUlT_T0_E_clISt17integral_constantIbLb0EES1D_IbLb1EEEEDaS19_S1A_EUlS19_E_NS1_11comp_targetILNS1_3genE2ELNS1_11target_archE906ELNS1_3gpuE6ELNS1_3repE0EEENS1_30default_config_static_selectorELNS0_4arch9wavefront6targetE0EEEvT1_,"axG",@progbits,_ZN7rocprim17ROCPRIM_400000_NS6detail17trampoline_kernelINS0_14default_configENS1_25partition_config_selectorILNS1_17partition_subalgoE5ElNS0_10empty_typeEbEEZZNS1_14partition_implILS5_5ELb0ES3_mN6hipcub16HIPCUB_304000_NS21CountingInputIteratorIllEEPS6_NSA_22TransformInputIteratorIbN2at6native12_GLOBAL__N_19NonZeroOpIN3c107complexIdEEEEPKSL_lEENS0_5tupleIJPlS6_EEENSQ_IJSD_SD_EEES6_PiJS6_EEE10hipError_tPvRmT3_T4_T5_T6_T7_T9_mT8_P12ihipStream_tbDpT10_ENKUlT_T0_E_clISt17integral_constantIbLb0EES1D_IbLb1EEEEDaS19_S1A_EUlS19_E_NS1_11comp_targetILNS1_3genE2ELNS1_11target_archE906ELNS1_3gpuE6ELNS1_3repE0EEENS1_30default_config_static_selectorELNS0_4arch9wavefront6targetE0EEEvT1_,comdat
	.globl	_ZN7rocprim17ROCPRIM_400000_NS6detail17trampoline_kernelINS0_14default_configENS1_25partition_config_selectorILNS1_17partition_subalgoE5ElNS0_10empty_typeEbEEZZNS1_14partition_implILS5_5ELb0ES3_mN6hipcub16HIPCUB_304000_NS21CountingInputIteratorIllEEPS6_NSA_22TransformInputIteratorIbN2at6native12_GLOBAL__N_19NonZeroOpIN3c107complexIdEEEEPKSL_lEENS0_5tupleIJPlS6_EEENSQ_IJSD_SD_EEES6_PiJS6_EEE10hipError_tPvRmT3_T4_T5_T6_T7_T9_mT8_P12ihipStream_tbDpT10_ENKUlT_T0_E_clISt17integral_constantIbLb0EES1D_IbLb1EEEEDaS19_S1A_EUlS19_E_NS1_11comp_targetILNS1_3genE2ELNS1_11target_archE906ELNS1_3gpuE6ELNS1_3repE0EEENS1_30default_config_static_selectorELNS0_4arch9wavefront6targetE0EEEvT1_ ; -- Begin function _ZN7rocprim17ROCPRIM_400000_NS6detail17trampoline_kernelINS0_14default_configENS1_25partition_config_selectorILNS1_17partition_subalgoE5ElNS0_10empty_typeEbEEZZNS1_14partition_implILS5_5ELb0ES3_mN6hipcub16HIPCUB_304000_NS21CountingInputIteratorIllEEPS6_NSA_22TransformInputIteratorIbN2at6native12_GLOBAL__N_19NonZeroOpIN3c107complexIdEEEEPKSL_lEENS0_5tupleIJPlS6_EEENSQ_IJSD_SD_EEES6_PiJS6_EEE10hipError_tPvRmT3_T4_T5_T6_T7_T9_mT8_P12ihipStream_tbDpT10_ENKUlT_T0_E_clISt17integral_constantIbLb0EES1D_IbLb1EEEEDaS19_S1A_EUlS19_E_NS1_11comp_targetILNS1_3genE2ELNS1_11target_archE906ELNS1_3gpuE6ELNS1_3repE0EEENS1_30default_config_static_selectorELNS0_4arch9wavefront6targetE0EEEvT1_
	.p2align	8
	.type	_ZN7rocprim17ROCPRIM_400000_NS6detail17trampoline_kernelINS0_14default_configENS1_25partition_config_selectorILNS1_17partition_subalgoE5ElNS0_10empty_typeEbEEZZNS1_14partition_implILS5_5ELb0ES3_mN6hipcub16HIPCUB_304000_NS21CountingInputIteratorIllEEPS6_NSA_22TransformInputIteratorIbN2at6native12_GLOBAL__N_19NonZeroOpIN3c107complexIdEEEEPKSL_lEENS0_5tupleIJPlS6_EEENSQ_IJSD_SD_EEES6_PiJS6_EEE10hipError_tPvRmT3_T4_T5_T6_T7_T9_mT8_P12ihipStream_tbDpT10_ENKUlT_T0_E_clISt17integral_constantIbLb0EES1D_IbLb1EEEEDaS19_S1A_EUlS19_E_NS1_11comp_targetILNS1_3genE2ELNS1_11target_archE906ELNS1_3gpuE6ELNS1_3repE0EEENS1_30default_config_static_selectorELNS0_4arch9wavefront6targetE0EEEvT1_,@function
_ZN7rocprim17ROCPRIM_400000_NS6detail17trampoline_kernelINS0_14default_configENS1_25partition_config_selectorILNS1_17partition_subalgoE5ElNS0_10empty_typeEbEEZZNS1_14partition_implILS5_5ELb0ES3_mN6hipcub16HIPCUB_304000_NS21CountingInputIteratorIllEEPS6_NSA_22TransformInputIteratorIbN2at6native12_GLOBAL__N_19NonZeroOpIN3c107complexIdEEEEPKSL_lEENS0_5tupleIJPlS6_EEENSQ_IJSD_SD_EEES6_PiJS6_EEE10hipError_tPvRmT3_T4_T5_T6_T7_T9_mT8_P12ihipStream_tbDpT10_ENKUlT_T0_E_clISt17integral_constantIbLb0EES1D_IbLb1EEEEDaS19_S1A_EUlS19_E_NS1_11comp_targetILNS1_3genE2ELNS1_11target_archE906ELNS1_3gpuE6ELNS1_3repE0EEENS1_30default_config_static_selectorELNS0_4arch9wavefront6targetE0EEEvT1_: ; @_ZN7rocprim17ROCPRIM_400000_NS6detail17trampoline_kernelINS0_14default_configENS1_25partition_config_selectorILNS1_17partition_subalgoE5ElNS0_10empty_typeEbEEZZNS1_14partition_implILS5_5ELb0ES3_mN6hipcub16HIPCUB_304000_NS21CountingInputIteratorIllEEPS6_NSA_22TransformInputIteratorIbN2at6native12_GLOBAL__N_19NonZeroOpIN3c107complexIdEEEEPKSL_lEENS0_5tupleIJPlS6_EEENSQ_IJSD_SD_EEES6_PiJS6_EEE10hipError_tPvRmT3_T4_T5_T6_T7_T9_mT8_P12ihipStream_tbDpT10_ENKUlT_T0_E_clISt17integral_constantIbLb0EES1D_IbLb1EEEEDaS19_S1A_EUlS19_E_NS1_11comp_targetILNS1_3genE2ELNS1_11target_archE906ELNS1_3gpuE6ELNS1_3repE0EEENS1_30default_config_static_selectorELNS0_4arch9wavefront6targetE0EEEvT1_
; %bb.0:
	.section	.rodata,"a",@progbits
	.p2align	6, 0x0
	.amdhsa_kernel _ZN7rocprim17ROCPRIM_400000_NS6detail17trampoline_kernelINS0_14default_configENS1_25partition_config_selectorILNS1_17partition_subalgoE5ElNS0_10empty_typeEbEEZZNS1_14partition_implILS5_5ELb0ES3_mN6hipcub16HIPCUB_304000_NS21CountingInputIteratorIllEEPS6_NSA_22TransformInputIteratorIbN2at6native12_GLOBAL__N_19NonZeroOpIN3c107complexIdEEEEPKSL_lEENS0_5tupleIJPlS6_EEENSQ_IJSD_SD_EEES6_PiJS6_EEE10hipError_tPvRmT3_T4_T5_T6_T7_T9_mT8_P12ihipStream_tbDpT10_ENKUlT_T0_E_clISt17integral_constantIbLb0EES1D_IbLb1EEEEDaS19_S1A_EUlS19_E_NS1_11comp_targetILNS1_3genE2ELNS1_11target_archE906ELNS1_3gpuE6ELNS1_3repE0EEENS1_30default_config_static_selectorELNS0_4arch9wavefront6targetE0EEEvT1_
		.amdhsa_group_segment_fixed_size 0
		.amdhsa_private_segment_fixed_size 0
		.amdhsa_kernarg_size 136
		.amdhsa_user_sgpr_count 15
		.amdhsa_user_sgpr_dispatch_ptr 0
		.amdhsa_user_sgpr_queue_ptr 0
		.amdhsa_user_sgpr_kernarg_segment_ptr 1
		.amdhsa_user_sgpr_dispatch_id 0
		.amdhsa_user_sgpr_private_segment_size 0
		.amdhsa_wavefront_size32 1
		.amdhsa_uses_dynamic_stack 0
		.amdhsa_enable_private_segment 0
		.amdhsa_system_sgpr_workgroup_id_x 1
		.amdhsa_system_sgpr_workgroup_id_y 0
		.amdhsa_system_sgpr_workgroup_id_z 0
		.amdhsa_system_sgpr_workgroup_info 0
		.amdhsa_system_vgpr_workitem_id 0
		.amdhsa_next_free_vgpr 1
		.amdhsa_next_free_sgpr 1
		.amdhsa_reserve_vcc 0
		.amdhsa_float_round_mode_32 0
		.amdhsa_float_round_mode_16_64 0
		.amdhsa_float_denorm_mode_32 3
		.amdhsa_float_denorm_mode_16_64 3
		.amdhsa_dx10_clamp 1
		.amdhsa_ieee_mode 1
		.amdhsa_fp16_overflow 0
		.amdhsa_workgroup_processor_mode 1
		.amdhsa_memory_ordered 1
		.amdhsa_forward_progress 0
		.amdhsa_shared_vgpr_count 0
		.amdhsa_exception_fp_ieee_invalid_op 0
		.amdhsa_exception_fp_denorm_src 0
		.amdhsa_exception_fp_ieee_div_zero 0
		.amdhsa_exception_fp_ieee_overflow 0
		.amdhsa_exception_fp_ieee_underflow 0
		.amdhsa_exception_fp_ieee_inexact 0
		.amdhsa_exception_int_div_zero 0
	.end_amdhsa_kernel
	.section	.text._ZN7rocprim17ROCPRIM_400000_NS6detail17trampoline_kernelINS0_14default_configENS1_25partition_config_selectorILNS1_17partition_subalgoE5ElNS0_10empty_typeEbEEZZNS1_14partition_implILS5_5ELb0ES3_mN6hipcub16HIPCUB_304000_NS21CountingInputIteratorIllEEPS6_NSA_22TransformInputIteratorIbN2at6native12_GLOBAL__N_19NonZeroOpIN3c107complexIdEEEEPKSL_lEENS0_5tupleIJPlS6_EEENSQ_IJSD_SD_EEES6_PiJS6_EEE10hipError_tPvRmT3_T4_T5_T6_T7_T9_mT8_P12ihipStream_tbDpT10_ENKUlT_T0_E_clISt17integral_constantIbLb0EES1D_IbLb1EEEEDaS19_S1A_EUlS19_E_NS1_11comp_targetILNS1_3genE2ELNS1_11target_archE906ELNS1_3gpuE6ELNS1_3repE0EEENS1_30default_config_static_selectorELNS0_4arch9wavefront6targetE0EEEvT1_,"axG",@progbits,_ZN7rocprim17ROCPRIM_400000_NS6detail17trampoline_kernelINS0_14default_configENS1_25partition_config_selectorILNS1_17partition_subalgoE5ElNS0_10empty_typeEbEEZZNS1_14partition_implILS5_5ELb0ES3_mN6hipcub16HIPCUB_304000_NS21CountingInputIteratorIllEEPS6_NSA_22TransformInputIteratorIbN2at6native12_GLOBAL__N_19NonZeroOpIN3c107complexIdEEEEPKSL_lEENS0_5tupleIJPlS6_EEENSQ_IJSD_SD_EEES6_PiJS6_EEE10hipError_tPvRmT3_T4_T5_T6_T7_T9_mT8_P12ihipStream_tbDpT10_ENKUlT_T0_E_clISt17integral_constantIbLb0EES1D_IbLb1EEEEDaS19_S1A_EUlS19_E_NS1_11comp_targetILNS1_3genE2ELNS1_11target_archE906ELNS1_3gpuE6ELNS1_3repE0EEENS1_30default_config_static_selectorELNS0_4arch9wavefront6targetE0EEEvT1_,comdat
.Lfunc_end554:
	.size	_ZN7rocprim17ROCPRIM_400000_NS6detail17trampoline_kernelINS0_14default_configENS1_25partition_config_selectorILNS1_17partition_subalgoE5ElNS0_10empty_typeEbEEZZNS1_14partition_implILS5_5ELb0ES3_mN6hipcub16HIPCUB_304000_NS21CountingInputIteratorIllEEPS6_NSA_22TransformInputIteratorIbN2at6native12_GLOBAL__N_19NonZeroOpIN3c107complexIdEEEEPKSL_lEENS0_5tupleIJPlS6_EEENSQ_IJSD_SD_EEES6_PiJS6_EEE10hipError_tPvRmT3_T4_T5_T6_T7_T9_mT8_P12ihipStream_tbDpT10_ENKUlT_T0_E_clISt17integral_constantIbLb0EES1D_IbLb1EEEEDaS19_S1A_EUlS19_E_NS1_11comp_targetILNS1_3genE2ELNS1_11target_archE906ELNS1_3gpuE6ELNS1_3repE0EEENS1_30default_config_static_selectorELNS0_4arch9wavefront6targetE0EEEvT1_, .Lfunc_end554-_ZN7rocprim17ROCPRIM_400000_NS6detail17trampoline_kernelINS0_14default_configENS1_25partition_config_selectorILNS1_17partition_subalgoE5ElNS0_10empty_typeEbEEZZNS1_14partition_implILS5_5ELb0ES3_mN6hipcub16HIPCUB_304000_NS21CountingInputIteratorIllEEPS6_NSA_22TransformInputIteratorIbN2at6native12_GLOBAL__N_19NonZeroOpIN3c107complexIdEEEEPKSL_lEENS0_5tupleIJPlS6_EEENSQ_IJSD_SD_EEES6_PiJS6_EEE10hipError_tPvRmT3_T4_T5_T6_T7_T9_mT8_P12ihipStream_tbDpT10_ENKUlT_T0_E_clISt17integral_constantIbLb0EES1D_IbLb1EEEEDaS19_S1A_EUlS19_E_NS1_11comp_targetILNS1_3genE2ELNS1_11target_archE906ELNS1_3gpuE6ELNS1_3repE0EEENS1_30default_config_static_selectorELNS0_4arch9wavefront6targetE0EEEvT1_
                                        ; -- End function
	.section	.AMDGPU.csdata,"",@progbits
; Kernel info:
; codeLenInByte = 0
; NumSgprs: 0
; NumVgprs: 0
; ScratchSize: 0
; MemoryBound: 0
; FloatMode: 240
; IeeeMode: 1
; LDSByteSize: 0 bytes/workgroup (compile time only)
; SGPRBlocks: 0
; VGPRBlocks: 0
; NumSGPRsForWavesPerEU: 1
; NumVGPRsForWavesPerEU: 1
; Occupancy: 16
; WaveLimiterHint : 0
; COMPUTE_PGM_RSRC2:SCRATCH_EN: 0
; COMPUTE_PGM_RSRC2:USER_SGPR: 15
; COMPUTE_PGM_RSRC2:TRAP_HANDLER: 0
; COMPUTE_PGM_RSRC2:TGID_X_EN: 1
; COMPUTE_PGM_RSRC2:TGID_Y_EN: 0
; COMPUTE_PGM_RSRC2:TGID_Z_EN: 0
; COMPUTE_PGM_RSRC2:TIDIG_COMP_CNT: 0
	.section	.text._ZN7rocprim17ROCPRIM_400000_NS6detail17trampoline_kernelINS0_14default_configENS1_25partition_config_selectorILNS1_17partition_subalgoE5ElNS0_10empty_typeEbEEZZNS1_14partition_implILS5_5ELb0ES3_mN6hipcub16HIPCUB_304000_NS21CountingInputIteratorIllEEPS6_NSA_22TransformInputIteratorIbN2at6native12_GLOBAL__N_19NonZeroOpIN3c107complexIdEEEEPKSL_lEENS0_5tupleIJPlS6_EEENSQ_IJSD_SD_EEES6_PiJS6_EEE10hipError_tPvRmT3_T4_T5_T6_T7_T9_mT8_P12ihipStream_tbDpT10_ENKUlT_T0_E_clISt17integral_constantIbLb0EES1D_IbLb1EEEEDaS19_S1A_EUlS19_E_NS1_11comp_targetILNS1_3genE10ELNS1_11target_archE1200ELNS1_3gpuE4ELNS1_3repE0EEENS1_30default_config_static_selectorELNS0_4arch9wavefront6targetE0EEEvT1_,"axG",@progbits,_ZN7rocprim17ROCPRIM_400000_NS6detail17trampoline_kernelINS0_14default_configENS1_25partition_config_selectorILNS1_17partition_subalgoE5ElNS0_10empty_typeEbEEZZNS1_14partition_implILS5_5ELb0ES3_mN6hipcub16HIPCUB_304000_NS21CountingInputIteratorIllEEPS6_NSA_22TransformInputIteratorIbN2at6native12_GLOBAL__N_19NonZeroOpIN3c107complexIdEEEEPKSL_lEENS0_5tupleIJPlS6_EEENSQ_IJSD_SD_EEES6_PiJS6_EEE10hipError_tPvRmT3_T4_T5_T6_T7_T9_mT8_P12ihipStream_tbDpT10_ENKUlT_T0_E_clISt17integral_constantIbLb0EES1D_IbLb1EEEEDaS19_S1A_EUlS19_E_NS1_11comp_targetILNS1_3genE10ELNS1_11target_archE1200ELNS1_3gpuE4ELNS1_3repE0EEENS1_30default_config_static_selectorELNS0_4arch9wavefront6targetE0EEEvT1_,comdat
	.globl	_ZN7rocprim17ROCPRIM_400000_NS6detail17trampoline_kernelINS0_14default_configENS1_25partition_config_selectorILNS1_17partition_subalgoE5ElNS0_10empty_typeEbEEZZNS1_14partition_implILS5_5ELb0ES3_mN6hipcub16HIPCUB_304000_NS21CountingInputIteratorIllEEPS6_NSA_22TransformInputIteratorIbN2at6native12_GLOBAL__N_19NonZeroOpIN3c107complexIdEEEEPKSL_lEENS0_5tupleIJPlS6_EEENSQ_IJSD_SD_EEES6_PiJS6_EEE10hipError_tPvRmT3_T4_T5_T6_T7_T9_mT8_P12ihipStream_tbDpT10_ENKUlT_T0_E_clISt17integral_constantIbLb0EES1D_IbLb1EEEEDaS19_S1A_EUlS19_E_NS1_11comp_targetILNS1_3genE10ELNS1_11target_archE1200ELNS1_3gpuE4ELNS1_3repE0EEENS1_30default_config_static_selectorELNS0_4arch9wavefront6targetE0EEEvT1_ ; -- Begin function _ZN7rocprim17ROCPRIM_400000_NS6detail17trampoline_kernelINS0_14default_configENS1_25partition_config_selectorILNS1_17partition_subalgoE5ElNS0_10empty_typeEbEEZZNS1_14partition_implILS5_5ELb0ES3_mN6hipcub16HIPCUB_304000_NS21CountingInputIteratorIllEEPS6_NSA_22TransformInputIteratorIbN2at6native12_GLOBAL__N_19NonZeroOpIN3c107complexIdEEEEPKSL_lEENS0_5tupleIJPlS6_EEENSQ_IJSD_SD_EEES6_PiJS6_EEE10hipError_tPvRmT3_T4_T5_T6_T7_T9_mT8_P12ihipStream_tbDpT10_ENKUlT_T0_E_clISt17integral_constantIbLb0EES1D_IbLb1EEEEDaS19_S1A_EUlS19_E_NS1_11comp_targetILNS1_3genE10ELNS1_11target_archE1200ELNS1_3gpuE4ELNS1_3repE0EEENS1_30default_config_static_selectorELNS0_4arch9wavefront6targetE0EEEvT1_
	.p2align	8
	.type	_ZN7rocprim17ROCPRIM_400000_NS6detail17trampoline_kernelINS0_14default_configENS1_25partition_config_selectorILNS1_17partition_subalgoE5ElNS0_10empty_typeEbEEZZNS1_14partition_implILS5_5ELb0ES3_mN6hipcub16HIPCUB_304000_NS21CountingInputIteratorIllEEPS6_NSA_22TransformInputIteratorIbN2at6native12_GLOBAL__N_19NonZeroOpIN3c107complexIdEEEEPKSL_lEENS0_5tupleIJPlS6_EEENSQ_IJSD_SD_EEES6_PiJS6_EEE10hipError_tPvRmT3_T4_T5_T6_T7_T9_mT8_P12ihipStream_tbDpT10_ENKUlT_T0_E_clISt17integral_constantIbLb0EES1D_IbLb1EEEEDaS19_S1A_EUlS19_E_NS1_11comp_targetILNS1_3genE10ELNS1_11target_archE1200ELNS1_3gpuE4ELNS1_3repE0EEENS1_30default_config_static_selectorELNS0_4arch9wavefront6targetE0EEEvT1_,@function
_ZN7rocprim17ROCPRIM_400000_NS6detail17trampoline_kernelINS0_14default_configENS1_25partition_config_selectorILNS1_17partition_subalgoE5ElNS0_10empty_typeEbEEZZNS1_14partition_implILS5_5ELb0ES3_mN6hipcub16HIPCUB_304000_NS21CountingInputIteratorIllEEPS6_NSA_22TransformInputIteratorIbN2at6native12_GLOBAL__N_19NonZeroOpIN3c107complexIdEEEEPKSL_lEENS0_5tupleIJPlS6_EEENSQ_IJSD_SD_EEES6_PiJS6_EEE10hipError_tPvRmT3_T4_T5_T6_T7_T9_mT8_P12ihipStream_tbDpT10_ENKUlT_T0_E_clISt17integral_constantIbLb0EES1D_IbLb1EEEEDaS19_S1A_EUlS19_E_NS1_11comp_targetILNS1_3genE10ELNS1_11target_archE1200ELNS1_3gpuE4ELNS1_3repE0EEENS1_30default_config_static_selectorELNS0_4arch9wavefront6targetE0EEEvT1_: ; @_ZN7rocprim17ROCPRIM_400000_NS6detail17trampoline_kernelINS0_14default_configENS1_25partition_config_selectorILNS1_17partition_subalgoE5ElNS0_10empty_typeEbEEZZNS1_14partition_implILS5_5ELb0ES3_mN6hipcub16HIPCUB_304000_NS21CountingInputIteratorIllEEPS6_NSA_22TransformInputIteratorIbN2at6native12_GLOBAL__N_19NonZeroOpIN3c107complexIdEEEEPKSL_lEENS0_5tupleIJPlS6_EEENSQ_IJSD_SD_EEES6_PiJS6_EEE10hipError_tPvRmT3_T4_T5_T6_T7_T9_mT8_P12ihipStream_tbDpT10_ENKUlT_T0_E_clISt17integral_constantIbLb0EES1D_IbLb1EEEEDaS19_S1A_EUlS19_E_NS1_11comp_targetILNS1_3genE10ELNS1_11target_archE1200ELNS1_3gpuE4ELNS1_3repE0EEENS1_30default_config_static_selectorELNS0_4arch9wavefront6targetE0EEEvT1_
; %bb.0:
	.section	.rodata,"a",@progbits
	.p2align	6, 0x0
	.amdhsa_kernel _ZN7rocprim17ROCPRIM_400000_NS6detail17trampoline_kernelINS0_14default_configENS1_25partition_config_selectorILNS1_17partition_subalgoE5ElNS0_10empty_typeEbEEZZNS1_14partition_implILS5_5ELb0ES3_mN6hipcub16HIPCUB_304000_NS21CountingInputIteratorIllEEPS6_NSA_22TransformInputIteratorIbN2at6native12_GLOBAL__N_19NonZeroOpIN3c107complexIdEEEEPKSL_lEENS0_5tupleIJPlS6_EEENSQ_IJSD_SD_EEES6_PiJS6_EEE10hipError_tPvRmT3_T4_T5_T6_T7_T9_mT8_P12ihipStream_tbDpT10_ENKUlT_T0_E_clISt17integral_constantIbLb0EES1D_IbLb1EEEEDaS19_S1A_EUlS19_E_NS1_11comp_targetILNS1_3genE10ELNS1_11target_archE1200ELNS1_3gpuE4ELNS1_3repE0EEENS1_30default_config_static_selectorELNS0_4arch9wavefront6targetE0EEEvT1_
		.amdhsa_group_segment_fixed_size 0
		.amdhsa_private_segment_fixed_size 0
		.amdhsa_kernarg_size 136
		.amdhsa_user_sgpr_count 15
		.amdhsa_user_sgpr_dispatch_ptr 0
		.amdhsa_user_sgpr_queue_ptr 0
		.amdhsa_user_sgpr_kernarg_segment_ptr 1
		.amdhsa_user_sgpr_dispatch_id 0
		.amdhsa_user_sgpr_private_segment_size 0
		.amdhsa_wavefront_size32 1
		.amdhsa_uses_dynamic_stack 0
		.amdhsa_enable_private_segment 0
		.amdhsa_system_sgpr_workgroup_id_x 1
		.amdhsa_system_sgpr_workgroup_id_y 0
		.amdhsa_system_sgpr_workgroup_id_z 0
		.amdhsa_system_sgpr_workgroup_info 0
		.amdhsa_system_vgpr_workitem_id 0
		.amdhsa_next_free_vgpr 1
		.amdhsa_next_free_sgpr 1
		.amdhsa_reserve_vcc 0
		.amdhsa_float_round_mode_32 0
		.amdhsa_float_round_mode_16_64 0
		.amdhsa_float_denorm_mode_32 3
		.amdhsa_float_denorm_mode_16_64 3
		.amdhsa_dx10_clamp 1
		.amdhsa_ieee_mode 1
		.amdhsa_fp16_overflow 0
		.amdhsa_workgroup_processor_mode 1
		.amdhsa_memory_ordered 1
		.amdhsa_forward_progress 0
		.amdhsa_shared_vgpr_count 0
		.amdhsa_exception_fp_ieee_invalid_op 0
		.amdhsa_exception_fp_denorm_src 0
		.amdhsa_exception_fp_ieee_div_zero 0
		.amdhsa_exception_fp_ieee_overflow 0
		.amdhsa_exception_fp_ieee_underflow 0
		.amdhsa_exception_fp_ieee_inexact 0
		.amdhsa_exception_int_div_zero 0
	.end_amdhsa_kernel
	.section	.text._ZN7rocprim17ROCPRIM_400000_NS6detail17trampoline_kernelINS0_14default_configENS1_25partition_config_selectorILNS1_17partition_subalgoE5ElNS0_10empty_typeEbEEZZNS1_14partition_implILS5_5ELb0ES3_mN6hipcub16HIPCUB_304000_NS21CountingInputIteratorIllEEPS6_NSA_22TransformInputIteratorIbN2at6native12_GLOBAL__N_19NonZeroOpIN3c107complexIdEEEEPKSL_lEENS0_5tupleIJPlS6_EEENSQ_IJSD_SD_EEES6_PiJS6_EEE10hipError_tPvRmT3_T4_T5_T6_T7_T9_mT8_P12ihipStream_tbDpT10_ENKUlT_T0_E_clISt17integral_constantIbLb0EES1D_IbLb1EEEEDaS19_S1A_EUlS19_E_NS1_11comp_targetILNS1_3genE10ELNS1_11target_archE1200ELNS1_3gpuE4ELNS1_3repE0EEENS1_30default_config_static_selectorELNS0_4arch9wavefront6targetE0EEEvT1_,"axG",@progbits,_ZN7rocprim17ROCPRIM_400000_NS6detail17trampoline_kernelINS0_14default_configENS1_25partition_config_selectorILNS1_17partition_subalgoE5ElNS0_10empty_typeEbEEZZNS1_14partition_implILS5_5ELb0ES3_mN6hipcub16HIPCUB_304000_NS21CountingInputIteratorIllEEPS6_NSA_22TransformInputIteratorIbN2at6native12_GLOBAL__N_19NonZeroOpIN3c107complexIdEEEEPKSL_lEENS0_5tupleIJPlS6_EEENSQ_IJSD_SD_EEES6_PiJS6_EEE10hipError_tPvRmT3_T4_T5_T6_T7_T9_mT8_P12ihipStream_tbDpT10_ENKUlT_T0_E_clISt17integral_constantIbLb0EES1D_IbLb1EEEEDaS19_S1A_EUlS19_E_NS1_11comp_targetILNS1_3genE10ELNS1_11target_archE1200ELNS1_3gpuE4ELNS1_3repE0EEENS1_30default_config_static_selectorELNS0_4arch9wavefront6targetE0EEEvT1_,comdat
.Lfunc_end555:
	.size	_ZN7rocprim17ROCPRIM_400000_NS6detail17trampoline_kernelINS0_14default_configENS1_25partition_config_selectorILNS1_17partition_subalgoE5ElNS0_10empty_typeEbEEZZNS1_14partition_implILS5_5ELb0ES3_mN6hipcub16HIPCUB_304000_NS21CountingInputIteratorIllEEPS6_NSA_22TransformInputIteratorIbN2at6native12_GLOBAL__N_19NonZeroOpIN3c107complexIdEEEEPKSL_lEENS0_5tupleIJPlS6_EEENSQ_IJSD_SD_EEES6_PiJS6_EEE10hipError_tPvRmT3_T4_T5_T6_T7_T9_mT8_P12ihipStream_tbDpT10_ENKUlT_T0_E_clISt17integral_constantIbLb0EES1D_IbLb1EEEEDaS19_S1A_EUlS19_E_NS1_11comp_targetILNS1_3genE10ELNS1_11target_archE1200ELNS1_3gpuE4ELNS1_3repE0EEENS1_30default_config_static_selectorELNS0_4arch9wavefront6targetE0EEEvT1_, .Lfunc_end555-_ZN7rocprim17ROCPRIM_400000_NS6detail17trampoline_kernelINS0_14default_configENS1_25partition_config_selectorILNS1_17partition_subalgoE5ElNS0_10empty_typeEbEEZZNS1_14partition_implILS5_5ELb0ES3_mN6hipcub16HIPCUB_304000_NS21CountingInputIteratorIllEEPS6_NSA_22TransformInputIteratorIbN2at6native12_GLOBAL__N_19NonZeroOpIN3c107complexIdEEEEPKSL_lEENS0_5tupleIJPlS6_EEENSQ_IJSD_SD_EEES6_PiJS6_EEE10hipError_tPvRmT3_T4_T5_T6_T7_T9_mT8_P12ihipStream_tbDpT10_ENKUlT_T0_E_clISt17integral_constantIbLb0EES1D_IbLb1EEEEDaS19_S1A_EUlS19_E_NS1_11comp_targetILNS1_3genE10ELNS1_11target_archE1200ELNS1_3gpuE4ELNS1_3repE0EEENS1_30default_config_static_selectorELNS0_4arch9wavefront6targetE0EEEvT1_
                                        ; -- End function
	.section	.AMDGPU.csdata,"",@progbits
; Kernel info:
; codeLenInByte = 0
; NumSgprs: 0
; NumVgprs: 0
; ScratchSize: 0
; MemoryBound: 0
; FloatMode: 240
; IeeeMode: 1
; LDSByteSize: 0 bytes/workgroup (compile time only)
; SGPRBlocks: 0
; VGPRBlocks: 0
; NumSGPRsForWavesPerEU: 1
; NumVGPRsForWavesPerEU: 1
; Occupancy: 16
; WaveLimiterHint : 0
; COMPUTE_PGM_RSRC2:SCRATCH_EN: 0
; COMPUTE_PGM_RSRC2:USER_SGPR: 15
; COMPUTE_PGM_RSRC2:TRAP_HANDLER: 0
; COMPUTE_PGM_RSRC2:TGID_X_EN: 1
; COMPUTE_PGM_RSRC2:TGID_Y_EN: 0
; COMPUTE_PGM_RSRC2:TGID_Z_EN: 0
; COMPUTE_PGM_RSRC2:TIDIG_COMP_CNT: 0
	.section	.text._ZN7rocprim17ROCPRIM_400000_NS6detail17trampoline_kernelINS0_14default_configENS1_25partition_config_selectorILNS1_17partition_subalgoE5ElNS0_10empty_typeEbEEZZNS1_14partition_implILS5_5ELb0ES3_mN6hipcub16HIPCUB_304000_NS21CountingInputIteratorIllEEPS6_NSA_22TransformInputIteratorIbN2at6native12_GLOBAL__N_19NonZeroOpIN3c107complexIdEEEEPKSL_lEENS0_5tupleIJPlS6_EEENSQ_IJSD_SD_EEES6_PiJS6_EEE10hipError_tPvRmT3_T4_T5_T6_T7_T9_mT8_P12ihipStream_tbDpT10_ENKUlT_T0_E_clISt17integral_constantIbLb0EES1D_IbLb1EEEEDaS19_S1A_EUlS19_E_NS1_11comp_targetILNS1_3genE9ELNS1_11target_archE1100ELNS1_3gpuE3ELNS1_3repE0EEENS1_30default_config_static_selectorELNS0_4arch9wavefront6targetE0EEEvT1_,"axG",@progbits,_ZN7rocprim17ROCPRIM_400000_NS6detail17trampoline_kernelINS0_14default_configENS1_25partition_config_selectorILNS1_17partition_subalgoE5ElNS0_10empty_typeEbEEZZNS1_14partition_implILS5_5ELb0ES3_mN6hipcub16HIPCUB_304000_NS21CountingInputIteratorIllEEPS6_NSA_22TransformInputIteratorIbN2at6native12_GLOBAL__N_19NonZeroOpIN3c107complexIdEEEEPKSL_lEENS0_5tupleIJPlS6_EEENSQ_IJSD_SD_EEES6_PiJS6_EEE10hipError_tPvRmT3_T4_T5_T6_T7_T9_mT8_P12ihipStream_tbDpT10_ENKUlT_T0_E_clISt17integral_constantIbLb0EES1D_IbLb1EEEEDaS19_S1A_EUlS19_E_NS1_11comp_targetILNS1_3genE9ELNS1_11target_archE1100ELNS1_3gpuE3ELNS1_3repE0EEENS1_30default_config_static_selectorELNS0_4arch9wavefront6targetE0EEEvT1_,comdat
	.globl	_ZN7rocprim17ROCPRIM_400000_NS6detail17trampoline_kernelINS0_14default_configENS1_25partition_config_selectorILNS1_17partition_subalgoE5ElNS0_10empty_typeEbEEZZNS1_14partition_implILS5_5ELb0ES3_mN6hipcub16HIPCUB_304000_NS21CountingInputIteratorIllEEPS6_NSA_22TransformInputIteratorIbN2at6native12_GLOBAL__N_19NonZeroOpIN3c107complexIdEEEEPKSL_lEENS0_5tupleIJPlS6_EEENSQ_IJSD_SD_EEES6_PiJS6_EEE10hipError_tPvRmT3_T4_T5_T6_T7_T9_mT8_P12ihipStream_tbDpT10_ENKUlT_T0_E_clISt17integral_constantIbLb0EES1D_IbLb1EEEEDaS19_S1A_EUlS19_E_NS1_11comp_targetILNS1_3genE9ELNS1_11target_archE1100ELNS1_3gpuE3ELNS1_3repE0EEENS1_30default_config_static_selectorELNS0_4arch9wavefront6targetE0EEEvT1_ ; -- Begin function _ZN7rocprim17ROCPRIM_400000_NS6detail17trampoline_kernelINS0_14default_configENS1_25partition_config_selectorILNS1_17partition_subalgoE5ElNS0_10empty_typeEbEEZZNS1_14partition_implILS5_5ELb0ES3_mN6hipcub16HIPCUB_304000_NS21CountingInputIteratorIllEEPS6_NSA_22TransformInputIteratorIbN2at6native12_GLOBAL__N_19NonZeroOpIN3c107complexIdEEEEPKSL_lEENS0_5tupleIJPlS6_EEENSQ_IJSD_SD_EEES6_PiJS6_EEE10hipError_tPvRmT3_T4_T5_T6_T7_T9_mT8_P12ihipStream_tbDpT10_ENKUlT_T0_E_clISt17integral_constantIbLb0EES1D_IbLb1EEEEDaS19_S1A_EUlS19_E_NS1_11comp_targetILNS1_3genE9ELNS1_11target_archE1100ELNS1_3gpuE3ELNS1_3repE0EEENS1_30default_config_static_selectorELNS0_4arch9wavefront6targetE0EEEvT1_
	.p2align	8
	.type	_ZN7rocprim17ROCPRIM_400000_NS6detail17trampoline_kernelINS0_14default_configENS1_25partition_config_selectorILNS1_17partition_subalgoE5ElNS0_10empty_typeEbEEZZNS1_14partition_implILS5_5ELb0ES3_mN6hipcub16HIPCUB_304000_NS21CountingInputIteratorIllEEPS6_NSA_22TransformInputIteratorIbN2at6native12_GLOBAL__N_19NonZeroOpIN3c107complexIdEEEEPKSL_lEENS0_5tupleIJPlS6_EEENSQ_IJSD_SD_EEES6_PiJS6_EEE10hipError_tPvRmT3_T4_T5_T6_T7_T9_mT8_P12ihipStream_tbDpT10_ENKUlT_T0_E_clISt17integral_constantIbLb0EES1D_IbLb1EEEEDaS19_S1A_EUlS19_E_NS1_11comp_targetILNS1_3genE9ELNS1_11target_archE1100ELNS1_3gpuE3ELNS1_3repE0EEENS1_30default_config_static_selectorELNS0_4arch9wavefront6targetE0EEEvT1_,@function
_ZN7rocprim17ROCPRIM_400000_NS6detail17trampoline_kernelINS0_14default_configENS1_25partition_config_selectorILNS1_17partition_subalgoE5ElNS0_10empty_typeEbEEZZNS1_14partition_implILS5_5ELb0ES3_mN6hipcub16HIPCUB_304000_NS21CountingInputIteratorIllEEPS6_NSA_22TransformInputIteratorIbN2at6native12_GLOBAL__N_19NonZeroOpIN3c107complexIdEEEEPKSL_lEENS0_5tupleIJPlS6_EEENSQ_IJSD_SD_EEES6_PiJS6_EEE10hipError_tPvRmT3_T4_T5_T6_T7_T9_mT8_P12ihipStream_tbDpT10_ENKUlT_T0_E_clISt17integral_constantIbLb0EES1D_IbLb1EEEEDaS19_S1A_EUlS19_E_NS1_11comp_targetILNS1_3genE9ELNS1_11target_archE1100ELNS1_3gpuE3ELNS1_3repE0EEENS1_30default_config_static_selectorELNS0_4arch9wavefront6targetE0EEEvT1_: ; @_ZN7rocprim17ROCPRIM_400000_NS6detail17trampoline_kernelINS0_14default_configENS1_25partition_config_selectorILNS1_17partition_subalgoE5ElNS0_10empty_typeEbEEZZNS1_14partition_implILS5_5ELb0ES3_mN6hipcub16HIPCUB_304000_NS21CountingInputIteratorIllEEPS6_NSA_22TransformInputIteratorIbN2at6native12_GLOBAL__N_19NonZeroOpIN3c107complexIdEEEEPKSL_lEENS0_5tupleIJPlS6_EEENSQ_IJSD_SD_EEES6_PiJS6_EEE10hipError_tPvRmT3_T4_T5_T6_T7_T9_mT8_P12ihipStream_tbDpT10_ENKUlT_T0_E_clISt17integral_constantIbLb0EES1D_IbLb1EEEEDaS19_S1A_EUlS19_E_NS1_11comp_targetILNS1_3genE9ELNS1_11target_archE1100ELNS1_3gpuE3ELNS1_3repE0EEENS1_30default_config_static_selectorELNS0_4arch9wavefront6targetE0EEEvT1_
; %bb.0:
	s_clause 0x4
	s_load_b64 s[4:5], s[0:1], 0x20
	s_load_b64 s[20:21], s[0:1], 0x30
	;; [unrolled: 1-line block ×3, first 2 shown]
	s_load_b128 s[12:15], s[0:1], 0x48
	s_load_b64 s[22:23], s[0:1], 0x68
	v_cmp_eq_u32_e64 s2, 0, v0
	s_delay_alu instid0(VALU_DEP_1)
	s_and_saveexec_b32 s3, s2
	s_cbranch_execz .LBB556_4
; %bb.1:
	s_mov_b32 s7, exec_lo
	s_mov_b32 s6, exec_lo
	v_mbcnt_lo_u32_b32 v1, s7, 0
                                        ; implicit-def: $vgpr2
	s_delay_alu instid0(VALU_DEP_1)
	v_cmpx_eq_u32_e32 0, v1
	s_cbranch_execz .LBB556_3
; %bb.2:
	s_load_b64 s[8:9], s[0:1], 0x78
	s_bcnt1_i32_b32 s7, s7
	s_delay_alu instid0(SALU_CYCLE_1)
	v_dual_mov_b32 v2, 0 :: v_dual_mov_b32 v3, s7
	s_waitcnt lgkmcnt(0)
	global_atomic_add_u32 v2, v2, v3, s[8:9] glc
.LBB556_3:
	s_or_b32 exec_lo, exec_lo, s6
	s_waitcnt vmcnt(0)
	v_readfirstlane_b32 s6, v2
	s_delay_alu instid0(VALU_DEP_1)
	v_dual_mov_b32 v2, 0 :: v_dual_add_nc_u32 v1, s6, v1
	ds_store_b32 v2, v1
.LBB556_4:
	s_or_b32 exec_lo, exec_lo, s3
	v_mov_b32_e32 v1, 0
	s_clause 0x1
	s_load_b128 s[16:19], s[0:1], 0x8
	s_load_b32 s0, s[0:1], 0x70
	s_waitcnt lgkmcnt(0)
	s_barrier
	buffer_gl0_inv
	ds_load_b32 v3, v1
	s_waitcnt lgkmcnt(0)
	s_barrier
	buffer_gl0_inv
	global_load_b64 v[1:2], v1, s[14:15]
	s_add_u32 s3, s18, s16
	s_mul_i32 s28, s0, 0x300
	s_addc_u32 s6, s19, s17
	s_add_i32 s7, s0, -1
	s_add_u32 s0, s18, s28
	v_readfirstlane_b32 s27, v3
	s_addc_u32 s1, s19, 0
	s_delay_alu instid0(SALU_CYCLE_1) | instskip(NEXT) | instid1(VALU_DEP_2)
	v_cmp_ge_u64_e64 s0, s[0:1], s[24:25]
	s_cmp_eq_u32 s27, s7
	s_mov_b32 s7, -1
	s_cselect_b32 s25, -1, 0
	s_delay_alu instid0(VALU_DEP_1) | instid1(SALU_CYCLE_1)
	s_and_b32 s1, s0, s25
	s_mul_i32 s0, s27, 0x300
	s_xor_b32 s26, s1, -1
	s_mov_b32 s1, 0
	s_and_b32 vcc_lo, exec_lo, s26
	s_waitcnt vmcnt(0)
	v_readfirstlane_b32 s14, v1
	v_readfirstlane_b32 s15, v2
	s_cbranch_vccz .LBB556_6
; %bb.5:
	s_add_u32 s7, s0, s3
	s_addc_u32 s8, 0, s6
	v_add_co_u32 v1, s7, s7, v0
	s_delay_alu instid0(VALU_DEP_1) | instskip(SKIP_1) | instid1(VALU_DEP_3)
	v_add_co_ci_u32_e64 v2, null, s8, 0, s7
	v_lshlrev_b32_e32 v13, 3, v0
	v_add_co_u32 v3, vcc_lo, 0x80, v1
	s_delay_alu instid0(VALU_DEP_3)
	v_add_co_ci_u32_e32 v4, vcc_lo, 0, v2, vcc_lo
	v_add_co_u32 v5, vcc_lo, 0x100, v1
	v_add_co_ci_u32_e32 v6, vcc_lo, 0, v2, vcc_lo
	v_add_co_u32 v7, vcc_lo, 0x180, v1
	;; [unrolled: 2-line block ×4, first 2 shown]
	v_add_co_ci_u32_e32 v12, vcc_lo, 0, v2, vcc_lo
	ds_store_2addr_stride64_b64 v13, v[1:2], v[3:4] offset1:2
	ds_store_2addr_stride64_b64 v13, v[5:6], v[7:8] offset0:4 offset1:6
	ds_store_2addr_stride64_b64 v13, v[9:10], v[11:12] offset0:8 offset1:10
	s_waitcnt lgkmcnt(0)
	s_mov_b32 s7, s1
	s_barrier
.LBB556_6:
	v_or_b32_e32 v17, 0x100, v0
	v_or_b32_e32 v16, 0x180, v0
	;; [unrolled: 1-line block ×4, first 2 shown]
	s_and_not1_b32 vcc_lo, exec_lo, s7
	s_cbranch_vccnz .LBB556_8
; %bb.7:
	v_or_b32_e32 v3, 0x80, v0
	s_add_u32 s3, s3, s0
	s_addc_u32 s6, s6, 0
	v_add_co_u32 v1, s7, s3, v0
	s_delay_alu instid0(VALU_DEP_1) | instskip(SKIP_1) | instid1(VALU_DEP_1)
	v_add_co_ci_u32_e64 v2, null, s6, 0, s7
	v_add_co_u32 v3, s7, s3, v3
	v_add_co_ci_u32_e64 v4, null, s6, 0, s7
	v_add_co_u32 v5, s7, s3, v17
	s_delay_alu instid0(VALU_DEP_1) | instskip(SKIP_1) | instid1(VALU_DEP_1)
	v_add_co_ci_u32_e64 v6, null, s6, 0, s7
	v_add_co_u32 v7, s7, s3, v16
	v_add_co_ci_u32_e64 v8, null, s6, 0, s7
	v_add_co_u32 v9, s7, s3, v15
	v_lshlrev_b32_e32 v14, 3, v0
	v_add_co_u32 v11, s3, s3, v13
	v_add_co_ci_u32_e64 v10, null, s6, 0, s7
	v_add_co_ci_u32_e64 v12, null, s6, 0, s3
	ds_store_2addr_stride64_b64 v14, v[1:2], v[3:4] offset1:2
	ds_store_2addr_stride64_b64 v14, v[5:6], v[7:8] offset0:4 offset1:6
	ds_store_2addr_stride64_b64 v14, v[9:10], v[11:12] offset0:8 offset1:10
	s_waitcnt lgkmcnt(0)
	s_barrier
.LBB556_8:
	v_mul_u32_u24_e32 v1, 6, v0
	buffer_gl0_inv
	s_lshl_b64 s[6:7], s[18:19], 4
	v_lshlrev_b32_e32 v18, 4, v0
	s_add_u32 s3, s4, s6
	v_lshlrev_b32_e32 v14, 3, v1
	s_addc_u32 s4, s5, s7
	s_lshl_b64 s[0:1], s[0:1], 4
	s_mov_b32 s19, -1
	s_add_u32 s16, s3, s0
	ds_load_b128 v[9:12], v14
	ds_load_b128 v[5:8], v14 offset:16
	ds_load_b128 v[1:4], v14 offset:32
	s_addc_u32 s17, s4, s1
	s_and_b32 vcc_lo, exec_lo, s26
	s_waitcnt lgkmcnt(0)
	s_barrier
	buffer_gl0_inv
	s_cbranch_vccz .LBB556_10
; %bb.9:
	v_add_co_u32 v33, s0, s16, v18
	s_delay_alu instid0(VALU_DEP_1)
	v_add_co_ci_u32_e64 v34, null, s17, 0, s0
	s_clause 0x1
	global_load_b128 v[19:22], v18, s[16:17]
	global_load_b128 v[23:26], v18, s[16:17] offset:2048
	v_add_co_u32 v35, vcc_lo, v33, 0x2000
	v_add_co_ci_u32_e32 v36, vcc_lo, 0, v34, vcc_lo
	v_add_co_u32 v31, vcc_lo, 0x1000, v33
	v_add_co_ci_u32_e32 v32, vcc_lo, 0, v34, vcc_lo
	v_add_co_u32 v39, vcc_lo, 0x2000, v33
	global_load_b128 v[27:30], v[35:36], off offset:-4096
	v_add_co_ci_u32_e32 v40, vcc_lo, 0, v34, vcc_lo
	s_clause 0x2
	global_load_b128 v[31:34], v[31:32], off offset:2048
	global_load_b128 v[35:38], v[35:36], off
	global_load_b128 v[39:42], v[39:40], off offset:2048
	s_mov_b32 s19, 0
	s_waitcnt vmcnt(5)
	v_cmp_neq_f64_e32 vcc_lo, 0, v[19:20]
	v_cmp_neq_f64_e64 s0, 0, v[21:22]
	s_waitcnt vmcnt(4)
	v_cmp_neq_f64_e64 s1, 0, v[23:24]
	v_cmp_neq_f64_e64 s3, 0, v[25:26]
	s_waitcnt vmcnt(3)
	v_cmp_neq_f64_e64 s4, 0, v[27:28]
	v_cmp_neq_f64_e64 s5, 0, v[29:30]
	s_waitcnt vmcnt(2)
	v_cmp_neq_f64_e64 s6, 0, v[31:32]
	v_cmp_neq_f64_e64 s7, 0, v[33:34]
	s_waitcnt vmcnt(1)
	v_cmp_neq_f64_e64 s8, 0, v[35:36]
	v_cmp_neq_f64_e64 s9, 0, v[37:38]
	s_waitcnt vmcnt(0)
	v_cmp_neq_f64_e64 s10, 0, v[39:40]
	v_cmp_neq_f64_e64 s11, 0, v[41:42]
	s_or_b32 s0, vcc_lo, s0
	s_delay_alu instid0(SALU_CYCLE_1) | instskip(SKIP_1) | instid1(SALU_CYCLE_1)
	v_cndmask_b32_e64 v19, 0, 1, s0
	s_or_b32 s0, s1, s3
	v_cndmask_b32_e64 v20, 0, 1, s0
	s_or_b32 s0, s4, s5
	s_delay_alu instid0(SALU_CYCLE_1) | instskip(SKIP_1) | instid1(SALU_CYCLE_1)
	v_cndmask_b32_e64 v21, 0, 1, s0
	s_or_b32 s0, s6, s7
	v_cndmask_b32_e64 v22, 0, 1, s0
	s_or_b32 s0, s8, s9
	s_delay_alu instid0(SALU_CYCLE_1) | instskip(SKIP_1) | instid1(SALU_CYCLE_1)
	v_cndmask_b32_e64 v23, 0, 1, s0
	s_or_b32 s0, s10, s11
	v_cndmask_b32_e64 v24, 0, 1, s0
	ds_store_b8 v0, v19
	ds_store_b8 v0, v20 offset:128
	ds_store_b8 v0, v21 offset:256
	;; [unrolled: 1-line block ×5, first 2 shown]
	s_waitcnt lgkmcnt(0)
	s_barrier
.LBB556_10:
	s_and_not1_b32 vcc_lo, exec_lo, s19
	s_cbranch_vccnz .LBB556_24
; %bb.11:
	s_add_i32 s28, s28, s18
	v_dual_mov_b32 v19, 0 :: v_dual_mov_b32 v20, 0
	s_sub_i32 s1, s24, s28
	s_mov_b32 s3, exec_lo
	s_addk_i32 s1, 0x300
	s_delay_alu instid0(SALU_CYCLE_1)
	v_cmpx_gt_u32_e64 s1, v0
	s_cbranch_execz .LBB556_13
; %bb.12:
	global_load_b128 v[20:23], v18, s[16:17]
	s_waitcnt vmcnt(0)
	v_cmp_neq_f64_e32 vcc_lo, 0, v[20:21]
	v_cmp_neq_f64_e64 s0, 0, v[22:23]
	s_delay_alu instid0(VALU_DEP_1) | instskip(NEXT) | instid1(SALU_CYCLE_1)
	s_or_b32 s0, vcc_lo, s0
	v_cndmask_b32_e64 v20, 0, 1, s0
.LBB556_13:
	s_or_b32 exec_lo, exec_lo, s3
	v_or_b32_e32 v21, 0x80, v0
	s_mov_b32 s3, exec_lo
	s_delay_alu instid0(VALU_DEP_1)
	v_cmpx_gt_u32_e64 s1, v21
	s_cbranch_execz .LBB556_15
; %bb.14:
	global_load_b128 v[21:24], v18, s[16:17] offset:2048
	s_waitcnt vmcnt(0)
	v_cmp_neq_f64_e32 vcc_lo, 0, v[21:22]
	v_cmp_neq_f64_e64 s0, 0, v[23:24]
	s_delay_alu instid0(VALU_DEP_1) | instskip(NEXT) | instid1(SALU_CYCLE_1)
	s_or_b32 s0, vcc_lo, s0
	v_cndmask_b32_e64 v19, 0, 1, s0
.LBB556_15:
	s_or_b32 exec_lo, exec_lo, s3
	v_dual_mov_b32 v18, 0 :: v_dual_mov_b32 v21, 0
	s_mov_b32 s3, exec_lo
	v_cmpx_gt_u32_e64 s1, v17
	s_cbranch_execz .LBB556_17
; %bb.16:
	v_lshlrev_b32_e32 v17, 4, v17
	global_load_b128 v[21:24], v17, s[16:17]
	s_waitcnt vmcnt(0)
	v_cmp_neq_f64_e32 vcc_lo, 0, v[21:22]
	v_cmp_neq_f64_e64 s0, 0, v[23:24]
	s_delay_alu instid0(VALU_DEP_1) | instskip(NEXT) | instid1(SALU_CYCLE_1)
	s_or_b32 s0, vcc_lo, s0
	v_cndmask_b32_e64 v21, 0, 1, s0
.LBB556_17:
	s_or_b32 exec_lo, exec_lo, s3
	s_delay_alu instid0(SALU_CYCLE_1)
	s_mov_b32 s3, exec_lo
	v_cmpx_gt_u32_e64 s1, v16
	s_cbranch_execz .LBB556_19
; %bb.18:
	v_lshlrev_b32_e32 v16, 4, v16
	global_load_b128 v[22:25], v16, s[16:17]
	s_waitcnt vmcnt(0)
	v_cmp_neq_f64_e32 vcc_lo, 0, v[22:23]
	v_cmp_neq_f64_e64 s0, 0, v[24:25]
	s_delay_alu instid0(VALU_DEP_1) | instskip(NEXT) | instid1(SALU_CYCLE_1)
	s_or_b32 s0, vcc_lo, s0
	v_cndmask_b32_e64 v18, 0, 1, s0
.LBB556_19:
	s_or_b32 exec_lo, exec_lo, s3
	v_dual_mov_b32 v16, 0 :: v_dual_mov_b32 v17, 0
	s_mov_b32 s3, exec_lo
	v_cmpx_gt_u32_e64 s1, v15
	s_cbranch_execz .LBB556_21
; %bb.20:
	v_lshlrev_b32_e32 v15, 4, v15
	global_load_b128 v[22:25], v15, s[16:17]
	s_waitcnt vmcnt(0)
	v_cmp_neq_f64_e32 vcc_lo, 0, v[22:23]
	v_cmp_neq_f64_e64 s0, 0, v[24:25]
	s_delay_alu instid0(VALU_DEP_1) | instskip(NEXT) | instid1(SALU_CYCLE_1)
	s_or_b32 s0, vcc_lo, s0
	v_cndmask_b32_e64 v17, 0, 1, s0
.LBB556_21:
	s_or_b32 exec_lo, exec_lo, s3
	v_cmp_gt_u32_e32 vcc_lo, s1, v13
	s_and_saveexec_b32 s1, vcc_lo
	s_cbranch_execz .LBB556_23
; %bb.22:
	v_lshlrev_b32_e32 v13, 4, v13
	global_load_b128 v[22:25], v13, s[16:17]
	s_waitcnt vmcnt(0)
	v_cmp_neq_f64_e32 vcc_lo, 0, v[22:23]
	v_cmp_neq_f64_e64 s0, 0, v[24:25]
	s_delay_alu instid0(VALU_DEP_1) | instskip(NEXT) | instid1(SALU_CYCLE_1)
	s_or_b32 s0, vcc_lo, s0
	v_cndmask_b32_e64 v16, 0, 1, s0
.LBB556_23:
	s_or_b32 exec_lo, exec_lo, s1
	ds_store_b8 v0, v20
	ds_store_b8 v0, v19 offset:128
	ds_store_b8 v0, v21 offset:256
	;; [unrolled: 1-line block ×5, first 2 shown]
	s_waitcnt lgkmcnt(0)
	s_barrier
.LBB556_24:
	v_mad_i32_i24 v43, 0xffffffd6, v0, v14
	buffer_gl0_inv
	v_mbcnt_lo_u32_b32 v42, -1, 0
	s_cmp_lg_u32 s27, 0
	s_mov_b32 s1, -1
	ds_load_u16 v36, v43
	ds_load_u16 v33, v43 offset:2
	ds_load_u16 v31, v43 offset:4
	v_mov_b32_e32 v14, 0
	v_and_b32_e32 v44, 15, v42
	s_waitcnt lgkmcnt(0)
	s_barrier
	buffer_gl0_inv
	v_and_b32_e32 v41, 0xff, v36
	v_lshrrev_b16 v34, 8, v36
	v_lshrrev_b16 v35, 8, v33
	v_and_b32_e32 v39, 0xff, v33
	v_lshrrev_b16 v32, 8, v31
	v_and_b32_e32 v37, 0xff, v31
	v_and_b32_e32 v40, 0xffff, v34
	;; [unrolled: 1-line block ×3, first 2 shown]
	s_delay_alu instid0(VALU_DEP_4) | instskip(NEXT) | instid1(VALU_DEP_3)
	v_and_b32_e32 v16, 0xffff, v32
	v_add_co_u32 v13, s0, v40, v41
	s_delay_alu instid0(VALU_DEP_1) | instskip(SKIP_1) | instid1(VALU_DEP_3)
	v_add_co_ci_u32_e64 v15, null, 0, 0, s0
	v_cmp_ne_u32_e64 s0, 0, v44
	v_add_co_u32 v13, vcc_lo, v13, v39
	s_delay_alu instid0(VALU_DEP_3) | instskip(NEXT) | instid1(VALU_DEP_2)
	v_add_co_ci_u32_e32 v15, vcc_lo, 0, v15, vcc_lo
	v_add_co_u32 v13, vcc_lo, v13, v38
	s_delay_alu instid0(VALU_DEP_2) | instskip(NEXT) | instid1(VALU_DEP_2)
	v_add_co_ci_u32_e32 v15, vcc_lo, 0, v15, vcc_lo
	v_add_co_u32 v13, vcc_lo, v13, v37
	s_delay_alu instid0(VALU_DEP_2) | instskip(NEXT) | instid1(VALU_DEP_2)
	v_add_co_ci_u32_e32 v15, vcc_lo, 0, v15, vcc_lo
	v_add_co_u32 v21, vcc_lo, v13, v16
	s_delay_alu instid0(VALU_DEP_2)
	v_add_co_ci_u32_e32 v22, vcc_lo, 0, v15, vcc_lo
	s_cbranch_scc0 .LBB556_88
; %bb.25:
	s_delay_alu instid0(VALU_DEP_2)
	v_mov_b32_e32 v15, v21
	v_mov_b32_dpp v13, v21 row_shr:1 row_mask:0xf bank_mask:0xf
	v_mov_b32_dpp v18, v14 row_shr:1 row_mask:0xf bank_mask:0xf
	v_dual_mov_b32 v17, v21 :: v_dual_mov_b32 v16, v22
	s_and_saveexec_b32 s1, s0
; %bb.26:
	s_delay_alu instid0(VALU_DEP_3) | instskip(SKIP_1) | instid1(VALU_DEP_2)
	v_add_co_u32 v17, vcc_lo, v21, v13
	v_add_co_ci_u32_e32 v14, vcc_lo, 0, v22, vcc_lo
	v_add_co_u32 v13, vcc_lo, 0, v17
	s_delay_alu instid0(VALU_DEP_2) | instskip(NEXT) | instid1(VALU_DEP_1)
	v_add_co_ci_u32_e32 v14, vcc_lo, v18, v14, vcc_lo
	v_dual_mov_b32 v16, v14 :: v_dual_mov_b32 v15, v13
; %bb.27:
	s_or_b32 exec_lo, exec_lo, s1
	v_mov_b32_dpp v13, v17 row_shr:2 row_mask:0xf bank_mask:0xf
	v_mov_b32_dpp v18, v14 row_shr:2 row_mask:0xf bank_mask:0xf
	s_mov_b32 s1, exec_lo
	v_cmpx_lt_u32_e32 1, v44
; %bb.28:
	s_delay_alu instid0(VALU_DEP_3) | instskip(SKIP_1) | instid1(VALU_DEP_2)
	v_add_co_u32 v17, vcc_lo, v15, v13
	v_add_co_ci_u32_e32 v14, vcc_lo, 0, v16, vcc_lo
	v_add_co_u32 v13, vcc_lo, 0, v17
	s_delay_alu instid0(VALU_DEP_2) | instskip(NEXT) | instid1(VALU_DEP_1)
	v_add_co_ci_u32_e32 v14, vcc_lo, v18, v14, vcc_lo
	v_dual_mov_b32 v16, v14 :: v_dual_mov_b32 v15, v13
; %bb.29:
	s_or_b32 exec_lo, exec_lo, s1
	v_mov_b32_dpp v13, v17 row_shr:4 row_mask:0xf bank_mask:0xf
	v_mov_b32_dpp v18, v14 row_shr:4 row_mask:0xf bank_mask:0xf
	s_mov_b32 s1, exec_lo
	v_cmpx_lt_u32_e32 3, v44
	;; [unrolled: 14-line block ×3, first 2 shown]
; %bb.32:
	s_delay_alu instid0(VALU_DEP_3) | instskip(SKIP_1) | instid1(VALU_DEP_2)
	v_add_co_u32 v17, vcc_lo, v15, v18
	v_add_co_ci_u32_e32 v14, vcc_lo, 0, v16, vcc_lo
	v_add_co_u32 v15, vcc_lo, 0, v17
	s_delay_alu instid0(VALU_DEP_2) | instskip(NEXT) | instid1(VALU_DEP_1)
	v_add_co_ci_u32_e32 v16, vcc_lo, v13, v14, vcc_lo
	v_mov_b32_e32 v14, v16
; %bb.33:
	s_or_b32 exec_lo, exec_lo, s1
	ds_swizzle_b32 v13, v17 offset:swizzle(BROADCAST,32,15)
	ds_swizzle_b32 v18, v14 offset:swizzle(BROADCAST,32,15)
	v_and_b32_e32 v19, 16, v42
	s_mov_b32 s1, exec_lo
	s_delay_alu instid0(VALU_DEP_1)
	v_cmpx_ne_u32_e32 0, v19
	s_cbranch_execz .LBB556_35
; %bb.34:
	s_waitcnt lgkmcnt(1)
	v_add_co_u32 v17, vcc_lo, v15, v13
	v_add_co_ci_u32_e32 v14, vcc_lo, 0, v16, vcc_lo
	s_delay_alu instid0(VALU_DEP_2) | instskip(SKIP_1) | instid1(VALU_DEP_2)
	v_add_co_u32 v13, vcc_lo, 0, v17
	s_waitcnt lgkmcnt(0)
	v_add_co_ci_u32_e32 v14, vcc_lo, v18, v14, vcc_lo
	s_delay_alu instid0(VALU_DEP_1)
	v_dual_mov_b32 v16, v14 :: v_dual_mov_b32 v15, v13
.LBB556_35:
	s_or_b32 exec_lo, exec_lo, s1
	s_waitcnt lgkmcnt(0)
	v_or_b32_e32 v18, 31, v0
	v_lshrrev_b32_e32 v13, 5, v0
	s_mov_b32 s1, exec_lo
	s_delay_alu instid0(VALU_DEP_2)
	v_cmpx_eq_u32_e64 v18, v0
	s_cbranch_execz .LBB556_37
; %bb.36:
	s_delay_alu instid0(VALU_DEP_2)
	v_lshlrev_b32_e32 v18, 3, v13
	ds_store_b64 v18, v[15:16]
.LBB556_37:
	s_or_b32 exec_lo, exec_lo, s1
	s_delay_alu instid0(SALU_CYCLE_1)
	s_mov_b32 s1, exec_lo
	s_waitcnt lgkmcnt(0)
	s_barrier
	buffer_gl0_inv
	v_cmpx_gt_u32_e32 4, v0
	s_cbranch_execz .LBB556_43
; %bb.38:
	v_lshlrev_b32_e32 v18, 3, v0
	s_mov_b32 s3, exec_lo
	ds_load_b64 v[15:16], v18
	s_waitcnt lgkmcnt(0)
	v_dual_mov_b32 v20, v15 :: v_dual_and_b32 v19, 3, v42
	v_mov_b32_dpp v24, v15 row_shr:1 row_mask:0xf bank_mask:0xf
	v_mov_b32_dpp v23, v16 row_shr:1 row_mask:0xf bank_mask:0xf
	s_delay_alu instid0(VALU_DEP_3)
	v_cmpx_ne_u32_e32 0, v19
; %bb.39:
	s_delay_alu instid0(VALU_DEP_3) | instskip(SKIP_1) | instid1(VALU_DEP_2)
	v_add_co_u32 v20, vcc_lo, v15, v24
	v_add_co_ci_u32_e32 v16, vcc_lo, 0, v16, vcc_lo
	v_add_co_u32 v15, vcc_lo, 0, v20
	s_delay_alu instid0(VALU_DEP_2)
	v_add_co_ci_u32_e32 v16, vcc_lo, v23, v16, vcc_lo
; %bb.40:
	s_or_b32 exec_lo, exec_lo, s3
	v_mov_b32_dpp v23, v20 row_shr:2 row_mask:0xf bank_mask:0xf
	s_delay_alu instid0(VALU_DEP_2)
	v_mov_b32_dpp v20, v16 row_shr:2 row_mask:0xf bank_mask:0xf
	s_mov_b32 s3, exec_lo
	v_cmpx_lt_u32_e32 1, v19
; %bb.41:
	s_delay_alu instid0(VALU_DEP_3) | instskip(SKIP_1) | instid1(VALU_DEP_2)
	v_add_co_u32 v15, vcc_lo, v15, v23
	v_add_co_ci_u32_e32 v16, vcc_lo, 0, v16, vcc_lo
	v_add_co_u32 v15, vcc_lo, v15, 0
	s_delay_alu instid0(VALU_DEP_2)
	v_add_co_ci_u32_e32 v16, vcc_lo, v16, v20, vcc_lo
; %bb.42:
	s_or_b32 exec_lo, exec_lo, s3
	ds_store_b64 v18, v[15:16]
.LBB556_43:
	s_or_b32 exec_lo, exec_lo, s1
	v_cmp_gt_u32_e32 vcc_lo, 32, v0
	s_mov_b32 s3, exec_lo
	s_waitcnt lgkmcnt(0)
	s_barrier
	buffer_gl0_inv
                                        ; implicit-def: $vgpr23_vgpr24
	v_cmpx_lt_u32_e32 31, v0
	s_cbranch_execz .LBB556_45
; %bb.44:
	v_lshl_add_u32 v13, v13, 3, -8
	ds_load_b64 v[23:24], v13
	s_waitcnt lgkmcnt(0)
	v_add_co_u32 v17, s1, v17, v23
	s_delay_alu instid0(VALU_DEP_1)
	v_add_co_ci_u32_e64 v14, s1, v14, v24, s1
.LBB556_45:
	s_or_b32 exec_lo, exec_lo, s3
	v_add_nc_u32_e32 v13, -1, v42
	s_delay_alu instid0(VALU_DEP_1) | instskip(NEXT) | instid1(VALU_DEP_1)
	v_cmp_gt_i32_e64 s1, 0, v13
	v_cndmask_b32_e64 v13, v13, v42, s1
	v_cmp_eq_u32_e64 s1, 0, v42
	s_delay_alu instid0(VALU_DEP_2)
	v_lshlrev_b32_e32 v13, 2, v13
	ds_bpermute_b32 v29, v13, v17
	ds_bpermute_b32 v30, v13, v14
	s_and_saveexec_b32 s3, vcc_lo
	s_cbranch_execz .LBB556_83
; %bb.46:
	v_mov_b32_e32 v16, 0
	ds_load_b64 v[13:14], v16 offset:24
	s_and_saveexec_b32 s4, s1
	s_cbranch_execz .LBB556_48
; %bb.47:
	s_add_i32 s6, s27, 32
	s_mov_b32 s7, 0
	s_delay_alu instid0(SALU_CYCLE_1) | instskip(NEXT) | instid1(SALU_CYCLE_1)
	s_lshl_b64 s[6:7], s[6:7], 4
	s_add_u32 s6, s22, s6
	s_addc_u32 s7, s23, s7
	s_delay_alu instid0(SALU_CYCLE_1)
	v_dual_mov_b32 v15, 1 :: v_dual_mov_b32 v18, s7
	v_mov_b32_e32 v17, s6
	s_waitcnt lgkmcnt(0)
	;;#ASMSTART
	global_store_dwordx4 v[17:18], v[13:16] off	
s_waitcnt vmcnt(0)
	;;#ASMEND
.LBB556_48:
	s_or_b32 exec_lo, exec_lo, s4
	v_xad_u32 v25, v42, -1, s27
	s_mov_b32 s5, 0
	s_mov_b32 s4, exec_lo
	s_delay_alu instid0(VALU_DEP_1) | instskip(NEXT) | instid1(VALU_DEP_1)
	v_add_nc_u32_e32 v15, 32, v25
	v_lshlrev_b64 v[15:16], 4, v[15:16]
	s_delay_alu instid0(VALU_DEP_1) | instskip(NEXT) | instid1(VALU_DEP_2)
	v_add_co_u32 v15, vcc_lo, s22, v15
	v_add_co_ci_u32_e32 v16, vcc_lo, s23, v16, vcc_lo
	;;#ASMSTART
	global_load_dwordx4 v[17:20], v[15:16] off glc	
s_waitcnt vmcnt(0)
	;;#ASMEND
	v_and_b32_e32 v20, 0xff, v18
	v_and_b32_e32 v26, 0xff00, v18
	v_or3_b32 v17, v17, 0, 0
	v_and_b32_e32 v27, 0xff000000, v18
	v_and_b32_e32 v18, 0xff0000, v18
	s_delay_alu instid0(VALU_DEP_4) | instskip(SKIP_2) | instid1(VALU_DEP_3)
	v_or3_b32 v20, 0, v20, v26
	v_and_b32_e32 v26, 0xff, v19
	v_or3_b32 v17, v17, 0, 0
	v_or3_b32 v18, v20, v18, v27
	s_delay_alu instid0(VALU_DEP_3)
	v_cmpx_eq_u16_e32 0, v26
	s_cbranch_execz .LBB556_51
.LBB556_49:                             ; =>This Inner Loop Header: Depth=1
	;;#ASMSTART
	global_load_dwordx4 v[17:20], v[15:16] off glc	
s_waitcnt vmcnt(0)
	;;#ASMEND
	v_and_b32_e32 v20, 0xff, v19
	s_delay_alu instid0(VALU_DEP_1) | instskip(SKIP_1) | instid1(SALU_CYCLE_1)
	v_cmp_ne_u16_e32 vcc_lo, 0, v20
	s_or_b32 s5, vcc_lo, s5
	s_and_not1_b32 exec_lo, exec_lo, s5
	s_cbranch_execnz .LBB556_49
; %bb.50:
	s_or_b32 exec_lo, exec_lo, s5
.LBB556_51:
	s_delay_alu instid0(SALU_CYCLE_1)
	s_or_b32 exec_lo, exec_lo, s4
	v_cmp_ne_u32_e32 vcc_lo, 31, v42
	v_and_b32_e32 v16, 0xff, v19
	v_lshlrev_b32_e64 v46, v42, -1
	s_mov_b32 s4, exec_lo
	v_add_co_ci_u32_e32 v15, vcc_lo, 0, v42, vcc_lo
	s_delay_alu instid0(VALU_DEP_3) | instskip(NEXT) | instid1(VALU_DEP_2)
	v_cmp_eq_u16_e32 vcc_lo, 2, v16
	v_dual_mov_b32 v16, v17 :: v_dual_lshlrev_b32 v45, 2, v15
	v_and_or_b32 v15, vcc_lo, v46, 0x80000000
	ds_bpermute_b32 v26, v45, v17
	ds_bpermute_b32 v20, v45, v18
	v_ctz_i32_b32_e32 v15, v15
	s_delay_alu instid0(VALU_DEP_1)
	v_cmpx_lt_u32_e64 v42, v15
	s_cbranch_execz .LBB556_53
; %bb.52:
	s_waitcnt lgkmcnt(1)
	v_add_co_u32 v16, vcc_lo, v17, v26
	v_add_co_ci_u32_e32 v18, vcc_lo, 0, v18, vcc_lo
	s_delay_alu instid0(VALU_DEP_2) | instskip(SKIP_1) | instid1(VALU_DEP_2)
	v_add_co_u32 v17, vcc_lo, 0, v16
	s_waitcnt lgkmcnt(0)
	v_add_co_ci_u32_e32 v18, vcc_lo, v20, v18, vcc_lo
.LBB556_53:
	s_or_b32 exec_lo, exec_lo, s4
	v_cmp_gt_u32_e32 vcc_lo, 30, v42
	v_add_nc_u32_e32 v48, 2, v42
	s_mov_b32 s4, exec_lo
	s_waitcnt lgkmcnt(0)
	v_cndmask_b32_e64 v20, 0, 1, vcc_lo
	s_delay_alu instid0(VALU_DEP_1) | instskip(NEXT) | instid1(VALU_DEP_1)
	v_lshlrev_b32_e32 v20, 1, v20
	v_add_lshl_u32 v47, v20, v42, 2
	ds_bpermute_b32 v26, v47, v16
	ds_bpermute_b32 v20, v47, v18
	v_cmpx_le_u32_e64 v48, v15
	s_cbranch_execz .LBB556_55
; %bb.54:
	s_waitcnt lgkmcnt(1)
	v_add_co_u32 v16, vcc_lo, v17, v26
	v_add_co_ci_u32_e32 v18, vcc_lo, 0, v18, vcc_lo
	s_delay_alu instid0(VALU_DEP_2) | instskip(SKIP_1) | instid1(VALU_DEP_2)
	v_add_co_u32 v17, vcc_lo, 0, v16
	s_waitcnt lgkmcnt(0)
	v_add_co_ci_u32_e32 v18, vcc_lo, v20, v18, vcc_lo
.LBB556_55:
	s_or_b32 exec_lo, exec_lo, s4
	v_cmp_gt_u32_e32 vcc_lo, 28, v42
	v_add_nc_u32_e32 v50, 4, v42
	s_mov_b32 s4, exec_lo
	s_waitcnt lgkmcnt(0)
	v_cndmask_b32_e64 v20, 0, 1, vcc_lo
	s_delay_alu instid0(VALU_DEP_1) | instskip(NEXT) | instid1(VALU_DEP_1)
	v_lshlrev_b32_e32 v20, 2, v20
	v_add_lshl_u32 v49, v20, v42, 2
	ds_bpermute_b32 v26, v49, v16
	ds_bpermute_b32 v20, v49, v18
	v_cmpx_le_u32_e64 v50, v15
	;; [unrolled: 22-line block ×4, first 2 shown]
	s_cbranch_execz .LBB556_61
; %bb.60:
	s_waitcnt lgkmcnt(1)
	v_add_co_u32 v15, vcc_lo, v17, v20
	v_add_co_ci_u32_e32 v18, vcc_lo, 0, v18, vcc_lo
	s_delay_alu instid0(VALU_DEP_2) | instskip(SKIP_1) | instid1(VALU_DEP_2)
	v_add_co_u32 v17, vcc_lo, v15, 0
	s_waitcnt lgkmcnt(0)
	v_add_co_ci_u32_e32 v18, vcc_lo, v18, v16, vcc_lo
.LBB556_61:
	s_or_b32 exec_lo, exec_lo, s4
	v_mov_b32_e32 v26, 0
	s_branch .LBB556_63
.LBB556_62:                             ;   in Loop: Header=BB556_63 Depth=1
	s_or_b32 exec_lo, exec_lo, s4
	v_add_co_u32 v17, vcc_lo, v17, v15
	v_subrev_nc_u32_e32 v25, 32, v25
	v_add_co_ci_u32_e32 v18, vcc_lo, v18, v16, vcc_lo
.LBB556_63:                             ; =>This Loop Header: Depth=1
                                        ;     Child Loop BB556_66 Depth 2
	v_and_b32_e32 v15, 0xff, v19
	s_delay_alu instid0(VALU_DEP_1) | instskip(SKIP_2) | instid1(VALU_DEP_1)
	v_cmp_ne_u16_e32 vcc_lo, 2, v15
	v_cndmask_b32_e64 v15, 0, 1, vcc_lo
	;;#ASMSTART
	;;#ASMEND
	v_cmp_ne_u32_e32 vcc_lo, 0, v15
	s_waitcnt lgkmcnt(0)
	v_dual_mov_b32 v15, v17 :: v_dual_mov_b32 v16, v18
	s_cmp_lg_u32 vcc_lo, exec_lo
	s_cbranch_scc1 .LBB556_78
; %bb.64:                               ;   in Loop: Header=BB556_63 Depth=1
	v_lshlrev_b64 v[17:18], 4, v[25:26]
	s_mov_b32 s4, exec_lo
	s_delay_alu instid0(VALU_DEP_1) | instskip(NEXT) | instid1(VALU_DEP_2)
	v_add_co_u32 v27, vcc_lo, s22, v17
	v_add_co_ci_u32_e32 v28, vcc_lo, s23, v18, vcc_lo
	;;#ASMSTART
	global_load_dwordx4 v[17:20], v[27:28] off glc	
s_waitcnt vmcnt(0)
	;;#ASMEND
	v_and_b32_e32 v20, 0xff, v18
	v_and_b32_e32 v55, 0xff00, v18
	v_or3_b32 v17, v17, 0, 0
	v_and_b32_e32 v56, 0xff000000, v18
	v_and_b32_e32 v18, 0xff0000, v18
	s_delay_alu instid0(VALU_DEP_4) | instskip(SKIP_2) | instid1(VALU_DEP_3)
	v_or3_b32 v20, 0, v20, v55
	v_and_b32_e32 v55, 0xff, v19
	v_or3_b32 v17, v17, 0, 0
	v_or3_b32 v18, v20, v18, v56
	s_delay_alu instid0(VALU_DEP_3)
	v_cmpx_eq_u16_e32 0, v55
	s_cbranch_execz .LBB556_68
; %bb.65:                               ;   in Loop: Header=BB556_63 Depth=1
	s_mov_b32 s5, 0
.LBB556_66:                             ;   Parent Loop BB556_63 Depth=1
                                        ; =>  This Inner Loop Header: Depth=2
	;;#ASMSTART
	global_load_dwordx4 v[17:20], v[27:28] off glc	
s_waitcnt vmcnt(0)
	;;#ASMEND
	v_and_b32_e32 v20, 0xff, v19
	s_delay_alu instid0(VALU_DEP_1) | instskip(SKIP_1) | instid1(SALU_CYCLE_1)
	v_cmp_ne_u16_e32 vcc_lo, 0, v20
	s_or_b32 s5, vcc_lo, s5
	s_and_not1_b32 exec_lo, exec_lo, s5
	s_cbranch_execnz .LBB556_66
; %bb.67:                               ;   in Loop: Header=BB556_63 Depth=1
	s_or_b32 exec_lo, exec_lo, s5
.LBB556_68:                             ;   in Loop: Header=BB556_63 Depth=1
	s_delay_alu instid0(SALU_CYCLE_1)
	s_or_b32 exec_lo, exec_lo, s4
	v_dual_mov_b32 v27, v17 :: v_dual_and_b32 v20, 0xff, v19
	ds_bpermute_b32 v55, v45, v17
	ds_bpermute_b32 v28, v45, v18
	s_mov_b32 s4, exec_lo
	v_cmp_eq_u16_e32 vcc_lo, 2, v20
	v_and_or_b32 v20, vcc_lo, v46, 0x80000000
	s_delay_alu instid0(VALU_DEP_1) | instskip(NEXT) | instid1(VALU_DEP_1)
	v_ctz_i32_b32_e32 v20, v20
	v_cmpx_lt_u32_e64 v42, v20
	s_cbranch_execz .LBB556_70
; %bb.69:                               ;   in Loop: Header=BB556_63 Depth=1
	s_waitcnt lgkmcnt(1)
	v_add_co_u32 v27, vcc_lo, v17, v55
	v_add_co_ci_u32_e32 v18, vcc_lo, 0, v18, vcc_lo
	s_delay_alu instid0(VALU_DEP_2) | instskip(SKIP_1) | instid1(VALU_DEP_2)
	v_add_co_u32 v17, vcc_lo, 0, v27
	s_waitcnt lgkmcnt(0)
	v_add_co_ci_u32_e32 v18, vcc_lo, v28, v18, vcc_lo
.LBB556_70:                             ;   in Loop: Header=BB556_63 Depth=1
	s_or_b32 exec_lo, exec_lo, s4
	s_waitcnt lgkmcnt(1)
	ds_bpermute_b32 v55, v47, v27
	s_waitcnt lgkmcnt(1)
	ds_bpermute_b32 v28, v47, v18
	s_mov_b32 s4, exec_lo
	v_cmpx_le_u32_e64 v48, v20
	s_cbranch_execz .LBB556_72
; %bb.71:                               ;   in Loop: Header=BB556_63 Depth=1
	s_waitcnt lgkmcnt(1)
	v_add_co_u32 v27, vcc_lo, v17, v55
	v_add_co_ci_u32_e32 v18, vcc_lo, 0, v18, vcc_lo
	s_delay_alu instid0(VALU_DEP_2) | instskip(SKIP_1) | instid1(VALU_DEP_2)
	v_add_co_u32 v17, vcc_lo, 0, v27
	s_waitcnt lgkmcnt(0)
	v_add_co_ci_u32_e32 v18, vcc_lo, v28, v18, vcc_lo
.LBB556_72:                             ;   in Loop: Header=BB556_63 Depth=1
	s_or_b32 exec_lo, exec_lo, s4
	s_waitcnt lgkmcnt(1)
	ds_bpermute_b32 v55, v49, v27
	s_waitcnt lgkmcnt(1)
	ds_bpermute_b32 v28, v49, v18
	s_mov_b32 s4, exec_lo
	v_cmpx_le_u32_e64 v50, v20
	;; [unrolled: 17-line block ×3, first 2 shown]
	s_cbranch_execz .LBB556_76
; %bb.75:                               ;   in Loop: Header=BB556_63 Depth=1
	s_waitcnt lgkmcnt(1)
	v_add_co_u32 v27, vcc_lo, v17, v55
	v_add_co_ci_u32_e32 v18, vcc_lo, 0, v18, vcc_lo
	s_delay_alu instid0(VALU_DEP_2) | instskip(SKIP_1) | instid1(VALU_DEP_2)
	v_add_co_u32 v17, vcc_lo, 0, v27
	s_waitcnt lgkmcnt(0)
	v_add_co_ci_u32_e32 v18, vcc_lo, v28, v18, vcc_lo
.LBB556_76:                             ;   in Loop: Header=BB556_63 Depth=1
	s_or_b32 exec_lo, exec_lo, s4
	s_waitcnt lgkmcnt(0)
	ds_bpermute_b32 v28, v53, v27
	ds_bpermute_b32 v27, v53, v18
	s_mov_b32 s4, exec_lo
	v_cmpx_le_u32_e64 v54, v20
	s_cbranch_execz .LBB556_62
; %bb.77:                               ;   in Loop: Header=BB556_63 Depth=1
	s_waitcnt lgkmcnt(1)
	v_add_co_u32 v17, vcc_lo, v17, v28
	v_add_co_ci_u32_e32 v18, vcc_lo, 0, v18, vcc_lo
	s_delay_alu instid0(VALU_DEP_2) | instskip(SKIP_1) | instid1(VALU_DEP_2)
	v_add_co_u32 v17, vcc_lo, v17, 0
	s_waitcnt lgkmcnt(0)
	v_add_co_ci_u32_e32 v18, vcc_lo, v18, v27, vcc_lo
	s_branch .LBB556_62
.LBB556_78:                             ;   in Loop: Header=BB556_63 Depth=1
                                        ; implicit-def: $vgpr17_vgpr18
	s_cbranch_execz .LBB556_63
; %bb.79:
	s_and_saveexec_b32 s4, s1
	s_cbranch_execz .LBB556_81
; %bb.80:
	s_add_i32 s6, s27, 32
	s_mov_b32 s7, 0
	v_add_co_u32 v17, vcc_lo, v15, v13
	s_lshl_b64 s[6:7], s[6:7], 4
	v_dual_mov_b32 v19, 2 :: v_dual_mov_b32 v20, 0
	s_add_u32 s6, s22, s6
	s_addc_u32 s7, s23, s7
	v_add_co_ci_u32_e32 v18, vcc_lo, v16, v14, vcc_lo
	v_dual_mov_b32 v26, s7 :: v_dual_mov_b32 v25, s6
	;;#ASMSTART
	global_store_dwordx4 v[25:26], v[17:20] off	
s_waitcnt vmcnt(0)
	;;#ASMEND
	ds_store_b128 v20, v[13:16] offset:6144
.LBB556_81:
	s_or_b32 exec_lo, exec_lo, s4
	s_delay_alu instid0(SALU_CYCLE_1)
	s_and_b32 exec_lo, exec_lo, s2
	s_cbranch_execz .LBB556_83
; %bb.82:
	v_mov_b32_e32 v13, 0
	ds_store_b64 v13, v[15:16] offset:24
.LBB556_83:
	s_or_b32 exec_lo, exec_lo, s3
	v_mov_b32_e32 v15, 0
	s_waitcnt lgkmcnt(0)
	s_barrier
	buffer_gl0_inv
	v_cndmask_b32_e64 v16, v29, v23, s1
	ds_load_b64 v[13:14], v15 offset:24
	v_cndmask_b32_e64 v17, v30, v24, s1
	s_waitcnt lgkmcnt(0)
	s_barrier
	v_cndmask_b32_e64 v16, v16, 0, s2
	buffer_gl0_inv
	v_cndmask_b32_e64 v17, v17, 0, s2
	v_add_co_u32 v29, vcc_lo, v13, v16
	s_delay_alu instid0(VALU_DEP_2) | instskip(SKIP_3) | instid1(VALU_DEP_2)
	v_add_co_ci_u32_e32 v30, vcc_lo, v14, v17, vcc_lo
	ds_load_b128 v[13:16], v15 offset:6144
	v_add_co_u32 v27, vcc_lo, v29, v41
	v_add_co_ci_u32_e32 v28, vcc_lo, 0, v30, vcc_lo
	v_add_co_u32 v25, vcc_lo, v27, v40
	s_delay_alu instid0(VALU_DEP_2) | instskip(NEXT) | instid1(VALU_DEP_2)
	v_add_co_ci_u32_e32 v26, vcc_lo, 0, v28, vcc_lo
	v_add_co_u32 v23, vcc_lo, v25, v39
	s_delay_alu instid0(VALU_DEP_2) | instskip(NEXT) | instid1(VALU_DEP_2)
	;; [unrolled: 3-line block ×3, first 2 shown]
	v_add_co_ci_u32_e32 v20, vcc_lo, 0, v24, vcc_lo
	v_add_co_u32 v17, vcc_lo, v19, v37
	s_delay_alu instid0(VALU_DEP_2)
	v_add_co_ci_u32_e32 v18, vcc_lo, 0, v20, vcc_lo
.LBB556_84:
	s_waitcnt lgkmcnt(0)
	v_cmp_gt_u64_e32 vcc_lo, 0x81, v[13:14]
	s_mov_b32 s0, -1
	s_cbranch_vccnz .LBB556_112
.LBB556_85:
	s_and_b32 vcc_lo, exec_lo, s0
	s_cbranch_vccnz .LBB556_131
.LBB556_86:
	s_and_b32 s0, s2, s25
	s_delay_alu instid0(SALU_CYCLE_1)
	s_and_saveexec_b32 s1, s0
	s_cbranch_execnz .LBB556_147
.LBB556_87:
	s_nop 0
	s_sendmsg sendmsg(MSG_DEALLOC_VGPRS)
	s_endpgm
.LBB556_88:
                                        ; kill: def $vgpr13_vgpr14 killed $sgpr0_sgpr1 killed $exec
                                        ; implicit-def: $vgpr17_vgpr18
                                        ; implicit-def: $vgpr19_vgpr20
                                        ; implicit-def: $vgpr23_vgpr24
                                        ; implicit-def: $vgpr25_vgpr26
                                        ; implicit-def: $vgpr27_vgpr28
                                        ; implicit-def: $vgpr29_vgpr30
                                        ; implicit-def: $vgpr15_vgpr16
	s_and_b32 vcc_lo, exec_lo, s1
	s_cbranch_vccz .LBB556_84
; %bb.89:
	s_waitcnt lgkmcnt(0)
	v_dual_mov_b32 v14, 0 :: v_dual_mov_b32 v15, v21
	v_mov_b32_dpp v16, v21 row_shr:1 row_mask:0xf bank_mask:0xf
	s_delay_alu instid0(VALU_DEP_2)
	v_mov_b32_dpp v13, v14 row_shr:1 row_mask:0xf bank_mask:0xf
	s_and_saveexec_b32 s1, s0
; %bb.90:
	s_delay_alu instid0(VALU_DEP_2) | instskip(SKIP_1) | instid1(VALU_DEP_2)
	v_add_co_u32 v15, vcc_lo, v21, v16
	v_add_co_ci_u32_e32 v14, vcc_lo, 0, v22, vcc_lo
	v_add_co_u32 v21, vcc_lo, 0, v15
	s_delay_alu instid0(VALU_DEP_2) | instskip(NEXT) | instid1(VALU_DEP_1)
	v_add_co_ci_u32_e32 v22, vcc_lo, v13, v14, vcc_lo
	v_mov_b32_e32 v14, v22
; %bb.91:
	s_or_b32 exec_lo, exec_lo, s1
	v_mov_b32_dpp v13, v15 row_shr:2 row_mask:0xf bank_mask:0xf
	s_delay_alu instid0(VALU_DEP_2)
	v_mov_b32_dpp v16, v14 row_shr:2 row_mask:0xf bank_mask:0xf
	s_mov_b32 s0, exec_lo
	v_cmpx_lt_u32_e32 1, v44
; %bb.92:
	s_delay_alu instid0(VALU_DEP_3) | instskip(SKIP_1) | instid1(VALU_DEP_2)
	v_add_co_u32 v15, vcc_lo, v21, v13
	v_add_co_ci_u32_e32 v14, vcc_lo, 0, v22, vcc_lo
	v_add_co_u32 v13, vcc_lo, 0, v15
	s_delay_alu instid0(VALU_DEP_2) | instskip(NEXT) | instid1(VALU_DEP_1)
	v_add_co_ci_u32_e32 v14, vcc_lo, v16, v14, vcc_lo
	v_dual_mov_b32 v22, v14 :: v_dual_mov_b32 v21, v13
; %bb.93:
	s_or_b32 exec_lo, exec_lo, s0
	v_mov_b32_dpp v13, v15 row_shr:4 row_mask:0xf bank_mask:0xf
	v_mov_b32_dpp v16, v14 row_shr:4 row_mask:0xf bank_mask:0xf
	s_mov_b32 s0, exec_lo
	v_cmpx_lt_u32_e32 3, v44
; %bb.94:
	s_delay_alu instid0(VALU_DEP_3) | instskip(SKIP_1) | instid1(VALU_DEP_2)
	v_add_co_u32 v15, vcc_lo, v21, v13
	v_add_co_ci_u32_e32 v14, vcc_lo, 0, v22, vcc_lo
	v_add_co_u32 v13, vcc_lo, 0, v15
	s_delay_alu instid0(VALU_DEP_2) | instskip(NEXT) | instid1(VALU_DEP_1)
	v_add_co_ci_u32_e32 v14, vcc_lo, v16, v14, vcc_lo
	v_dual_mov_b32 v22, v14 :: v_dual_mov_b32 v21, v13
; %bb.95:
	s_or_b32 exec_lo, exec_lo, s0
	v_mov_b32_dpp v16, v15 row_shr:8 row_mask:0xf bank_mask:0xf
	v_mov_b32_dpp v13, v14 row_shr:8 row_mask:0xf bank_mask:0xf
	s_mov_b32 s0, exec_lo
	v_cmpx_lt_u32_e32 7, v44
; %bb.96:
	s_delay_alu instid0(VALU_DEP_3) | instskip(SKIP_1) | instid1(VALU_DEP_2)
	v_add_co_u32 v15, vcc_lo, v21, v16
	v_add_co_ci_u32_e32 v14, vcc_lo, 0, v22, vcc_lo
	v_add_co_u32 v21, vcc_lo, 0, v15
	s_delay_alu instid0(VALU_DEP_2) | instskip(NEXT) | instid1(VALU_DEP_1)
	v_add_co_ci_u32_e32 v22, vcc_lo, v13, v14, vcc_lo
	v_mov_b32_e32 v14, v22
; %bb.97:
	s_or_b32 exec_lo, exec_lo, s0
	ds_swizzle_b32 v15, v15 offset:swizzle(BROADCAST,32,15)
	ds_swizzle_b32 v13, v14 offset:swizzle(BROADCAST,32,15)
	v_and_b32_e32 v14, 16, v42
	s_mov_b32 s0, exec_lo
	s_delay_alu instid0(VALU_DEP_1)
	v_cmpx_ne_u32_e32 0, v14
	s_cbranch_execz .LBB556_99
; %bb.98:
	s_waitcnt lgkmcnt(1)
	v_add_co_u32 v14, vcc_lo, v21, v15
	v_add_co_ci_u32_e32 v15, vcc_lo, 0, v22, vcc_lo
	s_delay_alu instid0(VALU_DEP_2) | instskip(SKIP_1) | instid1(VALU_DEP_2)
	v_add_co_u32 v21, vcc_lo, v14, 0
	s_waitcnt lgkmcnt(0)
	v_add_co_ci_u32_e32 v22, vcc_lo, v15, v13, vcc_lo
.LBB556_99:
	s_or_b32 exec_lo, exec_lo, s0
	s_waitcnt lgkmcnt(0)
	v_or_b32_e32 v13, 31, v0
	v_lshrrev_b32_e32 v15, 5, v0
	s_mov_b32 s0, exec_lo
	s_delay_alu instid0(VALU_DEP_2)
	v_cmpx_eq_u32_e64 v13, v0
	s_cbranch_execz .LBB556_101
; %bb.100:
	s_delay_alu instid0(VALU_DEP_2)
	v_lshlrev_b32_e32 v13, 3, v15
	ds_store_b64 v13, v[21:22]
.LBB556_101:
	s_or_b32 exec_lo, exec_lo, s0
	s_delay_alu instid0(SALU_CYCLE_1)
	s_mov_b32 s0, exec_lo
	s_waitcnt lgkmcnt(0)
	s_barrier
	buffer_gl0_inv
	v_cmpx_gt_u32_e32 4, v0
	s_cbranch_execz .LBB556_107
; %bb.102:
	v_lshlrev_b32_e32 v13, 1, v0
	s_mov_b32 s1, exec_lo
	s_delay_alu instid0(VALU_DEP_1)
	v_add_nc_u32_e32 v16, v43, v13
	ds_load_b64 v[13:14], v16
	s_waitcnt lgkmcnt(0)
	v_dual_mov_b32 v18, v13 :: v_dual_and_b32 v17, 3, v42
	v_mov_b32_dpp v20, v13 row_shr:1 row_mask:0xf bank_mask:0xf
	v_mov_b32_dpp v19, v14 row_shr:1 row_mask:0xf bank_mask:0xf
	s_delay_alu instid0(VALU_DEP_3)
	v_cmpx_ne_u32_e32 0, v17
; %bb.103:
	s_delay_alu instid0(VALU_DEP_3) | instskip(SKIP_1) | instid1(VALU_DEP_2)
	v_add_co_u32 v18, vcc_lo, v13, v20
	v_add_co_ci_u32_e32 v14, vcc_lo, 0, v14, vcc_lo
	v_add_co_u32 v13, vcc_lo, 0, v18
	s_delay_alu instid0(VALU_DEP_2)
	v_add_co_ci_u32_e32 v14, vcc_lo, v19, v14, vcc_lo
; %bb.104:
	s_or_b32 exec_lo, exec_lo, s1
	v_mov_b32_dpp v19, v18 row_shr:2 row_mask:0xf bank_mask:0xf
	s_delay_alu instid0(VALU_DEP_2)
	v_mov_b32_dpp v18, v14 row_shr:2 row_mask:0xf bank_mask:0xf
	s_mov_b32 s1, exec_lo
	v_cmpx_lt_u32_e32 1, v17
; %bb.105:
	s_delay_alu instid0(VALU_DEP_3) | instskip(SKIP_1) | instid1(VALU_DEP_2)
	v_add_co_u32 v13, vcc_lo, v13, v19
	v_add_co_ci_u32_e32 v14, vcc_lo, 0, v14, vcc_lo
	v_add_co_u32 v13, vcc_lo, v13, 0
	s_delay_alu instid0(VALU_DEP_2)
	v_add_co_ci_u32_e32 v14, vcc_lo, v14, v18, vcc_lo
; %bb.106:
	s_or_b32 exec_lo, exec_lo, s1
	ds_store_b64 v16, v[13:14]
.LBB556_107:
	s_or_b32 exec_lo, exec_lo, s0
	v_mov_b32_e32 v17, 0
	v_mov_b32_e32 v18, 0
	s_mov_b32 s0, exec_lo
	s_waitcnt lgkmcnt(0)
	s_barrier
	buffer_gl0_inv
	v_cmpx_lt_u32_e32 31, v0
	s_cbranch_execz .LBB556_109
; %bb.108:
	v_lshl_add_u32 v13, v15, 3, -8
	ds_load_b64 v[17:18], v13
.LBB556_109:
	s_or_b32 exec_lo, exec_lo, s0
	v_dual_mov_b32 v16, 0 :: v_dual_add_nc_u32 v13, -1, v42
	s_delay_alu instid0(VALU_DEP_1) | instskip(SKIP_4) | instid1(VALU_DEP_3)
	v_cmp_gt_i32_e32 vcc_lo, 0, v13
	v_cndmask_b32_e32 v13, v13, v42, vcc_lo
	s_waitcnt lgkmcnt(0)
	v_add_co_u32 v14, vcc_lo, v17, v21
	v_add_co_ci_u32_e32 v15, vcc_lo, v18, v22, vcc_lo
	v_lshlrev_b32_e32 v13, 2, v13
	ds_bpermute_b32 v19, v13, v14
	ds_bpermute_b32 v20, v13, v15
	ds_load_b64 v[13:14], v16 offset:24
	s_and_saveexec_b32 s0, s2
	s_cbranch_execz .LBB556_111
; %bb.110:
	s_add_u32 s4, s22, 0x200
	s_addc_u32 s5, s23, 0
	s_delay_alu instid0(SALU_CYCLE_1)
	v_dual_mov_b32 v15, 2 :: v_dual_mov_b32 v22, s5
	v_mov_b32_e32 v21, s4
	s_waitcnt lgkmcnt(0)
	;;#ASMSTART
	global_store_dwordx4 v[21:22], v[13:16] off	
s_waitcnt vmcnt(0)
	;;#ASMEND
.LBB556_111:
	s_or_b32 exec_lo, exec_lo, s0
	v_cmp_eq_u32_e32 vcc_lo, 0, v42
	s_waitcnt lgkmcnt(0)
	s_barrier
	buffer_gl0_inv
	v_dual_cndmask_b32 v15, v19, v17 :: v_dual_cndmask_b32 v16, v20, v18
	s_delay_alu instid0(VALU_DEP_1) | instskip(NEXT) | instid1(VALU_DEP_2)
	v_cndmask_b32_e64 v29, v15, 0, s2
	v_cndmask_b32_e64 v30, v16, 0, s2
	v_mov_b32_e32 v15, 0
	v_mov_b32_e32 v16, 0
	s_delay_alu instid0(VALU_DEP_4) | instskip(NEXT) | instid1(VALU_DEP_4)
	v_add_co_u32 v27, vcc_lo, v29, v41
	v_add_co_ci_u32_e32 v28, vcc_lo, 0, v30, vcc_lo
	s_delay_alu instid0(VALU_DEP_2) | instskip(NEXT) | instid1(VALU_DEP_2)
	v_add_co_u32 v25, vcc_lo, v27, v40
	v_add_co_ci_u32_e32 v26, vcc_lo, 0, v28, vcc_lo
	s_delay_alu instid0(VALU_DEP_2) | instskip(NEXT) | instid1(VALU_DEP_2)
	;; [unrolled: 3-line block ×4, first 2 shown]
	v_add_co_u32 v17, vcc_lo, v19, v37
	v_add_co_ci_u32_e32 v18, vcc_lo, 0, v20, vcc_lo
	v_cmp_gt_u64_e32 vcc_lo, 0x81, v[13:14]
	s_mov_b32 s0, -1
	s_cbranch_vccz .LBB556_85
.LBB556_112:
	v_add_co_u32 v21, vcc_lo, v15, v13
	v_add_co_ci_u32_e32 v22, vcc_lo, v16, v14, vcc_lo
	s_delay_alu instid0(VALU_DEP_1) | instskip(SKIP_1) | instid1(SALU_CYCLE_1)
	v_cmp_lt_u64_e32 vcc_lo, v[29:30], v[21:22]
	s_or_b32 s1, s26, vcc_lo
	s_and_saveexec_b32 s0, s1
	s_cbranch_execz .LBB556_115
; %bb.113:
	v_and_b32_e32 v37, 1, v36
	s_delay_alu instid0(VALU_DEP_1)
	v_cmp_eq_u32_e32 vcc_lo, 1, v37
	s_and_b32 exec_lo, exec_lo, vcc_lo
	s_cbranch_execz .LBB556_115
; %bb.114:
	v_lshlrev_b64 v[37:38], 3, v[29:30]
	s_lshl_b64 s[4:5], s[14:15], 3
	s_delay_alu instid0(SALU_CYCLE_1) | instskip(SKIP_1) | instid1(VALU_DEP_1)
	s_add_u32 s1, s20, s4
	s_addc_u32 s3, s21, s5
	v_add_co_u32 v37, vcc_lo, s1, v37
	s_delay_alu instid0(VALU_DEP_2)
	v_add_co_ci_u32_e32 v38, vcc_lo, s3, v38, vcc_lo
	global_store_b64 v[37:38], v[9:10], off
.LBB556_115:
	s_or_b32 exec_lo, exec_lo, s0
	v_cmp_lt_u64_e32 vcc_lo, v[27:28], v[21:22]
	s_or_b32 s1, s26, vcc_lo
	s_delay_alu instid0(SALU_CYCLE_1)
	s_and_saveexec_b32 s0, s1
	s_cbranch_execz .LBB556_118
; %bb.116:
	v_and_b32_e32 v30, 1, v34
	s_delay_alu instid0(VALU_DEP_1)
	v_cmp_eq_u32_e32 vcc_lo, 1, v30
	s_and_b32 exec_lo, exec_lo, vcc_lo
	s_cbranch_execz .LBB556_118
; %bb.117:
	v_lshlrev_b64 v[37:38], 3, v[27:28]
	s_lshl_b64 s[4:5], s[14:15], 3
	s_delay_alu instid0(SALU_CYCLE_1) | instskip(SKIP_1) | instid1(VALU_DEP_1)
	s_add_u32 s1, s20, s4
	s_addc_u32 s3, s21, s5
	v_add_co_u32 v37, vcc_lo, s1, v37
	s_delay_alu instid0(VALU_DEP_2)
	v_add_co_ci_u32_e32 v38, vcc_lo, s3, v38, vcc_lo
	global_store_b64 v[37:38], v[11:12], off
.LBB556_118:
	s_or_b32 exec_lo, exec_lo, s0
	v_cmp_lt_u64_e32 vcc_lo, v[25:26], v[21:22]
	s_or_b32 s1, s26, vcc_lo
	s_delay_alu instid0(SALU_CYCLE_1)
	;; [unrolled: 23-line block ×5, first 2 shown]
	s_and_saveexec_b32 s0, s1
	s_cbranch_execz .LBB556_130
; %bb.128:
	v_and_b32_e32 v20, 1, v32
	s_delay_alu instid0(VALU_DEP_1)
	v_cmp_eq_u32_e32 vcc_lo, 1, v20
	s_and_b32 exec_lo, exec_lo, vcc_lo
	s_cbranch_execz .LBB556_130
; %bb.129:
	v_lshlrev_b64 v[20:21], 3, v[17:18]
	s_lshl_b64 s[4:5], s[14:15], 3
	s_delay_alu instid0(SALU_CYCLE_1) | instskip(SKIP_1) | instid1(VALU_DEP_1)
	s_add_u32 s1, s20, s4
	s_addc_u32 s3, s21, s5
	v_add_co_u32 v20, vcc_lo, s1, v20
	s_delay_alu instid0(VALU_DEP_2)
	v_add_co_ci_u32_e32 v21, vcc_lo, s3, v21, vcc_lo
	global_store_b64 v[20:21], v[3:4], off
.LBB556_130:
	s_or_b32 exec_lo, exec_lo, s0
	s_branch .LBB556_86
.LBB556_131:
	v_and_b32_e32 v18, 1, v36
	s_mov_b32 s0, exec_lo
	s_delay_alu instid0(VALU_DEP_1)
	v_cmpx_eq_u32_e32 1, v18
	s_cbranch_execz .LBB556_133
; %bb.132:
	v_sub_nc_u32_e32 v18, v29, v15
	s_delay_alu instid0(VALU_DEP_1)
	v_lshlrev_b32_e32 v18, 3, v18
	ds_store_b64 v18, v[9:10]
.LBB556_133:
	s_or_b32 exec_lo, exec_lo, s0
	v_and_b32_e32 v9, 1, v34
	s_mov_b32 s0, exec_lo
	s_delay_alu instid0(VALU_DEP_1)
	v_cmpx_eq_u32_e32 1, v9
	s_cbranch_execz .LBB556_135
; %bb.134:
	v_sub_nc_u32_e32 v9, v27, v15
	s_delay_alu instid0(VALU_DEP_1)
	v_lshlrev_b32_e32 v9, 3, v9
	ds_store_b64 v9, v[11:12]
.LBB556_135:
	s_or_b32 exec_lo, exec_lo, s0
	;; [unrolled: 12-line block ×6, first 2 shown]
	v_mov_b32_e32 v1, 0
	s_mov_b32 s1, exec_lo
	s_waitcnt lgkmcnt(0)
	s_waitcnt_vscnt null, 0x0
	s_barrier
	buffer_gl0_inv
	v_cmpx_gt_u64_e64 v[13:14], v[0:1]
	s_cbranch_execz .LBB556_146
; %bb.144:
	v_lshlrev_b64 v[4:5], 3, v[15:16]
	s_lshl_b64 s[4:5], s[14:15], 3
	v_dual_mov_b32 v3, v1 :: v_dual_mov_b32 v2, v0
	v_or_b32_e32 v0, 0x80, v0
	s_mov_b32 s3, 0
	s_delay_alu instid0(VALU_DEP_3) | instskip(SKIP_1) | instid1(VALU_DEP_2)
	v_add_co_u32 v4, vcc_lo, s20, v4
	v_add_co_ci_u32_e32 v5, vcc_lo, s21, v5, vcc_lo
	v_add_co_u32 v4, vcc_lo, v4, s4
	s_delay_alu instid0(VALU_DEP_2)
	v_add_co_ci_u32_e32 v5, vcc_lo, s5, v5, vcc_lo
	.p2align	6
.LBB556_145:                            ; =>This Inner Loop Header: Depth=1
	v_lshlrev_b32_e32 v6, 3, v2
	v_lshlrev_b64 v[8:9], 3, v[2:3]
	v_mov_b32_e32 v3, v1
	v_cmp_le_u64_e32 vcc_lo, v[13:14], v[0:1]
	v_mov_b32_e32 v2, v0
	ds_load_b64 v[6:7], v6
	v_add_nc_u32_e32 v0, 0x80, v0
	v_add_co_u32 v8, s0, v4, v8
	s_delay_alu instid0(VALU_DEP_1)
	v_add_co_ci_u32_e64 v9, s0, v5, v9, s0
	s_or_b32 s3, vcc_lo, s3
	s_waitcnt lgkmcnt(0)
	global_store_b64 v[8:9], v[6:7], off
	s_and_not1_b32 exec_lo, exec_lo, s3
	s_cbranch_execnz .LBB556_145
.LBB556_146:
	s_or_b32 exec_lo, exec_lo, s1
	s_and_b32 s0, s2, s25
	s_delay_alu instid0(SALU_CYCLE_1)
	s_and_saveexec_b32 s1, s0
	s_cbranch_execz .LBB556_87
.LBB556_147:
	v_add_co_u32 v0, vcc_lo, v15, v13
	v_add_co_ci_u32_e32 v1, vcc_lo, v16, v14, vcc_lo
	v_mov_b32_e32 v2, 0
	s_delay_alu instid0(VALU_DEP_3) | instskip(NEXT) | instid1(VALU_DEP_3)
	v_add_co_u32 v0, vcc_lo, v0, s14
	v_add_co_ci_u32_e32 v1, vcc_lo, s15, v1, vcc_lo
	global_store_b64 v2, v[0:1], s[12:13]
	s_nop 0
	s_sendmsg sendmsg(MSG_DEALLOC_VGPRS)
	s_endpgm
	.section	.rodata,"a",@progbits
	.p2align	6, 0x0
	.amdhsa_kernel _ZN7rocprim17ROCPRIM_400000_NS6detail17trampoline_kernelINS0_14default_configENS1_25partition_config_selectorILNS1_17partition_subalgoE5ElNS0_10empty_typeEbEEZZNS1_14partition_implILS5_5ELb0ES3_mN6hipcub16HIPCUB_304000_NS21CountingInputIteratorIllEEPS6_NSA_22TransformInputIteratorIbN2at6native12_GLOBAL__N_19NonZeroOpIN3c107complexIdEEEEPKSL_lEENS0_5tupleIJPlS6_EEENSQ_IJSD_SD_EEES6_PiJS6_EEE10hipError_tPvRmT3_T4_T5_T6_T7_T9_mT8_P12ihipStream_tbDpT10_ENKUlT_T0_E_clISt17integral_constantIbLb0EES1D_IbLb1EEEEDaS19_S1A_EUlS19_E_NS1_11comp_targetILNS1_3genE9ELNS1_11target_archE1100ELNS1_3gpuE3ELNS1_3repE0EEENS1_30default_config_static_selectorELNS0_4arch9wavefront6targetE0EEEvT1_
		.amdhsa_group_segment_fixed_size 6160
		.amdhsa_private_segment_fixed_size 0
		.amdhsa_kernarg_size 136
		.amdhsa_user_sgpr_count 15
		.amdhsa_user_sgpr_dispatch_ptr 0
		.amdhsa_user_sgpr_queue_ptr 0
		.amdhsa_user_sgpr_kernarg_segment_ptr 1
		.amdhsa_user_sgpr_dispatch_id 0
		.amdhsa_user_sgpr_private_segment_size 0
		.amdhsa_wavefront_size32 1
		.amdhsa_uses_dynamic_stack 0
		.amdhsa_enable_private_segment 0
		.amdhsa_system_sgpr_workgroup_id_x 1
		.amdhsa_system_sgpr_workgroup_id_y 0
		.amdhsa_system_sgpr_workgroup_id_z 0
		.amdhsa_system_sgpr_workgroup_info 0
		.amdhsa_system_vgpr_workitem_id 0
		.amdhsa_next_free_vgpr 57
		.amdhsa_next_free_sgpr 29
		.amdhsa_reserve_vcc 1
		.amdhsa_float_round_mode_32 0
		.amdhsa_float_round_mode_16_64 0
		.amdhsa_float_denorm_mode_32 3
		.amdhsa_float_denorm_mode_16_64 3
		.amdhsa_dx10_clamp 1
		.amdhsa_ieee_mode 1
		.amdhsa_fp16_overflow 0
		.amdhsa_workgroup_processor_mode 1
		.amdhsa_memory_ordered 1
		.amdhsa_forward_progress 0
		.amdhsa_shared_vgpr_count 0
		.amdhsa_exception_fp_ieee_invalid_op 0
		.amdhsa_exception_fp_denorm_src 0
		.amdhsa_exception_fp_ieee_div_zero 0
		.amdhsa_exception_fp_ieee_overflow 0
		.amdhsa_exception_fp_ieee_underflow 0
		.amdhsa_exception_fp_ieee_inexact 0
		.amdhsa_exception_int_div_zero 0
	.end_amdhsa_kernel
	.section	.text._ZN7rocprim17ROCPRIM_400000_NS6detail17trampoline_kernelINS0_14default_configENS1_25partition_config_selectorILNS1_17partition_subalgoE5ElNS0_10empty_typeEbEEZZNS1_14partition_implILS5_5ELb0ES3_mN6hipcub16HIPCUB_304000_NS21CountingInputIteratorIllEEPS6_NSA_22TransformInputIteratorIbN2at6native12_GLOBAL__N_19NonZeroOpIN3c107complexIdEEEEPKSL_lEENS0_5tupleIJPlS6_EEENSQ_IJSD_SD_EEES6_PiJS6_EEE10hipError_tPvRmT3_T4_T5_T6_T7_T9_mT8_P12ihipStream_tbDpT10_ENKUlT_T0_E_clISt17integral_constantIbLb0EES1D_IbLb1EEEEDaS19_S1A_EUlS19_E_NS1_11comp_targetILNS1_3genE9ELNS1_11target_archE1100ELNS1_3gpuE3ELNS1_3repE0EEENS1_30default_config_static_selectorELNS0_4arch9wavefront6targetE0EEEvT1_,"axG",@progbits,_ZN7rocprim17ROCPRIM_400000_NS6detail17trampoline_kernelINS0_14default_configENS1_25partition_config_selectorILNS1_17partition_subalgoE5ElNS0_10empty_typeEbEEZZNS1_14partition_implILS5_5ELb0ES3_mN6hipcub16HIPCUB_304000_NS21CountingInputIteratorIllEEPS6_NSA_22TransformInputIteratorIbN2at6native12_GLOBAL__N_19NonZeroOpIN3c107complexIdEEEEPKSL_lEENS0_5tupleIJPlS6_EEENSQ_IJSD_SD_EEES6_PiJS6_EEE10hipError_tPvRmT3_T4_T5_T6_T7_T9_mT8_P12ihipStream_tbDpT10_ENKUlT_T0_E_clISt17integral_constantIbLb0EES1D_IbLb1EEEEDaS19_S1A_EUlS19_E_NS1_11comp_targetILNS1_3genE9ELNS1_11target_archE1100ELNS1_3gpuE3ELNS1_3repE0EEENS1_30default_config_static_selectorELNS0_4arch9wavefront6targetE0EEEvT1_,comdat
.Lfunc_end556:
	.size	_ZN7rocprim17ROCPRIM_400000_NS6detail17trampoline_kernelINS0_14default_configENS1_25partition_config_selectorILNS1_17partition_subalgoE5ElNS0_10empty_typeEbEEZZNS1_14partition_implILS5_5ELb0ES3_mN6hipcub16HIPCUB_304000_NS21CountingInputIteratorIllEEPS6_NSA_22TransformInputIteratorIbN2at6native12_GLOBAL__N_19NonZeroOpIN3c107complexIdEEEEPKSL_lEENS0_5tupleIJPlS6_EEENSQ_IJSD_SD_EEES6_PiJS6_EEE10hipError_tPvRmT3_T4_T5_T6_T7_T9_mT8_P12ihipStream_tbDpT10_ENKUlT_T0_E_clISt17integral_constantIbLb0EES1D_IbLb1EEEEDaS19_S1A_EUlS19_E_NS1_11comp_targetILNS1_3genE9ELNS1_11target_archE1100ELNS1_3gpuE3ELNS1_3repE0EEENS1_30default_config_static_selectorELNS0_4arch9wavefront6targetE0EEEvT1_, .Lfunc_end556-_ZN7rocprim17ROCPRIM_400000_NS6detail17trampoline_kernelINS0_14default_configENS1_25partition_config_selectorILNS1_17partition_subalgoE5ElNS0_10empty_typeEbEEZZNS1_14partition_implILS5_5ELb0ES3_mN6hipcub16HIPCUB_304000_NS21CountingInputIteratorIllEEPS6_NSA_22TransformInputIteratorIbN2at6native12_GLOBAL__N_19NonZeroOpIN3c107complexIdEEEEPKSL_lEENS0_5tupleIJPlS6_EEENSQ_IJSD_SD_EEES6_PiJS6_EEE10hipError_tPvRmT3_T4_T5_T6_T7_T9_mT8_P12ihipStream_tbDpT10_ENKUlT_T0_E_clISt17integral_constantIbLb0EES1D_IbLb1EEEEDaS19_S1A_EUlS19_E_NS1_11comp_targetILNS1_3genE9ELNS1_11target_archE1100ELNS1_3gpuE3ELNS1_3repE0EEENS1_30default_config_static_selectorELNS0_4arch9wavefront6targetE0EEEvT1_
                                        ; -- End function
	.section	.AMDGPU.csdata,"",@progbits
; Kernel info:
; codeLenInByte = 6776
; NumSgprs: 31
; NumVgprs: 57
; ScratchSize: 0
; MemoryBound: 0
; FloatMode: 240
; IeeeMode: 1
; LDSByteSize: 6160 bytes/workgroup (compile time only)
; SGPRBlocks: 3
; VGPRBlocks: 7
; NumSGPRsForWavesPerEU: 31
; NumVGPRsForWavesPerEU: 57
; Occupancy: 16
; WaveLimiterHint : 1
; COMPUTE_PGM_RSRC2:SCRATCH_EN: 0
; COMPUTE_PGM_RSRC2:USER_SGPR: 15
; COMPUTE_PGM_RSRC2:TRAP_HANDLER: 0
; COMPUTE_PGM_RSRC2:TGID_X_EN: 1
; COMPUTE_PGM_RSRC2:TGID_Y_EN: 0
; COMPUTE_PGM_RSRC2:TGID_Z_EN: 0
; COMPUTE_PGM_RSRC2:TIDIG_COMP_CNT: 0
	.section	.text._ZN7rocprim17ROCPRIM_400000_NS6detail17trampoline_kernelINS0_14default_configENS1_25partition_config_selectorILNS1_17partition_subalgoE5ElNS0_10empty_typeEbEEZZNS1_14partition_implILS5_5ELb0ES3_mN6hipcub16HIPCUB_304000_NS21CountingInputIteratorIllEEPS6_NSA_22TransformInputIteratorIbN2at6native12_GLOBAL__N_19NonZeroOpIN3c107complexIdEEEEPKSL_lEENS0_5tupleIJPlS6_EEENSQ_IJSD_SD_EEES6_PiJS6_EEE10hipError_tPvRmT3_T4_T5_T6_T7_T9_mT8_P12ihipStream_tbDpT10_ENKUlT_T0_E_clISt17integral_constantIbLb0EES1D_IbLb1EEEEDaS19_S1A_EUlS19_E_NS1_11comp_targetILNS1_3genE8ELNS1_11target_archE1030ELNS1_3gpuE2ELNS1_3repE0EEENS1_30default_config_static_selectorELNS0_4arch9wavefront6targetE0EEEvT1_,"axG",@progbits,_ZN7rocprim17ROCPRIM_400000_NS6detail17trampoline_kernelINS0_14default_configENS1_25partition_config_selectorILNS1_17partition_subalgoE5ElNS0_10empty_typeEbEEZZNS1_14partition_implILS5_5ELb0ES3_mN6hipcub16HIPCUB_304000_NS21CountingInputIteratorIllEEPS6_NSA_22TransformInputIteratorIbN2at6native12_GLOBAL__N_19NonZeroOpIN3c107complexIdEEEEPKSL_lEENS0_5tupleIJPlS6_EEENSQ_IJSD_SD_EEES6_PiJS6_EEE10hipError_tPvRmT3_T4_T5_T6_T7_T9_mT8_P12ihipStream_tbDpT10_ENKUlT_T0_E_clISt17integral_constantIbLb0EES1D_IbLb1EEEEDaS19_S1A_EUlS19_E_NS1_11comp_targetILNS1_3genE8ELNS1_11target_archE1030ELNS1_3gpuE2ELNS1_3repE0EEENS1_30default_config_static_selectorELNS0_4arch9wavefront6targetE0EEEvT1_,comdat
	.globl	_ZN7rocprim17ROCPRIM_400000_NS6detail17trampoline_kernelINS0_14default_configENS1_25partition_config_selectorILNS1_17partition_subalgoE5ElNS0_10empty_typeEbEEZZNS1_14partition_implILS5_5ELb0ES3_mN6hipcub16HIPCUB_304000_NS21CountingInputIteratorIllEEPS6_NSA_22TransformInputIteratorIbN2at6native12_GLOBAL__N_19NonZeroOpIN3c107complexIdEEEEPKSL_lEENS0_5tupleIJPlS6_EEENSQ_IJSD_SD_EEES6_PiJS6_EEE10hipError_tPvRmT3_T4_T5_T6_T7_T9_mT8_P12ihipStream_tbDpT10_ENKUlT_T0_E_clISt17integral_constantIbLb0EES1D_IbLb1EEEEDaS19_S1A_EUlS19_E_NS1_11comp_targetILNS1_3genE8ELNS1_11target_archE1030ELNS1_3gpuE2ELNS1_3repE0EEENS1_30default_config_static_selectorELNS0_4arch9wavefront6targetE0EEEvT1_ ; -- Begin function _ZN7rocprim17ROCPRIM_400000_NS6detail17trampoline_kernelINS0_14default_configENS1_25partition_config_selectorILNS1_17partition_subalgoE5ElNS0_10empty_typeEbEEZZNS1_14partition_implILS5_5ELb0ES3_mN6hipcub16HIPCUB_304000_NS21CountingInputIteratorIllEEPS6_NSA_22TransformInputIteratorIbN2at6native12_GLOBAL__N_19NonZeroOpIN3c107complexIdEEEEPKSL_lEENS0_5tupleIJPlS6_EEENSQ_IJSD_SD_EEES6_PiJS6_EEE10hipError_tPvRmT3_T4_T5_T6_T7_T9_mT8_P12ihipStream_tbDpT10_ENKUlT_T0_E_clISt17integral_constantIbLb0EES1D_IbLb1EEEEDaS19_S1A_EUlS19_E_NS1_11comp_targetILNS1_3genE8ELNS1_11target_archE1030ELNS1_3gpuE2ELNS1_3repE0EEENS1_30default_config_static_selectorELNS0_4arch9wavefront6targetE0EEEvT1_
	.p2align	8
	.type	_ZN7rocprim17ROCPRIM_400000_NS6detail17trampoline_kernelINS0_14default_configENS1_25partition_config_selectorILNS1_17partition_subalgoE5ElNS0_10empty_typeEbEEZZNS1_14partition_implILS5_5ELb0ES3_mN6hipcub16HIPCUB_304000_NS21CountingInputIteratorIllEEPS6_NSA_22TransformInputIteratorIbN2at6native12_GLOBAL__N_19NonZeroOpIN3c107complexIdEEEEPKSL_lEENS0_5tupleIJPlS6_EEENSQ_IJSD_SD_EEES6_PiJS6_EEE10hipError_tPvRmT3_T4_T5_T6_T7_T9_mT8_P12ihipStream_tbDpT10_ENKUlT_T0_E_clISt17integral_constantIbLb0EES1D_IbLb1EEEEDaS19_S1A_EUlS19_E_NS1_11comp_targetILNS1_3genE8ELNS1_11target_archE1030ELNS1_3gpuE2ELNS1_3repE0EEENS1_30default_config_static_selectorELNS0_4arch9wavefront6targetE0EEEvT1_,@function
_ZN7rocprim17ROCPRIM_400000_NS6detail17trampoline_kernelINS0_14default_configENS1_25partition_config_selectorILNS1_17partition_subalgoE5ElNS0_10empty_typeEbEEZZNS1_14partition_implILS5_5ELb0ES3_mN6hipcub16HIPCUB_304000_NS21CountingInputIteratorIllEEPS6_NSA_22TransformInputIteratorIbN2at6native12_GLOBAL__N_19NonZeroOpIN3c107complexIdEEEEPKSL_lEENS0_5tupleIJPlS6_EEENSQ_IJSD_SD_EEES6_PiJS6_EEE10hipError_tPvRmT3_T4_T5_T6_T7_T9_mT8_P12ihipStream_tbDpT10_ENKUlT_T0_E_clISt17integral_constantIbLb0EES1D_IbLb1EEEEDaS19_S1A_EUlS19_E_NS1_11comp_targetILNS1_3genE8ELNS1_11target_archE1030ELNS1_3gpuE2ELNS1_3repE0EEENS1_30default_config_static_selectorELNS0_4arch9wavefront6targetE0EEEvT1_: ; @_ZN7rocprim17ROCPRIM_400000_NS6detail17trampoline_kernelINS0_14default_configENS1_25partition_config_selectorILNS1_17partition_subalgoE5ElNS0_10empty_typeEbEEZZNS1_14partition_implILS5_5ELb0ES3_mN6hipcub16HIPCUB_304000_NS21CountingInputIteratorIllEEPS6_NSA_22TransformInputIteratorIbN2at6native12_GLOBAL__N_19NonZeroOpIN3c107complexIdEEEEPKSL_lEENS0_5tupleIJPlS6_EEENSQ_IJSD_SD_EEES6_PiJS6_EEE10hipError_tPvRmT3_T4_T5_T6_T7_T9_mT8_P12ihipStream_tbDpT10_ENKUlT_T0_E_clISt17integral_constantIbLb0EES1D_IbLb1EEEEDaS19_S1A_EUlS19_E_NS1_11comp_targetILNS1_3genE8ELNS1_11target_archE1030ELNS1_3gpuE2ELNS1_3repE0EEENS1_30default_config_static_selectorELNS0_4arch9wavefront6targetE0EEEvT1_
; %bb.0:
	.section	.rodata,"a",@progbits
	.p2align	6, 0x0
	.amdhsa_kernel _ZN7rocprim17ROCPRIM_400000_NS6detail17trampoline_kernelINS0_14default_configENS1_25partition_config_selectorILNS1_17partition_subalgoE5ElNS0_10empty_typeEbEEZZNS1_14partition_implILS5_5ELb0ES3_mN6hipcub16HIPCUB_304000_NS21CountingInputIteratorIllEEPS6_NSA_22TransformInputIteratorIbN2at6native12_GLOBAL__N_19NonZeroOpIN3c107complexIdEEEEPKSL_lEENS0_5tupleIJPlS6_EEENSQ_IJSD_SD_EEES6_PiJS6_EEE10hipError_tPvRmT3_T4_T5_T6_T7_T9_mT8_P12ihipStream_tbDpT10_ENKUlT_T0_E_clISt17integral_constantIbLb0EES1D_IbLb1EEEEDaS19_S1A_EUlS19_E_NS1_11comp_targetILNS1_3genE8ELNS1_11target_archE1030ELNS1_3gpuE2ELNS1_3repE0EEENS1_30default_config_static_selectorELNS0_4arch9wavefront6targetE0EEEvT1_
		.amdhsa_group_segment_fixed_size 0
		.amdhsa_private_segment_fixed_size 0
		.amdhsa_kernarg_size 136
		.amdhsa_user_sgpr_count 15
		.amdhsa_user_sgpr_dispatch_ptr 0
		.amdhsa_user_sgpr_queue_ptr 0
		.amdhsa_user_sgpr_kernarg_segment_ptr 1
		.amdhsa_user_sgpr_dispatch_id 0
		.amdhsa_user_sgpr_private_segment_size 0
		.amdhsa_wavefront_size32 1
		.amdhsa_uses_dynamic_stack 0
		.amdhsa_enable_private_segment 0
		.amdhsa_system_sgpr_workgroup_id_x 1
		.amdhsa_system_sgpr_workgroup_id_y 0
		.amdhsa_system_sgpr_workgroup_id_z 0
		.amdhsa_system_sgpr_workgroup_info 0
		.amdhsa_system_vgpr_workitem_id 0
		.amdhsa_next_free_vgpr 1
		.amdhsa_next_free_sgpr 1
		.amdhsa_reserve_vcc 0
		.amdhsa_float_round_mode_32 0
		.amdhsa_float_round_mode_16_64 0
		.amdhsa_float_denorm_mode_32 3
		.amdhsa_float_denorm_mode_16_64 3
		.amdhsa_dx10_clamp 1
		.amdhsa_ieee_mode 1
		.amdhsa_fp16_overflow 0
		.amdhsa_workgroup_processor_mode 1
		.amdhsa_memory_ordered 1
		.amdhsa_forward_progress 0
		.amdhsa_shared_vgpr_count 0
		.amdhsa_exception_fp_ieee_invalid_op 0
		.amdhsa_exception_fp_denorm_src 0
		.amdhsa_exception_fp_ieee_div_zero 0
		.amdhsa_exception_fp_ieee_overflow 0
		.amdhsa_exception_fp_ieee_underflow 0
		.amdhsa_exception_fp_ieee_inexact 0
		.amdhsa_exception_int_div_zero 0
	.end_amdhsa_kernel
	.section	.text._ZN7rocprim17ROCPRIM_400000_NS6detail17trampoline_kernelINS0_14default_configENS1_25partition_config_selectorILNS1_17partition_subalgoE5ElNS0_10empty_typeEbEEZZNS1_14partition_implILS5_5ELb0ES3_mN6hipcub16HIPCUB_304000_NS21CountingInputIteratorIllEEPS6_NSA_22TransformInputIteratorIbN2at6native12_GLOBAL__N_19NonZeroOpIN3c107complexIdEEEEPKSL_lEENS0_5tupleIJPlS6_EEENSQ_IJSD_SD_EEES6_PiJS6_EEE10hipError_tPvRmT3_T4_T5_T6_T7_T9_mT8_P12ihipStream_tbDpT10_ENKUlT_T0_E_clISt17integral_constantIbLb0EES1D_IbLb1EEEEDaS19_S1A_EUlS19_E_NS1_11comp_targetILNS1_3genE8ELNS1_11target_archE1030ELNS1_3gpuE2ELNS1_3repE0EEENS1_30default_config_static_selectorELNS0_4arch9wavefront6targetE0EEEvT1_,"axG",@progbits,_ZN7rocprim17ROCPRIM_400000_NS6detail17trampoline_kernelINS0_14default_configENS1_25partition_config_selectorILNS1_17partition_subalgoE5ElNS0_10empty_typeEbEEZZNS1_14partition_implILS5_5ELb0ES3_mN6hipcub16HIPCUB_304000_NS21CountingInputIteratorIllEEPS6_NSA_22TransformInputIteratorIbN2at6native12_GLOBAL__N_19NonZeroOpIN3c107complexIdEEEEPKSL_lEENS0_5tupleIJPlS6_EEENSQ_IJSD_SD_EEES6_PiJS6_EEE10hipError_tPvRmT3_T4_T5_T6_T7_T9_mT8_P12ihipStream_tbDpT10_ENKUlT_T0_E_clISt17integral_constantIbLb0EES1D_IbLb1EEEEDaS19_S1A_EUlS19_E_NS1_11comp_targetILNS1_3genE8ELNS1_11target_archE1030ELNS1_3gpuE2ELNS1_3repE0EEENS1_30default_config_static_selectorELNS0_4arch9wavefront6targetE0EEEvT1_,comdat
.Lfunc_end557:
	.size	_ZN7rocprim17ROCPRIM_400000_NS6detail17trampoline_kernelINS0_14default_configENS1_25partition_config_selectorILNS1_17partition_subalgoE5ElNS0_10empty_typeEbEEZZNS1_14partition_implILS5_5ELb0ES3_mN6hipcub16HIPCUB_304000_NS21CountingInputIteratorIllEEPS6_NSA_22TransformInputIteratorIbN2at6native12_GLOBAL__N_19NonZeroOpIN3c107complexIdEEEEPKSL_lEENS0_5tupleIJPlS6_EEENSQ_IJSD_SD_EEES6_PiJS6_EEE10hipError_tPvRmT3_T4_T5_T6_T7_T9_mT8_P12ihipStream_tbDpT10_ENKUlT_T0_E_clISt17integral_constantIbLb0EES1D_IbLb1EEEEDaS19_S1A_EUlS19_E_NS1_11comp_targetILNS1_3genE8ELNS1_11target_archE1030ELNS1_3gpuE2ELNS1_3repE0EEENS1_30default_config_static_selectorELNS0_4arch9wavefront6targetE0EEEvT1_, .Lfunc_end557-_ZN7rocprim17ROCPRIM_400000_NS6detail17trampoline_kernelINS0_14default_configENS1_25partition_config_selectorILNS1_17partition_subalgoE5ElNS0_10empty_typeEbEEZZNS1_14partition_implILS5_5ELb0ES3_mN6hipcub16HIPCUB_304000_NS21CountingInputIteratorIllEEPS6_NSA_22TransformInputIteratorIbN2at6native12_GLOBAL__N_19NonZeroOpIN3c107complexIdEEEEPKSL_lEENS0_5tupleIJPlS6_EEENSQ_IJSD_SD_EEES6_PiJS6_EEE10hipError_tPvRmT3_T4_T5_T6_T7_T9_mT8_P12ihipStream_tbDpT10_ENKUlT_T0_E_clISt17integral_constantIbLb0EES1D_IbLb1EEEEDaS19_S1A_EUlS19_E_NS1_11comp_targetILNS1_3genE8ELNS1_11target_archE1030ELNS1_3gpuE2ELNS1_3repE0EEENS1_30default_config_static_selectorELNS0_4arch9wavefront6targetE0EEEvT1_
                                        ; -- End function
	.section	.AMDGPU.csdata,"",@progbits
; Kernel info:
; codeLenInByte = 0
; NumSgprs: 0
; NumVgprs: 0
; ScratchSize: 0
; MemoryBound: 0
; FloatMode: 240
; IeeeMode: 1
; LDSByteSize: 0 bytes/workgroup (compile time only)
; SGPRBlocks: 0
; VGPRBlocks: 0
; NumSGPRsForWavesPerEU: 1
; NumVGPRsForWavesPerEU: 1
; Occupancy: 16
; WaveLimiterHint : 0
; COMPUTE_PGM_RSRC2:SCRATCH_EN: 0
; COMPUTE_PGM_RSRC2:USER_SGPR: 15
; COMPUTE_PGM_RSRC2:TRAP_HANDLER: 0
; COMPUTE_PGM_RSRC2:TGID_X_EN: 1
; COMPUTE_PGM_RSRC2:TGID_Y_EN: 0
; COMPUTE_PGM_RSRC2:TGID_Z_EN: 0
; COMPUTE_PGM_RSRC2:TIDIG_COMP_CNT: 0
	.section	.text._ZN7rocprim17ROCPRIM_400000_NS6detail17trampoline_kernelINS0_14default_configENS1_22reduce_config_selectorIiEEZNS1_11reduce_implILb1ES3_PiS7_iN6hipcub16HIPCUB_304000_NS6detail34convert_binary_result_type_wrapperINS9_3SumENS9_22TransformInputIteratorIbN2at6native12_GLOBAL__N_19NonZeroOpIN3c107complexIfEEEEPKSK_lEEiEEEE10hipError_tPvRmT1_T2_T3_mT4_P12ihipStream_tbEUlT_E0_NS1_11comp_targetILNS1_3genE0ELNS1_11target_archE4294967295ELNS1_3gpuE0ELNS1_3repE0EEENS1_30default_config_static_selectorELNS0_4arch9wavefront6targetE0EEEvST_,"axG",@progbits,_ZN7rocprim17ROCPRIM_400000_NS6detail17trampoline_kernelINS0_14default_configENS1_22reduce_config_selectorIiEEZNS1_11reduce_implILb1ES3_PiS7_iN6hipcub16HIPCUB_304000_NS6detail34convert_binary_result_type_wrapperINS9_3SumENS9_22TransformInputIteratorIbN2at6native12_GLOBAL__N_19NonZeroOpIN3c107complexIfEEEEPKSK_lEEiEEEE10hipError_tPvRmT1_T2_T3_mT4_P12ihipStream_tbEUlT_E0_NS1_11comp_targetILNS1_3genE0ELNS1_11target_archE4294967295ELNS1_3gpuE0ELNS1_3repE0EEENS1_30default_config_static_selectorELNS0_4arch9wavefront6targetE0EEEvST_,comdat
	.globl	_ZN7rocprim17ROCPRIM_400000_NS6detail17trampoline_kernelINS0_14default_configENS1_22reduce_config_selectorIiEEZNS1_11reduce_implILb1ES3_PiS7_iN6hipcub16HIPCUB_304000_NS6detail34convert_binary_result_type_wrapperINS9_3SumENS9_22TransformInputIteratorIbN2at6native12_GLOBAL__N_19NonZeroOpIN3c107complexIfEEEEPKSK_lEEiEEEE10hipError_tPvRmT1_T2_T3_mT4_P12ihipStream_tbEUlT_E0_NS1_11comp_targetILNS1_3genE0ELNS1_11target_archE4294967295ELNS1_3gpuE0ELNS1_3repE0EEENS1_30default_config_static_selectorELNS0_4arch9wavefront6targetE0EEEvST_ ; -- Begin function _ZN7rocprim17ROCPRIM_400000_NS6detail17trampoline_kernelINS0_14default_configENS1_22reduce_config_selectorIiEEZNS1_11reduce_implILb1ES3_PiS7_iN6hipcub16HIPCUB_304000_NS6detail34convert_binary_result_type_wrapperINS9_3SumENS9_22TransformInputIteratorIbN2at6native12_GLOBAL__N_19NonZeroOpIN3c107complexIfEEEEPKSK_lEEiEEEE10hipError_tPvRmT1_T2_T3_mT4_P12ihipStream_tbEUlT_E0_NS1_11comp_targetILNS1_3genE0ELNS1_11target_archE4294967295ELNS1_3gpuE0ELNS1_3repE0EEENS1_30default_config_static_selectorELNS0_4arch9wavefront6targetE0EEEvST_
	.p2align	8
	.type	_ZN7rocprim17ROCPRIM_400000_NS6detail17trampoline_kernelINS0_14default_configENS1_22reduce_config_selectorIiEEZNS1_11reduce_implILb1ES3_PiS7_iN6hipcub16HIPCUB_304000_NS6detail34convert_binary_result_type_wrapperINS9_3SumENS9_22TransformInputIteratorIbN2at6native12_GLOBAL__N_19NonZeroOpIN3c107complexIfEEEEPKSK_lEEiEEEE10hipError_tPvRmT1_T2_T3_mT4_P12ihipStream_tbEUlT_E0_NS1_11comp_targetILNS1_3genE0ELNS1_11target_archE4294967295ELNS1_3gpuE0ELNS1_3repE0EEENS1_30default_config_static_selectorELNS0_4arch9wavefront6targetE0EEEvST_,@function
_ZN7rocprim17ROCPRIM_400000_NS6detail17trampoline_kernelINS0_14default_configENS1_22reduce_config_selectorIiEEZNS1_11reduce_implILb1ES3_PiS7_iN6hipcub16HIPCUB_304000_NS6detail34convert_binary_result_type_wrapperINS9_3SumENS9_22TransformInputIteratorIbN2at6native12_GLOBAL__N_19NonZeroOpIN3c107complexIfEEEEPKSK_lEEiEEEE10hipError_tPvRmT1_T2_T3_mT4_P12ihipStream_tbEUlT_E0_NS1_11comp_targetILNS1_3genE0ELNS1_11target_archE4294967295ELNS1_3gpuE0ELNS1_3repE0EEENS1_30default_config_static_selectorELNS0_4arch9wavefront6targetE0EEEvST_: ; @_ZN7rocprim17ROCPRIM_400000_NS6detail17trampoline_kernelINS0_14default_configENS1_22reduce_config_selectorIiEEZNS1_11reduce_implILb1ES3_PiS7_iN6hipcub16HIPCUB_304000_NS6detail34convert_binary_result_type_wrapperINS9_3SumENS9_22TransformInputIteratorIbN2at6native12_GLOBAL__N_19NonZeroOpIN3c107complexIfEEEEPKSK_lEEiEEEE10hipError_tPvRmT1_T2_T3_mT4_P12ihipStream_tbEUlT_E0_NS1_11comp_targetILNS1_3genE0ELNS1_11target_archE4294967295ELNS1_3gpuE0ELNS1_3repE0EEENS1_30default_config_static_selectorELNS0_4arch9wavefront6targetE0EEEvST_
; %bb.0:
	.section	.rodata,"a",@progbits
	.p2align	6, 0x0
	.amdhsa_kernel _ZN7rocprim17ROCPRIM_400000_NS6detail17trampoline_kernelINS0_14default_configENS1_22reduce_config_selectorIiEEZNS1_11reduce_implILb1ES3_PiS7_iN6hipcub16HIPCUB_304000_NS6detail34convert_binary_result_type_wrapperINS9_3SumENS9_22TransformInputIteratorIbN2at6native12_GLOBAL__N_19NonZeroOpIN3c107complexIfEEEEPKSK_lEEiEEEE10hipError_tPvRmT1_T2_T3_mT4_P12ihipStream_tbEUlT_E0_NS1_11comp_targetILNS1_3genE0ELNS1_11target_archE4294967295ELNS1_3gpuE0ELNS1_3repE0EEENS1_30default_config_static_selectorELNS0_4arch9wavefront6targetE0EEEvST_
		.amdhsa_group_segment_fixed_size 0
		.amdhsa_private_segment_fixed_size 0
		.amdhsa_kernarg_size 56
		.amdhsa_user_sgpr_count 15
		.amdhsa_user_sgpr_dispatch_ptr 0
		.amdhsa_user_sgpr_queue_ptr 0
		.amdhsa_user_sgpr_kernarg_segment_ptr 1
		.amdhsa_user_sgpr_dispatch_id 0
		.amdhsa_user_sgpr_private_segment_size 0
		.amdhsa_wavefront_size32 1
		.amdhsa_uses_dynamic_stack 0
		.amdhsa_enable_private_segment 0
		.amdhsa_system_sgpr_workgroup_id_x 1
		.amdhsa_system_sgpr_workgroup_id_y 0
		.amdhsa_system_sgpr_workgroup_id_z 0
		.amdhsa_system_sgpr_workgroup_info 0
		.amdhsa_system_vgpr_workitem_id 0
		.amdhsa_next_free_vgpr 1
		.amdhsa_next_free_sgpr 1
		.amdhsa_reserve_vcc 0
		.amdhsa_float_round_mode_32 0
		.amdhsa_float_round_mode_16_64 0
		.amdhsa_float_denorm_mode_32 3
		.amdhsa_float_denorm_mode_16_64 3
		.amdhsa_dx10_clamp 1
		.amdhsa_ieee_mode 1
		.amdhsa_fp16_overflow 0
		.amdhsa_workgroup_processor_mode 1
		.amdhsa_memory_ordered 1
		.amdhsa_forward_progress 0
		.amdhsa_shared_vgpr_count 0
		.amdhsa_exception_fp_ieee_invalid_op 0
		.amdhsa_exception_fp_denorm_src 0
		.amdhsa_exception_fp_ieee_div_zero 0
		.amdhsa_exception_fp_ieee_overflow 0
		.amdhsa_exception_fp_ieee_underflow 0
		.amdhsa_exception_fp_ieee_inexact 0
		.amdhsa_exception_int_div_zero 0
	.end_amdhsa_kernel
	.section	.text._ZN7rocprim17ROCPRIM_400000_NS6detail17trampoline_kernelINS0_14default_configENS1_22reduce_config_selectorIiEEZNS1_11reduce_implILb1ES3_PiS7_iN6hipcub16HIPCUB_304000_NS6detail34convert_binary_result_type_wrapperINS9_3SumENS9_22TransformInputIteratorIbN2at6native12_GLOBAL__N_19NonZeroOpIN3c107complexIfEEEEPKSK_lEEiEEEE10hipError_tPvRmT1_T2_T3_mT4_P12ihipStream_tbEUlT_E0_NS1_11comp_targetILNS1_3genE0ELNS1_11target_archE4294967295ELNS1_3gpuE0ELNS1_3repE0EEENS1_30default_config_static_selectorELNS0_4arch9wavefront6targetE0EEEvST_,"axG",@progbits,_ZN7rocprim17ROCPRIM_400000_NS6detail17trampoline_kernelINS0_14default_configENS1_22reduce_config_selectorIiEEZNS1_11reduce_implILb1ES3_PiS7_iN6hipcub16HIPCUB_304000_NS6detail34convert_binary_result_type_wrapperINS9_3SumENS9_22TransformInputIteratorIbN2at6native12_GLOBAL__N_19NonZeroOpIN3c107complexIfEEEEPKSK_lEEiEEEE10hipError_tPvRmT1_T2_T3_mT4_P12ihipStream_tbEUlT_E0_NS1_11comp_targetILNS1_3genE0ELNS1_11target_archE4294967295ELNS1_3gpuE0ELNS1_3repE0EEENS1_30default_config_static_selectorELNS0_4arch9wavefront6targetE0EEEvST_,comdat
.Lfunc_end558:
	.size	_ZN7rocprim17ROCPRIM_400000_NS6detail17trampoline_kernelINS0_14default_configENS1_22reduce_config_selectorIiEEZNS1_11reduce_implILb1ES3_PiS7_iN6hipcub16HIPCUB_304000_NS6detail34convert_binary_result_type_wrapperINS9_3SumENS9_22TransformInputIteratorIbN2at6native12_GLOBAL__N_19NonZeroOpIN3c107complexIfEEEEPKSK_lEEiEEEE10hipError_tPvRmT1_T2_T3_mT4_P12ihipStream_tbEUlT_E0_NS1_11comp_targetILNS1_3genE0ELNS1_11target_archE4294967295ELNS1_3gpuE0ELNS1_3repE0EEENS1_30default_config_static_selectorELNS0_4arch9wavefront6targetE0EEEvST_, .Lfunc_end558-_ZN7rocprim17ROCPRIM_400000_NS6detail17trampoline_kernelINS0_14default_configENS1_22reduce_config_selectorIiEEZNS1_11reduce_implILb1ES3_PiS7_iN6hipcub16HIPCUB_304000_NS6detail34convert_binary_result_type_wrapperINS9_3SumENS9_22TransformInputIteratorIbN2at6native12_GLOBAL__N_19NonZeroOpIN3c107complexIfEEEEPKSK_lEEiEEEE10hipError_tPvRmT1_T2_T3_mT4_P12ihipStream_tbEUlT_E0_NS1_11comp_targetILNS1_3genE0ELNS1_11target_archE4294967295ELNS1_3gpuE0ELNS1_3repE0EEENS1_30default_config_static_selectorELNS0_4arch9wavefront6targetE0EEEvST_
                                        ; -- End function
	.section	.AMDGPU.csdata,"",@progbits
; Kernel info:
; codeLenInByte = 0
; NumSgprs: 0
; NumVgprs: 0
; ScratchSize: 0
; MemoryBound: 0
; FloatMode: 240
; IeeeMode: 1
; LDSByteSize: 0 bytes/workgroup (compile time only)
; SGPRBlocks: 0
; VGPRBlocks: 0
; NumSGPRsForWavesPerEU: 1
; NumVGPRsForWavesPerEU: 1
; Occupancy: 16
; WaveLimiterHint : 0
; COMPUTE_PGM_RSRC2:SCRATCH_EN: 0
; COMPUTE_PGM_RSRC2:USER_SGPR: 15
; COMPUTE_PGM_RSRC2:TRAP_HANDLER: 0
; COMPUTE_PGM_RSRC2:TGID_X_EN: 1
; COMPUTE_PGM_RSRC2:TGID_Y_EN: 0
; COMPUTE_PGM_RSRC2:TGID_Z_EN: 0
; COMPUTE_PGM_RSRC2:TIDIG_COMP_CNT: 0
	.section	.text._ZN7rocprim17ROCPRIM_400000_NS6detail17trampoline_kernelINS0_14default_configENS1_22reduce_config_selectorIiEEZNS1_11reduce_implILb1ES3_PiS7_iN6hipcub16HIPCUB_304000_NS6detail34convert_binary_result_type_wrapperINS9_3SumENS9_22TransformInputIteratorIbN2at6native12_GLOBAL__N_19NonZeroOpIN3c107complexIfEEEEPKSK_lEEiEEEE10hipError_tPvRmT1_T2_T3_mT4_P12ihipStream_tbEUlT_E0_NS1_11comp_targetILNS1_3genE5ELNS1_11target_archE942ELNS1_3gpuE9ELNS1_3repE0EEENS1_30default_config_static_selectorELNS0_4arch9wavefront6targetE0EEEvST_,"axG",@progbits,_ZN7rocprim17ROCPRIM_400000_NS6detail17trampoline_kernelINS0_14default_configENS1_22reduce_config_selectorIiEEZNS1_11reduce_implILb1ES3_PiS7_iN6hipcub16HIPCUB_304000_NS6detail34convert_binary_result_type_wrapperINS9_3SumENS9_22TransformInputIteratorIbN2at6native12_GLOBAL__N_19NonZeroOpIN3c107complexIfEEEEPKSK_lEEiEEEE10hipError_tPvRmT1_T2_T3_mT4_P12ihipStream_tbEUlT_E0_NS1_11comp_targetILNS1_3genE5ELNS1_11target_archE942ELNS1_3gpuE9ELNS1_3repE0EEENS1_30default_config_static_selectorELNS0_4arch9wavefront6targetE0EEEvST_,comdat
	.globl	_ZN7rocprim17ROCPRIM_400000_NS6detail17trampoline_kernelINS0_14default_configENS1_22reduce_config_selectorIiEEZNS1_11reduce_implILb1ES3_PiS7_iN6hipcub16HIPCUB_304000_NS6detail34convert_binary_result_type_wrapperINS9_3SumENS9_22TransformInputIteratorIbN2at6native12_GLOBAL__N_19NonZeroOpIN3c107complexIfEEEEPKSK_lEEiEEEE10hipError_tPvRmT1_T2_T3_mT4_P12ihipStream_tbEUlT_E0_NS1_11comp_targetILNS1_3genE5ELNS1_11target_archE942ELNS1_3gpuE9ELNS1_3repE0EEENS1_30default_config_static_selectorELNS0_4arch9wavefront6targetE0EEEvST_ ; -- Begin function _ZN7rocprim17ROCPRIM_400000_NS6detail17trampoline_kernelINS0_14default_configENS1_22reduce_config_selectorIiEEZNS1_11reduce_implILb1ES3_PiS7_iN6hipcub16HIPCUB_304000_NS6detail34convert_binary_result_type_wrapperINS9_3SumENS9_22TransformInputIteratorIbN2at6native12_GLOBAL__N_19NonZeroOpIN3c107complexIfEEEEPKSK_lEEiEEEE10hipError_tPvRmT1_T2_T3_mT4_P12ihipStream_tbEUlT_E0_NS1_11comp_targetILNS1_3genE5ELNS1_11target_archE942ELNS1_3gpuE9ELNS1_3repE0EEENS1_30default_config_static_selectorELNS0_4arch9wavefront6targetE0EEEvST_
	.p2align	8
	.type	_ZN7rocprim17ROCPRIM_400000_NS6detail17trampoline_kernelINS0_14default_configENS1_22reduce_config_selectorIiEEZNS1_11reduce_implILb1ES3_PiS7_iN6hipcub16HIPCUB_304000_NS6detail34convert_binary_result_type_wrapperINS9_3SumENS9_22TransformInputIteratorIbN2at6native12_GLOBAL__N_19NonZeroOpIN3c107complexIfEEEEPKSK_lEEiEEEE10hipError_tPvRmT1_T2_T3_mT4_P12ihipStream_tbEUlT_E0_NS1_11comp_targetILNS1_3genE5ELNS1_11target_archE942ELNS1_3gpuE9ELNS1_3repE0EEENS1_30default_config_static_selectorELNS0_4arch9wavefront6targetE0EEEvST_,@function
_ZN7rocprim17ROCPRIM_400000_NS6detail17trampoline_kernelINS0_14default_configENS1_22reduce_config_selectorIiEEZNS1_11reduce_implILb1ES3_PiS7_iN6hipcub16HIPCUB_304000_NS6detail34convert_binary_result_type_wrapperINS9_3SumENS9_22TransformInputIteratorIbN2at6native12_GLOBAL__N_19NonZeroOpIN3c107complexIfEEEEPKSK_lEEiEEEE10hipError_tPvRmT1_T2_T3_mT4_P12ihipStream_tbEUlT_E0_NS1_11comp_targetILNS1_3genE5ELNS1_11target_archE942ELNS1_3gpuE9ELNS1_3repE0EEENS1_30default_config_static_selectorELNS0_4arch9wavefront6targetE0EEEvST_: ; @_ZN7rocprim17ROCPRIM_400000_NS6detail17trampoline_kernelINS0_14default_configENS1_22reduce_config_selectorIiEEZNS1_11reduce_implILb1ES3_PiS7_iN6hipcub16HIPCUB_304000_NS6detail34convert_binary_result_type_wrapperINS9_3SumENS9_22TransformInputIteratorIbN2at6native12_GLOBAL__N_19NonZeroOpIN3c107complexIfEEEEPKSK_lEEiEEEE10hipError_tPvRmT1_T2_T3_mT4_P12ihipStream_tbEUlT_E0_NS1_11comp_targetILNS1_3genE5ELNS1_11target_archE942ELNS1_3gpuE9ELNS1_3repE0EEENS1_30default_config_static_selectorELNS0_4arch9wavefront6targetE0EEEvST_
; %bb.0:
	.section	.rodata,"a",@progbits
	.p2align	6, 0x0
	.amdhsa_kernel _ZN7rocprim17ROCPRIM_400000_NS6detail17trampoline_kernelINS0_14default_configENS1_22reduce_config_selectorIiEEZNS1_11reduce_implILb1ES3_PiS7_iN6hipcub16HIPCUB_304000_NS6detail34convert_binary_result_type_wrapperINS9_3SumENS9_22TransformInputIteratorIbN2at6native12_GLOBAL__N_19NonZeroOpIN3c107complexIfEEEEPKSK_lEEiEEEE10hipError_tPvRmT1_T2_T3_mT4_P12ihipStream_tbEUlT_E0_NS1_11comp_targetILNS1_3genE5ELNS1_11target_archE942ELNS1_3gpuE9ELNS1_3repE0EEENS1_30default_config_static_selectorELNS0_4arch9wavefront6targetE0EEEvST_
		.amdhsa_group_segment_fixed_size 0
		.amdhsa_private_segment_fixed_size 0
		.amdhsa_kernarg_size 56
		.amdhsa_user_sgpr_count 15
		.amdhsa_user_sgpr_dispatch_ptr 0
		.amdhsa_user_sgpr_queue_ptr 0
		.amdhsa_user_sgpr_kernarg_segment_ptr 1
		.amdhsa_user_sgpr_dispatch_id 0
		.amdhsa_user_sgpr_private_segment_size 0
		.amdhsa_wavefront_size32 1
		.amdhsa_uses_dynamic_stack 0
		.amdhsa_enable_private_segment 0
		.amdhsa_system_sgpr_workgroup_id_x 1
		.amdhsa_system_sgpr_workgroup_id_y 0
		.amdhsa_system_sgpr_workgroup_id_z 0
		.amdhsa_system_sgpr_workgroup_info 0
		.amdhsa_system_vgpr_workitem_id 0
		.amdhsa_next_free_vgpr 1
		.amdhsa_next_free_sgpr 1
		.amdhsa_reserve_vcc 0
		.amdhsa_float_round_mode_32 0
		.amdhsa_float_round_mode_16_64 0
		.amdhsa_float_denorm_mode_32 3
		.amdhsa_float_denorm_mode_16_64 3
		.amdhsa_dx10_clamp 1
		.amdhsa_ieee_mode 1
		.amdhsa_fp16_overflow 0
		.amdhsa_workgroup_processor_mode 1
		.amdhsa_memory_ordered 1
		.amdhsa_forward_progress 0
		.amdhsa_shared_vgpr_count 0
		.amdhsa_exception_fp_ieee_invalid_op 0
		.amdhsa_exception_fp_denorm_src 0
		.amdhsa_exception_fp_ieee_div_zero 0
		.amdhsa_exception_fp_ieee_overflow 0
		.amdhsa_exception_fp_ieee_underflow 0
		.amdhsa_exception_fp_ieee_inexact 0
		.amdhsa_exception_int_div_zero 0
	.end_amdhsa_kernel
	.section	.text._ZN7rocprim17ROCPRIM_400000_NS6detail17trampoline_kernelINS0_14default_configENS1_22reduce_config_selectorIiEEZNS1_11reduce_implILb1ES3_PiS7_iN6hipcub16HIPCUB_304000_NS6detail34convert_binary_result_type_wrapperINS9_3SumENS9_22TransformInputIteratorIbN2at6native12_GLOBAL__N_19NonZeroOpIN3c107complexIfEEEEPKSK_lEEiEEEE10hipError_tPvRmT1_T2_T3_mT4_P12ihipStream_tbEUlT_E0_NS1_11comp_targetILNS1_3genE5ELNS1_11target_archE942ELNS1_3gpuE9ELNS1_3repE0EEENS1_30default_config_static_selectorELNS0_4arch9wavefront6targetE0EEEvST_,"axG",@progbits,_ZN7rocprim17ROCPRIM_400000_NS6detail17trampoline_kernelINS0_14default_configENS1_22reduce_config_selectorIiEEZNS1_11reduce_implILb1ES3_PiS7_iN6hipcub16HIPCUB_304000_NS6detail34convert_binary_result_type_wrapperINS9_3SumENS9_22TransformInputIteratorIbN2at6native12_GLOBAL__N_19NonZeroOpIN3c107complexIfEEEEPKSK_lEEiEEEE10hipError_tPvRmT1_T2_T3_mT4_P12ihipStream_tbEUlT_E0_NS1_11comp_targetILNS1_3genE5ELNS1_11target_archE942ELNS1_3gpuE9ELNS1_3repE0EEENS1_30default_config_static_selectorELNS0_4arch9wavefront6targetE0EEEvST_,comdat
.Lfunc_end559:
	.size	_ZN7rocprim17ROCPRIM_400000_NS6detail17trampoline_kernelINS0_14default_configENS1_22reduce_config_selectorIiEEZNS1_11reduce_implILb1ES3_PiS7_iN6hipcub16HIPCUB_304000_NS6detail34convert_binary_result_type_wrapperINS9_3SumENS9_22TransformInputIteratorIbN2at6native12_GLOBAL__N_19NonZeroOpIN3c107complexIfEEEEPKSK_lEEiEEEE10hipError_tPvRmT1_T2_T3_mT4_P12ihipStream_tbEUlT_E0_NS1_11comp_targetILNS1_3genE5ELNS1_11target_archE942ELNS1_3gpuE9ELNS1_3repE0EEENS1_30default_config_static_selectorELNS0_4arch9wavefront6targetE0EEEvST_, .Lfunc_end559-_ZN7rocprim17ROCPRIM_400000_NS6detail17trampoline_kernelINS0_14default_configENS1_22reduce_config_selectorIiEEZNS1_11reduce_implILb1ES3_PiS7_iN6hipcub16HIPCUB_304000_NS6detail34convert_binary_result_type_wrapperINS9_3SumENS9_22TransformInputIteratorIbN2at6native12_GLOBAL__N_19NonZeroOpIN3c107complexIfEEEEPKSK_lEEiEEEE10hipError_tPvRmT1_T2_T3_mT4_P12ihipStream_tbEUlT_E0_NS1_11comp_targetILNS1_3genE5ELNS1_11target_archE942ELNS1_3gpuE9ELNS1_3repE0EEENS1_30default_config_static_selectorELNS0_4arch9wavefront6targetE0EEEvST_
                                        ; -- End function
	.section	.AMDGPU.csdata,"",@progbits
; Kernel info:
; codeLenInByte = 0
; NumSgprs: 0
; NumVgprs: 0
; ScratchSize: 0
; MemoryBound: 0
; FloatMode: 240
; IeeeMode: 1
; LDSByteSize: 0 bytes/workgroup (compile time only)
; SGPRBlocks: 0
; VGPRBlocks: 0
; NumSGPRsForWavesPerEU: 1
; NumVGPRsForWavesPerEU: 1
; Occupancy: 16
; WaveLimiterHint : 0
; COMPUTE_PGM_RSRC2:SCRATCH_EN: 0
; COMPUTE_PGM_RSRC2:USER_SGPR: 15
; COMPUTE_PGM_RSRC2:TRAP_HANDLER: 0
; COMPUTE_PGM_RSRC2:TGID_X_EN: 1
; COMPUTE_PGM_RSRC2:TGID_Y_EN: 0
; COMPUTE_PGM_RSRC2:TGID_Z_EN: 0
; COMPUTE_PGM_RSRC2:TIDIG_COMP_CNT: 0
	.section	.text._ZN7rocprim17ROCPRIM_400000_NS6detail17trampoline_kernelINS0_14default_configENS1_22reduce_config_selectorIiEEZNS1_11reduce_implILb1ES3_PiS7_iN6hipcub16HIPCUB_304000_NS6detail34convert_binary_result_type_wrapperINS9_3SumENS9_22TransformInputIteratorIbN2at6native12_GLOBAL__N_19NonZeroOpIN3c107complexIfEEEEPKSK_lEEiEEEE10hipError_tPvRmT1_T2_T3_mT4_P12ihipStream_tbEUlT_E0_NS1_11comp_targetILNS1_3genE4ELNS1_11target_archE910ELNS1_3gpuE8ELNS1_3repE0EEENS1_30default_config_static_selectorELNS0_4arch9wavefront6targetE0EEEvST_,"axG",@progbits,_ZN7rocprim17ROCPRIM_400000_NS6detail17trampoline_kernelINS0_14default_configENS1_22reduce_config_selectorIiEEZNS1_11reduce_implILb1ES3_PiS7_iN6hipcub16HIPCUB_304000_NS6detail34convert_binary_result_type_wrapperINS9_3SumENS9_22TransformInputIteratorIbN2at6native12_GLOBAL__N_19NonZeroOpIN3c107complexIfEEEEPKSK_lEEiEEEE10hipError_tPvRmT1_T2_T3_mT4_P12ihipStream_tbEUlT_E0_NS1_11comp_targetILNS1_3genE4ELNS1_11target_archE910ELNS1_3gpuE8ELNS1_3repE0EEENS1_30default_config_static_selectorELNS0_4arch9wavefront6targetE0EEEvST_,comdat
	.globl	_ZN7rocprim17ROCPRIM_400000_NS6detail17trampoline_kernelINS0_14default_configENS1_22reduce_config_selectorIiEEZNS1_11reduce_implILb1ES3_PiS7_iN6hipcub16HIPCUB_304000_NS6detail34convert_binary_result_type_wrapperINS9_3SumENS9_22TransformInputIteratorIbN2at6native12_GLOBAL__N_19NonZeroOpIN3c107complexIfEEEEPKSK_lEEiEEEE10hipError_tPvRmT1_T2_T3_mT4_P12ihipStream_tbEUlT_E0_NS1_11comp_targetILNS1_3genE4ELNS1_11target_archE910ELNS1_3gpuE8ELNS1_3repE0EEENS1_30default_config_static_selectorELNS0_4arch9wavefront6targetE0EEEvST_ ; -- Begin function _ZN7rocprim17ROCPRIM_400000_NS6detail17trampoline_kernelINS0_14default_configENS1_22reduce_config_selectorIiEEZNS1_11reduce_implILb1ES3_PiS7_iN6hipcub16HIPCUB_304000_NS6detail34convert_binary_result_type_wrapperINS9_3SumENS9_22TransformInputIteratorIbN2at6native12_GLOBAL__N_19NonZeroOpIN3c107complexIfEEEEPKSK_lEEiEEEE10hipError_tPvRmT1_T2_T3_mT4_P12ihipStream_tbEUlT_E0_NS1_11comp_targetILNS1_3genE4ELNS1_11target_archE910ELNS1_3gpuE8ELNS1_3repE0EEENS1_30default_config_static_selectorELNS0_4arch9wavefront6targetE0EEEvST_
	.p2align	8
	.type	_ZN7rocprim17ROCPRIM_400000_NS6detail17trampoline_kernelINS0_14default_configENS1_22reduce_config_selectorIiEEZNS1_11reduce_implILb1ES3_PiS7_iN6hipcub16HIPCUB_304000_NS6detail34convert_binary_result_type_wrapperINS9_3SumENS9_22TransformInputIteratorIbN2at6native12_GLOBAL__N_19NonZeroOpIN3c107complexIfEEEEPKSK_lEEiEEEE10hipError_tPvRmT1_T2_T3_mT4_P12ihipStream_tbEUlT_E0_NS1_11comp_targetILNS1_3genE4ELNS1_11target_archE910ELNS1_3gpuE8ELNS1_3repE0EEENS1_30default_config_static_selectorELNS0_4arch9wavefront6targetE0EEEvST_,@function
_ZN7rocprim17ROCPRIM_400000_NS6detail17trampoline_kernelINS0_14default_configENS1_22reduce_config_selectorIiEEZNS1_11reduce_implILb1ES3_PiS7_iN6hipcub16HIPCUB_304000_NS6detail34convert_binary_result_type_wrapperINS9_3SumENS9_22TransformInputIteratorIbN2at6native12_GLOBAL__N_19NonZeroOpIN3c107complexIfEEEEPKSK_lEEiEEEE10hipError_tPvRmT1_T2_T3_mT4_P12ihipStream_tbEUlT_E0_NS1_11comp_targetILNS1_3genE4ELNS1_11target_archE910ELNS1_3gpuE8ELNS1_3repE0EEENS1_30default_config_static_selectorELNS0_4arch9wavefront6targetE0EEEvST_: ; @_ZN7rocprim17ROCPRIM_400000_NS6detail17trampoline_kernelINS0_14default_configENS1_22reduce_config_selectorIiEEZNS1_11reduce_implILb1ES3_PiS7_iN6hipcub16HIPCUB_304000_NS6detail34convert_binary_result_type_wrapperINS9_3SumENS9_22TransformInputIteratorIbN2at6native12_GLOBAL__N_19NonZeroOpIN3c107complexIfEEEEPKSK_lEEiEEEE10hipError_tPvRmT1_T2_T3_mT4_P12ihipStream_tbEUlT_E0_NS1_11comp_targetILNS1_3genE4ELNS1_11target_archE910ELNS1_3gpuE8ELNS1_3repE0EEENS1_30default_config_static_selectorELNS0_4arch9wavefront6targetE0EEEvST_
; %bb.0:
	.section	.rodata,"a",@progbits
	.p2align	6, 0x0
	.amdhsa_kernel _ZN7rocprim17ROCPRIM_400000_NS6detail17trampoline_kernelINS0_14default_configENS1_22reduce_config_selectorIiEEZNS1_11reduce_implILb1ES3_PiS7_iN6hipcub16HIPCUB_304000_NS6detail34convert_binary_result_type_wrapperINS9_3SumENS9_22TransformInputIteratorIbN2at6native12_GLOBAL__N_19NonZeroOpIN3c107complexIfEEEEPKSK_lEEiEEEE10hipError_tPvRmT1_T2_T3_mT4_P12ihipStream_tbEUlT_E0_NS1_11comp_targetILNS1_3genE4ELNS1_11target_archE910ELNS1_3gpuE8ELNS1_3repE0EEENS1_30default_config_static_selectorELNS0_4arch9wavefront6targetE0EEEvST_
		.amdhsa_group_segment_fixed_size 0
		.amdhsa_private_segment_fixed_size 0
		.amdhsa_kernarg_size 56
		.amdhsa_user_sgpr_count 15
		.amdhsa_user_sgpr_dispatch_ptr 0
		.amdhsa_user_sgpr_queue_ptr 0
		.amdhsa_user_sgpr_kernarg_segment_ptr 1
		.amdhsa_user_sgpr_dispatch_id 0
		.amdhsa_user_sgpr_private_segment_size 0
		.amdhsa_wavefront_size32 1
		.amdhsa_uses_dynamic_stack 0
		.amdhsa_enable_private_segment 0
		.amdhsa_system_sgpr_workgroup_id_x 1
		.amdhsa_system_sgpr_workgroup_id_y 0
		.amdhsa_system_sgpr_workgroup_id_z 0
		.amdhsa_system_sgpr_workgroup_info 0
		.amdhsa_system_vgpr_workitem_id 0
		.amdhsa_next_free_vgpr 1
		.amdhsa_next_free_sgpr 1
		.amdhsa_reserve_vcc 0
		.amdhsa_float_round_mode_32 0
		.amdhsa_float_round_mode_16_64 0
		.amdhsa_float_denorm_mode_32 3
		.amdhsa_float_denorm_mode_16_64 3
		.amdhsa_dx10_clamp 1
		.amdhsa_ieee_mode 1
		.amdhsa_fp16_overflow 0
		.amdhsa_workgroup_processor_mode 1
		.amdhsa_memory_ordered 1
		.amdhsa_forward_progress 0
		.amdhsa_shared_vgpr_count 0
		.amdhsa_exception_fp_ieee_invalid_op 0
		.amdhsa_exception_fp_denorm_src 0
		.amdhsa_exception_fp_ieee_div_zero 0
		.amdhsa_exception_fp_ieee_overflow 0
		.amdhsa_exception_fp_ieee_underflow 0
		.amdhsa_exception_fp_ieee_inexact 0
		.amdhsa_exception_int_div_zero 0
	.end_amdhsa_kernel
	.section	.text._ZN7rocprim17ROCPRIM_400000_NS6detail17trampoline_kernelINS0_14default_configENS1_22reduce_config_selectorIiEEZNS1_11reduce_implILb1ES3_PiS7_iN6hipcub16HIPCUB_304000_NS6detail34convert_binary_result_type_wrapperINS9_3SumENS9_22TransformInputIteratorIbN2at6native12_GLOBAL__N_19NonZeroOpIN3c107complexIfEEEEPKSK_lEEiEEEE10hipError_tPvRmT1_T2_T3_mT4_P12ihipStream_tbEUlT_E0_NS1_11comp_targetILNS1_3genE4ELNS1_11target_archE910ELNS1_3gpuE8ELNS1_3repE0EEENS1_30default_config_static_selectorELNS0_4arch9wavefront6targetE0EEEvST_,"axG",@progbits,_ZN7rocprim17ROCPRIM_400000_NS6detail17trampoline_kernelINS0_14default_configENS1_22reduce_config_selectorIiEEZNS1_11reduce_implILb1ES3_PiS7_iN6hipcub16HIPCUB_304000_NS6detail34convert_binary_result_type_wrapperINS9_3SumENS9_22TransformInputIteratorIbN2at6native12_GLOBAL__N_19NonZeroOpIN3c107complexIfEEEEPKSK_lEEiEEEE10hipError_tPvRmT1_T2_T3_mT4_P12ihipStream_tbEUlT_E0_NS1_11comp_targetILNS1_3genE4ELNS1_11target_archE910ELNS1_3gpuE8ELNS1_3repE0EEENS1_30default_config_static_selectorELNS0_4arch9wavefront6targetE0EEEvST_,comdat
.Lfunc_end560:
	.size	_ZN7rocprim17ROCPRIM_400000_NS6detail17trampoline_kernelINS0_14default_configENS1_22reduce_config_selectorIiEEZNS1_11reduce_implILb1ES3_PiS7_iN6hipcub16HIPCUB_304000_NS6detail34convert_binary_result_type_wrapperINS9_3SumENS9_22TransformInputIteratorIbN2at6native12_GLOBAL__N_19NonZeroOpIN3c107complexIfEEEEPKSK_lEEiEEEE10hipError_tPvRmT1_T2_T3_mT4_P12ihipStream_tbEUlT_E0_NS1_11comp_targetILNS1_3genE4ELNS1_11target_archE910ELNS1_3gpuE8ELNS1_3repE0EEENS1_30default_config_static_selectorELNS0_4arch9wavefront6targetE0EEEvST_, .Lfunc_end560-_ZN7rocprim17ROCPRIM_400000_NS6detail17trampoline_kernelINS0_14default_configENS1_22reduce_config_selectorIiEEZNS1_11reduce_implILb1ES3_PiS7_iN6hipcub16HIPCUB_304000_NS6detail34convert_binary_result_type_wrapperINS9_3SumENS9_22TransformInputIteratorIbN2at6native12_GLOBAL__N_19NonZeroOpIN3c107complexIfEEEEPKSK_lEEiEEEE10hipError_tPvRmT1_T2_T3_mT4_P12ihipStream_tbEUlT_E0_NS1_11comp_targetILNS1_3genE4ELNS1_11target_archE910ELNS1_3gpuE8ELNS1_3repE0EEENS1_30default_config_static_selectorELNS0_4arch9wavefront6targetE0EEEvST_
                                        ; -- End function
	.section	.AMDGPU.csdata,"",@progbits
; Kernel info:
; codeLenInByte = 0
; NumSgprs: 0
; NumVgprs: 0
; ScratchSize: 0
; MemoryBound: 0
; FloatMode: 240
; IeeeMode: 1
; LDSByteSize: 0 bytes/workgroup (compile time only)
; SGPRBlocks: 0
; VGPRBlocks: 0
; NumSGPRsForWavesPerEU: 1
; NumVGPRsForWavesPerEU: 1
; Occupancy: 16
; WaveLimiterHint : 0
; COMPUTE_PGM_RSRC2:SCRATCH_EN: 0
; COMPUTE_PGM_RSRC2:USER_SGPR: 15
; COMPUTE_PGM_RSRC2:TRAP_HANDLER: 0
; COMPUTE_PGM_RSRC2:TGID_X_EN: 1
; COMPUTE_PGM_RSRC2:TGID_Y_EN: 0
; COMPUTE_PGM_RSRC2:TGID_Z_EN: 0
; COMPUTE_PGM_RSRC2:TIDIG_COMP_CNT: 0
	.section	.text._ZN7rocprim17ROCPRIM_400000_NS6detail17trampoline_kernelINS0_14default_configENS1_22reduce_config_selectorIiEEZNS1_11reduce_implILb1ES3_PiS7_iN6hipcub16HIPCUB_304000_NS6detail34convert_binary_result_type_wrapperINS9_3SumENS9_22TransformInputIteratorIbN2at6native12_GLOBAL__N_19NonZeroOpIN3c107complexIfEEEEPKSK_lEEiEEEE10hipError_tPvRmT1_T2_T3_mT4_P12ihipStream_tbEUlT_E0_NS1_11comp_targetILNS1_3genE3ELNS1_11target_archE908ELNS1_3gpuE7ELNS1_3repE0EEENS1_30default_config_static_selectorELNS0_4arch9wavefront6targetE0EEEvST_,"axG",@progbits,_ZN7rocprim17ROCPRIM_400000_NS6detail17trampoline_kernelINS0_14default_configENS1_22reduce_config_selectorIiEEZNS1_11reduce_implILb1ES3_PiS7_iN6hipcub16HIPCUB_304000_NS6detail34convert_binary_result_type_wrapperINS9_3SumENS9_22TransformInputIteratorIbN2at6native12_GLOBAL__N_19NonZeroOpIN3c107complexIfEEEEPKSK_lEEiEEEE10hipError_tPvRmT1_T2_T3_mT4_P12ihipStream_tbEUlT_E0_NS1_11comp_targetILNS1_3genE3ELNS1_11target_archE908ELNS1_3gpuE7ELNS1_3repE0EEENS1_30default_config_static_selectorELNS0_4arch9wavefront6targetE0EEEvST_,comdat
	.globl	_ZN7rocprim17ROCPRIM_400000_NS6detail17trampoline_kernelINS0_14default_configENS1_22reduce_config_selectorIiEEZNS1_11reduce_implILb1ES3_PiS7_iN6hipcub16HIPCUB_304000_NS6detail34convert_binary_result_type_wrapperINS9_3SumENS9_22TransformInputIteratorIbN2at6native12_GLOBAL__N_19NonZeroOpIN3c107complexIfEEEEPKSK_lEEiEEEE10hipError_tPvRmT1_T2_T3_mT4_P12ihipStream_tbEUlT_E0_NS1_11comp_targetILNS1_3genE3ELNS1_11target_archE908ELNS1_3gpuE7ELNS1_3repE0EEENS1_30default_config_static_selectorELNS0_4arch9wavefront6targetE0EEEvST_ ; -- Begin function _ZN7rocprim17ROCPRIM_400000_NS6detail17trampoline_kernelINS0_14default_configENS1_22reduce_config_selectorIiEEZNS1_11reduce_implILb1ES3_PiS7_iN6hipcub16HIPCUB_304000_NS6detail34convert_binary_result_type_wrapperINS9_3SumENS9_22TransformInputIteratorIbN2at6native12_GLOBAL__N_19NonZeroOpIN3c107complexIfEEEEPKSK_lEEiEEEE10hipError_tPvRmT1_T2_T3_mT4_P12ihipStream_tbEUlT_E0_NS1_11comp_targetILNS1_3genE3ELNS1_11target_archE908ELNS1_3gpuE7ELNS1_3repE0EEENS1_30default_config_static_selectorELNS0_4arch9wavefront6targetE0EEEvST_
	.p2align	8
	.type	_ZN7rocprim17ROCPRIM_400000_NS6detail17trampoline_kernelINS0_14default_configENS1_22reduce_config_selectorIiEEZNS1_11reduce_implILb1ES3_PiS7_iN6hipcub16HIPCUB_304000_NS6detail34convert_binary_result_type_wrapperINS9_3SumENS9_22TransformInputIteratorIbN2at6native12_GLOBAL__N_19NonZeroOpIN3c107complexIfEEEEPKSK_lEEiEEEE10hipError_tPvRmT1_T2_T3_mT4_P12ihipStream_tbEUlT_E0_NS1_11comp_targetILNS1_3genE3ELNS1_11target_archE908ELNS1_3gpuE7ELNS1_3repE0EEENS1_30default_config_static_selectorELNS0_4arch9wavefront6targetE0EEEvST_,@function
_ZN7rocprim17ROCPRIM_400000_NS6detail17trampoline_kernelINS0_14default_configENS1_22reduce_config_selectorIiEEZNS1_11reduce_implILb1ES3_PiS7_iN6hipcub16HIPCUB_304000_NS6detail34convert_binary_result_type_wrapperINS9_3SumENS9_22TransformInputIteratorIbN2at6native12_GLOBAL__N_19NonZeroOpIN3c107complexIfEEEEPKSK_lEEiEEEE10hipError_tPvRmT1_T2_T3_mT4_P12ihipStream_tbEUlT_E0_NS1_11comp_targetILNS1_3genE3ELNS1_11target_archE908ELNS1_3gpuE7ELNS1_3repE0EEENS1_30default_config_static_selectorELNS0_4arch9wavefront6targetE0EEEvST_: ; @_ZN7rocprim17ROCPRIM_400000_NS6detail17trampoline_kernelINS0_14default_configENS1_22reduce_config_selectorIiEEZNS1_11reduce_implILb1ES3_PiS7_iN6hipcub16HIPCUB_304000_NS6detail34convert_binary_result_type_wrapperINS9_3SumENS9_22TransformInputIteratorIbN2at6native12_GLOBAL__N_19NonZeroOpIN3c107complexIfEEEEPKSK_lEEiEEEE10hipError_tPvRmT1_T2_T3_mT4_P12ihipStream_tbEUlT_E0_NS1_11comp_targetILNS1_3genE3ELNS1_11target_archE908ELNS1_3gpuE7ELNS1_3repE0EEENS1_30default_config_static_selectorELNS0_4arch9wavefront6targetE0EEEvST_
; %bb.0:
	.section	.rodata,"a",@progbits
	.p2align	6, 0x0
	.amdhsa_kernel _ZN7rocprim17ROCPRIM_400000_NS6detail17trampoline_kernelINS0_14default_configENS1_22reduce_config_selectorIiEEZNS1_11reduce_implILb1ES3_PiS7_iN6hipcub16HIPCUB_304000_NS6detail34convert_binary_result_type_wrapperINS9_3SumENS9_22TransformInputIteratorIbN2at6native12_GLOBAL__N_19NonZeroOpIN3c107complexIfEEEEPKSK_lEEiEEEE10hipError_tPvRmT1_T2_T3_mT4_P12ihipStream_tbEUlT_E0_NS1_11comp_targetILNS1_3genE3ELNS1_11target_archE908ELNS1_3gpuE7ELNS1_3repE0EEENS1_30default_config_static_selectorELNS0_4arch9wavefront6targetE0EEEvST_
		.amdhsa_group_segment_fixed_size 0
		.amdhsa_private_segment_fixed_size 0
		.amdhsa_kernarg_size 56
		.amdhsa_user_sgpr_count 15
		.amdhsa_user_sgpr_dispatch_ptr 0
		.amdhsa_user_sgpr_queue_ptr 0
		.amdhsa_user_sgpr_kernarg_segment_ptr 1
		.amdhsa_user_sgpr_dispatch_id 0
		.amdhsa_user_sgpr_private_segment_size 0
		.amdhsa_wavefront_size32 1
		.amdhsa_uses_dynamic_stack 0
		.amdhsa_enable_private_segment 0
		.amdhsa_system_sgpr_workgroup_id_x 1
		.amdhsa_system_sgpr_workgroup_id_y 0
		.amdhsa_system_sgpr_workgroup_id_z 0
		.amdhsa_system_sgpr_workgroup_info 0
		.amdhsa_system_vgpr_workitem_id 0
		.amdhsa_next_free_vgpr 1
		.amdhsa_next_free_sgpr 1
		.amdhsa_reserve_vcc 0
		.amdhsa_float_round_mode_32 0
		.amdhsa_float_round_mode_16_64 0
		.amdhsa_float_denorm_mode_32 3
		.amdhsa_float_denorm_mode_16_64 3
		.amdhsa_dx10_clamp 1
		.amdhsa_ieee_mode 1
		.amdhsa_fp16_overflow 0
		.amdhsa_workgroup_processor_mode 1
		.amdhsa_memory_ordered 1
		.amdhsa_forward_progress 0
		.amdhsa_shared_vgpr_count 0
		.amdhsa_exception_fp_ieee_invalid_op 0
		.amdhsa_exception_fp_denorm_src 0
		.amdhsa_exception_fp_ieee_div_zero 0
		.amdhsa_exception_fp_ieee_overflow 0
		.amdhsa_exception_fp_ieee_underflow 0
		.amdhsa_exception_fp_ieee_inexact 0
		.amdhsa_exception_int_div_zero 0
	.end_amdhsa_kernel
	.section	.text._ZN7rocprim17ROCPRIM_400000_NS6detail17trampoline_kernelINS0_14default_configENS1_22reduce_config_selectorIiEEZNS1_11reduce_implILb1ES3_PiS7_iN6hipcub16HIPCUB_304000_NS6detail34convert_binary_result_type_wrapperINS9_3SumENS9_22TransformInputIteratorIbN2at6native12_GLOBAL__N_19NonZeroOpIN3c107complexIfEEEEPKSK_lEEiEEEE10hipError_tPvRmT1_T2_T3_mT4_P12ihipStream_tbEUlT_E0_NS1_11comp_targetILNS1_3genE3ELNS1_11target_archE908ELNS1_3gpuE7ELNS1_3repE0EEENS1_30default_config_static_selectorELNS0_4arch9wavefront6targetE0EEEvST_,"axG",@progbits,_ZN7rocprim17ROCPRIM_400000_NS6detail17trampoline_kernelINS0_14default_configENS1_22reduce_config_selectorIiEEZNS1_11reduce_implILb1ES3_PiS7_iN6hipcub16HIPCUB_304000_NS6detail34convert_binary_result_type_wrapperINS9_3SumENS9_22TransformInputIteratorIbN2at6native12_GLOBAL__N_19NonZeroOpIN3c107complexIfEEEEPKSK_lEEiEEEE10hipError_tPvRmT1_T2_T3_mT4_P12ihipStream_tbEUlT_E0_NS1_11comp_targetILNS1_3genE3ELNS1_11target_archE908ELNS1_3gpuE7ELNS1_3repE0EEENS1_30default_config_static_selectorELNS0_4arch9wavefront6targetE0EEEvST_,comdat
.Lfunc_end561:
	.size	_ZN7rocprim17ROCPRIM_400000_NS6detail17trampoline_kernelINS0_14default_configENS1_22reduce_config_selectorIiEEZNS1_11reduce_implILb1ES3_PiS7_iN6hipcub16HIPCUB_304000_NS6detail34convert_binary_result_type_wrapperINS9_3SumENS9_22TransformInputIteratorIbN2at6native12_GLOBAL__N_19NonZeroOpIN3c107complexIfEEEEPKSK_lEEiEEEE10hipError_tPvRmT1_T2_T3_mT4_P12ihipStream_tbEUlT_E0_NS1_11comp_targetILNS1_3genE3ELNS1_11target_archE908ELNS1_3gpuE7ELNS1_3repE0EEENS1_30default_config_static_selectorELNS0_4arch9wavefront6targetE0EEEvST_, .Lfunc_end561-_ZN7rocprim17ROCPRIM_400000_NS6detail17trampoline_kernelINS0_14default_configENS1_22reduce_config_selectorIiEEZNS1_11reduce_implILb1ES3_PiS7_iN6hipcub16HIPCUB_304000_NS6detail34convert_binary_result_type_wrapperINS9_3SumENS9_22TransformInputIteratorIbN2at6native12_GLOBAL__N_19NonZeroOpIN3c107complexIfEEEEPKSK_lEEiEEEE10hipError_tPvRmT1_T2_T3_mT4_P12ihipStream_tbEUlT_E0_NS1_11comp_targetILNS1_3genE3ELNS1_11target_archE908ELNS1_3gpuE7ELNS1_3repE0EEENS1_30default_config_static_selectorELNS0_4arch9wavefront6targetE0EEEvST_
                                        ; -- End function
	.section	.AMDGPU.csdata,"",@progbits
; Kernel info:
; codeLenInByte = 0
; NumSgprs: 0
; NumVgprs: 0
; ScratchSize: 0
; MemoryBound: 0
; FloatMode: 240
; IeeeMode: 1
; LDSByteSize: 0 bytes/workgroup (compile time only)
; SGPRBlocks: 0
; VGPRBlocks: 0
; NumSGPRsForWavesPerEU: 1
; NumVGPRsForWavesPerEU: 1
; Occupancy: 16
; WaveLimiterHint : 0
; COMPUTE_PGM_RSRC2:SCRATCH_EN: 0
; COMPUTE_PGM_RSRC2:USER_SGPR: 15
; COMPUTE_PGM_RSRC2:TRAP_HANDLER: 0
; COMPUTE_PGM_RSRC2:TGID_X_EN: 1
; COMPUTE_PGM_RSRC2:TGID_Y_EN: 0
; COMPUTE_PGM_RSRC2:TGID_Z_EN: 0
; COMPUTE_PGM_RSRC2:TIDIG_COMP_CNT: 0
	.section	.text._ZN7rocprim17ROCPRIM_400000_NS6detail17trampoline_kernelINS0_14default_configENS1_22reduce_config_selectorIiEEZNS1_11reduce_implILb1ES3_PiS7_iN6hipcub16HIPCUB_304000_NS6detail34convert_binary_result_type_wrapperINS9_3SumENS9_22TransformInputIteratorIbN2at6native12_GLOBAL__N_19NonZeroOpIN3c107complexIfEEEEPKSK_lEEiEEEE10hipError_tPvRmT1_T2_T3_mT4_P12ihipStream_tbEUlT_E0_NS1_11comp_targetILNS1_3genE2ELNS1_11target_archE906ELNS1_3gpuE6ELNS1_3repE0EEENS1_30default_config_static_selectorELNS0_4arch9wavefront6targetE0EEEvST_,"axG",@progbits,_ZN7rocprim17ROCPRIM_400000_NS6detail17trampoline_kernelINS0_14default_configENS1_22reduce_config_selectorIiEEZNS1_11reduce_implILb1ES3_PiS7_iN6hipcub16HIPCUB_304000_NS6detail34convert_binary_result_type_wrapperINS9_3SumENS9_22TransformInputIteratorIbN2at6native12_GLOBAL__N_19NonZeroOpIN3c107complexIfEEEEPKSK_lEEiEEEE10hipError_tPvRmT1_T2_T3_mT4_P12ihipStream_tbEUlT_E0_NS1_11comp_targetILNS1_3genE2ELNS1_11target_archE906ELNS1_3gpuE6ELNS1_3repE0EEENS1_30default_config_static_selectorELNS0_4arch9wavefront6targetE0EEEvST_,comdat
	.globl	_ZN7rocprim17ROCPRIM_400000_NS6detail17trampoline_kernelINS0_14default_configENS1_22reduce_config_selectorIiEEZNS1_11reduce_implILb1ES3_PiS7_iN6hipcub16HIPCUB_304000_NS6detail34convert_binary_result_type_wrapperINS9_3SumENS9_22TransformInputIteratorIbN2at6native12_GLOBAL__N_19NonZeroOpIN3c107complexIfEEEEPKSK_lEEiEEEE10hipError_tPvRmT1_T2_T3_mT4_P12ihipStream_tbEUlT_E0_NS1_11comp_targetILNS1_3genE2ELNS1_11target_archE906ELNS1_3gpuE6ELNS1_3repE0EEENS1_30default_config_static_selectorELNS0_4arch9wavefront6targetE0EEEvST_ ; -- Begin function _ZN7rocprim17ROCPRIM_400000_NS6detail17trampoline_kernelINS0_14default_configENS1_22reduce_config_selectorIiEEZNS1_11reduce_implILb1ES3_PiS7_iN6hipcub16HIPCUB_304000_NS6detail34convert_binary_result_type_wrapperINS9_3SumENS9_22TransformInputIteratorIbN2at6native12_GLOBAL__N_19NonZeroOpIN3c107complexIfEEEEPKSK_lEEiEEEE10hipError_tPvRmT1_T2_T3_mT4_P12ihipStream_tbEUlT_E0_NS1_11comp_targetILNS1_3genE2ELNS1_11target_archE906ELNS1_3gpuE6ELNS1_3repE0EEENS1_30default_config_static_selectorELNS0_4arch9wavefront6targetE0EEEvST_
	.p2align	8
	.type	_ZN7rocprim17ROCPRIM_400000_NS6detail17trampoline_kernelINS0_14default_configENS1_22reduce_config_selectorIiEEZNS1_11reduce_implILb1ES3_PiS7_iN6hipcub16HIPCUB_304000_NS6detail34convert_binary_result_type_wrapperINS9_3SumENS9_22TransformInputIteratorIbN2at6native12_GLOBAL__N_19NonZeroOpIN3c107complexIfEEEEPKSK_lEEiEEEE10hipError_tPvRmT1_T2_T3_mT4_P12ihipStream_tbEUlT_E0_NS1_11comp_targetILNS1_3genE2ELNS1_11target_archE906ELNS1_3gpuE6ELNS1_3repE0EEENS1_30default_config_static_selectorELNS0_4arch9wavefront6targetE0EEEvST_,@function
_ZN7rocprim17ROCPRIM_400000_NS6detail17trampoline_kernelINS0_14default_configENS1_22reduce_config_selectorIiEEZNS1_11reduce_implILb1ES3_PiS7_iN6hipcub16HIPCUB_304000_NS6detail34convert_binary_result_type_wrapperINS9_3SumENS9_22TransformInputIteratorIbN2at6native12_GLOBAL__N_19NonZeroOpIN3c107complexIfEEEEPKSK_lEEiEEEE10hipError_tPvRmT1_T2_T3_mT4_P12ihipStream_tbEUlT_E0_NS1_11comp_targetILNS1_3genE2ELNS1_11target_archE906ELNS1_3gpuE6ELNS1_3repE0EEENS1_30default_config_static_selectorELNS0_4arch9wavefront6targetE0EEEvST_: ; @_ZN7rocprim17ROCPRIM_400000_NS6detail17trampoline_kernelINS0_14default_configENS1_22reduce_config_selectorIiEEZNS1_11reduce_implILb1ES3_PiS7_iN6hipcub16HIPCUB_304000_NS6detail34convert_binary_result_type_wrapperINS9_3SumENS9_22TransformInputIteratorIbN2at6native12_GLOBAL__N_19NonZeroOpIN3c107complexIfEEEEPKSK_lEEiEEEE10hipError_tPvRmT1_T2_T3_mT4_P12ihipStream_tbEUlT_E0_NS1_11comp_targetILNS1_3genE2ELNS1_11target_archE906ELNS1_3gpuE6ELNS1_3repE0EEENS1_30default_config_static_selectorELNS0_4arch9wavefront6targetE0EEEvST_
; %bb.0:
	.section	.rodata,"a",@progbits
	.p2align	6, 0x0
	.amdhsa_kernel _ZN7rocprim17ROCPRIM_400000_NS6detail17trampoline_kernelINS0_14default_configENS1_22reduce_config_selectorIiEEZNS1_11reduce_implILb1ES3_PiS7_iN6hipcub16HIPCUB_304000_NS6detail34convert_binary_result_type_wrapperINS9_3SumENS9_22TransformInputIteratorIbN2at6native12_GLOBAL__N_19NonZeroOpIN3c107complexIfEEEEPKSK_lEEiEEEE10hipError_tPvRmT1_T2_T3_mT4_P12ihipStream_tbEUlT_E0_NS1_11comp_targetILNS1_3genE2ELNS1_11target_archE906ELNS1_3gpuE6ELNS1_3repE0EEENS1_30default_config_static_selectorELNS0_4arch9wavefront6targetE0EEEvST_
		.amdhsa_group_segment_fixed_size 0
		.amdhsa_private_segment_fixed_size 0
		.amdhsa_kernarg_size 56
		.amdhsa_user_sgpr_count 15
		.amdhsa_user_sgpr_dispatch_ptr 0
		.amdhsa_user_sgpr_queue_ptr 0
		.amdhsa_user_sgpr_kernarg_segment_ptr 1
		.amdhsa_user_sgpr_dispatch_id 0
		.amdhsa_user_sgpr_private_segment_size 0
		.amdhsa_wavefront_size32 1
		.amdhsa_uses_dynamic_stack 0
		.amdhsa_enable_private_segment 0
		.amdhsa_system_sgpr_workgroup_id_x 1
		.amdhsa_system_sgpr_workgroup_id_y 0
		.amdhsa_system_sgpr_workgroup_id_z 0
		.amdhsa_system_sgpr_workgroup_info 0
		.amdhsa_system_vgpr_workitem_id 0
		.amdhsa_next_free_vgpr 1
		.amdhsa_next_free_sgpr 1
		.amdhsa_reserve_vcc 0
		.amdhsa_float_round_mode_32 0
		.amdhsa_float_round_mode_16_64 0
		.amdhsa_float_denorm_mode_32 3
		.amdhsa_float_denorm_mode_16_64 3
		.amdhsa_dx10_clamp 1
		.amdhsa_ieee_mode 1
		.amdhsa_fp16_overflow 0
		.amdhsa_workgroup_processor_mode 1
		.amdhsa_memory_ordered 1
		.amdhsa_forward_progress 0
		.amdhsa_shared_vgpr_count 0
		.amdhsa_exception_fp_ieee_invalid_op 0
		.amdhsa_exception_fp_denorm_src 0
		.amdhsa_exception_fp_ieee_div_zero 0
		.amdhsa_exception_fp_ieee_overflow 0
		.amdhsa_exception_fp_ieee_underflow 0
		.amdhsa_exception_fp_ieee_inexact 0
		.amdhsa_exception_int_div_zero 0
	.end_amdhsa_kernel
	.section	.text._ZN7rocprim17ROCPRIM_400000_NS6detail17trampoline_kernelINS0_14default_configENS1_22reduce_config_selectorIiEEZNS1_11reduce_implILb1ES3_PiS7_iN6hipcub16HIPCUB_304000_NS6detail34convert_binary_result_type_wrapperINS9_3SumENS9_22TransformInputIteratorIbN2at6native12_GLOBAL__N_19NonZeroOpIN3c107complexIfEEEEPKSK_lEEiEEEE10hipError_tPvRmT1_T2_T3_mT4_P12ihipStream_tbEUlT_E0_NS1_11comp_targetILNS1_3genE2ELNS1_11target_archE906ELNS1_3gpuE6ELNS1_3repE0EEENS1_30default_config_static_selectorELNS0_4arch9wavefront6targetE0EEEvST_,"axG",@progbits,_ZN7rocprim17ROCPRIM_400000_NS6detail17trampoline_kernelINS0_14default_configENS1_22reduce_config_selectorIiEEZNS1_11reduce_implILb1ES3_PiS7_iN6hipcub16HIPCUB_304000_NS6detail34convert_binary_result_type_wrapperINS9_3SumENS9_22TransformInputIteratorIbN2at6native12_GLOBAL__N_19NonZeroOpIN3c107complexIfEEEEPKSK_lEEiEEEE10hipError_tPvRmT1_T2_T3_mT4_P12ihipStream_tbEUlT_E0_NS1_11comp_targetILNS1_3genE2ELNS1_11target_archE906ELNS1_3gpuE6ELNS1_3repE0EEENS1_30default_config_static_selectorELNS0_4arch9wavefront6targetE0EEEvST_,comdat
.Lfunc_end562:
	.size	_ZN7rocprim17ROCPRIM_400000_NS6detail17trampoline_kernelINS0_14default_configENS1_22reduce_config_selectorIiEEZNS1_11reduce_implILb1ES3_PiS7_iN6hipcub16HIPCUB_304000_NS6detail34convert_binary_result_type_wrapperINS9_3SumENS9_22TransformInputIteratorIbN2at6native12_GLOBAL__N_19NonZeroOpIN3c107complexIfEEEEPKSK_lEEiEEEE10hipError_tPvRmT1_T2_T3_mT4_P12ihipStream_tbEUlT_E0_NS1_11comp_targetILNS1_3genE2ELNS1_11target_archE906ELNS1_3gpuE6ELNS1_3repE0EEENS1_30default_config_static_selectorELNS0_4arch9wavefront6targetE0EEEvST_, .Lfunc_end562-_ZN7rocprim17ROCPRIM_400000_NS6detail17trampoline_kernelINS0_14default_configENS1_22reduce_config_selectorIiEEZNS1_11reduce_implILb1ES3_PiS7_iN6hipcub16HIPCUB_304000_NS6detail34convert_binary_result_type_wrapperINS9_3SumENS9_22TransformInputIteratorIbN2at6native12_GLOBAL__N_19NonZeroOpIN3c107complexIfEEEEPKSK_lEEiEEEE10hipError_tPvRmT1_T2_T3_mT4_P12ihipStream_tbEUlT_E0_NS1_11comp_targetILNS1_3genE2ELNS1_11target_archE906ELNS1_3gpuE6ELNS1_3repE0EEENS1_30default_config_static_selectorELNS0_4arch9wavefront6targetE0EEEvST_
                                        ; -- End function
	.section	.AMDGPU.csdata,"",@progbits
; Kernel info:
; codeLenInByte = 0
; NumSgprs: 0
; NumVgprs: 0
; ScratchSize: 0
; MemoryBound: 0
; FloatMode: 240
; IeeeMode: 1
; LDSByteSize: 0 bytes/workgroup (compile time only)
; SGPRBlocks: 0
; VGPRBlocks: 0
; NumSGPRsForWavesPerEU: 1
; NumVGPRsForWavesPerEU: 1
; Occupancy: 16
; WaveLimiterHint : 0
; COMPUTE_PGM_RSRC2:SCRATCH_EN: 0
; COMPUTE_PGM_RSRC2:USER_SGPR: 15
; COMPUTE_PGM_RSRC2:TRAP_HANDLER: 0
; COMPUTE_PGM_RSRC2:TGID_X_EN: 1
; COMPUTE_PGM_RSRC2:TGID_Y_EN: 0
; COMPUTE_PGM_RSRC2:TGID_Z_EN: 0
; COMPUTE_PGM_RSRC2:TIDIG_COMP_CNT: 0
	.section	.text._ZN7rocprim17ROCPRIM_400000_NS6detail17trampoline_kernelINS0_14default_configENS1_22reduce_config_selectorIiEEZNS1_11reduce_implILb1ES3_PiS7_iN6hipcub16HIPCUB_304000_NS6detail34convert_binary_result_type_wrapperINS9_3SumENS9_22TransformInputIteratorIbN2at6native12_GLOBAL__N_19NonZeroOpIN3c107complexIfEEEEPKSK_lEEiEEEE10hipError_tPvRmT1_T2_T3_mT4_P12ihipStream_tbEUlT_E0_NS1_11comp_targetILNS1_3genE10ELNS1_11target_archE1201ELNS1_3gpuE5ELNS1_3repE0EEENS1_30default_config_static_selectorELNS0_4arch9wavefront6targetE0EEEvST_,"axG",@progbits,_ZN7rocprim17ROCPRIM_400000_NS6detail17trampoline_kernelINS0_14default_configENS1_22reduce_config_selectorIiEEZNS1_11reduce_implILb1ES3_PiS7_iN6hipcub16HIPCUB_304000_NS6detail34convert_binary_result_type_wrapperINS9_3SumENS9_22TransformInputIteratorIbN2at6native12_GLOBAL__N_19NonZeroOpIN3c107complexIfEEEEPKSK_lEEiEEEE10hipError_tPvRmT1_T2_T3_mT4_P12ihipStream_tbEUlT_E0_NS1_11comp_targetILNS1_3genE10ELNS1_11target_archE1201ELNS1_3gpuE5ELNS1_3repE0EEENS1_30default_config_static_selectorELNS0_4arch9wavefront6targetE0EEEvST_,comdat
	.globl	_ZN7rocprim17ROCPRIM_400000_NS6detail17trampoline_kernelINS0_14default_configENS1_22reduce_config_selectorIiEEZNS1_11reduce_implILb1ES3_PiS7_iN6hipcub16HIPCUB_304000_NS6detail34convert_binary_result_type_wrapperINS9_3SumENS9_22TransformInputIteratorIbN2at6native12_GLOBAL__N_19NonZeroOpIN3c107complexIfEEEEPKSK_lEEiEEEE10hipError_tPvRmT1_T2_T3_mT4_P12ihipStream_tbEUlT_E0_NS1_11comp_targetILNS1_3genE10ELNS1_11target_archE1201ELNS1_3gpuE5ELNS1_3repE0EEENS1_30default_config_static_selectorELNS0_4arch9wavefront6targetE0EEEvST_ ; -- Begin function _ZN7rocprim17ROCPRIM_400000_NS6detail17trampoline_kernelINS0_14default_configENS1_22reduce_config_selectorIiEEZNS1_11reduce_implILb1ES3_PiS7_iN6hipcub16HIPCUB_304000_NS6detail34convert_binary_result_type_wrapperINS9_3SumENS9_22TransformInputIteratorIbN2at6native12_GLOBAL__N_19NonZeroOpIN3c107complexIfEEEEPKSK_lEEiEEEE10hipError_tPvRmT1_T2_T3_mT4_P12ihipStream_tbEUlT_E0_NS1_11comp_targetILNS1_3genE10ELNS1_11target_archE1201ELNS1_3gpuE5ELNS1_3repE0EEENS1_30default_config_static_selectorELNS0_4arch9wavefront6targetE0EEEvST_
	.p2align	8
	.type	_ZN7rocprim17ROCPRIM_400000_NS6detail17trampoline_kernelINS0_14default_configENS1_22reduce_config_selectorIiEEZNS1_11reduce_implILb1ES3_PiS7_iN6hipcub16HIPCUB_304000_NS6detail34convert_binary_result_type_wrapperINS9_3SumENS9_22TransformInputIteratorIbN2at6native12_GLOBAL__N_19NonZeroOpIN3c107complexIfEEEEPKSK_lEEiEEEE10hipError_tPvRmT1_T2_T3_mT4_P12ihipStream_tbEUlT_E0_NS1_11comp_targetILNS1_3genE10ELNS1_11target_archE1201ELNS1_3gpuE5ELNS1_3repE0EEENS1_30default_config_static_selectorELNS0_4arch9wavefront6targetE0EEEvST_,@function
_ZN7rocprim17ROCPRIM_400000_NS6detail17trampoline_kernelINS0_14default_configENS1_22reduce_config_selectorIiEEZNS1_11reduce_implILb1ES3_PiS7_iN6hipcub16HIPCUB_304000_NS6detail34convert_binary_result_type_wrapperINS9_3SumENS9_22TransformInputIteratorIbN2at6native12_GLOBAL__N_19NonZeroOpIN3c107complexIfEEEEPKSK_lEEiEEEE10hipError_tPvRmT1_T2_T3_mT4_P12ihipStream_tbEUlT_E0_NS1_11comp_targetILNS1_3genE10ELNS1_11target_archE1201ELNS1_3gpuE5ELNS1_3repE0EEENS1_30default_config_static_selectorELNS0_4arch9wavefront6targetE0EEEvST_: ; @_ZN7rocprim17ROCPRIM_400000_NS6detail17trampoline_kernelINS0_14default_configENS1_22reduce_config_selectorIiEEZNS1_11reduce_implILb1ES3_PiS7_iN6hipcub16HIPCUB_304000_NS6detail34convert_binary_result_type_wrapperINS9_3SumENS9_22TransformInputIteratorIbN2at6native12_GLOBAL__N_19NonZeroOpIN3c107complexIfEEEEPKSK_lEEiEEEE10hipError_tPvRmT1_T2_T3_mT4_P12ihipStream_tbEUlT_E0_NS1_11comp_targetILNS1_3genE10ELNS1_11target_archE1201ELNS1_3gpuE5ELNS1_3repE0EEENS1_30default_config_static_selectorELNS0_4arch9wavefront6targetE0EEEvST_
; %bb.0:
	.section	.rodata,"a",@progbits
	.p2align	6, 0x0
	.amdhsa_kernel _ZN7rocprim17ROCPRIM_400000_NS6detail17trampoline_kernelINS0_14default_configENS1_22reduce_config_selectorIiEEZNS1_11reduce_implILb1ES3_PiS7_iN6hipcub16HIPCUB_304000_NS6detail34convert_binary_result_type_wrapperINS9_3SumENS9_22TransformInputIteratorIbN2at6native12_GLOBAL__N_19NonZeroOpIN3c107complexIfEEEEPKSK_lEEiEEEE10hipError_tPvRmT1_T2_T3_mT4_P12ihipStream_tbEUlT_E0_NS1_11comp_targetILNS1_3genE10ELNS1_11target_archE1201ELNS1_3gpuE5ELNS1_3repE0EEENS1_30default_config_static_selectorELNS0_4arch9wavefront6targetE0EEEvST_
		.amdhsa_group_segment_fixed_size 0
		.amdhsa_private_segment_fixed_size 0
		.amdhsa_kernarg_size 56
		.amdhsa_user_sgpr_count 15
		.amdhsa_user_sgpr_dispatch_ptr 0
		.amdhsa_user_sgpr_queue_ptr 0
		.amdhsa_user_sgpr_kernarg_segment_ptr 1
		.amdhsa_user_sgpr_dispatch_id 0
		.amdhsa_user_sgpr_private_segment_size 0
		.amdhsa_wavefront_size32 1
		.amdhsa_uses_dynamic_stack 0
		.amdhsa_enable_private_segment 0
		.amdhsa_system_sgpr_workgroup_id_x 1
		.amdhsa_system_sgpr_workgroup_id_y 0
		.amdhsa_system_sgpr_workgroup_id_z 0
		.amdhsa_system_sgpr_workgroup_info 0
		.amdhsa_system_vgpr_workitem_id 0
		.amdhsa_next_free_vgpr 1
		.amdhsa_next_free_sgpr 1
		.amdhsa_reserve_vcc 0
		.amdhsa_float_round_mode_32 0
		.amdhsa_float_round_mode_16_64 0
		.amdhsa_float_denorm_mode_32 3
		.amdhsa_float_denorm_mode_16_64 3
		.amdhsa_dx10_clamp 1
		.amdhsa_ieee_mode 1
		.amdhsa_fp16_overflow 0
		.amdhsa_workgroup_processor_mode 1
		.amdhsa_memory_ordered 1
		.amdhsa_forward_progress 0
		.amdhsa_shared_vgpr_count 0
		.amdhsa_exception_fp_ieee_invalid_op 0
		.amdhsa_exception_fp_denorm_src 0
		.amdhsa_exception_fp_ieee_div_zero 0
		.amdhsa_exception_fp_ieee_overflow 0
		.amdhsa_exception_fp_ieee_underflow 0
		.amdhsa_exception_fp_ieee_inexact 0
		.amdhsa_exception_int_div_zero 0
	.end_amdhsa_kernel
	.section	.text._ZN7rocprim17ROCPRIM_400000_NS6detail17trampoline_kernelINS0_14default_configENS1_22reduce_config_selectorIiEEZNS1_11reduce_implILb1ES3_PiS7_iN6hipcub16HIPCUB_304000_NS6detail34convert_binary_result_type_wrapperINS9_3SumENS9_22TransformInputIteratorIbN2at6native12_GLOBAL__N_19NonZeroOpIN3c107complexIfEEEEPKSK_lEEiEEEE10hipError_tPvRmT1_T2_T3_mT4_P12ihipStream_tbEUlT_E0_NS1_11comp_targetILNS1_3genE10ELNS1_11target_archE1201ELNS1_3gpuE5ELNS1_3repE0EEENS1_30default_config_static_selectorELNS0_4arch9wavefront6targetE0EEEvST_,"axG",@progbits,_ZN7rocprim17ROCPRIM_400000_NS6detail17trampoline_kernelINS0_14default_configENS1_22reduce_config_selectorIiEEZNS1_11reduce_implILb1ES3_PiS7_iN6hipcub16HIPCUB_304000_NS6detail34convert_binary_result_type_wrapperINS9_3SumENS9_22TransformInputIteratorIbN2at6native12_GLOBAL__N_19NonZeroOpIN3c107complexIfEEEEPKSK_lEEiEEEE10hipError_tPvRmT1_T2_T3_mT4_P12ihipStream_tbEUlT_E0_NS1_11comp_targetILNS1_3genE10ELNS1_11target_archE1201ELNS1_3gpuE5ELNS1_3repE0EEENS1_30default_config_static_selectorELNS0_4arch9wavefront6targetE0EEEvST_,comdat
.Lfunc_end563:
	.size	_ZN7rocprim17ROCPRIM_400000_NS6detail17trampoline_kernelINS0_14default_configENS1_22reduce_config_selectorIiEEZNS1_11reduce_implILb1ES3_PiS7_iN6hipcub16HIPCUB_304000_NS6detail34convert_binary_result_type_wrapperINS9_3SumENS9_22TransformInputIteratorIbN2at6native12_GLOBAL__N_19NonZeroOpIN3c107complexIfEEEEPKSK_lEEiEEEE10hipError_tPvRmT1_T2_T3_mT4_P12ihipStream_tbEUlT_E0_NS1_11comp_targetILNS1_3genE10ELNS1_11target_archE1201ELNS1_3gpuE5ELNS1_3repE0EEENS1_30default_config_static_selectorELNS0_4arch9wavefront6targetE0EEEvST_, .Lfunc_end563-_ZN7rocprim17ROCPRIM_400000_NS6detail17trampoline_kernelINS0_14default_configENS1_22reduce_config_selectorIiEEZNS1_11reduce_implILb1ES3_PiS7_iN6hipcub16HIPCUB_304000_NS6detail34convert_binary_result_type_wrapperINS9_3SumENS9_22TransformInputIteratorIbN2at6native12_GLOBAL__N_19NonZeroOpIN3c107complexIfEEEEPKSK_lEEiEEEE10hipError_tPvRmT1_T2_T3_mT4_P12ihipStream_tbEUlT_E0_NS1_11comp_targetILNS1_3genE10ELNS1_11target_archE1201ELNS1_3gpuE5ELNS1_3repE0EEENS1_30default_config_static_selectorELNS0_4arch9wavefront6targetE0EEEvST_
                                        ; -- End function
	.section	.AMDGPU.csdata,"",@progbits
; Kernel info:
; codeLenInByte = 0
; NumSgprs: 0
; NumVgprs: 0
; ScratchSize: 0
; MemoryBound: 0
; FloatMode: 240
; IeeeMode: 1
; LDSByteSize: 0 bytes/workgroup (compile time only)
; SGPRBlocks: 0
; VGPRBlocks: 0
; NumSGPRsForWavesPerEU: 1
; NumVGPRsForWavesPerEU: 1
; Occupancy: 16
; WaveLimiterHint : 0
; COMPUTE_PGM_RSRC2:SCRATCH_EN: 0
; COMPUTE_PGM_RSRC2:USER_SGPR: 15
; COMPUTE_PGM_RSRC2:TRAP_HANDLER: 0
; COMPUTE_PGM_RSRC2:TGID_X_EN: 1
; COMPUTE_PGM_RSRC2:TGID_Y_EN: 0
; COMPUTE_PGM_RSRC2:TGID_Z_EN: 0
; COMPUTE_PGM_RSRC2:TIDIG_COMP_CNT: 0
	.section	.text._ZN7rocprim17ROCPRIM_400000_NS6detail17trampoline_kernelINS0_14default_configENS1_22reduce_config_selectorIiEEZNS1_11reduce_implILb1ES3_PiS7_iN6hipcub16HIPCUB_304000_NS6detail34convert_binary_result_type_wrapperINS9_3SumENS9_22TransformInputIteratorIbN2at6native12_GLOBAL__N_19NonZeroOpIN3c107complexIfEEEEPKSK_lEEiEEEE10hipError_tPvRmT1_T2_T3_mT4_P12ihipStream_tbEUlT_E0_NS1_11comp_targetILNS1_3genE10ELNS1_11target_archE1200ELNS1_3gpuE4ELNS1_3repE0EEENS1_30default_config_static_selectorELNS0_4arch9wavefront6targetE0EEEvST_,"axG",@progbits,_ZN7rocprim17ROCPRIM_400000_NS6detail17trampoline_kernelINS0_14default_configENS1_22reduce_config_selectorIiEEZNS1_11reduce_implILb1ES3_PiS7_iN6hipcub16HIPCUB_304000_NS6detail34convert_binary_result_type_wrapperINS9_3SumENS9_22TransformInputIteratorIbN2at6native12_GLOBAL__N_19NonZeroOpIN3c107complexIfEEEEPKSK_lEEiEEEE10hipError_tPvRmT1_T2_T3_mT4_P12ihipStream_tbEUlT_E0_NS1_11comp_targetILNS1_3genE10ELNS1_11target_archE1200ELNS1_3gpuE4ELNS1_3repE0EEENS1_30default_config_static_selectorELNS0_4arch9wavefront6targetE0EEEvST_,comdat
	.globl	_ZN7rocprim17ROCPRIM_400000_NS6detail17trampoline_kernelINS0_14default_configENS1_22reduce_config_selectorIiEEZNS1_11reduce_implILb1ES3_PiS7_iN6hipcub16HIPCUB_304000_NS6detail34convert_binary_result_type_wrapperINS9_3SumENS9_22TransformInputIteratorIbN2at6native12_GLOBAL__N_19NonZeroOpIN3c107complexIfEEEEPKSK_lEEiEEEE10hipError_tPvRmT1_T2_T3_mT4_P12ihipStream_tbEUlT_E0_NS1_11comp_targetILNS1_3genE10ELNS1_11target_archE1200ELNS1_3gpuE4ELNS1_3repE0EEENS1_30default_config_static_selectorELNS0_4arch9wavefront6targetE0EEEvST_ ; -- Begin function _ZN7rocprim17ROCPRIM_400000_NS6detail17trampoline_kernelINS0_14default_configENS1_22reduce_config_selectorIiEEZNS1_11reduce_implILb1ES3_PiS7_iN6hipcub16HIPCUB_304000_NS6detail34convert_binary_result_type_wrapperINS9_3SumENS9_22TransformInputIteratorIbN2at6native12_GLOBAL__N_19NonZeroOpIN3c107complexIfEEEEPKSK_lEEiEEEE10hipError_tPvRmT1_T2_T3_mT4_P12ihipStream_tbEUlT_E0_NS1_11comp_targetILNS1_3genE10ELNS1_11target_archE1200ELNS1_3gpuE4ELNS1_3repE0EEENS1_30default_config_static_selectorELNS0_4arch9wavefront6targetE0EEEvST_
	.p2align	8
	.type	_ZN7rocprim17ROCPRIM_400000_NS6detail17trampoline_kernelINS0_14default_configENS1_22reduce_config_selectorIiEEZNS1_11reduce_implILb1ES3_PiS7_iN6hipcub16HIPCUB_304000_NS6detail34convert_binary_result_type_wrapperINS9_3SumENS9_22TransformInputIteratorIbN2at6native12_GLOBAL__N_19NonZeroOpIN3c107complexIfEEEEPKSK_lEEiEEEE10hipError_tPvRmT1_T2_T3_mT4_P12ihipStream_tbEUlT_E0_NS1_11comp_targetILNS1_3genE10ELNS1_11target_archE1200ELNS1_3gpuE4ELNS1_3repE0EEENS1_30default_config_static_selectorELNS0_4arch9wavefront6targetE0EEEvST_,@function
_ZN7rocprim17ROCPRIM_400000_NS6detail17trampoline_kernelINS0_14default_configENS1_22reduce_config_selectorIiEEZNS1_11reduce_implILb1ES3_PiS7_iN6hipcub16HIPCUB_304000_NS6detail34convert_binary_result_type_wrapperINS9_3SumENS9_22TransformInputIteratorIbN2at6native12_GLOBAL__N_19NonZeroOpIN3c107complexIfEEEEPKSK_lEEiEEEE10hipError_tPvRmT1_T2_T3_mT4_P12ihipStream_tbEUlT_E0_NS1_11comp_targetILNS1_3genE10ELNS1_11target_archE1200ELNS1_3gpuE4ELNS1_3repE0EEENS1_30default_config_static_selectorELNS0_4arch9wavefront6targetE0EEEvST_: ; @_ZN7rocprim17ROCPRIM_400000_NS6detail17trampoline_kernelINS0_14default_configENS1_22reduce_config_selectorIiEEZNS1_11reduce_implILb1ES3_PiS7_iN6hipcub16HIPCUB_304000_NS6detail34convert_binary_result_type_wrapperINS9_3SumENS9_22TransformInputIteratorIbN2at6native12_GLOBAL__N_19NonZeroOpIN3c107complexIfEEEEPKSK_lEEiEEEE10hipError_tPvRmT1_T2_T3_mT4_P12ihipStream_tbEUlT_E0_NS1_11comp_targetILNS1_3genE10ELNS1_11target_archE1200ELNS1_3gpuE4ELNS1_3repE0EEENS1_30default_config_static_selectorELNS0_4arch9wavefront6targetE0EEEvST_
; %bb.0:
	.section	.rodata,"a",@progbits
	.p2align	6, 0x0
	.amdhsa_kernel _ZN7rocprim17ROCPRIM_400000_NS6detail17trampoline_kernelINS0_14default_configENS1_22reduce_config_selectorIiEEZNS1_11reduce_implILb1ES3_PiS7_iN6hipcub16HIPCUB_304000_NS6detail34convert_binary_result_type_wrapperINS9_3SumENS9_22TransformInputIteratorIbN2at6native12_GLOBAL__N_19NonZeroOpIN3c107complexIfEEEEPKSK_lEEiEEEE10hipError_tPvRmT1_T2_T3_mT4_P12ihipStream_tbEUlT_E0_NS1_11comp_targetILNS1_3genE10ELNS1_11target_archE1200ELNS1_3gpuE4ELNS1_3repE0EEENS1_30default_config_static_selectorELNS0_4arch9wavefront6targetE0EEEvST_
		.amdhsa_group_segment_fixed_size 0
		.amdhsa_private_segment_fixed_size 0
		.amdhsa_kernarg_size 56
		.amdhsa_user_sgpr_count 15
		.amdhsa_user_sgpr_dispatch_ptr 0
		.amdhsa_user_sgpr_queue_ptr 0
		.amdhsa_user_sgpr_kernarg_segment_ptr 1
		.amdhsa_user_sgpr_dispatch_id 0
		.amdhsa_user_sgpr_private_segment_size 0
		.amdhsa_wavefront_size32 1
		.amdhsa_uses_dynamic_stack 0
		.amdhsa_enable_private_segment 0
		.amdhsa_system_sgpr_workgroup_id_x 1
		.amdhsa_system_sgpr_workgroup_id_y 0
		.amdhsa_system_sgpr_workgroup_id_z 0
		.amdhsa_system_sgpr_workgroup_info 0
		.amdhsa_system_vgpr_workitem_id 0
		.amdhsa_next_free_vgpr 1
		.amdhsa_next_free_sgpr 1
		.amdhsa_reserve_vcc 0
		.amdhsa_float_round_mode_32 0
		.amdhsa_float_round_mode_16_64 0
		.amdhsa_float_denorm_mode_32 3
		.amdhsa_float_denorm_mode_16_64 3
		.amdhsa_dx10_clamp 1
		.amdhsa_ieee_mode 1
		.amdhsa_fp16_overflow 0
		.amdhsa_workgroup_processor_mode 1
		.amdhsa_memory_ordered 1
		.amdhsa_forward_progress 0
		.amdhsa_shared_vgpr_count 0
		.amdhsa_exception_fp_ieee_invalid_op 0
		.amdhsa_exception_fp_denorm_src 0
		.amdhsa_exception_fp_ieee_div_zero 0
		.amdhsa_exception_fp_ieee_overflow 0
		.amdhsa_exception_fp_ieee_underflow 0
		.amdhsa_exception_fp_ieee_inexact 0
		.amdhsa_exception_int_div_zero 0
	.end_amdhsa_kernel
	.section	.text._ZN7rocprim17ROCPRIM_400000_NS6detail17trampoline_kernelINS0_14default_configENS1_22reduce_config_selectorIiEEZNS1_11reduce_implILb1ES3_PiS7_iN6hipcub16HIPCUB_304000_NS6detail34convert_binary_result_type_wrapperINS9_3SumENS9_22TransformInputIteratorIbN2at6native12_GLOBAL__N_19NonZeroOpIN3c107complexIfEEEEPKSK_lEEiEEEE10hipError_tPvRmT1_T2_T3_mT4_P12ihipStream_tbEUlT_E0_NS1_11comp_targetILNS1_3genE10ELNS1_11target_archE1200ELNS1_3gpuE4ELNS1_3repE0EEENS1_30default_config_static_selectorELNS0_4arch9wavefront6targetE0EEEvST_,"axG",@progbits,_ZN7rocprim17ROCPRIM_400000_NS6detail17trampoline_kernelINS0_14default_configENS1_22reduce_config_selectorIiEEZNS1_11reduce_implILb1ES3_PiS7_iN6hipcub16HIPCUB_304000_NS6detail34convert_binary_result_type_wrapperINS9_3SumENS9_22TransformInputIteratorIbN2at6native12_GLOBAL__N_19NonZeroOpIN3c107complexIfEEEEPKSK_lEEiEEEE10hipError_tPvRmT1_T2_T3_mT4_P12ihipStream_tbEUlT_E0_NS1_11comp_targetILNS1_3genE10ELNS1_11target_archE1200ELNS1_3gpuE4ELNS1_3repE0EEENS1_30default_config_static_selectorELNS0_4arch9wavefront6targetE0EEEvST_,comdat
.Lfunc_end564:
	.size	_ZN7rocprim17ROCPRIM_400000_NS6detail17trampoline_kernelINS0_14default_configENS1_22reduce_config_selectorIiEEZNS1_11reduce_implILb1ES3_PiS7_iN6hipcub16HIPCUB_304000_NS6detail34convert_binary_result_type_wrapperINS9_3SumENS9_22TransformInputIteratorIbN2at6native12_GLOBAL__N_19NonZeroOpIN3c107complexIfEEEEPKSK_lEEiEEEE10hipError_tPvRmT1_T2_T3_mT4_P12ihipStream_tbEUlT_E0_NS1_11comp_targetILNS1_3genE10ELNS1_11target_archE1200ELNS1_3gpuE4ELNS1_3repE0EEENS1_30default_config_static_selectorELNS0_4arch9wavefront6targetE0EEEvST_, .Lfunc_end564-_ZN7rocprim17ROCPRIM_400000_NS6detail17trampoline_kernelINS0_14default_configENS1_22reduce_config_selectorIiEEZNS1_11reduce_implILb1ES3_PiS7_iN6hipcub16HIPCUB_304000_NS6detail34convert_binary_result_type_wrapperINS9_3SumENS9_22TransformInputIteratorIbN2at6native12_GLOBAL__N_19NonZeroOpIN3c107complexIfEEEEPKSK_lEEiEEEE10hipError_tPvRmT1_T2_T3_mT4_P12ihipStream_tbEUlT_E0_NS1_11comp_targetILNS1_3genE10ELNS1_11target_archE1200ELNS1_3gpuE4ELNS1_3repE0EEENS1_30default_config_static_selectorELNS0_4arch9wavefront6targetE0EEEvST_
                                        ; -- End function
	.section	.AMDGPU.csdata,"",@progbits
; Kernel info:
; codeLenInByte = 0
; NumSgprs: 0
; NumVgprs: 0
; ScratchSize: 0
; MemoryBound: 0
; FloatMode: 240
; IeeeMode: 1
; LDSByteSize: 0 bytes/workgroup (compile time only)
; SGPRBlocks: 0
; VGPRBlocks: 0
; NumSGPRsForWavesPerEU: 1
; NumVGPRsForWavesPerEU: 1
; Occupancy: 16
; WaveLimiterHint : 0
; COMPUTE_PGM_RSRC2:SCRATCH_EN: 0
; COMPUTE_PGM_RSRC2:USER_SGPR: 15
; COMPUTE_PGM_RSRC2:TRAP_HANDLER: 0
; COMPUTE_PGM_RSRC2:TGID_X_EN: 1
; COMPUTE_PGM_RSRC2:TGID_Y_EN: 0
; COMPUTE_PGM_RSRC2:TGID_Z_EN: 0
; COMPUTE_PGM_RSRC2:TIDIG_COMP_CNT: 0
	.section	.text._ZN7rocprim17ROCPRIM_400000_NS6detail17trampoline_kernelINS0_14default_configENS1_22reduce_config_selectorIiEEZNS1_11reduce_implILb1ES3_PiS7_iN6hipcub16HIPCUB_304000_NS6detail34convert_binary_result_type_wrapperINS9_3SumENS9_22TransformInputIteratorIbN2at6native12_GLOBAL__N_19NonZeroOpIN3c107complexIfEEEEPKSK_lEEiEEEE10hipError_tPvRmT1_T2_T3_mT4_P12ihipStream_tbEUlT_E0_NS1_11comp_targetILNS1_3genE9ELNS1_11target_archE1100ELNS1_3gpuE3ELNS1_3repE0EEENS1_30default_config_static_selectorELNS0_4arch9wavefront6targetE0EEEvST_,"axG",@progbits,_ZN7rocprim17ROCPRIM_400000_NS6detail17trampoline_kernelINS0_14default_configENS1_22reduce_config_selectorIiEEZNS1_11reduce_implILb1ES3_PiS7_iN6hipcub16HIPCUB_304000_NS6detail34convert_binary_result_type_wrapperINS9_3SumENS9_22TransformInputIteratorIbN2at6native12_GLOBAL__N_19NonZeroOpIN3c107complexIfEEEEPKSK_lEEiEEEE10hipError_tPvRmT1_T2_T3_mT4_P12ihipStream_tbEUlT_E0_NS1_11comp_targetILNS1_3genE9ELNS1_11target_archE1100ELNS1_3gpuE3ELNS1_3repE0EEENS1_30default_config_static_selectorELNS0_4arch9wavefront6targetE0EEEvST_,comdat
	.globl	_ZN7rocprim17ROCPRIM_400000_NS6detail17trampoline_kernelINS0_14default_configENS1_22reduce_config_selectorIiEEZNS1_11reduce_implILb1ES3_PiS7_iN6hipcub16HIPCUB_304000_NS6detail34convert_binary_result_type_wrapperINS9_3SumENS9_22TransformInputIteratorIbN2at6native12_GLOBAL__N_19NonZeroOpIN3c107complexIfEEEEPKSK_lEEiEEEE10hipError_tPvRmT1_T2_T3_mT4_P12ihipStream_tbEUlT_E0_NS1_11comp_targetILNS1_3genE9ELNS1_11target_archE1100ELNS1_3gpuE3ELNS1_3repE0EEENS1_30default_config_static_selectorELNS0_4arch9wavefront6targetE0EEEvST_ ; -- Begin function _ZN7rocprim17ROCPRIM_400000_NS6detail17trampoline_kernelINS0_14default_configENS1_22reduce_config_selectorIiEEZNS1_11reduce_implILb1ES3_PiS7_iN6hipcub16HIPCUB_304000_NS6detail34convert_binary_result_type_wrapperINS9_3SumENS9_22TransformInputIteratorIbN2at6native12_GLOBAL__N_19NonZeroOpIN3c107complexIfEEEEPKSK_lEEiEEEE10hipError_tPvRmT1_T2_T3_mT4_P12ihipStream_tbEUlT_E0_NS1_11comp_targetILNS1_3genE9ELNS1_11target_archE1100ELNS1_3gpuE3ELNS1_3repE0EEENS1_30default_config_static_selectorELNS0_4arch9wavefront6targetE0EEEvST_
	.p2align	8
	.type	_ZN7rocprim17ROCPRIM_400000_NS6detail17trampoline_kernelINS0_14default_configENS1_22reduce_config_selectorIiEEZNS1_11reduce_implILb1ES3_PiS7_iN6hipcub16HIPCUB_304000_NS6detail34convert_binary_result_type_wrapperINS9_3SumENS9_22TransformInputIteratorIbN2at6native12_GLOBAL__N_19NonZeroOpIN3c107complexIfEEEEPKSK_lEEiEEEE10hipError_tPvRmT1_T2_T3_mT4_P12ihipStream_tbEUlT_E0_NS1_11comp_targetILNS1_3genE9ELNS1_11target_archE1100ELNS1_3gpuE3ELNS1_3repE0EEENS1_30default_config_static_selectorELNS0_4arch9wavefront6targetE0EEEvST_,@function
_ZN7rocprim17ROCPRIM_400000_NS6detail17trampoline_kernelINS0_14default_configENS1_22reduce_config_selectorIiEEZNS1_11reduce_implILb1ES3_PiS7_iN6hipcub16HIPCUB_304000_NS6detail34convert_binary_result_type_wrapperINS9_3SumENS9_22TransformInputIteratorIbN2at6native12_GLOBAL__N_19NonZeroOpIN3c107complexIfEEEEPKSK_lEEiEEEE10hipError_tPvRmT1_T2_T3_mT4_P12ihipStream_tbEUlT_E0_NS1_11comp_targetILNS1_3genE9ELNS1_11target_archE1100ELNS1_3gpuE3ELNS1_3repE0EEENS1_30default_config_static_selectorELNS0_4arch9wavefront6targetE0EEEvST_: ; @_ZN7rocprim17ROCPRIM_400000_NS6detail17trampoline_kernelINS0_14default_configENS1_22reduce_config_selectorIiEEZNS1_11reduce_implILb1ES3_PiS7_iN6hipcub16HIPCUB_304000_NS6detail34convert_binary_result_type_wrapperINS9_3SumENS9_22TransformInputIteratorIbN2at6native12_GLOBAL__N_19NonZeroOpIN3c107complexIfEEEEPKSK_lEEiEEEE10hipError_tPvRmT1_T2_T3_mT4_P12ihipStream_tbEUlT_E0_NS1_11comp_targetILNS1_3genE9ELNS1_11target_archE1100ELNS1_3gpuE3ELNS1_3repE0EEENS1_30default_config_static_selectorELNS0_4arch9wavefront6targetE0EEEvST_
; %bb.0:
	s_mov_b32 s16, s15
	s_clause 0x1
	s_load_b256 s[4:11], s[0:1], 0x0
	s_load_b128 s[12:15], s[0:1], 0x20
	s_mov_b32 s3, 0
	v_lshlrev_b32_e32 v10, 2, v0
	v_mbcnt_lo_u32_b32 v9, -1, 0
	s_mov_b32 s17, s3
	s_waitcnt lgkmcnt(0)
	s_lshl_b64 s[6:7], s[6:7], 2
	s_delay_alu instid0(SALU_CYCLE_1) | instskip(SKIP_4) | instid1(SALU_CYCLE_1)
	s_add_u32 s18, s4, s6
	s_addc_u32 s19, s5, s7
	s_lshl_b32 s2, s16, 11
	s_lshr_b64 s[6:7], s[8:9], 11
	s_lshl_b64 s[4:5], s[2:3], 2
	s_add_u32 s18, s18, s4
	s_addc_u32 s19, s19, s5
	s_cmp_lg_u64 s[6:7], s[16:17]
	s_cbranch_scc0 .LBB565_6
; %bb.1:
	v_add_co_u32 v1, s3, s18, v10
	s_clause 0x1
	global_load_b32 v3, v10, s[18:19]
	global_load_b32 v4, v10, s[18:19] offset:1024
	v_add_co_ci_u32_e64 v2, null, s19, 0, s3
	v_add_co_u32 v1, vcc_lo, 0x1000, v1
	s_mov_b32 s3, exec_lo
	s_delay_alu instid0(VALU_DEP_2)
	v_add_co_ci_u32_e32 v2, vcc_lo, 0, v2, vcc_lo
	s_clause 0x5
	global_load_b32 v5, v10, s[18:19] offset:2048
	global_load_b32 v6, v10, s[18:19] offset:3072
	global_load_b32 v7, v[1:2], off
	global_load_b32 v8, v[1:2], off offset:1024
	global_load_b32 v11, v[1:2], off offset:2048
	global_load_b32 v1, v[1:2], off offset:3072
	s_waitcnt vmcnt(6)
	v_dual_mov_b32 v3, 0 :: v_dual_add_nc_u32 v2, v4, v3
	s_waitcnt vmcnt(4)
	s_delay_alu instid0(VALU_DEP_1) | instskip(SKIP_1) | instid1(VALU_DEP_1)
	v_add3_u32 v2, v2, v5, v6
	s_waitcnt vmcnt(2)
	v_add3_u32 v2, v2, v7, v8
	s_waitcnt vmcnt(0)
	s_delay_alu instid0(VALU_DEP_1) | instskip(NEXT) | instid1(VALU_DEP_1)
	v_add3_u32 v1, v2, v11, v1
	v_mov_b32_dpp v2, v1 quad_perm:[1,0,3,2] row_mask:0xf bank_mask:0xf
	s_delay_alu instid0(VALU_DEP_1) | instskip(NEXT) | instid1(VALU_DEP_1)
	v_add_nc_u32_e32 v1, v2, v1
	v_mov_b32_dpp v2, v1 quad_perm:[2,3,0,1] row_mask:0xf bank_mask:0xf
	s_delay_alu instid0(VALU_DEP_1) | instskip(NEXT) | instid1(VALU_DEP_1)
	v_add_nc_u32_e32 v1, v1, v2
	v_mov_b32_dpp v2, v1 row_ror:4 row_mask:0xf bank_mask:0xf
	s_delay_alu instid0(VALU_DEP_1) | instskip(NEXT) | instid1(VALU_DEP_1)
	v_add_nc_u32_e32 v1, v1, v2
	v_mov_b32_dpp v2, v1 row_ror:8 row_mask:0xf bank_mask:0xf
	s_delay_alu instid0(VALU_DEP_1)
	v_add_nc_u32_e32 v1, v1, v2
	ds_swizzle_b32 v2, v1 offset:swizzle(BROADCAST,32,15)
	s_waitcnt lgkmcnt(0)
	v_add_nc_u32_e32 v1, v1, v2
	ds_bpermute_b32 v1, v3, v1 offset:124
	v_cmpx_eq_u32_e32 0, v9
	s_cbranch_execz .LBB565_3
; %bb.2:
	v_lshrrev_b32_e32 v2, 3, v0
	s_delay_alu instid0(VALU_DEP_1)
	v_and_b32_e32 v2, 28, v2
	s_waitcnt lgkmcnt(0)
	ds_store_b32 v2, v1
.LBB565_3:
	s_or_b32 exec_lo, exec_lo, s3
	s_delay_alu instid0(SALU_CYCLE_1)
	s_mov_b32 s3, exec_lo
	s_waitcnt lgkmcnt(0)
	s_barrier
	buffer_gl0_inv
	v_cmpx_gt_u32_e32 32, v0
	s_cbranch_execz .LBB565_5
; %bb.4:
	v_and_b32_e32 v1, 7, v9
	s_delay_alu instid0(VALU_DEP_1) | instskip(SKIP_4) | instid1(VALU_DEP_2)
	v_lshlrev_b32_e32 v2, 2, v1
	v_cmp_ne_u32_e32 vcc_lo, 7, v1
	ds_load_b32 v2, v2
	v_add_co_ci_u32_e32 v3, vcc_lo, 0, v9, vcc_lo
	v_cmp_gt_u32_e32 vcc_lo, 6, v1
	v_lshlrev_b32_e32 v3, 2, v3
	v_cndmask_b32_e64 v4, 0, 1, vcc_lo
	v_cmp_gt_u32_e32 vcc_lo, 4, v1
	s_delay_alu instid0(VALU_DEP_2) | instskip(SKIP_1) | instid1(VALU_DEP_2)
	v_lshlrev_b32_e32 v4, 1, v4
	v_cndmask_b32_e64 v1, 0, 1, vcc_lo
	v_add_lshl_u32 v4, v4, v9, 2
	s_delay_alu instid0(VALU_DEP_2)
	v_lshlrev_b32_e32 v1, 2, v1
	s_waitcnt lgkmcnt(0)
	ds_bpermute_b32 v3, v3, v2
	v_add_lshl_u32 v1, v1, v9, 2
	s_waitcnt lgkmcnt(0)
	v_add_nc_u32_e32 v2, v3, v2
	ds_bpermute_b32 v3, v4, v2
	s_waitcnt lgkmcnt(0)
	v_add_nc_u32_e32 v2, v3, v2
	ds_bpermute_b32 v1, v1, v2
	s_waitcnt lgkmcnt(0)
	v_add_nc_u32_e32 v1, v1, v2
.LBB565_5:
	s_or_b32 exec_lo, exec_lo, s3
	s_branch .LBB565_28
.LBB565_6:
                                        ; implicit-def: $vgpr1
	s_cbranch_execz .LBB565_28
; %bb.7:
	s_sub_i32 s20, s8, s2
	s_mov_b32 s2, exec_lo
                                        ; implicit-def: $vgpr1_vgpr2_vgpr3_vgpr4_vgpr5_vgpr6_vgpr7_vgpr8
	v_cmpx_gt_u32_e64 s20, v0
	s_cbranch_execz .LBB565_9
; %bb.8:
	global_load_b32 v1, v10, s[18:19]
.LBB565_9:
	s_or_b32 exec_lo, exec_lo, s2
	v_or_b32_e32 v11, 0x100, v0
	s_delay_alu instid0(VALU_DEP_1)
	v_cmp_gt_u32_e32 vcc_lo, s20, v11
	s_and_saveexec_b32 s2, vcc_lo
	s_cbranch_execz .LBB565_11
; %bb.10:
	global_load_b32 v2, v10, s[18:19] offset:1024
.LBB565_11:
	s_or_b32 exec_lo, exec_lo, s2
	v_or_b32_e32 v11, 0x200, v0
	s_delay_alu instid0(VALU_DEP_1) | instskip(NEXT) | instid1(VALU_DEP_1)
	v_cmp_gt_u32_e64 s2, s20, v11
	s_and_saveexec_b32 s3, s2
	s_cbranch_execz .LBB565_13
; %bb.12:
	global_load_b32 v3, v10, s[18:19] offset:2048
.LBB565_13:
	s_or_b32 exec_lo, exec_lo, s3
	v_or_b32_e32 v11, 0x300, v0
	s_delay_alu instid0(VALU_DEP_1) | instskip(NEXT) | instid1(VALU_DEP_1)
	v_cmp_gt_u32_e64 s3, s20, v11
	s_and_saveexec_b32 s4, s3
	;; [unrolled: 9-line block ×3, first 2 shown]
	s_cbranch_execz .LBB565_17
; %bb.16:
	v_lshlrev_b32_e32 v5, 2, v10
	global_load_b32 v5, v5, s[18:19]
.LBB565_17:
	s_or_b32 exec_lo, exec_lo, s5
	v_or_b32_e32 v10, 0x500, v0
	s_delay_alu instid0(VALU_DEP_1) | instskip(NEXT) | instid1(VALU_DEP_1)
	v_cmp_gt_u32_e64 s5, s20, v10
	s_and_saveexec_b32 s6, s5
	s_cbranch_execz .LBB565_19
; %bb.18:
	v_lshlrev_b32_e32 v6, 2, v10
	global_load_b32 v6, v6, s[18:19]
.LBB565_19:
	s_or_b32 exec_lo, exec_lo, s6
	v_or_b32_e32 v10, 0x600, v0
	s_delay_alu instid0(VALU_DEP_1) | instskip(NEXT) | instid1(VALU_DEP_1)
	v_cmp_gt_u32_e64 s6, s20, v10
	s_and_saveexec_b32 s7, s6
	;; [unrolled: 10-line block ×3, first 2 shown]
	s_cbranch_execz .LBB565_23
; %bb.22:
	v_lshlrev_b32_e32 v8, 2, v10
	global_load_b32 v8, v8, s[18:19]
.LBB565_23:
	s_or_b32 exec_lo, exec_lo, s21
	s_waitcnt vmcnt(0)
	v_cndmask_b32_e32 v2, 0, v2, vcc_lo
	v_cndmask_b32_e64 v3, 0, v3, s2
	v_cndmask_b32_e64 v4, 0, v4, s3
	v_cmp_ne_u32_e32 vcc_lo, 31, v9
	s_min_u32 s2, s20, 0x100
	v_add_nc_u32_e32 v1, v2, v1
	v_cndmask_b32_e64 v2, 0, v5, s4
	v_cndmask_b32_e64 v5, 0, v6, s5
	v_cndmask_b32_e64 v6, 0, v7, s6
	s_mov_b32 s3, exec_lo
	v_add3_u32 v1, v1, v3, v4
	v_cndmask_b32_e64 v3, 0, v8, s7
	v_add_co_ci_u32_e32 v4, vcc_lo, 0, v9, vcc_lo
	v_cmp_gt_u32_e32 vcc_lo, 30, v9
	s_delay_alu instid0(VALU_DEP_4) | instskip(NEXT) | instid1(VALU_DEP_3)
	v_add3_u32 v1, v1, v2, v5
	v_lshlrev_b32_e32 v2, 2, v4
	v_add_nc_u32_e32 v4, 1, v9
	v_cndmask_b32_e64 v5, 0, 1, vcc_lo
	s_delay_alu instid0(VALU_DEP_4) | instskip(SKIP_1) | instid1(VALU_DEP_3)
	v_add3_u32 v1, v1, v6, v3
	v_and_b32_e32 v3, 0xe0, v0
	v_lshlrev_b32_e32 v5, 1, v5
	ds_bpermute_b32 v2, v2, v1
	v_sub_nc_u32_e64 v3, s2, v3 clamp
	s_delay_alu instid0(VALU_DEP_1) | instskip(SKIP_4) | instid1(VALU_DEP_2)
	v_cmp_lt_u32_e32 vcc_lo, v4, v3
	v_add_lshl_u32 v4, v5, v9, 2
	s_waitcnt lgkmcnt(0)
	v_dual_cndmask_b32 v2, 0, v2 :: v_dual_add_nc_u32 v5, 2, v9
	v_cmp_gt_u32_e32 vcc_lo, 28, v9
	v_add_nc_u32_e32 v1, v1, v2
	ds_bpermute_b32 v2, v4, v1
	v_cndmask_b32_e64 v4, 0, 1, vcc_lo
	v_cmp_lt_u32_e32 vcc_lo, v5, v3
	v_add_nc_u32_e32 v5, 4, v9
	s_delay_alu instid0(VALU_DEP_3) | instskip(NEXT) | instid1(VALU_DEP_1)
	v_lshlrev_b32_e32 v4, 2, v4
	v_add_lshl_u32 v4, v4, v9, 2
	s_waitcnt lgkmcnt(0)
	v_cndmask_b32_e32 v2, 0, v2, vcc_lo
	v_cmp_gt_u32_e32 vcc_lo, 24, v9
	s_delay_alu instid0(VALU_DEP_2) | instskip(SKIP_4) | instid1(VALU_DEP_3)
	v_add_nc_u32_e32 v1, v1, v2
	ds_bpermute_b32 v2, v4, v1
	v_cndmask_b32_e64 v4, 0, 1, vcc_lo
	v_cmp_lt_u32_e32 vcc_lo, v5, v3
	v_add_nc_u32_e32 v5, 8, v9
	v_lshlrev_b32_e32 v4, 3, v4
	s_delay_alu instid0(VALU_DEP_1) | instskip(SKIP_3) | instid1(VALU_DEP_2)
	v_add_lshl_u32 v4, v4, v9, 2
	s_waitcnt lgkmcnt(0)
	v_cndmask_b32_e32 v2, 0, v2, vcc_lo
	v_cmp_gt_u32_e32 vcc_lo, 16, v9
	v_add_nc_u32_e32 v1, v1, v2
	ds_bpermute_b32 v2, v4, v1
	v_cndmask_b32_e64 v4, 0, 1, vcc_lo
	v_cmp_lt_u32_e32 vcc_lo, v5, v3
	s_delay_alu instid0(VALU_DEP_2) | instskip(NEXT) | instid1(VALU_DEP_1)
	v_lshlrev_b32_e32 v4, 4, v4
	v_add_lshl_u32 v4, v4, v9, 2
	s_waitcnt lgkmcnt(0)
	v_cndmask_b32_e32 v2, 0, v2, vcc_lo
	s_delay_alu instid0(VALU_DEP_1) | instskip(SKIP_2) | instid1(VALU_DEP_1)
	v_add_nc_u32_e32 v1, v1, v2
	ds_bpermute_b32 v2, v4, v1
	v_add_nc_u32_e32 v4, 16, v9
	v_cmp_lt_u32_e32 vcc_lo, v4, v3
	s_waitcnt lgkmcnt(0)
	v_cndmask_b32_e32 v2, 0, v2, vcc_lo
	s_delay_alu instid0(VALU_DEP_1)
	v_add_nc_u32_e32 v1, v1, v2
	v_cmpx_eq_u32_e32 0, v9
	s_cbranch_execz .LBB565_25
; %bb.24:
	v_lshrrev_b32_e32 v2, 3, v0
	s_delay_alu instid0(VALU_DEP_1)
	v_and_b32_e32 v2, 28, v2
	ds_store_b32 v2, v1 offset:32
.LBB565_25:
	s_or_b32 exec_lo, exec_lo, s3
	s_delay_alu instid0(SALU_CYCLE_1)
	s_mov_b32 s3, exec_lo
	s_waitcnt lgkmcnt(0)
	s_barrier
	buffer_gl0_inv
	v_cmpx_gt_u32_e32 8, v0
	s_cbranch_execz .LBB565_27
; %bb.26:
	v_lshlrev_b32_e32 v1, 2, v9
	v_and_b32_e32 v2, 7, v9
	s_add_i32 s2, s2, 31
	s_delay_alu instid0(SALU_CYCLE_1)
	s_lshr_b32 s2, s2, 5
	ds_load_b32 v1, v1 offset:32
	v_cmp_ne_u32_e32 vcc_lo, 7, v2
	v_add_nc_u32_e32 v5, 1, v2
	v_add_co_ci_u32_e32 v3, vcc_lo, 0, v9, vcc_lo
	v_cmp_gt_u32_e32 vcc_lo, 6, v2
	s_delay_alu instid0(VALU_DEP_2) | instskip(SKIP_2) | instid1(VALU_DEP_2)
	v_lshlrev_b32_e32 v3, 2, v3
	v_cndmask_b32_e64 v4, 0, 1, vcc_lo
	v_cmp_gt_u32_e32 vcc_lo, s2, v5
	v_lshlrev_b32_e32 v4, 1, v4
	s_waitcnt lgkmcnt(0)
	ds_bpermute_b32 v3, v3, v1
	v_add_lshl_u32 v4, v4, v9, 2
	s_waitcnt lgkmcnt(0)
	v_cndmask_b32_e32 v3, 0, v3, vcc_lo
	v_cmp_gt_u32_e32 vcc_lo, 4, v2
	s_delay_alu instid0(VALU_DEP_2) | instskip(SKIP_4) | instid1(VALU_DEP_2)
	v_add_nc_u32_e32 v1, v3, v1
	v_cndmask_b32_e64 v5, 0, 1, vcc_lo
	ds_bpermute_b32 v3, v4, v1
	v_add_nc_u32_e32 v4, 2, v2
	v_add_nc_u32_e32 v2, 4, v2
	v_cmp_gt_u32_e32 vcc_lo, s2, v4
	s_waitcnt lgkmcnt(0)
	v_dual_cndmask_b32 v3, 0, v3 :: v_dual_lshlrev_b32 v4, 2, v5
	s_delay_alu instid0(VALU_DEP_3) | instskip(NEXT) | instid1(VALU_DEP_2)
	v_cmp_gt_u32_e32 vcc_lo, s2, v2
	v_add_nc_u32_e32 v1, v1, v3
	s_delay_alu instid0(VALU_DEP_3) | instskip(SKIP_3) | instid1(VALU_DEP_1)
	v_add_lshl_u32 v3, v4, v9, 2
	ds_bpermute_b32 v3, v3, v1
	s_waitcnt lgkmcnt(0)
	v_cndmask_b32_e32 v2, 0, v3, vcc_lo
	v_add_nc_u32_e32 v1, v1, v2
.LBB565_27:
	s_or_b32 exec_lo, exec_lo, s3
.LBB565_28:
	s_load_b32 s0, s[0:1], 0x30
	s_mov_b32 s1, exec_lo
	v_cmpx_eq_u32_e32 0, v0
	s_cbranch_execz .LBB565_30
; %bb.29:
	s_mul_i32 s1, s14, s13
	s_mul_hi_u32 s2, s14, s12
	s_mul_i32 s3, s15, s12
	s_add_i32 s1, s2, s1
	s_mul_i32 s2, s14, s12
	s_add_i32 s3, s1, s3
	s_delay_alu instid0(SALU_CYCLE_1) | instskip(NEXT) | instid1(SALU_CYCLE_1)
	s_lshl_b64 s[2:3], s[2:3], 2
	s_add_u32 s2, s10, s2
	s_addc_u32 s3, s11, s3
	s_cmp_eq_u64 s[8:9], 0
	s_cselect_b32 s1, -1, 0
	s_waitcnt lgkmcnt(0)
	v_cndmask_b32_e64 v0, v1, s0, s1
	s_lshl_b64 s[0:1], s[16:17], 2
	v_mov_b32_e32 v1, 0
	s_add_u32 s0, s2, s0
	s_addc_u32 s1, s3, s1
	global_store_b32 v1, v0, s[0:1]
.LBB565_30:
	s_nop 0
	s_sendmsg sendmsg(MSG_DEALLOC_VGPRS)
	s_endpgm
	.section	.rodata,"a",@progbits
	.p2align	6, 0x0
	.amdhsa_kernel _ZN7rocprim17ROCPRIM_400000_NS6detail17trampoline_kernelINS0_14default_configENS1_22reduce_config_selectorIiEEZNS1_11reduce_implILb1ES3_PiS7_iN6hipcub16HIPCUB_304000_NS6detail34convert_binary_result_type_wrapperINS9_3SumENS9_22TransformInputIteratorIbN2at6native12_GLOBAL__N_19NonZeroOpIN3c107complexIfEEEEPKSK_lEEiEEEE10hipError_tPvRmT1_T2_T3_mT4_P12ihipStream_tbEUlT_E0_NS1_11comp_targetILNS1_3genE9ELNS1_11target_archE1100ELNS1_3gpuE3ELNS1_3repE0EEENS1_30default_config_static_selectorELNS0_4arch9wavefront6targetE0EEEvST_
		.amdhsa_group_segment_fixed_size 64
		.amdhsa_private_segment_fixed_size 0
		.amdhsa_kernarg_size 56
		.amdhsa_user_sgpr_count 15
		.amdhsa_user_sgpr_dispatch_ptr 0
		.amdhsa_user_sgpr_queue_ptr 0
		.amdhsa_user_sgpr_kernarg_segment_ptr 1
		.amdhsa_user_sgpr_dispatch_id 0
		.amdhsa_user_sgpr_private_segment_size 0
		.amdhsa_wavefront_size32 1
		.amdhsa_uses_dynamic_stack 0
		.amdhsa_enable_private_segment 0
		.amdhsa_system_sgpr_workgroup_id_x 1
		.amdhsa_system_sgpr_workgroup_id_y 0
		.amdhsa_system_sgpr_workgroup_id_z 0
		.amdhsa_system_sgpr_workgroup_info 0
		.amdhsa_system_vgpr_workitem_id 0
		.amdhsa_next_free_vgpr 12
		.amdhsa_next_free_sgpr 22
		.amdhsa_reserve_vcc 1
		.amdhsa_float_round_mode_32 0
		.amdhsa_float_round_mode_16_64 0
		.amdhsa_float_denorm_mode_32 3
		.amdhsa_float_denorm_mode_16_64 3
		.amdhsa_dx10_clamp 1
		.amdhsa_ieee_mode 1
		.amdhsa_fp16_overflow 0
		.amdhsa_workgroup_processor_mode 1
		.amdhsa_memory_ordered 1
		.amdhsa_forward_progress 0
		.amdhsa_shared_vgpr_count 0
		.amdhsa_exception_fp_ieee_invalid_op 0
		.amdhsa_exception_fp_denorm_src 0
		.amdhsa_exception_fp_ieee_div_zero 0
		.amdhsa_exception_fp_ieee_overflow 0
		.amdhsa_exception_fp_ieee_underflow 0
		.amdhsa_exception_fp_ieee_inexact 0
		.amdhsa_exception_int_div_zero 0
	.end_amdhsa_kernel
	.section	.text._ZN7rocprim17ROCPRIM_400000_NS6detail17trampoline_kernelINS0_14default_configENS1_22reduce_config_selectorIiEEZNS1_11reduce_implILb1ES3_PiS7_iN6hipcub16HIPCUB_304000_NS6detail34convert_binary_result_type_wrapperINS9_3SumENS9_22TransformInputIteratorIbN2at6native12_GLOBAL__N_19NonZeroOpIN3c107complexIfEEEEPKSK_lEEiEEEE10hipError_tPvRmT1_T2_T3_mT4_P12ihipStream_tbEUlT_E0_NS1_11comp_targetILNS1_3genE9ELNS1_11target_archE1100ELNS1_3gpuE3ELNS1_3repE0EEENS1_30default_config_static_selectorELNS0_4arch9wavefront6targetE0EEEvST_,"axG",@progbits,_ZN7rocprim17ROCPRIM_400000_NS6detail17trampoline_kernelINS0_14default_configENS1_22reduce_config_selectorIiEEZNS1_11reduce_implILb1ES3_PiS7_iN6hipcub16HIPCUB_304000_NS6detail34convert_binary_result_type_wrapperINS9_3SumENS9_22TransformInputIteratorIbN2at6native12_GLOBAL__N_19NonZeroOpIN3c107complexIfEEEEPKSK_lEEiEEEE10hipError_tPvRmT1_T2_T3_mT4_P12ihipStream_tbEUlT_E0_NS1_11comp_targetILNS1_3genE9ELNS1_11target_archE1100ELNS1_3gpuE3ELNS1_3repE0EEENS1_30default_config_static_selectorELNS0_4arch9wavefront6targetE0EEEvST_,comdat
.Lfunc_end565:
	.size	_ZN7rocprim17ROCPRIM_400000_NS6detail17trampoline_kernelINS0_14default_configENS1_22reduce_config_selectorIiEEZNS1_11reduce_implILb1ES3_PiS7_iN6hipcub16HIPCUB_304000_NS6detail34convert_binary_result_type_wrapperINS9_3SumENS9_22TransformInputIteratorIbN2at6native12_GLOBAL__N_19NonZeroOpIN3c107complexIfEEEEPKSK_lEEiEEEE10hipError_tPvRmT1_T2_T3_mT4_P12ihipStream_tbEUlT_E0_NS1_11comp_targetILNS1_3genE9ELNS1_11target_archE1100ELNS1_3gpuE3ELNS1_3repE0EEENS1_30default_config_static_selectorELNS0_4arch9wavefront6targetE0EEEvST_, .Lfunc_end565-_ZN7rocprim17ROCPRIM_400000_NS6detail17trampoline_kernelINS0_14default_configENS1_22reduce_config_selectorIiEEZNS1_11reduce_implILb1ES3_PiS7_iN6hipcub16HIPCUB_304000_NS6detail34convert_binary_result_type_wrapperINS9_3SumENS9_22TransformInputIteratorIbN2at6native12_GLOBAL__N_19NonZeroOpIN3c107complexIfEEEEPKSK_lEEiEEEE10hipError_tPvRmT1_T2_T3_mT4_P12ihipStream_tbEUlT_E0_NS1_11comp_targetILNS1_3genE9ELNS1_11target_archE1100ELNS1_3gpuE3ELNS1_3repE0EEENS1_30default_config_static_selectorELNS0_4arch9wavefront6targetE0EEEvST_
                                        ; -- End function
	.section	.AMDGPU.csdata,"",@progbits
; Kernel info:
; codeLenInByte = 1664
; NumSgprs: 24
; NumVgprs: 12
; ScratchSize: 0
; MemoryBound: 0
; FloatMode: 240
; IeeeMode: 1
; LDSByteSize: 64 bytes/workgroup (compile time only)
; SGPRBlocks: 2
; VGPRBlocks: 1
; NumSGPRsForWavesPerEU: 24
; NumVGPRsForWavesPerEU: 12
; Occupancy: 16
; WaveLimiterHint : 1
; COMPUTE_PGM_RSRC2:SCRATCH_EN: 0
; COMPUTE_PGM_RSRC2:USER_SGPR: 15
; COMPUTE_PGM_RSRC2:TRAP_HANDLER: 0
; COMPUTE_PGM_RSRC2:TGID_X_EN: 1
; COMPUTE_PGM_RSRC2:TGID_Y_EN: 0
; COMPUTE_PGM_RSRC2:TGID_Z_EN: 0
; COMPUTE_PGM_RSRC2:TIDIG_COMP_CNT: 0
	.section	.text._ZN7rocprim17ROCPRIM_400000_NS6detail17trampoline_kernelINS0_14default_configENS1_22reduce_config_selectorIiEEZNS1_11reduce_implILb1ES3_PiS7_iN6hipcub16HIPCUB_304000_NS6detail34convert_binary_result_type_wrapperINS9_3SumENS9_22TransformInputIteratorIbN2at6native12_GLOBAL__N_19NonZeroOpIN3c107complexIfEEEEPKSK_lEEiEEEE10hipError_tPvRmT1_T2_T3_mT4_P12ihipStream_tbEUlT_E0_NS1_11comp_targetILNS1_3genE8ELNS1_11target_archE1030ELNS1_3gpuE2ELNS1_3repE0EEENS1_30default_config_static_selectorELNS0_4arch9wavefront6targetE0EEEvST_,"axG",@progbits,_ZN7rocprim17ROCPRIM_400000_NS6detail17trampoline_kernelINS0_14default_configENS1_22reduce_config_selectorIiEEZNS1_11reduce_implILb1ES3_PiS7_iN6hipcub16HIPCUB_304000_NS6detail34convert_binary_result_type_wrapperINS9_3SumENS9_22TransformInputIteratorIbN2at6native12_GLOBAL__N_19NonZeroOpIN3c107complexIfEEEEPKSK_lEEiEEEE10hipError_tPvRmT1_T2_T3_mT4_P12ihipStream_tbEUlT_E0_NS1_11comp_targetILNS1_3genE8ELNS1_11target_archE1030ELNS1_3gpuE2ELNS1_3repE0EEENS1_30default_config_static_selectorELNS0_4arch9wavefront6targetE0EEEvST_,comdat
	.globl	_ZN7rocprim17ROCPRIM_400000_NS6detail17trampoline_kernelINS0_14default_configENS1_22reduce_config_selectorIiEEZNS1_11reduce_implILb1ES3_PiS7_iN6hipcub16HIPCUB_304000_NS6detail34convert_binary_result_type_wrapperINS9_3SumENS9_22TransformInputIteratorIbN2at6native12_GLOBAL__N_19NonZeroOpIN3c107complexIfEEEEPKSK_lEEiEEEE10hipError_tPvRmT1_T2_T3_mT4_P12ihipStream_tbEUlT_E0_NS1_11comp_targetILNS1_3genE8ELNS1_11target_archE1030ELNS1_3gpuE2ELNS1_3repE0EEENS1_30default_config_static_selectorELNS0_4arch9wavefront6targetE0EEEvST_ ; -- Begin function _ZN7rocprim17ROCPRIM_400000_NS6detail17trampoline_kernelINS0_14default_configENS1_22reduce_config_selectorIiEEZNS1_11reduce_implILb1ES3_PiS7_iN6hipcub16HIPCUB_304000_NS6detail34convert_binary_result_type_wrapperINS9_3SumENS9_22TransformInputIteratorIbN2at6native12_GLOBAL__N_19NonZeroOpIN3c107complexIfEEEEPKSK_lEEiEEEE10hipError_tPvRmT1_T2_T3_mT4_P12ihipStream_tbEUlT_E0_NS1_11comp_targetILNS1_3genE8ELNS1_11target_archE1030ELNS1_3gpuE2ELNS1_3repE0EEENS1_30default_config_static_selectorELNS0_4arch9wavefront6targetE0EEEvST_
	.p2align	8
	.type	_ZN7rocprim17ROCPRIM_400000_NS6detail17trampoline_kernelINS0_14default_configENS1_22reduce_config_selectorIiEEZNS1_11reduce_implILb1ES3_PiS7_iN6hipcub16HIPCUB_304000_NS6detail34convert_binary_result_type_wrapperINS9_3SumENS9_22TransformInputIteratorIbN2at6native12_GLOBAL__N_19NonZeroOpIN3c107complexIfEEEEPKSK_lEEiEEEE10hipError_tPvRmT1_T2_T3_mT4_P12ihipStream_tbEUlT_E0_NS1_11comp_targetILNS1_3genE8ELNS1_11target_archE1030ELNS1_3gpuE2ELNS1_3repE0EEENS1_30default_config_static_selectorELNS0_4arch9wavefront6targetE0EEEvST_,@function
_ZN7rocprim17ROCPRIM_400000_NS6detail17trampoline_kernelINS0_14default_configENS1_22reduce_config_selectorIiEEZNS1_11reduce_implILb1ES3_PiS7_iN6hipcub16HIPCUB_304000_NS6detail34convert_binary_result_type_wrapperINS9_3SumENS9_22TransformInputIteratorIbN2at6native12_GLOBAL__N_19NonZeroOpIN3c107complexIfEEEEPKSK_lEEiEEEE10hipError_tPvRmT1_T2_T3_mT4_P12ihipStream_tbEUlT_E0_NS1_11comp_targetILNS1_3genE8ELNS1_11target_archE1030ELNS1_3gpuE2ELNS1_3repE0EEENS1_30default_config_static_selectorELNS0_4arch9wavefront6targetE0EEEvST_: ; @_ZN7rocprim17ROCPRIM_400000_NS6detail17trampoline_kernelINS0_14default_configENS1_22reduce_config_selectorIiEEZNS1_11reduce_implILb1ES3_PiS7_iN6hipcub16HIPCUB_304000_NS6detail34convert_binary_result_type_wrapperINS9_3SumENS9_22TransformInputIteratorIbN2at6native12_GLOBAL__N_19NonZeroOpIN3c107complexIfEEEEPKSK_lEEiEEEE10hipError_tPvRmT1_T2_T3_mT4_P12ihipStream_tbEUlT_E0_NS1_11comp_targetILNS1_3genE8ELNS1_11target_archE1030ELNS1_3gpuE2ELNS1_3repE0EEENS1_30default_config_static_selectorELNS0_4arch9wavefront6targetE0EEEvST_
; %bb.0:
	.section	.rodata,"a",@progbits
	.p2align	6, 0x0
	.amdhsa_kernel _ZN7rocprim17ROCPRIM_400000_NS6detail17trampoline_kernelINS0_14default_configENS1_22reduce_config_selectorIiEEZNS1_11reduce_implILb1ES3_PiS7_iN6hipcub16HIPCUB_304000_NS6detail34convert_binary_result_type_wrapperINS9_3SumENS9_22TransformInputIteratorIbN2at6native12_GLOBAL__N_19NonZeroOpIN3c107complexIfEEEEPKSK_lEEiEEEE10hipError_tPvRmT1_T2_T3_mT4_P12ihipStream_tbEUlT_E0_NS1_11comp_targetILNS1_3genE8ELNS1_11target_archE1030ELNS1_3gpuE2ELNS1_3repE0EEENS1_30default_config_static_selectorELNS0_4arch9wavefront6targetE0EEEvST_
		.amdhsa_group_segment_fixed_size 0
		.amdhsa_private_segment_fixed_size 0
		.amdhsa_kernarg_size 56
		.amdhsa_user_sgpr_count 15
		.amdhsa_user_sgpr_dispatch_ptr 0
		.amdhsa_user_sgpr_queue_ptr 0
		.amdhsa_user_sgpr_kernarg_segment_ptr 1
		.amdhsa_user_sgpr_dispatch_id 0
		.amdhsa_user_sgpr_private_segment_size 0
		.amdhsa_wavefront_size32 1
		.amdhsa_uses_dynamic_stack 0
		.amdhsa_enable_private_segment 0
		.amdhsa_system_sgpr_workgroup_id_x 1
		.amdhsa_system_sgpr_workgroup_id_y 0
		.amdhsa_system_sgpr_workgroup_id_z 0
		.amdhsa_system_sgpr_workgroup_info 0
		.amdhsa_system_vgpr_workitem_id 0
		.amdhsa_next_free_vgpr 1
		.amdhsa_next_free_sgpr 1
		.amdhsa_reserve_vcc 0
		.amdhsa_float_round_mode_32 0
		.amdhsa_float_round_mode_16_64 0
		.amdhsa_float_denorm_mode_32 3
		.amdhsa_float_denorm_mode_16_64 3
		.amdhsa_dx10_clamp 1
		.amdhsa_ieee_mode 1
		.amdhsa_fp16_overflow 0
		.amdhsa_workgroup_processor_mode 1
		.amdhsa_memory_ordered 1
		.amdhsa_forward_progress 0
		.amdhsa_shared_vgpr_count 0
		.amdhsa_exception_fp_ieee_invalid_op 0
		.amdhsa_exception_fp_denorm_src 0
		.amdhsa_exception_fp_ieee_div_zero 0
		.amdhsa_exception_fp_ieee_overflow 0
		.amdhsa_exception_fp_ieee_underflow 0
		.amdhsa_exception_fp_ieee_inexact 0
		.amdhsa_exception_int_div_zero 0
	.end_amdhsa_kernel
	.section	.text._ZN7rocprim17ROCPRIM_400000_NS6detail17trampoline_kernelINS0_14default_configENS1_22reduce_config_selectorIiEEZNS1_11reduce_implILb1ES3_PiS7_iN6hipcub16HIPCUB_304000_NS6detail34convert_binary_result_type_wrapperINS9_3SumENS9_22TransformInputIteratorIbN2at6native12_GLOBAL__N_19NonZeroOpIN3c107complexIfEEEEPKSK_lEEiEEEE10hipError_tPvRmT1_T2_T3_mT4_P12ihipStream_tbEUlT_E0_NS1_11comp_targetILNS1_3genE8ELNS1_11target_archE1030ELNS1_3gpuE2ELNS1_3repE0EEENS1_30default_config_static_selectorELNS0_4arch9wavefront6targetE0EEEvST_,"axG",@progbits,_ZN7rocprim17ROCPRIM_400000_NS6detail17trampoline_kernelINS0_14default_configENS1_22reduce_config_selectorIiEEZNS1_11reduce_implILb1ES3_PiS7_iN6hipcub16HIPCUB_304000_NS6detail34convert_binary_result_type_wrapperINS9_3SumENS9_22TransformInputIteratorIbN2at6native12_GLOBAL__N_19NonZeroOpIN3c107complexIfEEEEPKSK_lEEiEEEE10hipError_tPvRmT1_T2_T3_mT4_P12ihipStream_tbEUlT_E0_NS1_11comp_targetILNS1_3genE8ELNS1_11target_archE1030ELNS1_3gpuE2ELNS1_3repE0EEENS1_30default_config_static_selectorELNS0_4arch9wavefront6targetE0EEEvST_,comdat
.Lfunc_end566:
	.size	_ZN7rocprim17ROCPRIM_400000_NS6detail17trampoline_kernelINS0_14default_configENS1_22reduce_config_selectorIiEEZNS1_11reduce_implILb1ES3_PiS7_iN6hipcub16HIPCUB_304000_NS6detail34convert_binary_result_type_wrapperINS9_3SumENS9_22TransformInputIteratorIbN2at6native12_GLOBAL__N_19NonZeroOpIN3c107complexIfEEEEPKSK_lEEiEEEE10hipError_tPvRmT1_T2_T3_mT4_P12ihipStream_tbEUlT_E0_NS1_11comp_targetILNS1_3genE8ELNS1_11target_archE1030ELNS1_3gpuE2ELNS1_3repE0EEENS1_30default_config_static_selectorELNS0_4arch9wavefront6targetE0EEEvST_, .Lfunc_end566-_ZN7rocprim17ROCPRIM_400000_NS6detail17trampoline_kernelINS0_14default_configENS1_22reduce_config_selectorIiEEZNS1_11reduce_implILb1ES3_PiS7_iN6hipcub16HIPCUB_304000_NS6detail34convert_binary_result_type_wrapperINS9_3SumENS9_22TransformInputIteratorIbN2at6native12_GLOBAL__N_19NonZeroOpIN3c107complexIfEEEEPKSK_lEEiEEEE10hipError_tPvRmT1_T2_T3_mT4_P12ihipStream_tbEUlT_E0_NS1_11comp_targetILNS1_3genE8ELNS1_11target_archE1030ELNS1_3gpuE2ELNS1_3repE0EEENS1_30default_config_static_selectorELNS0_4arch9wavefront6targetE0EEEvST_
                                        ; -- End function
	.section	.AMDGPU.csdata,"",@progbits
; Kernel info:
; codeLenInByte = 0
; NumSgprs: 0
; NumVgprs: 0
; ScratchSize: 0
; MemoryBound: 0
; FloatMode: 240
; IeeeMode: 1
; LDSByteSize: 0 bytes/workgroup (compile time only)
; SGPRBlocks: 0
; VGPRBlocks: 0
; NumSGPRsForWavesPerEU: 1
; NumVGPRsForWavesPerEU: 1
; Occupancy: 16
; WaveLimiterHint : 0
; COMPUTE_PGM_RSRC2:SCRATCH_EN: 0
; COMPUTE_PGM_RSRC2:USER_SGPR: 15
; COMPUTE_PGM_RSRC2:TRAP_HANDLER: 0
; COMPUTE_PGM_RSRC2:TGID_X_EN: 1
; COMPUTE_PGM_RSRC2:TGID_Y_EN: 0
; COMPUTE_PGM_RSRC2:TGID_Z_EN: 0
; COMPUTE_PGM_RSRC2:TIDIG_COMP_CNT: 0
	.section	.text._ZN7rocprim17ROCPRIM_400000_NS6detail17trampoline_kernelINS0_14default_configENS1_22reduce_config_selectorIiEEZNS1_11reduce_implILb1ES3_PiS7_iN6hipcub16HIPCUB_304000_NS6detail34convert_binary_result_type_wrapperINS9_3SumENS9_22TransformInputIteratorIbN2at6native12_GLOBAL__N_19NonZeroOpIN3c107complexIfEEEEPKSK_lEEiEEEE10hipError_tPvRmT1_T2_T3_mT4_P12ihipStream_tbEUlT_E1_NS1_11comp_targetILNS1_3genE0ELNS1_11target_archE4294967295ELNS1_3gpuE0ELNS1_3repE0EEENS1_30default_config_static_selectorELNS0_4arch9wavefront6targetE0EEEvST_,"axG",@progbits,_ZN7rocprim17ROCPRIM_400000_NS6detail17trampoline_kernelINS0_14default_configENS1_22reduce_config_selectorIiEEZNS1_11reduce_implILb1ES3_PiS7_iN6hipcub16HIPCUB_304000_NS6detail34convert_binary_result_type_wrapperINS9_3SumENS9_22TransformInputIteratorIbN2at6native12_GLOBAL__N_19NonZeroOpIN3c107complexIfEEEEPKSK_lEEiEEEE10hipError_tPvRmT1_T2_T3_mT4_P12ihipStream_tbEUlT_E1_NS1_11comp_targetILNS1_3genE0ELNS1_11target_archE4294967295ELNS1_3gpuE0ELNS1_3repE0EEENS1_30default_config_static_selectorELNS0_4arch9wavefront6targetE0EEEvST_,comdat
	.globl	_ZN7rocprim17ROCPRIM_400000_NS6detail17trampoline_kernelINS0_14default_configENS1_22reduce_config_selectorIiEEZNS1_11reduce_implILb1ES3_PiS7_iN6hipcub16HIPCUB_304000_NS6detail34convert_binary_result_type_wrapperINS9_3SumENS9_22TransformInputIteratorIbN2at6native12_GLOBAL__N_19NonZeroOpIN3c107complexIfEEEEPKSK_lEEiEEEE10hipError_tPvRmT1_T2_T3_mT4_P12ihipStream_tbEUlT_E1_NS1_11comp_targetILNS1_3genE0ELNS1_11target_archE4294967295ELNS1_3gpuE0ELNS1_3repE0EEENS1_30default_config_static_selectorELNS0_4arch9wavefront6targetE0EEEvST_ ; -- Begin function _ZN7rocprim17ROCPRIM_400000_NS6detail17trampoline_kernelINS0_14default_configENS1_22reduce_config_selectorIiEEZNS1_11reduce_implILb1ES3_PiS7_iN6hipcub16HIPCUB_304000_NS6detail34convert_binary_result_type_wrapperINS9_3SumENS9_22TransformInputIteratorIbN2at6native12_GLOBAL__N_19NonZeroOpIN3c107complexIfEEEEPKSK_lEEiEEEE10hipError_tPvRmT1_T2_T3_mT4_P12ihipStream_tbEUlT_E1_NS1_11comp_targetILNS1_3genE0ELNS1_11target_archE4294967295ELNS1_3gpuE0ELNS1_3repE0EEENS1_30default_config_static_selectorELNS0_4arch9wavefront6targetE0EEEvST_
	.p2align	8
	.type	_ZN7rocprim17ROCPRIM_400000_NS6detail17trampoline_kernelINS0_14default_configENS1_22reduce_config_selectorIiEEZNS1_11reduce_implILb1ES3_PiS7_iN6hipcub16HIPCUB_304000_NS6detail34convert_binary_result_type_wrapperINS9_3SumENS9_22TransformInputIteratorIbN2at6native12_GLOBAL__N_19NonZeroOpIN3c107complexIfEEEEPKSK_lEEiEEEE10hipError_tPvRmT1_T2_T3_mT4_P12ihipStream_tbEUlT_E1_NS1_11comp_targetILNS1_3genE0ELNS1_11target_archE4294967295ELNS1_3gpuE0ELNS1_3repE0EEENS1_30default_config_static_selectorELNS0_4arch9wavefront6targetE0EEEvST_,@function
_ZN7rocprim17ROCPRIM_400000_NS6detail17trampoline_kernelINS0_14default_configENS1_22reduce_config_selectorIiEEZNS1_11reduce_implILb1ES3_PiS7_iN6hipcub16HIPCUB_304000_NS6detail34convert_binary_result_type_wrapperINS9_3SumENS9_22TransformInputIteratorIbN2at6native12_GLOBAL__N_19NonZeroOpIN3c107complexIfEEEEPKSK_lEEiEEEE10hipError_tPvRmT1_T2_T3_mT4_P12ihipStream_tbEUlT_E1_NS1_11comp_targetILNS1_3genE0ELNS1_11target_archE4294967295ELNS1_3gpuE0ELNS1_3repE0EEENS1_30default_config_static_selectorELNS0_4arch9wavefront6targetE0EEEvST_: ; @_ZN7rocprim17ROCPRIM_400000_NS6detail17trampoline_kernelINS0_14default_configENS1_22reduce_config_selectorIiEEZNS1_11reduce_implILb1ES3_PiS7_iN6hipcub16HIPCUB_304000_NS6detail34convert_binary_result_type_wrapperINS9_3SumENS9_22TransformInputIteratorIbN2at6native12_GLOBAL__N_19NonZeroOpIN3c107complexIfEEEEPKSK_lEEiEEEE10hipError_tPvRmT1_T2_T3_mT4_P12ihipStream_tbEUlT_E1_NS1_11comp_targetILNS1_3genE0ELNS1_11target_archE4294967295ELNS1_3gpuE0ELNS1_3repE0EEENS1_30default_config_static_selectorELNS0_4arch9wavefront6targetE0EEEvST_
; %bb.0:
	.section	.rodata,"a",@progbits
	.p2align	6, 0x0
	.amdhsa_kernel _ZN7rocprim17ROCPRIM_400000_NS6detail17trampoline_kernelINS0_14default_configENS1_22reduce_config_selectorIiEEZNS1_11reduce_implILb1ES3_PiS7_iN6hipcub16HIPCUB_304000_NS6detail34convert_binary_result_type_wrapperINS9_3SumENS9_22TransformInputIteratorIbN2at6native12_GLOBAL__N_19NonZeroOpIN3c107complexIfEEEEPKSK_lEEiEEEE10hipError_tPvRmT1_T2_T3_mT4_P12ihipStream_tbEUlT_E1_NS1_11comp_targetILNS1_3genE0ELNS1_11target_archE4294967295ELNS1_3gpuE0ELNS1_3repE0EEENS1_30default_config_static_selectorELNS0_4arch9wavefront6targetE0EEEvST_
		.amdhsa_group_segment_fixed_size 0
		.amdhsa_private_segment_fixed_size 0
		.amdhsa_kernarg_size 40
		.amdhsa_user_sgpr_count 15
		.amdhsa_user_sgpr_dispatch_ptr 0
		.amdhsa_user_sgpr_queue_ptr 0
		.amdhsa_user_sgpr_kernarg_segment_ptr 1
		.amdhsa_user_sgpr_dispatch_id 0
		.amdhsa_user_sgpr_private_segment_size 0
		.amdhsa_wavefront_size32 1
		.amdhsa_uses_dynamic_stack 0
		.amdhsa_enable_private_segment 0
		.amdhsa_system_sgpr_workgroup_id_x 1
		.amdhsa_system_sgpr_workgroup_id_y 0
		.amdhsa_system_sgpr_workgroup_id_z 0
		.amdhsa_system_sgpr_workgroup_info 0
		.amdhsa_system_vgpr_workitem_id 0
		.amdhsa_next_free_vgpr 1
		.amdhsa_next_free_sgpr 1
		.amdhsa_reserve_vcc 0
		.amdhsa_float_round_mode_32 0
		.amdhsa_float_round_mode_16_64 0
		.amdhsa_float_denorm_mode_32 3
		.amdhsa_float_denorm_mode_16_64 3
		.amdhsa_dx10_clamp 1
		.amdhsa_ieee_mode 1
		.amdhsa_fp16_overflow 0
		.amdhsa_workgroup_processor_mode 1
		.amdhsa_memory_ordered 1
		.amdhsa_forward_progress 0
		.amdhsa_shared_vgpr_count 0
		.amdhsa_exception_fp_ieee_invalid_op 0
		.amdhsa_exception_fp_denorm_src 0
		.amdhsa_exception_fp_ieee_div_zero 0
		.amdhsa_exception_fp_ieee_overflow 0
		.amdhsa_exception_fp_ieee_underflow 0
		.amdhsa_exception_fp_ieee_inexact 0
		.amdhsa_exception_int_div_zero 0
	.end_amdhsa_kernel
	.section	.text._ZN7rocprim17ROCPRIM_400000_NS6detail17trampoline_kernelINS0_14default_configENS1_22reduce_config_selectorIiEEZNS1_11reduce_implILb1ES3_PiS7_iN6hipcub16HIPCUB_304000_NS6detail34convert_binary_result_type_wrapperINS9_3SumENS9_22TransformInputIteratorIbN2at6native12_GLOBAL__N_19NonZeroOpIN3c107complexIfEEEEPKSK_lEEiEEEE10hipError_tPvRmT1_T2_T3_mT4_P12ihipStream_tbEUlT_E1_NS1_11comp_targetILNS1_3genE0ELNS1_11target_archE4294967295ELNS1_3gpuE0ELNS1_3repE0EEENS1_30default_config_static_selectorELNS0_4arch9wavefront6targetE0EEEvST_,"axG",@progbits,_ZN7rocprim17ROCPRIM_400000_NS6detail17trampoline_kernelINS0_14default_configENS1_22reduce_config_selectorIiEEZNS1_11reduce_implILb1ES3_PiS7_iN6hipcub16HIPCUB_304000_NS6detail34convert_binary_result_type_wrapperINS9_3SumENS9_22TransformInputIteratorIbN2at6native12_GLOBAL__N_19NonZeroOpIN3c107complexIfEEEEPKSK_lEEiEEEE10hipError_tPvRmT1_T2_T3_mT4_P12ihipStream_tbEUlT_E1_NS1_11comp_targetILNS1_3genE0ELNS1_11target_archE4294967295ELNS1_3gpuE0ELNS1_3repE0EEENS1_30default_config_static_selectorELNS0_4arch9wavefront6targetE0EEEvST_,comdat
.Lfunc_end567:
	.size	_ZN7rocprim17ROCPRIM_400000_NS6detail17trampoline_kernelINS0_14default_configENS1_22reduce_config_selectorIiEEZNS1_11reduce_implILb1ES3_PiS7_iN6hipcub16HIPCUB_304000_NS6detail34convert_binary_result_type_wrapperINS9_3SumENS9_22TransformInputIteratorIbN2at6native12_GLOBAL__N_19NonZeroOpIN3c107complexIfEEEEPKSK_lEEiEEEE10hipError_tPvRmT1_T2_T3_mT4_P12ihipStream_tbEUlT_E1_NS1_11comp_targetILNS1_3genE0ELNS1_11target_archE4294967295ELNS1_3gpuE0ELNS1_3repE0EEENS1_30default_config_static_selectorELNS0_4arch9wavefront6targetE0EEEvST_, .Lfunc_end567-_ZN7rocprim17ROCPRIM_400000_NS6detail17trampoline_kernelINS0_14default_configENS1_22reduce_config_selectorIiEEZNS1_11reduce_implILb1ES3_PiS7_iN6hipcub16HIPCUB_304000_NS6detail34convert_binary_result_type_wrapperINS9_3SumENS9_22TransformInputIteratorIbN2at6native12_GLOBAL__N_19NonZeroOpIN3c107complexIfEEEEPKSK_lEEiEEEE10hipError_tPvRmT1_T2_T3_mT4_P12ihipStream_tbEUlT_E1_NS1_11comp_targetILNS1_3genE0ELNS1_11target_archE4294967295ELNS1_3gpuE0ELNS1_3repE0EEENS1_30default_config_static_selectorELNS0_4arch9wavefront6targetE0EEEvST_
                                        ; -- End function
	.section	.AMDGPU.csdata,"",@progbits
; Kernel info:
; codeLenInByte = 0
; NumSgprs: 0
; NumVgprs: 0
; ScratchSize: 0
; MemoryBound: 0
; FloatMode: 240
; IeeeMode: 1
; LDSByteSize: 0 bytes/workgroup (compile time only)
; SGPRBlocks: 0
; VGPRBlocks: 0
; NumSGPRsForWavesPerEU: 1
; NumVGPRsForWavesPerEU: 1
; Occupancy: 16
; WaveLimiterHint : 0
; COMPUTE_PGM_RSRC2:SCRATCH_EN: 0
; COMPUTE_PGM_RSRC2:USER_SGPR: 15
; COMPUTE_PGM_RSRC2:TRAP_HANDLER: 0
; COMPUTE_PGM_RSRC2:TGID_X_EN: 1
; COMPUTE_PGM_RSRC2:TGID_Y_EN: 0
; COMPUTE_PGM_RSRC2:TGID_Z_EN: 0
; COMPUTE_PGM_RSRC2:TIDIG_COMP_CNT: 0
	.section	.text._ZN7rocprim17ROCPRIM_400000_NS6detail17trampoline_kernelINS0_14default_configENS1_22reduce_config_selectorIiEEZNS1_11reduce_implILb1ES3_PiS7_iN6hipcub16HIPCUB_304000_NS6detail34convert_binary_result_type_wrapperINS9_3SumENS9_22TransformInputIteratorIbN2at6native12_GLOBAL__N_19NonZeroOpIN3c107complexIfEEEEPKSK_lEEiEEEE10hipError_tPvRmT1_T2_T3_mT4_P12ihipStream_tbEUlT_E1_NS1_11comp_targetILNS1_3genE5ELNS1_11target_archE942ELNS1_3gpuE9ELNS1_3repE0EEENS1_30default_config_static_selectorELNS0_4arch9wavefront6targetE0EEEvST_,"axG",@progbits,_ZN7rocprim17ROCPRIM_400000_NS6detail17trampoline_kernelINS0_14default_configENS1_22reduce_config_selectorIiEEZNS1_11reduce_implILb1ES3_PiS7_iN6hipcub16HIPCUB_304000_NS6detail34convert_binary_result_type_wrapperINS9_3SumENS9_22TransformInputIteratorIbN2at6native12_GLOBAL__N_19NonZeroOpIN3c107complexIfEEEEPKSK_lEEiEEEE10hipError_tPvRmT1_T2_T3_mT4_P12ihipStream_tbEUlT_E1_NS1_11comp_targetILNS1_3genE5ELNS1_11target_archE942ELNS1_3gpuE9ELNS1_3repE0EEENS1_30default_config_static_selectorELNS0_4arch9wavefront6targetE0EEEvST_,comdat
	.globl	_ZN7rocprim17ROCPRIM_400000_NS6detail17trampoline_kernelINS0_14default_configENS1_22reduce_config_selectorIiEEZNS1_11reduce_implILb1ES3_PiS7_iN6hipcub16HIPCUB_304000_NS6detail34convert_binary_result_type_wrapperINS9_3SumENS9_22TransformInputIteratorIbN2at6native12_GLOBAL__N_19NonZeroOpIN3c107complexIfEEEEPKSK_lEEiEEEE10hipError_tPvRmT1_T2_T3_mT4_P12ihipStream_tbEUlT_E1_NS1_11comp_targetILNS1_3genE5ELNS1_11target_archE942ELNS1_3gpuE9ELNS1_3repE0EEENS1_30default_config_static_selectorELNS0_4arch9wavefront6targetE0EEEvST_ ; -- Begin function _ZN7rocprim17ROCPRIM_400000_NS6detail17trampoline_kernelINS0_14default_configENS1_22reduce_config_selectorIiEEZNS1_11reduce_implILb1ES3_PiS7_iN6hipcub16HIPCUB_304000_NS6detail34convert_binary_result_type_wrapperINS9_3SumENS9_22TransformInputIteratorIbN2at6native12_GLOBAL__N_19NonZeroOpIN3c107complexIfEEEEPKSK_lEEiEEEE10hipError_tPvRmT1_T2_T3_mT4_P12ihipStream_tbEUlT_E1_NS1_11comp_targetILNS1_3genE5ELNS1_11target_archE942ELNS1_3gpuE9ELNS1_3repE0EEENS1_30default_config_static_selectorELNS0_4arch9wavefront6targetE0EEEvST_
	.p2align	8
	.type	_ZN7rocprim17ROCPRIM_400000_NS6detail17trampoline_kernelINS0_14default_configENS1_22reduce_config_selectorIiEEZNS1_11reduce_implILb1ES3_PiS7_iN6hipcub16HIPCUB_304000_NS6detail34convert_binary_result_type_wrapperINS9_3SumENS9_22TransformInputIteratorIbN2at6native12_GLOBAL__N_19NonZeroOpIN3c107complexIfEEEEPKSK_lEEiEEEE10hipError_tPvRmT1_T2_T3_mT4_P12ihipStream_tbEUlT_E1_NS1_11comp_targetILNS1_3genE5ELNS1_11target_archE942ELNS1_3gpuE9ELNS1_3repE0EEENS1_30default_config_static_selectorELNS0_4arch9wavefront6targetE0EEEvST_,@function
_ZN7rocprim17ROCPRIM_400000_NS6detail17trampoline_kernelINS0_14default_configENS1_22reduce_config_selectorIiEEZNS1_11reduce_implILb1ES3_PiS7_iN6hipcub16HIPCUB_304000_NS6detail34convert_binary_result_type_wrapperINS9_3SumENS9_22TransformInputIteratorIbN2at6native12_GLOBAL__N_19NonZeroOpIN3c107complexIfEEEEPKSK_lEEiEEEE10hipError_tPvRmT1_T2_T3_mT4_P12ihipStream_tbEUlT_E1_NS1_11comp_targetILNS1_3genE5ELNS1_11target_archE942ELNS1_3gpuE9ELNS1_3repE0EEENS1_30default_config_static_selectorELNS0_4arch9wavefront6targetE0EEEvST_: ; @_ZN7rocprim17ROCPRIM_400000_NS6detail17trampoline_kernelINS0_14default_configENS1_22reduce_config_selectorIiEEZNS1_11reduce_implILb1ES3_PiS7_iN6hipcub16HIPCUB_304000_NS6detail34convert_binary_result_type_wrapperINS9_3SumENS9_22TransformInputIteratorIbN2at6native12_GLOBAL__N_19NonZeroOpIN3c107complexIfEEEEPKSK_lEEiEEEE10hipError_tPvRmT1_T2_T3_mT4_P12ihipStream_tbEUlT_E1_NS1_11comp_targetILNS1_3genE5ELNS1_11target_archE942ELNS1_3gpuE9ELNS1_3repE0EEENS1_30default_config_static_selectorELNS0_4arch9wavefront6targetE0EEEvST_
; %bb.0:
	.section	.rodata,"a",@progbits
	.p2align	6, 0x0
	.amdhsa_kernel _ZN7rocprim17ROCPRIM_400000_NS6detail17trampoline_kernelINS0_14default_configENS1_22reduce_config_selectorIiEEZNS1_11reduce_implILb1ES3_PiS7_iN6hipcub16HIPCUB_304000_NS6detail34convert_binary_result_type_wrapperINS9_3SumENS9_22TransformInputIteratorIbN2at6native12_GLOBAL__N_19NonZeroOpIN3c107complexIfEEEEPKSK_lEEiEEEE10hipError_tPvRmT1_T2_T3_mT4_P12ihipStream_tbEUlT_E1_NS1_11comp_targetILNS1_3genE5ELNS1_11target_archE942ELNS1_3gpuE9ELNS1_3repE0EEENS1_30default_config_static_selectorELNS0_4arch9wavefront6targetE0EEEvST_
		.amdhsa_group_segment_fixed_size 0
		.amdhsa_private_segment_fixed_size 0
		.amdhsa_kernarg_size 40
		.amdhsa_user_sgpr_count 15
		.amdhsa_user_sgpr_dispatch_ptr 0
		.amdhsa_user_sgpr_queue_ptr 0
		.amdhsa_user_sgpr_kernarg_segment_ptr 1
		.amdhsa_user_sgpr_dispatch_id 0
		.amdhsa_user_sgpr_private_segment_size 0
		.amdhsa_wavefront_size32 1
		.amdhsa_uses_dynamic_stack 0
		.amdhsa_enable_private_segment 0
		.amdhsa_system_sgpr_workgroup_id_x 1
		.amdhsa_system_sgpr_workgroup_id_y 0
		.amdhsa_system_sgpr_workgroup_id_z 0
		.amdhsa_system_sgpr_workgroup_info 0
		.amdhsa_system_vgpr_workitem_id 0
		.amdhsa_next_free_vgpr 1
		.amdhsa_next_free_sgpr 1
		.amdhsa_reserve_vcc 0
		.amdhsa_float_round_mode_32 0
		.amdhsa_float_round_mode_16_64 0
		.amdhsa_float_denorm_mode_32 3
		.amdhsa_float_denorm_mode_16_64 3
		.amdhsa_dx10_clamp 1
		.amdhsa_ieee_mode 1
		.amdhsa_fp16_overflow 0
		.amdhsa_workgroup_processor_mode 1
		.amdhsa_memory_ordered 1
		.amdhsa_forward_progress 0
		.amdhsa_shared_vgpr_count 0
		.amdhsa_exception_fp_ieee_invalid_op 0
		.amdhsa_exception_fp_denorm_src 0
		.amdhsa_exception_fp_ieee_div_zero 0
		.amdhsa_exception_fp_ieee_overflow 0
		.amdhsa_exception_fp_ieee_underflow 0
		.amdhsa_exception_fp_ieee_inexact 0
		.amdhsa_exception_int_div_zero 0
	.end_amdhsa_kernel
	.section	.text._ZN7rocprim17ROCPRIM_400000_NS6detail17trampoline_kernelINS0_14default_configENS1_22reduce_config_selectorIiEEZNS1_11reduce_implILb1ES3_PiS7_iN6hipcub16HIPCUB_304000_NS6detail34convert_binary_result_type_wrapperINS9_3SumENS9_22TransformInputIteratorIbN2at6native12_GLOBAL__N_19NonZeroOpIN3c107complexIfEEEEPKSK_lEEiEEEE10hipError_tPvRmT1_T2_T3_mT4_P12ihipStream_tbEUlT_E1_NS1_11comp_targetILNS1_3genE5ELNS1_11target_archE942ELNS1_3gpuE9ELNS1_3repE0EEENS1_30default_config_static_selectorELNS0_4arch9wavefront6targetE0EEEvST_,"axG",@progbits,_ZN7rocprim17ROCPRIM_400000_NS6detail17trampoline_kernelINS0_14default_configENS1_22reduce_config_selectorIiEEZNS1_11reduce_implILb1ES3_PiS7_iN6hipcub16HIPCUB_304000_NS6detail34convert_binary_result_type_wrapperINS9_3SumENS9_22TransformInputIteratorIbN2at6native12_GLOBAL__N_19NonZeroOpIN3c107complexIfEEEEPKSK_lEEiEEEE10hipError_tPvRmT1_T2_T3_mT4_P12ihipStream_tbEUlT_E1_NS1_11comp_targetILNS1_3genE5ELNS1_11target_archE942ELNS1_3gpuE9ELNS1_3repE0EEENS1_30default_config_static_selectorELNS0_4arch9wavefront6targetE0EEEvST_,comdat
.Lfunc_end568:
	.size	_ZN7rocprim17ROCPRIM_400000_NS6detail17trampoline_kernelINS0_14default_configENS1_22reduce_config_selectorIiEEZNS1_11reduce_implILb1ES3_PiS7_iN6hipcub16HIPCUB_304000_NS6detail34convert_binary_result_type_wrapperINS9_3SumENS9_22TransformInputIteratorIbN2at6native12_GLOBAL__N_19NonZeroOpIN3c107complexIfEEEEPKSK_lEEiEEEE10hipError_tPvRmT1_T2_T3_mT4_P12ihipStream_tbEUlT_E1_NS1_11comp_targetILNS1_3genE5ELNS1_11target_archE942ELNS1_3gpuE9ELNS1_3repE0EEENS1_30default_config_static_selectorELNS0_4arch9wavefront6targetE0EEEvST_, .Lfunc_end568-_ZN7rocprim17ROCPRIM_400000_NS6detail17trampoline_kernelINS0_14default_configENS1_22reduce_config_selectorIiEEZNS1_11reduce_implILb1ES3_PiS7_iN6hipcub16HIPCUB_304000_NS6detail34convert_binary_result_type_wrapperINS9_3SumENS9_22TransformInputIteratorIbN2at6native12_GLOBAL__N_19NonZeroOpIN3c107complexIfEEEEPKSK_lEEiEEEE10hipError_tPvRmT1_T2_T3_mT4_P12ihipStream_tbEUlT_E1_NS1_11comp_targetILNS1_3genE5ELNS1_11target_archE942ELNS1_3gpuE9ELNS1_3repE0EEENS1_30default_config_static_selectorELNS0_4arch9wavefront6targetE0EEEvST_
                                        ; -- End function
	.section	.AMDGPU.csdata,"",@progbits
; Kernel info:
; codeLenInByte = 0
; NumSgprs: 0
; NumVgprs: 0
; ScratchSize: 0
; MemoryBound: 0
; FloatMode: 240
; IeeeMode: 1
; LDSByteSize: 0 bytes/workgroup (compile time only)
; SGPRBlocks: 0
; VGPRBlocks: 0
; NumSGPRsForWavesPerEU: 1
; NumVGPRsForWavesPerEU: 1
; Occupancy: 16
; WaveLimiterHint : 0
; COMPUTE_PGM_RSRC2:SCRATCH_EN: 0
; COMPUTE_PGM_RSRC2:USER_SGPR: 15
; COMPUTE_PGM_RSRC2:TRAP_HANDLER: 0
; COMPUTE_PGM_RSRC2:TGID_X_EN: 1
; COMPUTE_PGM_RSRC2:TGID_Y_EN: 0
; COMPUTE_PGM_RSRC2:TGID_Z_EN: 0
; COMPUTE_PGM_RSRC2:TIDIG_COMP_CNT: 0
	.section	.text._ZN7rocprim17ROCPRIM_400000_NS6detail17trampoline_kernelINS0_14default_configENS1_22reduce_config_selectorIiEEZNS1_11reduce_implILb1ES3_PiS7_iN6hipcub16HIPCUB_304000_NS6detail34convert_binary_result_type_wrapperINS9_3SumENS9_22TransformInputIteratorIbN2at6native12_GLOBAL__N_19NonZeroOpIN3c107complexIfEEEEPKSK_lEEiEEEE10hipError_tPvRmT1_T2_T3_mT4_P12ihipStream_tbEUlT_E1_NS1_11comp_targetILNS1_3genE4ELNS1_11target_archE910ELNS1_3gpuE8ELNS1_3repE0EEENS1_30default_config_static_selectorELNS0_4arch9wavefront6targetE0EEEvST_,"axG",@progbits,_ZN7rocprim17ROCPRIM_400000_NS6detail17trampoline_kernelINS0_14default_configENS1_22reduce_config_selectorIiEEZNS1_11reduce_implILb1ES3_PiS7_iN6hipcub16HIPCUB_304000_NS6detail34convert_binary_result_type_wrapperINS9_3SumENS9_22TransformInputIteratorIbN2at6native12_GLOBAL__N_19NonZeroOpIN3c107complexIfEEEEPKSK_lEEiEEEE10hipError_tPvRmT1_T2_T3_mT4_P12ihipStream_tbEUlT_E1_NS1_11comp_targetILNS1_3genE4ELNS1_11target_archE910ELNS1_3gpuE8ELNS1_3repE0EEENS1_30default_config_static_selectorELNS0_4arch9wavefront6targetE0EEEvST_,comdat
	.globl	_ZN7rocprim17ROCPRIM_400000_NS6detail17trampoline_kernelINS0_14default_configENS1_22reduce_config_selectorIiEEZNS1_11reduce_implILb1ES3_PiS7_iN6hipcub16HIPCUB_304000_NS6detail34convert_binary_result_type_wrapperINS9_3SumENS9_22TransformInputIteratorIbN2at6native12_GLOBAL__N_19NonZeroOpIN3c107complexIfEEEEPKSK_lEEiEEEE10hipError_tPvRmT1_T2_T3_mT4_P12ihipStream_tbEUlT_E1_NS1_11comp_targetILNS1_3genE4ELNS1_11target_archE910ELNS1_3gpuE8ELNS1_3repE0EEENS1_30default_config_static_selectorELNS0_4arch9wavefront6targetE0EEEvST_ ; -- Begin function _ZN7rocprim17ROCPRIM_400000_NS6detail17trampoline_kernelINS0_14default_configENS1_22reduce_config_selectorIiEEZNS1_11reduce_implILb1ES3_PiS7_iN6hipcub16HIPCUB_304000_NS6detail34convert_binary_result_type_wrapperINS9_3SumENS9_22TransformInputIteratorIbN2at6native12_GLOBAL__N_19NonZeroOpIN3c107complexIfEEEEPKSK_lEEiEEEE10hipError_tPvRmT1_T2_T3_mT4_P12ihipStream_tbEUlT_E1_NS1_11comp_targetILNS1_3genE4ELNS1_11target_archE910ELNS1_3gpuE8ELNS1_3repE0EEENS1_30default_config_static_selectorELNS0_4arch9wavefront6targetE0EEEvST_
	.p2align	8
	.type	_ZN7rocprim17ROCPRIM_400000_NS6detail17trampoline_kernelINS0_14default_configENS1_22reduce_config_selectorIiEEZNS1_11reduce_implILb1ES3_PiS7_iN6hipcub16HIPCUB_304000_NS6detail34convert_binary_result_type_wrapperINS9_3SumENS9_22TransformInputIteratorIbN2at6native12_GLOBAL__N_19NonZeroOpIN3c107complexIfEEEEPKSK_lEEiEEEE10hipError_tPvRmT1_T2_T3_mT4_P12ihipStream_tbEUlT_E1_NS1_11comp_targetILNS1_3genE4ELNS1_11target_archE910ELNS1_3gpuE8ELNS1_3repE0EEENS1_30default_config_static_selectorELNS0_4arch9wavefront6targetE0EEEvST_,@function
_ZN7rocprim17ROCPRIM_400000_NS6detail17trampoline_kernelINS0_14default_configENS1_22reduce_config_selectorIiEEZNS1_11reduce_implILb1ES3_PiS7_iN6hipcub16HIPCUB_304000_NS6detail34convert_binary_result_type_wrapperINS9_3SumENS9_22TransformInputIteratorIbN2at6native12_GLOBAL__N_19NonZeroOpIN3c107complexIfEEEEPKSK_lEEiEEEE10hipError_tPvRmT1_T2_T3_mT4_P12ihipStream_tbEUlT_E1_NS1_11comp_targetILNS1_3genE4ELNS1_11target_archE910ELNS1_3gpuE8ELNS1_3repE0EEENS1_30default_config_static_selectorELNS0_4arch9wavefront6targetE0EEEvST_: ; @_ZN7rocprim17ROCPRIM_400000_NS6detail17trampoline_kernelINS0_14default_configENS1_22reduce_config_selectorIiEEZNS1_11reduce_implILb1ES3_PiS7_iN6hipcub16HIPCUB_304000_NS6detail34convert_binary_result_type_wrapperINS9_3SumENS9_22TransformInputIteratorIbN2at6native12_GLOBAL__N_19NonZeroOpIN3c107complexIfEEEEPKSK_lEEiEEEE10hipError_tPvRmT1_T2_T3_mT4_P12ihipStream_tbEUlT_E1_NS1_11comp_targetILNS1_3genE4ELNS1_11target_archE910ELNS1_3gpuE8ELNS1_3repE0EEENS1_30default_config_static_selectorELNS0_4arch9wavefront6targetE0EEEvST_
; %bb.0:
	.section	.rodata,"a",@progbits
	.p2align	6, 0x0
	.amdhsa_kernel _ZN7rocprim17ROCPRIM_400000_NS6detail17trampoline_kernelINS0_14default_configENS1_22reduce_config_selectorIiEEZNS1_11reduce_implILb1ES3_PiS7_iN6hipcub16HIPCUB_304000_NS6detail34convert_binary_result_type_wrapperINS9_3SumENS9_22TransformInputIteratorIbN2at6native12_GLOBAL__N_19NonZeroOpIN3c107complexIfEEEEPKSK_lEEiEEEE10hipError_tPvRmT1_T2_T3_mT4_P12ihipStream_tbEUlT_E1_NS1_11comp_targetILNS1_3genE4ELNS1_11target_archE910ELNS1_3gpuE8ELNS1_3repE0EEENS1_30default_config_static_selectorELNS0_4arch9wavefront6targetE0EEEvST_
		.amdhsa_group_segment_fixed_size 0
		.amdhsa_private_segment_fixed_size 0
		.amdhsa_kernarg_size 40
		.amdhsa_user_sgpr_count 15
		.amdhsa_user_sgpr_dispatch_ptr 0
		.amdhsa_user_sgpr_queue_ptr 0
		.amdhsa_user_sgpr_kernarg_segment_ptr 1
		.amdhsa_user_sgpr_dispatch_id 0
		.amdhsa_user_sgpr_private_segment_size 0
		.amdhsa_wavefront_size32 1
		.amdhsa_uses_dynamic_stack 0
		.amdhsa_enable_private_segment 0
		.amdhsa_system_sgpr_workgroup_id_x 1
		.amdhsa_system_sgpr_workgroup_id_y 0
		.amdhsa_system_sgpr_workgroup_id_z 0
		.amdhsa_system_sgpr_workgroup_info 0
		.amdhsa_system_vgpr_workitem_id 0
		.amdhsa_next_free_vgpr 1
		.amdhsa_next_free_sgpr 1
		.amdhsa_reserve_vcc 0
		.amdhsa_float_round_mode_32 0
		.amdhsa_float_round_mode_16_64 0
		.amdhsa_float_denorm_mode_32 3
		.amdhsa_float_denorm_mode_16_64 3
		.amdhsa_dx10_clamp 1
		.amdhsa_ieee_mode 1
		.amdhsa_fp16_overflow 0
		.amdhsa_workgroup_processor_mode 1
		.amdhsa_memory_ordered 1
		.amdhsa_forward_progress 0
		.amdhsa_shared_vgpr_count 0
		.amdhsa_exception_fp_ieee_invalid_op 0
		.amdhsa_exception_fp_denorm_src 0
		.amdhsa_exception_fp_ieee_div_zero 0
		.amdhsa_exception_fp_ieee_overflow 0
		.amdhsa_exception_fp_ieee_underflow 0
		.amdhsa_exception_fp_ieee_inexact 0
		.amdhsa_exception_int_div_zero 0
	.end_amdhsa_kernel
	.section	.text._ZN7rocprim17ROCPRIM_400000_NS6detail17trampoline_kernelINS0_14default_configENS1_22reduce_config_selectorIiEEZNS1_11reduce_implILb1ES3_PiS7_iN6hipcub16HIPCUB_304000_NS6detail34convert_binary_result_type_wrapperINS9_3SumENS9_22TransformInputIteratorIbN2at6native12_GLOBAL__N_19NonZeroOpIN3c107complexIfEEEEPKSK_lEEiEEEE10hipError_tPvRmT1_T2_T3_mT4_P12ihipStream_tbEUlT_E1_NS1_11comp_targetILNS1_3genE4ELNS1_11target_archE910ELNS1_3gpuE8ELNS1_3repE0EEENS1_30default_config_static_selectorELNS0_4arch9wavefront6targetE0EEEvST_,"axG",@progbits,_ZN7rocprim17ROCPRIM_400000_NS6detail17trampoline_kernelINS0_14default_configENS1_22reduce_config_selectorIiEEZNS1_11reduce_implILb1ES3_PiS7_iN6hipcub16HIPCUB_304000_NS6detail34convert_binary_result_type_wrapperINS9_3SumENS9_22TransformInputIteratorIbN2at6native12_GLOBAL__N_19NonZeroOpIN3c107complexIfEEEEPKSK_lEEiEEEE10hipError_tPvRmT1_T2_T3_mT4_P12ihipStream_tbEUlT_E1_NS1_11comp_targetILNS1_3genE4ELNS1_11target_archE910ELNS1_3gpuE8ELNS1_3repE0EEENS1_30default_config_static_selectorELNS0_4arch9wavefront6targetE0EEEvST_,comdat
.Lfunc_end569:
	.size	_ZN7rocprim17ROCPRIM_400000_NS6detail17trampoline_kernelINS0_14default_configENS1_22reduce_config_selectorIiEEZNS1_11reduce_implILb1ES3_PiS7_iN6hipcub16HIPCUB_304000_NS6detail34convert_binary_result_type_wrapperINS9_3SumENS9_22TransformInputIteratorIbN2at6native12_GLOBAL__N_19NonZeroOpIN3c107complexIfEEEEPKSK_lEEiEEEE10hipError_tPvRmT1_T2_T3_mT4_P12ihipStream_tbEUlT_E1_NS1_11comp_targetILNS1_3genE4ELNS1_11target_archE910ELNS1_3gpuE8ELNS1_3repE0EEENS1_30default_config_static_selectorELNS0_4arch9wavefront6targetE0EEEvST_, .Lfunc_end569-_ZN7rocprim17ROCPRIM_400000_NS6detail17trampoline_kernelINS0_14default_configENS1_22reduce_config_selectorIiEEZNS1_11reduce_implILb1ES3_PiS7_iN6hipcub16HIPCUB_304000_NS6detail34convert_binary_result_type_wrapperINS9_3SumENS9_22TransformInputIteratorIbN2at6native12_GLOBAL__N_19NonZeroOpIN3c107complexIfEEEEPKSK_lEEiEEEE10hipError_tPvRmT1_T2_T3_mT4_P12ihipStream_tbEUlT_E1_NS1_11comp_targetILNS1_3genE4ELNS1_11target_archE910ELNS1_3gpuE8ELNS1_3repE0EEENS1_30default_config_static_selectorELNS0_4arch9wavefront6targetE0EEEvST_
                                        ; -- End function
	.section	.AMDGPU.csdata,"",@progbits
; Kernel info:
; codeLenInByte = 0
; NumSgprs: 0
; NumVgprs: 0
; ScratchSize: 0
; MemoryBound: 0
; FloatMode: 240
; IeeeMode: 1
; LDSByteSize: 0 bytes/workgroup (compile time only)
; SGPRBlocks: 0
; VGPRBlocks: 0
; NumSGPRsForWavesPerEU: 1
; NumVGPRsForWavesPerEU: 1
; Occupancy: 16
; WaveLimiterHint : 0
; COMPUTE_PGM_RSRC2:SCRATCH_EN: 0
; COMPUTE_PGM_RSRC2:USER_SGPR: 15
; COMPUTE_PGM_RSRC2:TRAP_HANDLER: 0
; COMPUTE_PGM_RSRC2:TGID_X_EN: 1
; COMPUTE_PGM_RSRC2:TGID_Y_EN: 0
; COMPUTE_PGM_RSRC2:TGID_Z_EN: 0
; COMPUTE_PGM_RSRC2:TIDIG_COMP_CNT: 0
	.section	.text._ZN7rocprim17ROCPRIM_400000_NS6detail17trampoline_kernelINS0_14default_configENS1_22reduce_config_selectorIiEEZNS1_11reduce_implILb1ES3_PiS7_iN6hipcub16HIPCUB_304000_NS6detail34convert_binary_result_type_wrapperINS9_3SumENS9_22TransformInputIteratorIbN2at6native12_GLOBAL__N_19NonZeroOpIN3c107complexIfEEEEPKSK_lEEiEEEE10hipError_tPvRmT1_T2_T3_mT4_P12ihipStream_tbEUlT_E1_NS1_11comp_targetILNS1_3genE3ELNS1_11target_archE908ELNS1_3gpuE7ELNS1_3repE0EEENS1_30default_config_static_selectorELNS0_4arch9wavefront6targetE0EEEvST_,"axG",@progbits,_ZN7rocprim17ROCPRIM_400000_NS6detail17trampoline_kernelINS0_14default_configENS1_22reduce_config_selectorIiEEZNS1_11reduce_implILb1ES3_PiS7_iN6hipcub16HIPCUB_304000_NS6detail34convert_binary_result_type_wrapperINS9_3SumENS9_22TransformInputIteratorIbN2at6native12_GLOBAL__N_19NonZeroOpIN3c107complexIfEEEEPKSK_lEEiEEEE10hipError_tPvRmT1_T2_T3_mT4_P12ihipStream_tbEUlT_E1_NS1_11comp_targetILNS1_3genE3ELNS1_11target_archE908ELNS1_3gpuE7ELNS1_3repE0EEENS1_30default_config_static_selectorELNS0_4arch9wavefront6targetE0EEEvST_,comdat
	.globl	_ZN7rocprim17ROCPRIM_400000_NS6detail17trampoline_kernelINS0_14default_configENS1_22reduce_config_selectorIiEEZNS1_11reduce_implILb1ES3_PiS7_iN6hipcub16HIPCUB_304000_NS6detail34convert_binary_result_type_wrapperINS9_3SumENS9_22TransformInputIteratorIbN2at6native12_GLOBAL__N_19NonZeroOpIN3c107complexIfEEEEPKSK_lEEiEEEE10hipError_tPvRmT1_T2_T3_mT4_P12ihipStream_tbEUlT_E1_NS1_11comp_targetILNS1_3genE3ELNS1_11target_archE908ELNS1_3gpuE7ELNS1_3repE0EEENS1_30default_config_static_selectorELNS0_4arch9wavefront6targetE0EEEvST_ ; -- Begin function _ZN7rocprim17ROCPRIM_400000_NS6detail17trampoline_kernelINS0_14default_configENS1_22reduce_config_selectorIiEEZNS1_11reduce_implILb1ES3_PiS7_iN6hipcub16HIPCUB_304000_NS6detail34convert_binary_result_type_wrapperINS9_3SumENS9_22TransformInputIteratorIbN2at6native12_GLOBAL__N_19NonZeroOpIN3c107complexIfEEEEPKSK_lEEiEEEE10hipError_tPvRmT1_T2_T3_mT4_P12ihipStream_tbEUlT_E1_NS1_11comp_targetILNS1_3genE3ELNS1_11target_archE908ELNS1_3gpuE7ELNS1_3repE0EEENS1_30default_config_static_selectorELNS0_4arch9wavefront6targetE0EEEvST_
	.p2align	8
	.type	_ZN7rocprim17ROCPRIM_400000_NS6detail17trampoline_kernelINS0_14default_configENS1_22reduce_config_selectorIiEEZNS1_11reduce_implILb1ES3_PiS7_iN6hipcub16HIPCUB_304000_NS6detail34convert_binary_result_type_wrapperINS9_3SumENS9_22TransformInputIteratorIbN2at6native12_GLOBAL__N_19NonZeroOpIN3c107complexIfEEEEPKSK_lEEiEEEE10hipError_tPvRmT1_T2_T3_mT4_P12ihipStream_tbEUlT_E1_NS1_11comp_targetILNS1_3genE3ELNS1_11target_archE908ELNS1_3gpuE7ELNS1_3repE0EEENS1_30default_config_static_selectorELNS0_4arch9wavefront6targetE0EEEvST_,@function
_ZN7rocprim17ROCPRIM_400000_NS6detail17trampoline_kernelINS0_14default_configENS1_22reduce_config_selectorIiEEZNS1_11reduce_implILb1ES3_PiS7_iN6hipcub16HIPCUB_304000_NS6detail34convert_binary_result_type_wrapperINS9_3SumENS9_22TransformInputIteratorIbN2at6native12_GLOBAL__N_19NonZeroOpIN3c107complexIfEEEEPKSK_lEEiEEEE10hipError_tPvRmT1_T2_T3_mT4_P12ihipStream_tbEUlT_E1_NS1_11comp_targetILNS1_3genE3ELNS1_11target_archE908ELNS1_3gpuE7ELNS1_3repE0EEENS1_30default_config_static_selectorELNS0_4arch9wavefront6targetE0EEEvST_: ; @_ZN7rocprim17ROCPRIM_400000_NS6detail17trampoline_kernelINS0_14default_configENS1_22reduce_config_selectorIiEEZNS1_11reduce_implILb1ES3_PiS7_iN6hipcub16HIPCUB_304000_NS6detail34convert_binary_result_type_wrapperINS9_3SumENS9_22TransformInputIteratorIbN2at6native12_GLOBAL__N_19NonZeroOpIN3c107complexIfEEEEPKSK_lEEiEEEE10hipError_tPvRmT1_T2_T3_mT4_P12ihipStream_tbEUlT_E1_NS1_11comp_targetILNS1_3genE3ELNS1_11target_archE908ELNS1_3gpuE7ELNS1_3repE0EEENS1_30default_config_static_selectorELNS0_4arch9wavefront6targetE0EEEvST_
; %bb.0:
	.section	.rodata,"a",@progbits
	.p2align	6, 0x0
	.amdhsa_kernel _ZN7rocprim17ROCPRIM_400000_NS6detail17trampoline_kernelINS0_14default_configENS1_22reduce_config_selectorIiEEZNS1_11reduce_implILb1ES3_PiS7_iN6hipcub16HIPCUB_304000_NS6detail34convert_binary_result_type_wrapperINS9_3SumENS9_22TransformInputIteratorIbN2at6native12_GLOBAL__N_19NonZeroOpIN3c107complexIfEEEEPKSK_lEEiEEEE10hipError_tPvRmT1_T2_T3_mT4_P12ihipStream_tbEUlT_E1_NS1_11comp_targetILNS1_3genE3ELNS1_11target_archE908ELNS1_3gpuE7ELNS1_3repE0EEENS1_30default_config_static_selectorELNS0_4arch9wavefront6targetE0EEEvST_
		.amdhsa_group_segment_fixed_size 0
		.amdhsa_private_segment_fixed_size 0
		.amdhsa_kernarg_size 40
		.amdhsa_user_sgpr_count 15
		.amdhsa_user_sgpr_dispatch_ptr 0
		.amdhsa_user_sgpr_queue_ptr 0
		.amdhsa_user_sgpr_kernarg_segment_ptr 1
		.amdhsa_user_sgpr_dispatch_id 0
		.amdhsa_user_sgpr_private_segment_size 0
		.amdhsa_wavefront_size32 1
		.amdhsa_uses_dynamic_stack 0
		.amdhsa_enable_private_segment 0
		.amdhsa_system_sgpr_workgroup_id_x 1
		.amdhsa_system_sgpr_workgroup_id_y 0
		.amdhsa_system_sgpr_workgroup_id_z 0
		.amdhsa_system_sgpr_workgroup_info 0
		.amdhsa_system_vgpr_workitem_id 0
		.amdhsa_next_free_vgpr 1
		.amdhsa_next_free_sgpr 1
		.amdhsa_reserve_vcc 0
		.amdhsa_float_round_mode_32 0
		.amdhsa_float_round_mode_16_64 0
		.amdhsa_float_denorm_mode_32 3
		.amdhsa_float_denorm_mode_16_64 3
		.amdhsa_dx10_clamp 1
		.amdhsa_ieee_mode 1
		.amdhsa_fp16_overflow 0
		.amdhsa_workgroup_processor_mode 1
		.amdhsa_memory_ordered 1
		.amdhsa_forward_progress 0
		.amdhsa_shared_vgpr_count 0
		.amdhsa_exception_fp_ieee_invalid_op 0
		.amdhsa_exception_fp_denorm_src 0
		.amdhsa_exception_fp_ieee_div_zero 0
		.amdhsa_exception_fp_ieee_overflow 0
		.amdhsa_exception_fp_ieee_underflow 0
		.amdhsa_exception_fp_ieee_inexact 0
		.amdhsa_exception_int_div_zero 0
	.end_amdhsa_kernel
	.section	.text._ZN7rocprim17ROCPRIM_400000_NS6detail17trampoline_kernelINS0_14default_configENS1_22reduce_config_selectorIiEEZNS1_11reduce_implILb1ES3_PiS7_iN6hipcub16HIPCUB_304000_NS6detail34convert_binary_result_type_wrapperINS9_3SumENS9_22TransformInputIteratorIbN2at6native12_GLOBAL__N_19NonZeroOpIN3c107complexIfEEEEPKSK_lEEiEEEE10hipError_tPvRmT1_T2_T3_mT4_P12ihipStream_tbEUlT_E1_NS1_11comp_targetILNS1_3genE3ELNS1_11target_archE908ELNS1_3gpuE7ELNS1_3repE0EEENS1_30default_config_static_selectorELNS0_4arch9wavefront6targetE0EEEvST_,"axG",@progbits,_ZN7rocprim17ROCPRIM_400000_NS6detail17trampoline_kernelINS0_14default_configENS1_22reduce_config_selectorIiEEZNS1_11reduce_implILb1ES3_PiS7_iN6hipcub16HIPCUB_304000_NS6detail34convert_binary_result_type_wrapperINS9_3SumENS9_22TransformInputIteratorIbN2at6native12_GLOBAL__N_19NonZeroOpIN3c107complexIfEEEEPKSK_lEEiEEEE10hipError_tPvRmT1_T2_T3_mT4_P12ihipStream_tbEUlT_E1_NS1_11comp_targetILNS1_3genE3ELNS1_11target_archE908ELNS1_3gpuE7ELNS1_3repE0EEENS1_30default_config_static_selectorELNS0_4arch9wavefront6targetE0EEEvST_,comdat
.Lfunc_end570:
	.size	_ZN7rocprim17ROCPRIM_400000_NS6detail17trampoline_kernelINS0_14default_configENS1_22reduce_config_selectorIiEEZNS1_11reduce_implILb1ES3_PiS7_iN6hipcub16HIPCUB_304000_NS6detail34convert_binary_result_type_wrapperINS9_3SumENS9_22TransformInputIteratorIbN2at6native12_GLOBAL__N_19NonZeroOpIN3c107complexIfEEEEPKSK_lEEiEEEE10hipError_tPvRmT1_T2_T3_mT4_P12ihipStream_tbEUlT_E1_NS1_11comp_targetILNS1_3genE3ELNS1_11target_archE908ELNS1_3gpuE7ELNS1_3repE0EEENS1_30default_config_static_selectorELNS0_4arch9wavefront6targetE0EEEvST_, .Lfunc_end570-_ZN7rocprim17ROCPRIM_400000_NS6detail17trampoline_kernelINS0_14default_configENS1_22reduce_config_selectorIiEEZNS1_11reduce_implILb1ES3_PiS7_iN6hipcub16HIPCUB_304000_NS6detail34convert_binary_result_type_wrapperINS9_3SumENS9_22TransformInputIteratorIbN2at6native12_GLOBAL__N_19NonZeroOpIN3c107complexIfEEEEPKSK_lEEiEEEE10hipError_tPvRmT1_T2_T3_mT4_P12ihipStream_tbEUlT_E1_NS1_11comp_targetILNS1_3genE3ELNS1_11target_archE908ELNS1_3gpuE7ELNS1_3repE0EEENS1_30default_config_static_selectorELNS0_4arch9wavefront6targetE0EEEvST_
                                        ; -- End function
	.section	.AMDGPU.csdata,"",@progbits
; Kernel info:
; codeLenInByte = 0
; NumSgprs: 0
; NumVgprs: 0
; ScratchSize: 0
; MemoryBound: 0
; FloatMode: 240
; IeeeMode: 1
; LDSByteSize: 0 bytes/workgroup (compile time only)
; SGPRBlocks: 0
; VGPRBlocks: 0
; NumSGPRsForWavesPerEU: 1
; NumVGPRsForWavesPerEU: 1
; Occupancy: 16
; WaveLimiterHint : 0
; COMPUTE_PGM_RSRC2:SCRATCH_EN: 0
; COMPUTE_PGM_RSRC2:USER_SGPR: 15
; COMPUTE_PGM_RSRC2:TRAP_HANDLER: 0
; COMPUTE_PGM_RSRC2:TGID_X_EN: 1
; COMPUTE_PGM_RSRC2:TGID_Y_EN: 0
; COMPUTE_PGM_RSRC2:TGID_Z_EN: 0
; COMPUTE_PGM_RSRC2:TIDIG_COMP_CNT: 0
	.section	.text._ZN7rocprim17ROCPRIM_400000_NS6detail17trampoline_kernelINS0_14default_configENS1_22reduce_config_selectorIiEEZNS1_11reduce_implILb1ES3_PiS7_iN6hipcub16HIPCUB_304000_NS6detail34convert_binary_result_type_wrapperINS9_3SumENS9_22TransformInputIteratorIbN2at6native12_GLOBAL__N_19NonZeroOpIN3c107complexIfEEEEPKSK_lEEiEEEE10hipError_tPvRmT1_T2_T3_mT4_P12ihipStream_tbEUlT_E1_NS1_11comp_targetILNS1_3genE2ELNS1_11target_archE906ELNS1_3gpuE6ELNS1_3repE0EEENS1_30default_config_static_selectorELNS0_4arch9wavefront6targetE0EEEvST_,"axG",@progbits,_ZN7rocprim17ROCPRIM_400000_NS6detail17trampoline_kernelINS0_14default_configENS1_22reduce_config_selectorIiEEZNS1_11reduce_implILb1ES3_PiS7_iN6hipcub16HIPCUB_304000_NS6detail34convert_binary_result_type_wrapperINS9_3SumENS9_22TransformInputIteratorIbN2at6native12_GLOBAL__N_19NonZeroOpIN3c107complexIfEEEEPKSK_lEEiEEEE10hipError_tPvRmT1_T2_T3_mT4_P12ihipStream_tbEUlT_E1_NS1_11comp_targetILNS1_3genE2ELNS1_11target_archE906ELNS1_3gpuE6ELNS1_3repE0EEENS1_30default_config_static_selectorELNS0_4arch9wavefront6targetE0EEEvST_,comdat
	.globl	_ZN7rocprim17ROCPRIM_400000_NS6detail17trampoline_kernelINS0_14default_configENS1_22reduce_config_selectorIiEEZNS1_11reduce_implILb1ES3_PiS7_iN6hipcub16HIPCUB_304000_NS6detail34convert_binary_result_type_wrapperINS9_3SumENS9_22TransformInputIteratorIbN2at6native12_GLOBAL__N_19NonZeroOpIN3c107complexIfEEEEPKSK_lEEiEEEE10hipError_tPvRmT1_T2_T3_mT4_P12ihipStream_tbEUlT_E1_NS1_11comp_targetILNS1_3genE2ELNS1_11target_archE906ELNS1_3gpuE6ELNS1_3repE0EEENS1_30default_config_static_selectorELNS0_4arch9wavefront6targetE0EEEvST_ ; -- Begin function _ZN7rocprim17ROCPRIM_400000_NS6detail17trampoline_kernelINS0_14default_configENS1_22reduce_config_selectorIiEEZNS1_11reduce_implILb1ES3_PiS7_iN6hipcub16HIPCUB_304000_NS6detail34convert_binary_result_type_wrapperINS9_3SumENS9_22TransformInputIteratorIbN2at6native12_GLOBAL__N_19NonZeroOpIN3c107complexIfEEEEPKSK_lEEiEEEE10hipError_tPvRmT1_T2_T3_mT4_P12ihipStream_tbEUlT_E1_NS1_11comp_targetILNS1_3genE2ELNS1_11target_archE906ELNS1_3gpuE6ELNS1_3repE0EEENS1_30default_config_static_selectorELNS0_4arch9wavefront6targetE0EEEvST_
	.p2align	8
	.type	_ZN7rocprim17ROCPRIM_400000_NS6detail17trampoline_kernelINS0_14default_configENS1_22reduce_config_selectorIiEEZNS1_11reduce_implILb1ES3_PiS7_iN6hipcub16HIPCUB_304000_NS6detail34convert_binary_result_type_wrapperINS9_3SumENS9_22TransformInputIteratorIbN2at6native12_GLOBAL__N_19NonZeroOpIN3c107complexIfEEEEPKSK_lEEiEEEE10hipError_tPvRmT1_T2_T3_mT4_P12ihipStream_tbEUlT_E1_NS1_11comp_targetILNS1_3genE2ELNS1_11target_archE906ELNS1_3gpuE6ELNS1_3repE0EEENS1_30default_config_static_selectorELNS0_4arch9wavefront6targetE0EEEvST_,@function
_ZN7rocprim17ROCPRIM_400000_NS6detail17trampoline_kernelINS0_14default_configENS1_22reduce_config_selectorIiEEZNS1_11reduce_implILb1ES3_PiS7_iN6hipcub16HIPCUB_304000_NS6detail34convert_binary_result_type_wrapperINS9_3SumENS9_22TransformInputIteratorIbN2at6native12_GLOBAL__N_19NonZeroOpIN3c107complexIfEEEEPKSK_lEEiEEEE10hipError_tPvRmT1_T2_T3_mT4_P12ihipStream_tbEUlT_E1_NS1_11comp_targetILNS1_3genE2ELNS1_11target_archE906ELNS1_3gpuE6ELNS1_3repE0EEENS1_30default_config_static_selectorELNS0_4arch9wavefront6targetE0EEEvST_: ; @_ZN7rocprim17ROCPRIM_400000_NS6detail17trampoline_kernelINS0_14default_configENS1_22reduce_config_selectorIiEEZNS1_11reduce_implILb1ES3_PiS7_iN6hipcub16HIPCUB_304000_NS6detail34convert_binary_result_type_wrapperINS9_3SumENS9_22TransformInputIteratorIbN2at6native12_GLOBAL__N_19NonZeroOpIN3c107complexIfEEEEPKSK_lEEiEEEE10hipError_tPvRmT1_T2_T3_mT4_P12ihipStream_tbEUlT_E1_NS1_11comp_targetILNS1_3genE2ELNS1_11target_archE906ELNS1_3gpuE6ELNS1_3repE0EEENS1_30default_config_static_selectorELNS0_4arch9wavefront6targetE0EEEvST_
; %bb.0:
	.section	.rodata,"a",@progbits
	.p2align	6, 0x0
	.amdhsa_kernel _ZN7rocprim17ROCPRIM_400000_NS6detail17trampoline_kernelINS0_14default_configENS1_22reduce_config_selectorIiEEZNS1_11reduce_implILb1ES3_PiS7_iN6hipcub16HIPCUB_304000_NS6detail34convert_binary_result_type_wrapperINS9_3SumENS9_22TransformInputIteratorIbN2at6native12_GLOBAL__N_19NonZeroOpIN3c107complexIfEEEEPKSK_lEEiEEEE10hipError_tPvRmT1_T2_T3_mT4_P12ihipStream_tbEUlT_E1_NS1_11comp_targetILNS1_3genE2ELNS1_11target_archE906ELNS1_3gpuE6ELNS1_3repE0EEENS1_30default_config_static_selectorELNS0_4arch9wavefront6targetE0EEEvST_
		.amdhsa_group_segment_fixed_size 0
		.amdhsa_private_segment_fixed_size 0
		.amdhsa_kernarg_size 40
		.amdhsa_user_sgpr_count 15
		.amdhsa_user_sgpr_dispatch_ptr 0
		.amdhsa_user_sgpr_queue_ptr 0
		.amdhsa_user_sgpr_kernarg_segment_ptr 1
		.amdhsa_user_sgpr_dispatch_id 0
		.amdhsa_user_sgpr_private_segment_size 0
		.amdhsa_wavefront_size32 1
		.amdhsa_uses_dynamic_stack 0
		.amdhsa_enable_private_segment 0
		.amdhsa_system_sgpr_workgroup_id_x 1
		.amdhsa_system_sgpr_workgroup_id_y 0
		.amdhsa_system_sgpr_workgroup_id_z 0
		.amdhsa_system_sgpr_workgroup_info 0
		.amdhsa_system_vgpr_workitem_id 0
		.amdhsa_next_free_vgpr 1
		.amdhsa_next_free_sgpr 1
		.amdhsa_reserve_vcc 0
		.amdhsa_float_round_mode_32 0
		.amdhsa_float_round_mode_16_64 0
		.amdhsa_float_denorm_mode_32 3
		.amdhsa_float_denorm_mode_16_64 3
		.amdhsa_dx10_clamp 1
		.amdhsa_ieee_mode 1
		.amdhsa_fp16_overflow 0
		.amdhsa_workgroup_processor_mode 1
		.amdhsa_memory_ordered 1
		.amdhsa_forward_progress 0
		.amdhsa_shared_vgpr_count 0
		.amdhsa_exception_fp_ieee_invalid_op 0
		.amdhsa_exception_fp_denorm_src 0
		.amdhsa_exception_fp_ieee_div_zero 0
		.amdhsa_exception_fp_ieee_overflow 0
		.amdhsa_exception_fp_ieee_underflow 0
		.amdhsa_exception_fp_ieee_inexact 0
		.amdhsa_exception_int_div_zero 0
	.end_amdhsa_kernel
	.section	.text._ZN7rocprim17ROCPRIM_400000_NS6detail17trampoline_kernelINS0_14default_configENS1_22reduce_config_selectorIiEEZNS1_11reduce_implILb1ES3_PiS7_iN6hipcub16HIPCUB_304000_NS6detail34convert_binary_result_type_wrapperINS9_3SumENS9_22TransformInputIteratorIbN2at6native12_GLOBAL__N_19NonZeroOpIN3c107complexIfEEEEPKSK_lEEiEEEE10hipError_tPvRmT1_T2_T3_mT4_P12ihipStream_tbEUlT_E1_NS1_11comp_targetILNS1_3genE2ELNS1_11target_archE906ELNS1_3gpuE6ELNS1_3repE0EEENS1_30default_config_static_selectorELNS0_4arch9wavefront6targetE0EEEvST_,"axG",@progbits,_ZN7rocprim17ROCPRIM_400000_NS6detail17trampoline_kernelINS0_14default_configENS1_22reduce_config_selectorIiEEZNS1_11reduce_implILb1ES3_PiS7_iN6hipcub16HIPCUB_304000_NS6detail34convert_binary_result_type_wrapperINS9_3SumENS9_22TransformInputIteratorIbN2at6native12_GLOBAL__N_19NonZeroOpIN3c107complexIfEEEEPKSK_lEEiEEEE10hipError_tPvRmT1_T2_T3_mT4_P12ihipStream_tbEUlT_E1_NS1_11comp_targetILNS1_3genE2ELNS1_11target_archE906ELNS1_3gpuE6ELNS1_3repE0EEENS1_30default_config_static_selectorELNS0_4arch9wavefront6targetE0EEEvST_,comdat
.Lfunc_end571:
	.size	_ZN7rocprim17ROCPRIM_400000_NS6detail17trampoline_kernelINS0_14default_configENS1_22reduce_config_selectorIiEEZNS1_11reduce_implILb1ES3_PiS7_iN6hipcub16HIPCUB_304000_NS6detail34convert_binary_result_type_wrapperINS9_3SumENS9_22TransformInputIteratorIbN2at6native12_GLOBAL__N_19NonZeroOpIN3c107complexIfEEEEPKSK_lEEiEEEE10hipError_tPvRmT1_T2_T3_mT4_P12ihipStream_tbEUlT_E1_NS1_11comp_targetILNS1_3genE2ELNS1_11target_archE906ELNS1_3gpuE6ELNS1_3repE0EEENS1_30default_config_static_selectorELNS0_4arch9wavefront6targetE0EEEvST_, .Lfunc_end571-_ZN7rocprim17ROCPRIM_400000_NS6detail17trampoline_kernelINS0_14default_configENS1_22reduce_config_selectorIiEEZNS1_11reduce_implILb1ES3_PiS7_iN6hipcub16HIPCUB_304000_NS6detail34convert_binary_result_type_wrapperINS9_3SumENS9_22TransformInputIteratorIbN2at6native12_GLOBAL__N_19NonZeroOpIN3c107complexIfEEEEPKSK_lEEiEEEE10hipError_tPvRmT1_T2_T3_mT4_P12ihipStream_tbEUlT_E1_NS1_11comp_targetILNS1_3genE2ELNS1_11target_archE906ELNS1_3gpuE6ELNS1_3repE0EEENS1_30default_config_static_selectorELNS0_4arch9wavefront6targetE0EEEvST_
                                        ; -- End function
	.section	.AMDGPU.csdata,"",@progbits
; Kernel info:
; codeLenInByte = 0
; NumSgprs: 0
; NumVgprs: 0
; ScratchSize: 0
; MemoryBound: 0
; FloatMode: 240
; IeeeMode: 1
; LDSByteSize: 0 bytes/workgroup (compile time only)
; SGPRBlocks: 0
; VGPRBlocks: 0
; NumSGPRsForWavesPerEU: 1
; NumVGPRsForWavesPerEU: 1
; Occupancy: 16
; WaveLimiterHint : 0
; COMPUTE_PGM_RSRC2:SCRATCH_EN: 0
; COMPUTE_PGM_RSRC2:USER_SGPR: 15
; COMPUTE_PGM_RSRC2:TRAP_HANDLER: 0
; COMPUTE_PGM_RSRC2:TGID_X_EN: 1
; COMPUTE_PGM_RSRC2:TGID_Y_EN: 0
; COMPUTE_PGM_RSRC2:TGID_Z_EN: 0
; COMPUTE_PGM_RSRC2:TIDIG_COMP_CNT: 0
	.section	.text._ZN7rocprim17ROCPRIM_400000_NS6detail17trampoline_kernelINS0_14default_configENS1_22reduce_config_selectorIiEEZNS1_11reduce_implILb1ES3_PiS7_iN6hipcub16HIPCUB_304000_NS6detail34convert_binary_result_type_wrapperINS9_3SumENS9_22TransformInputIteratorIbN2at6native12_GLOBAL__N_19NonZeroOpIN3c107complexIfEEEEPKSK_lEEiEEEE10hipError_tPvRmT1_T2_T3_mT4_P12ihipStream_tbEUlT_E1_NS1_11comp_targetILNS1_3genE10ELNS1_11target_archE1201ELNS1_3gpuE5ELNS1_3repE0EEENS1_30default_config_static_selectorELNS0_4arch9wavefront6targetE0EEEvST_,"axG",@progbits,_ZN7rocprim17ROCPRIM_400000_NS6detail17trampoline_kernelINS0_14default_configENS1_22reduce_config_selectorIiEEZNS1_11reduce_implILb1ES3_PiS7_iN6hipcub16HIPCUB_304000_NS6detail34convert_binary_result_type_wrapperINS9_3SumENS9_22TransformInputIteratorIbN2at6native12_GLOBAL__N_19NonZeroOpIN3c107complexIfEEEEPKSK_lEEiEEEE10hipError_tPvRmT1_T2_T3_mT4_P12ihipStream_tbEUlT_E1_NS1_11comp_targetILNS1_3genE10ELNS1_11target_archE1201ELNS1_3gpuE5ELNS1_3repE0EEENS1_30default_config_static_selectorELNS0_4arch9wavefront6targetE0EEEvST_,comdat
	.globl	_ZN7rocprim17ROCPRIM_400000_NS6detail17trampoline_kernelINS0_14default_configENS1_22reduce_config_selectorIiEEZNS1_11reduce_implILb1ES3_PiS7_iN6hipcub16HIPCUB_304000_NS6detail34convert_binary_result_type_wrapperINS9_3SumENS9_22TransformInputIteratorIbN2at6native12_GLOBAL__N_19NonZeroOpIN3c107complexIfEEEEPKSK_lEEiEEEE10hipError_tPvRmT1_T2_T3_mT4_P12ihipStream_tbEUlT_E1_NS1_11comp_targetILNS1_3genE10ELNS1_11target_archE1201ELNS1_3gpuE5ELNS1_3repE0EEENS1_30default_config_static_selectorELNS0_4arch9wavefront6targetE0EEEvST_ ; -- Begin function _ZN7rocprim17ROCPRIM_400000_NS6detail17trampoline_kernelINS0_14default_configENS1_22reduce_config_selectorIiEEZNS1_11reduce_implILb1ES3_PiS7_iN6hipcub16HIPCUB_304000_NS6detail34convert_binary_result_type_wrapperINS9_3SumENS9_22TransformInputIteratorIbN2at6native12_GLOBAL__N_19NonZeroOpIN3c107complexIfEEEEPKSK_lEEiEEEE10hipError_tPvRmT1_T2_T3_mT4_P12ihipStream_tbEUlT_E1_NS1_11comp_targetILNS1_3genE10ELNS1_11target_archE1201ELNS1_3gpuE5ELNS1_3repE0EEENS1_30default_config_static_selectorELNS0_4arch9wavefront6targetE0EEEvST_
	.p2align	8
	.type	_ZN7rocprim17ROCPRIM_400000_NS6detail17trampoline_kernelINS0_14default_configENS1_22reduce_config_selectorIiEEZNS1_11reduce_implILb1ES3_PiS7_iN6hipcub16HIPCUB_304000_NS6detail34convert_binary_result_type_wrapperINS9_3SumENS9_22TransformInputIteratorIbN2at6native12_GLOBAL__N_19NonZeroOpIN3c107complexIfEEEEPKSK_lEEiEEEE10hipError_tPvRmT1_T2_T3_mT4_P12ihipStream_tbEUlT_E1_NS1_11comp_targetILNS1_3genE10ELNS1_11target_archE1201ELNS1_3gpuE5ELNS1_3repE0EEENS1_30default_config_static_selectorELNS0_4arch9wavefront6targetE0EEEvST_,@function
_ZN7rocprim17ROCPRIM_400000_NS6detail17trampoline_kernelINS0_14default_configENS1_22reduce_config_selectorIiEEZNS1_11reduce_implILb1ES3_PiS7_iN6hipcub16HIPCUB_304000_NS6detail34convert_binary_result_type_wrapperINS9_3SumENS9_22TransformInputIteratorIbN2at6native12_GLOBAL__N_19NonZeroOpIN3c107complexIfEEEEPKSK_lEEiEEEE10hipError_tPvRmT1_T2_T3_mT4_P12ihipStream_tbEUlT_E1_NS1_11comp_targetILNS1_3genE10ELNS1_11target_archE1201ELNS1_3gpuE5ELNS1_3repE0EEENS1_30default_config_static_selectorELNS0_4arch9wavefront6targetE0EEEvST_: ; @_ZN7rocprim17ROCPRIM_400000_NS6detail17trampoline_kernelINS0_14default_configENS1_22reduce_config_selectorIiEEZNS1_11reduce_implILb1ES3_PiS7_iN6hipcub16HIPCUB_304000_NS6detail34convert_binary_result_type_wrapperINS9_3SumENS9_22TransformInputIteratorIbN2at6native12_GLOBAL__N_19NonZeroOpIN3c107complexIfEEEEPKSK_lEEiEEEE10hipError_tPvRmT1_T2_T3_mT4_P12ihipStream_tbEUlT_E1_NS1_11comp_targetILNS1_3genE10ELNS1_11target_archE1201ELNS1_3gpuE5ELNS1_3repE0EEENS1_30default_config_static_selectorELNS0_4arch9wavefront6targetE0EEEvST_
; %bb.0:
	.section	.rodata,"a",@progbits
	.p2align	6, 0x0
	.amdhsa_kernel _ZN7rocprim17ROCPRIM_400000_NS6detail17trampoline_kernelINS0_14default_configENS1_22reduce_config_selectorIiEEZNS1_11reduce_implILb1ES3_PiS7_iN6hipcub16HIPCUB_304000_NS6detail34convert_binary_result_type_wrapperINS9_3SumENS9_22TransformInputIteratorIbN2at6native12_GLOBAL__N_19NonZeroOpIN3c107complexIfEEEEPKSK_lEEiEEEE10hipError_tPvRmT1_T2_T3_mT4_P12ihipStream_tbEUlT_E1_NS1_11comp_targetILNS1_3genE10ELNS1_11target_archE1201ELNS1_3gpuE5ELNS1_3repE0EEENS1_30default_config_static_selectorELNS0_4arch9wavefront6targetE0EEEvST_
		.amdhsa_group_segment_fixed_size 0
		.amdhsa_private_segment_fixed_size 0
		.amdhsa_kernarg_size 40
		.amdhsa_user_sgpr_count 15
		.amdhsa_user_sgpr_dispatch_ptr 0
		.amdhsa_user_sgpr_queue_ptr 0
		.amdhsa_user_sgpr_kernarg_segment_ptr 1
		.amdhsa_user_sgpr_dispatch_id 0
		.amdhsa_user_sgpr_private_segment_size 0
		.amdhsa_wavefront_size32 1
		.amdhsa_uses_dynamic_stack 0
		.amdhsa_enable_private_segment 0
		.amdhsa_system_sgpr_workgroup_id_x 1
		.amdhsa_system_sgpr_workgroup_id_y 0
		.amdhsa_system_sgpr_workgroup_id_z 0
		.amdhsa_system_sgpr_workgroup_info 0
		.amdhsa_system_vgpr_workitem_id 0
		.amdhsa_next_free_vgpr 1
		.amdhsa_next_free_sgpr 1
		.amdhsa_reserve_vcc 0
		.amdhsa_float_round_mode_32 0
		.amdhsa_float_round_mode_16_64 0
		.amdhsa_float_denorm_mode_32 3
		.amdhsa_float_denorm_mode_16_64 3
		.amdhsa_dx10_clamp 1
		.amdhsa_ieee_mode 1
		.amdhsa_fp16_overflow 0
		.amdhsa_workgroup_processor_mode 1
		.amdhsa_memory_ordered 1
		.amdhsa_forward_progress 0
		.amdhsa_shared_vgpr_count 0
		.amdhsa_exception_fp_ieee_invalid_op 0
		.amdhsa_exception_fp_denorm_src 0
		.amdhsa_exception_fp_ieee_div_zero 0
		.amdhsa_exception_fp_ieee_overflow 0
		.amdhsa_exception_fp_ieee_underflow 0
		.amdhsa_exception_fp_ieee_inexact 0
		.amdhsa_exception_int_div_zero 0
	.end_amdhsa_kernel
	.section	.text._ZN7rocprim17ROCPRIM_400000_NS6detail17trampoline_kernelINS0_14default_configENS1_22reduce_config_selectorIiEEZNS1_11reduce_implILb1ES3_PiS7_iN6hipcub16HIPCUB_304000_NS6detail34convert_binary_result_type_wrapperINS9_3SumENS9_22TransformInputIteratorIbN2at6native12_GLOBAL__N_19NonZeroOpIN3c107complexIfEEEEPKSK_lEEiEEEE10hipError_tPvRmT1_T2_T3_mT4_P12ihipStream_tbEUlT_E1_NS1_11comp_targetILNS1_3genE10ELNS1_11target_archE1201ELNS1_3gpuE5ELNS1_3repE0EEENS1_30default_config_static_selectorELNS0_4arch9wavefront6targetE0EEEvST_,"axG",@progbits,_ZN7rocprim17ROCPRIM_400000_NS6detail17trampoline_kernelINS0_14default_configENS1_22reduce_config_selectorIiEEZNS1_11reduce_implILb1ES3_PiS7_iN6hipcub16HIPCUB_304000_NS6detail34convert_binary_result_type_wrapperINS9_3SumENS9_22TransformInputIteratorIbN2at6native12_GLOBAL__N_19NonZeroOpIN3c107complexIfEEEEPKSK_lEEiEEEE10hipError_tPvRmT1_T2_T3_mT4_P12ihipStream_tbEUlT_E1_NS1_11comp_targetILNS1_3genE10ELNS1_11target_archE1201ELNS1_3gpuE5ELNS1_3repE0EEENS1_30default_config_static_selectorELNS0_4arch9wavefront6targetE0EEEvST_,comdat
.Lfunc_end572:
	.size	_ZN7rocprim17ROCPRIM_400000_NS6detail17trampoline_kernelINS0_14default_configENS1_22reduce_config_selectorIiEEZNS1_11reduce_implILb1ES3_PiS7_iN6hipcub16HIPCUB_304000_NS6detail34convert_binary_result_type_wrapperINS9_3SumENS9_22TransformInputIteratorIbN2at6native12_GLOBAL__N_19NonZeroOpIN3c107complexIfEEEEPKSK_lEEiEEEE10hipError_tPvRmT1_T2_T3_mT4_P12ihipStream_tbEUlT_E1_NS1_11comp_targetILNS1_3genE10ELNS1_11target_archE1201ELNS1_3gpuE5ELNS1_3repE0EEENS1_30default_config_static_selectorELNS0_4arch9wavefront6targetE0EEEvST_, .Lfunc_end572-_ZN7rocprim17ROCPRIM_400000_NS6detail17trampoline_kernelINS0_14default_configENS1_22reduce_config_selectorIiEEZNS1_11reduce_implILb1ES3_PiS7_iN6hipcub16HIPCUB_304000_NS6detail34convert_binary_result_type_wrapperINS9_3SumENS9_22TransformInputIteratorIbN2at6native12_GLOBAL__N_19NonZeroOpIN3c107complexIfEEEEPKSK_lEEiEEEE10hipError_tPvRmT1_T2_T3_mT4_P12ihipStream_tbEUlT_E1_NS1_11comp_targetILNS1_3genE10ELNS1_11target_archE1201ELNS1_3gpuE5ELNS1_3repE0EEENS1_30default_config_static_selectorELNS0_4arch9wavefront6targetE0EEEvST_
                                        ; -- End function
	.section	.AMDGPU.csdata,"",@progbits
; Kernel info:
; codeLenInByte = 0
; NumSgprs: 0
; NumVgprs: 0
; ScratchSize: 0
; MemoryBound: 0
; FloatMode: 240
; IeeeMode: 1
; LDSByteSize: 0 bytes/workgroup (compile time only)
; SGPRBlocks: 0
; VGPRBlocks: 0
; NumSGPRsForWavesPerEU: 1
; NumVGPRsForWavesPerEU: 1
; Occupancy: 16
; WaveLimiterHint : 0
; COMPUTE_PGM_RSRC2:SCRATCH_EN: 0
; COMPUTE_PGM_RSRC2:USER_SGPR: 15
; COMPUTE_PGM_RSRC2:TRAP_HANDLER: 0
; COMPUTE_PGM_RSRC2:TGID_X_EN: 1
; COMPUTE_PGM_RSRC2:TGID_Y_EN: 0
; COMPUTE_PGM_RSRC2:TGID_Z_EN: 0
; COMPUTE_PGM_RSRC2:TIDIG_COMP_CNT: 0
	.section	.text._ZN7rocprim17ROCPRIM_400000_NS6detail17trampoline_kernelINS0_14default_configENS1_22reduce_config_selectorIiEEZNS1_11reduce_implILb1ES3_PiS7_iN6hipcub16HIPCUB_304000_NS6detail34convert_binary_result_type_wrapperINS9_3SumENS9_22TransformInputIteratorIbN2at6native12_GLOBAL__N_19NonZeroOpIN3c107complexIfEEEEPKSK_lEEiEEEE10hipError_tPvRmT1_T2_T3_mT4_P12ihipStream_tbEUlT_E1_NS1_11comp_targetILNS1_3genE10ELNS1_11target_archE1200ELNS1_3gpuE4ELNS1_3repE0EEENS1_30default_config_static_selectorELNS0_4arch9wavefront6targetE0EEEvST_,"axG",@progbits,_ZN7rocprim17ROCPRIM_400000_NS6detail17trampoline_kernelINS0_14default_configENS1_22reduce_config_selectorIiEEZNS1_11reduce_implILb1ES3_PiS7_iN6hipcub16HIPCUB_304000_NS6detail34convert_binary_result_type_wrapperINS9_3SumENS9_22TransformInputIteratorIbN2at6native12_GLOBAL__N_19NonZeroOpIN3c107complexIfEEEEPKSK_lEEiEEEE10hipError_tPvRmT1_T2_T3_mT4_P12ihipStream_tbEUlT_E1_NS1_11comp_targetILNS1_3genE10ELNS1_11target_archE1200ELNS1_3gpuE4ELNS1_3repE0EEENS1_30default_config_static_selectorELNS0_4arch9wavefront6targetE0EEEvST_,comdat
	.globl	_ZN7rocprim17ROCPRIM_400000_NS6detail17trampoline_kernelINS0_14default_configENS1_22reduce_config_selectorIiEEZNS1_11reduce_implILb1ES3_PiS7_iN6hipcub16HIPCUB_304000_NS6detail34convert_binary_result_type_wrapperINS9_3SumENS9_22TransformInputIteratorIbN2at6native12_GLOBAL__N_19NonZeroOpIN3c107complexIfEEEEPKSK_lEEiEEEE10hipError_tPvRmT1_T2_T3_mT4_P12ihipStream_tbEUlT_E1_NS1_11comp_targetILNS1_3genE10ELNS1_11target_archE1200ELNS1_3gpuE4ELNS1_3repE0EEENS1_30default_config_static_selectorELNS0_4arch9wavefront6targetE0EEEvST_ ; -- Begin function _ZN7rocprim17ROCPRIM_400000_NS6detail17trampoline_kernelINS0_14default_configENS1_22reduce_config_selectorIiEEZNS1_11reduce_implILb1ES3_PiS7_iN6hipcub16HIPCUB_304000_NS6detail34convert_binary_result_type_wrapperINS9_3SumENS9_22TransformInputIteratorIbN2at6native12_GLOBAL__N_19NonZeroOpIN3c107complexIfEEEEPKSK_lEEiEEEE10hipError_tPvRmT1_T2_T3_mT4_P12ihipStream_tbEUlT_E1_NS1_11comp_targetILNS1_3genE10ELNS1_11target_archE1200ELNS1_3gpuE4ELNS1_3repE0EEENS1_30default_config_static_selectorELNS0_4arch9wavefront6targetE0EEEvST_
	.p2align	8
	.type	_ZN7rocprim17ROCPRIM_400000_NS6detail17trampoline_kernelINS0_14default_configENS1_22reduce_config_selectorIiEEZNS1_11reduce_implILb1ES3_PiS7_iN6hipcub16HIPCUB_304000_NS6detail34convert_binary_result_type_wrapperINS9_3SumENS9_22TransformInputIteratorIbN2at6native12_GLOBAL__N_19NonZeroOpIN3c107complexIfEEEEPKSK_lEEiEEEE10hipError_tPvRmT1_T2_T3_mT4_P12ihipStream_tbEUlT_E1_NS1_11comp_targetILNS1_3genE10ELNS1_11target_archE1200ELNS1_3gpuE4ELNS1_3repE0EEENS1_30default_config_static_selectorELNS0_4arch9wavefront6targetE0EEEvST_,@function
_ZN7rocprim17ROCPRIM_400000_NS6detail17trampoline_kernelINS0_14default_configENS1_22reduce_config_selectorIiEEZNS1_11reduce_implILb1ES3_PiS7_iN6hipcub16HIPCUB_304000_NS6detail34convert_binary_result_type_wrapperINS9_3SumENS9_22TransformInputIteratorIbN2at6native12_GLOBAL__N_19NonZeroOpIN3c107complexIfEEEEPKSK_lEEiEEEE10hipError_tPvRmT1_T2_T3_mT4_P12ihipStream_tbEUlT_E1_NS1_11comp_targetILNS1_3genE10ELNS1_11target_archE1200ELNS1_3gpuE4ELNS1_3repE0EEENS1_30default_config_static_selectorELNS0_4arch9wavefront6targetE0EEEvST_: ; @_ZN7rocprim17ROCPRIM_400000_NS6detail17trampoline_kernelINS0_14default_configENS1_22reduce_config_selectorIiEEZNS1_11reduce_implILb1ES3_PiS7_iN6hipcub16HIPCUB_304000_NS6detail34convert_binary_result_type_wrapperINS9_3SumENS9_22TransformInputIteratorIbN2at6native12_GLOBAL__N_19NonZeroOpIN3c107complexIfEEEEPKSK_lEEiEEEE10hipError_tPvRmT1_T2_T3_mT4_P12ihipStream_tbEUlT_E1_NS1_11comp_targetILNS1_3genE10ELNS1_11target_archE1200ELNS1_3gpuE4ELNS1_3repE0EEENS1_30default_config_static_selectorELNS0_4arch9wavefront6targetE0EEEvST_
; %bb.0:
	.section	.rodata,"a",@progbits
	.p2align	6, 0x0
	.amdhsa_kernel _ZN7rocprim17ROCPRIM_400000_NS6detail17trampoline_kernelINS0_14default_configENS1_22reduce_config_selectorIiEEZNS1_11reduce_implILb1ES3_PiS7_iN6hipcub16HIPCUB_304000_NS6detail34convert_binary_result_type_wrapperINS9_3SumENS9_22TransformInputIteratorIbN2at6native12_GLOBAL__N_19NonZeroOpIN3c107complexIfEEEEPKSK_lEEiEEEE10hipError_tPvRmT1_T2_T3_mT4_P12ihipStream_tbEUlT_E1_NS1_11comp_targetILNS1_3genE10ELNS1_11target_archE1200ELNS1_3gpuE4ELNS1_3repE0EEENS1_30default_config_static_selectorELNS0_4arch9wavefront6targetE0EEEvST_
		.amdhsa_group_segment_fixed_size 0
		.amdhsa_private_segment_fixed_size 0
		.amdhsa_kernarg_size 40
		.amdhsa_user_sgpr_count 15
		.amdhsa_user_sgpr_dispatch_ptr 0
		.amdhsa_user_sgpr_queue_ptr 0
		.amdhsa_user_sgpr_kernarg_segment_ptr 1
		.amdhsa_user_sgpr_dispatch_id 0
		.amdhsa_user_sgpr_private_segment_size 0
		.amdhsa_wavefront_size32 1
		.amdhsa_uses_dynamic_stack 0
		.amdhsa_enable_private_segment 0
		.amdhsa_system_sgpr_workgroup_id_x 1
		.amdhsa_system_sgpr_workgroup_id_y 0
		.amdhsa_system_sgpr_workgroup_id_z 0
		.amdhsa_system_sgpr_workgroup_info 0
		.amdhsa_system_vgpr_workitem_id 0
		.amdhsa_next_free_vgpr 1
		.amdhsa_next_free_sgpr 1
		.amdhsa_reserve_vcc 0
		.amdhsa_float_round_mode_32 0
		.amdhsa_float_round_mode_16_64 0
		.amdhsa_float_denorm_mode_32 3
		.amdhsa_float_denorm_mode_16_64 3
		.amdhsa_dx10_clamp 1
		.amdhsa_ieee_mode 1
		.amdhsa_fp16_overflow 0
		.amdhsa_workgroup_processor_mode 1
		.amdhsa_memory_ordered 1
		.amdhsa_forward_progress 0
		.amdhsa_shared_vgpr_count 0
		.amdhsa_exception_fp_ieee_invalid_op 0
		.amdhsa_exception_fp_denorm_src 0
		.amdhsa_exception_fp_ieee_div_zero 0
		.amdhsa_exception_fp_ieee_overflow 0
		.amdhsa_exception_fp_ieee_underflow 0
		.amdhsa_exception_fp_ieee_inexact 0
		.amdhsa_exception_int_div_zero 0
	.end_amdhsa_kernel
	.section	.text._ZN7rocprim17ROCPRIM_400000_NS6detail17trampoline_kernelINS0_14default_configENS1_22reduce_config_selectorIiEEZNS1_11reduce_implILb1ES3_PiS7_iN6hipcub16HIPCUB_304000_NS6detail34convert_binary_result_type_wrapperINS9_3SumENS9_22TransformInputIteratorIbN2at6native12_GLOBAL__N_19NonZeroOpIN3c107complexIfEEEEPKSK_lEEiEEEE10hipError_tPvRmT1_T2_T3_mT4_P12ihipStream_tbEUlT_E1_NS1_11comp_targetILNS1_3genE10ELNS1_11target_archE1200ELNS1_3gpuE4ELNS1_3repE0EEENS1_30default_config_static_selectorELNS0_4arch9wavefront6targetE0EEEvST_,"axG",@progbits,_ZN7rocprim17ROCPRIM_400000_NS6detail17trampoline_kernelINS0_14default_configENS1_22reduce_config_selectorIiEEZNS1_11reduce_implILb1ES3_PiS7_iN6hipcub16HIPCUB_304000_NS6detail34convert_binary_result_type_wrapperINS9_3SumENS9_22TransformInputIteratorIbN2at6native12_GLOBAL__N_19NonZeroOpIN3c107complexIfEEEEPKSK_lEEiEEEE10hipError_tPvRmT1_T2_T3_mT4_P12ihipStream_tbEUlT_E1_NS1_11comp_targetILNS1_3genE10ELNS1_11target_archE1200ELNS1_3gpuE4ELNS1_3repE0EEENS1_30default_config_static_selectorELNS0_4arch9wavefront6targetE0EEEvST_,comdat
.Lfunc_end573:
	.size	_ZN7rocprim17ROCPRIM_400000_NS6detail17trampoline_kernelINS0_14default_configENS1_22reduce_config_selectorIiEEZNS1_11reduce_implILb1ES3_PiS7_iN6hipcub16HIPCUB_304000_NS6detail34convert_binary_result_type_wrapperINS9_3SumENS9_22TransformInputIteratorIbN2at6native12_GLOBAL__N_19NonZeroOpIN3c107complexIfEEEEPKSK_lEEiEEEE10hipError_tPvRmT1_T2_T3_mT4_P12ihipStream_tbEUlT_E1_NS1_11comp_targetILNS1_3genE10ELNS1_11target_archE1200ELNS1_3gpuE4ELNS1_3repE0EEENS1_30default_config_static_selectorELNS0_4arch9wavefront6targetE0EEEvST_, .Lfunc_end573-_ZN7rocprim17ROCPRIM_400000_NS6detail17trampoline_kernelINS0_14default_configENS1_22reduce_config_selectorIiEEZNS1_11reduce_implILb1ES3_PiS7_iN6hipcub16HIPCUB_304000_NS6detail34convert_binary_result_type_wrapperINS9_3SumENS9_22TransformInputIteratorIbN2at6native12_GLOBAL__N_19NonZeroOpIN3c107complexIfEEEEPKSK_lEEiEEEE10hipError_tPvRmT1_T2_T3_mT4_P12ihipStream_tbEUlT_E1_NS1_11comp_targetILNS1_3genE10ELNS1_11target_archE1200ELNS1_3gpuE4ELNS1_3repE0EEENS1_30default_config_static_selectorELNS0_4arch9wavefront6targetE0EEEvST_
                                        ; -- End function
	.section	.AMDGPU.csdata,"",@progbits
; Kernel info:
; codeLenInByte = 0
; NumSgprs: 0
; NumVgprs: 0
; ScratchSize: 0
; MemoryBound: 0
; FloatMode: 240
; IeeeMode: 1
; LDSByteSize: 0 bytes/workgroup (compile time only)
; SGPRBlocks: 0
; VGPRBlocks: 0
; NumSGPRsForWavesPerEU: 1
; NumVGPRsForWavesPerEU: 1
; Occupancy: 16
; WaveLimiterHint : 0
; COMPUTE_PGM_RSRC2:SCRATCH_EN: 0
; COMPUTE_PGM_RSRC2:USER_SGPR: 15
; COMPUTE_PGM_RSRC2:TRAP_HANDLER: 0
; COMPUTE_PGM_RSRC2:TGID_X_EN: 1
; COMPUTE_PGM_RSRC2:TGID_Y_EN: 0
; COMPUTE_PGM_RSRC2:TGID_Z_EN: 0
; COMPUTE_PGM_RSRC2:TIDIG_COMP_CNT: 0
	.section	.text._ZN7rocprim17ROCPRIM_400000_NS6detail17trampoline_kernelINS0_14default_configENS1_22reduce_config_selectorIiEEZNS1_11reduce_implILb1ES3_PiS7_iN6hipcub16HIPCUB_304000_NS6detail34convert_binary_result_type_wrapperINS9_3SumENS9_22TransformInputIteratorIbN2at6native12_GLOBAL__N_19NonZeroOpIN3c107complexIfEEEEPKSK_lEEiEEEE10hipError_tPvRmT1_T2_T3_mT4_P12ihipStream_tbEUlT_E1_NS1_11comp_targetILNS1_3genE9ELNS1_11target_archE1100ELNS1_3gpuE3ELNS1_3repE0EEENS1_30default_config_static_selectorELNS0_4arch9wavefront6targetE0EEEvST_,"axG",@progbits,_ZN7rocprim17ROCPRIM_400000_NS6detail17trampoline_kernelINS0_14default_configENS1_22reduce_config_selectorIiEEZNS1_11reduce_implILb1ES3_PiS7_iN6hipcub16HIPCUB_304000_NS6detail34convert_binary_result_type_wrapperINS9_3SumENS9_22TransformInputIteratorIbN2at6native12_GLOBAL__N_19NonZeroOpIN3c107complexIfEEEEPKSK_lEEiEEEE10hipError_tPvRmT1_T2_T3_mT4_P12ihipStream_tbEUlT_E1_NS1_11comp_targetILNS1_3genE9ELNS1_11target_archE1100ELNS1_3gpuE3ELNS1_3repE0EEENS1_30default_config_static_selectorELNS0_4arch9wavefront6targetE0EEEvST_,comdat
	.globl	_ZN7rocprim17ROCPRIM_400000_NS6detail17trampoline_kernelINS0_14default_configENS1_22reduce_config_selectorIiEEZNS1_11reduce_implILb1ES3_PiS7_iN6hipcub16HIPCUB_304000_NS6detail34convert_binary_result_type_wrapperINS9_3SumENS9_22TransformInputIteratorIbN2at6native12_GLOBAL__N_19NonZeroOpIN3c107complexIfEEEEPKSK_lEEiEEEE10hipError_tPvRmT1_T2_T3_mT4_P12ihipStream_tbEUlT_E1_NS1_11comp_targetILNS1_3genE9ELNS1_11target_archE1100ELNS1_3gpuE3ELNS1_3repE0EEENS1_30default_config_static_selectorELNS0_4arch9wavefront6targetE0EEEvST_ ; -- Begin function _ZN7rocprim17ROCPRIM_400000_NS6detail17trampoline_kernelINS0_14default_configENS1_22reduce_config_selectorIiEEZNS1_11reduce_implILb1ES3_PiS7_iN6hipcub16HIPCUB_304000_NS6detail34convert_binary_result_type_wrapperINS9_3SumENS9_22TransformInputIteratorIbN2at6native12_GLOBAL__N_19NonZeroOpIN3c107complexIfEEEEPKSK_lEEiEEEE10hipError_tPvRmT1_T2_T3_mT4_P12ihipStream_tbEUlT_E1_NS1_11comp_targetILNS1_3genE9ELNS1_11target_archE1100ELNS1_3gpuE3ELNS1_3repE0EEENS1_30default_config_static_selectorELNS0_4arch9wavefront6targetE0EEEvST_
	.p2align	8
	.type	_ZN7rocprim17ROCPRIM_400000_NS6detail17trampoline_kernelINS0_14default_configENS1_22reduce_config_selectorIiEEZNS1_11reduce_implILb1ES3_PiS7_iN6hipcub16HIPCUB_304000_NS6detail34convert_binary_result_type_wrapperINS9_3SumENS9_22TransformInputIteratorIbN2at6native12_GLOBAL__N_19NonZeroOpIN3c107complexIfEEEEPKSK_lEEiEEEE10hipError_tPvRmT1_T2_T3_mT4_P12ihipStream_tbEUlT_E1_NS1_11comp_targetILNS1_3genE9ELNS1_11target_archE1100ELNS1_3gpuE3ELNS1_3repE0EEENS1_30default_config_static_selectorELNS0_4arch9wavefront6targetE0EEEvST_,@function
_ZN7rocprim17ROCPRIM_400000_NS6detail17trampoline_kernelINS0_14default_configENS1_22reduce_config_selectorIiEEZNS1_11reduce_implILb1ES3_PiS7_iN6hipcub16HIPCUB_304000_NS6detail34convert_binary_result_type_wrapperINS9_3SumENS9_22TransformInputIteratorIbN2at6native12_GLOBAL__N_19NonZeroOpIN3c107complexIfEEEEPKSK_lEEiEEEE10hipError_tPvRmT1_T2_T3_mT4_P12ihipStream_tbEUlT_E1_NS1_11comp_targetILNS1_3genE9ELNS1_11target_archE1100ELNS1_3gpuE3ELNS1_3repE0EEENS1_30default_config_static_selectorELNS0_4arch9wavefront6targetE0EEEvST_: ; @_ZN7rocprim17ROCPRIM_400000_NS6detail17trampoline_kernelINS0_14default_configENS1_22reduce_config_selectorIiEEZNS1_11reduce_implILb1ES3_PiS7_iN6hipcub16HIPCUB_304000_NS6detail34convert_binary_result_type_wrapperINS9_3SumENS9_22TransformInputIteratorIbN2at6native12_GLOBAL__N_19NonZeroOpIN3c107complexIfEEEEPKSK_lEEiEEEE10hipError_tPvRmT1_T2_T3_mT4_P12ihipStream_tbEUlT_E1_NS1_11comp_targetILNS1_3genE9ELNS1_11target_archE1100ELNS1_3gpuE3ELNS1_3repE0EEENS1_30default_config_static_selectorELNS0_4arch9wavefront6targetE0EEEvST_
; %bb.0:
	s_clause 0x1
	s_load_b32 s24, s[0:1], 0x4
	s_load_b128 s[16:19], s[0:1], 0x8
	s_mov_b32 s20, s15
	s_waitcnt lgkmcnt(0)
	s_cmp_lt_i32 s24, 8
	s_cbranch_scc1 .LBB574_11
; %bb.1:
	s_cmp_gt_i32 s24, 15
	s_cbranch_scc0 .LBB574_12
; %bb.2:
	s_cmp_gt_i32 s24, 31
	s_cbranch_scc0 .LBB574_13
; %bb.3:
	s_cmp_eq_u32 s24, 32
	s_mov_b32 s6, 0
	s_cbranch_scc0 .LBB574_14
; %bb.4:
	s_mov_b32 s21, 0
	s_lshl_b32 s4, s20, 13
	s_mov_b32 s5, s21
	s_lshr_b64 s[8:9], s[18:19], 13
	s_lshl_b64 s[2:3], s[4:5], 2
	s_delay_alu instid0(SALU_CYCLE_1)
	s_add_u32 s2, s16, s2
	s_addc_u32 s3, s17, s3
	s_cmp_lg_u64 s[8:9], s[20:21]
	s_cbranch_scc0 .LBB574_23
; %bb.5:
	v_lshlrev_b32_e32 v5, 2, v0
	s_clause 0x1
	global_load_b32 v9, v5, s[2:3]
	global_load_b32 v10, v5, s[2:3] offset:1024
	v_add_co_u32 v7, s5, s2, v5
	s_delay_alu instid0(VALU_DEP_1) | instskip(SKIP_1) | instid1(VALU_DEP_2)
	v_add_co_ci_u32_e64 v8, null, s3, 0, s5
	s_mov_b32 s5, exec_lo
	v_add_co_u32 v1, vcc_lo, 0x1000, v7
	s_delay_alu instid0(VALU_DEP_2)
	v_add_co_ci_u32_e32 v2, vcc_lo, 0, v8, vcc_lo
	s_clause 0x2
	global_load_b32 v11, v5, s[2:3] offset:2048
	global_load_b32 v12, v5, s[2:3] offset:3072
	global_load_b32 v13, v[1:2], off offset:1024
	v_add_co_u32 v3, vcc_lo, v7, 0x2000
	v_add_co_ci_u32_e32 v4, vcc_lo, 0, v8, vcc_lo
	v_add_co_u32 v5, vcc_lo, 0x2000, v7
	v_add_co_ci_u32_e32 v6, vcc_lo, 0, v8, vcc_lo
	s_clause 0x4
	global_load_b32 v14, v[3:4], off offset:-4096
	global_load_b32 v15, v[3:4], off
	global_load_b32 v16, v[1:2], off offset:2048
	global_load_b32 v17, v[1:2], off offset:3072
	;; [unrolled: 1-line block ×3, first 2 shown]
	v_add_co_u32 v1, vcc_lo, 0x3000, v7
	v_add_co_ci_u32_e32 v2, vcc_lo, 0, v8, vcc_lo
	s_clause 0x2
	global_load_b32 v19, v[5:6], off offset:2048
	global_load_b32 v20, v[5:6], off offset:3072
	;; [unrolled: 1-line block ×3, first 2 shown]
	v_add_co_u32 v3, vcc_lo, v7, 0x4000
	v_add_co_ci_u32_e32 v4, vcc_lo, 0, v8, vcc_lo
	v_add_co_u32 v5, vcc_lo, 0x4000, v7
	v_add_co_ci_u32_e32 v6, vcc_lo, 0, v8, vcc_lo
	s_clause 0x4
	global_load_b32 v22, v[3:4], off offset:-4096
	global_load_b32 v23, v[3:4], off
	global_load_b32 v24, v[1:2], off offset:2048
	global_load_b32 v25, v[1:2], off offset:3072
	;; [unrolled: 1-line block ×3, first 2 shown]
	v_add_co_u32 v1, vcc_lo, 0x5000, v7
	v_add_co_ci_u32_e32 v2, vcc_lo, 0, v8, vcc_lo
	v_add_co_u32 v3, vcc_lo, v7, 0x6000
	v_add_co_ci_u32_e32 v4, vcc_lo, 0, v8, vcc_lo
	s_clause 0x3
	global_load_b32 v27, v[5:6], off offset:2048
	global_load_b32 v28, v[5:6], off offset:3072
	global_load_b32 v29, v[3:4], off offset:-4096
	global_load_b32 v30, v[1:2], off offset:1024
	v_add_co_u32 v5, vcc_lo, 0x6000, v7
	v_add_co_ci_u32_e32 v6, vcc_lo, 0, v8, vcc_lo
	s_clause 0x3
	global_load_b32 v31, v[1:2], off offset:2048
	global_load_b32 v32, v[1:2], off offset:3072
	global_load_b32 v3, v[3:4], off
	global_load_b32 v4, v[5:6], off offset:1024
	v_add_co_u32 v1, vcc_lo, 0x7000, v7
	v_add_co_ci_u32_e32 v2, vcc_lo, 0, v8, vcc_lo
	s_clause 0x5
	global_load_b32 v7, v[5:6], off offset:2048
	global_load_b32 v5, v[5:6], off offset:3072
	global_load_b32 v6, v[1:2], off
	global_load_b32 v8, v[1:2], off offset:1024
	global_load_b32 v33, v[1:2], off offset:2048
	;; [unrolled: 1-line block ×3, first 2 shown]
	s_waitcnt vmcnt(30)
	v_add_nc_u32_e32 v2, v10, v9
	s_waitcnt vmcnt(28)
	s_delay_alu instid0(VALU_DEP_1) | instskip(SKIP_1) | instid1(VALU_DEP_1)
	v_add3_u32 v2, v2, v11, v12
	s_waitcnt vmcnt(26)
	v_add3_u32 v2, v2, v14, v13
	s_waitcnt vmcnt(23)
	s_delay_alu instid0(VALU_DEP_1) | instskip(SKIP_1) | instid1(VALU_DEP_1)
	v_add3_u32 v2, v2, v16, v17
	s_waitcnt vmcnt(22)
	v_add3_u32 v2, v2, v15, v18
	;; [unrolled: 5-line block ×6, first 2 shown]
	v_mov_b32_e32 v3, 0
	s_waitcnt vmcnt(4)
	s_delay_alu instid0(VALU_DEP_2) | instskip(SKIP_1) | instid1(VALU_DEP_1)
	v_add3_u32 v2, v2, v7, v5
	s_waitcnt vmcnt(2)
	v_add3_u32 v2, v2, v6, v8
	s_waitcnt vmcnt(0)
	s_delay_alu instid0(VALU_DEP_1) | instskip(NEXT) | instid1(VALU_DEP_1)
	v_add3_u32 v1, v2, v33, v1
	v_mov_b32_dpp v2, v1 quad_perm:[1,0,3,2] row_mask:0xf bank_mask:0xf
	s_delay_alu instid0(VALU_DEP_1) | instskip(NEXT) | instid1(VALU_DEP_1)
	v_add_nc_u32_e32 v1, v2, v1
	v_mov_b32_dpp v2, v1 quad_perm:[2,3,0,1] row_mask:0xf bank_mask:0xf
	s_delay_alu instid0(VALU_DEP_1) | instskip(NEXT) | instid1(VALU_DEP_1)
	v_add_nc_u32_e32 v1, v1, v2
	v_mov_b32_dpp v2, v1 row_ror:4 row_mask:0xf bank_mask:0xf
	s_delay_alu instid0(VALU_DEP_1) | instskip(NEXT) | instid1(VALU_DEP_1)
	v_add_nc_u32_e32 v1, v1, v2
	v_mov_b32_dpp v2, v1 row_ror:8 row_mask:0xf bank_mask:0xf
	s_delay_alu instid0(VALU_DEP_1)
	v_add_nc_u32_e32 v1, v1, v2
	ds_swizzle_b32 v2, v1 offset:swizzle(BROADCAST,32,15)
	s_waitcnt lgkmcnt(0)
	v_add_nc_u32_e32 v1, v1, v2
	v_mbcnt_lo_u32_b32 v2, -1, 0
	ds_bpermute_b32 v1, v3, v1 offset:124
	v_cmpx_eq_u32_e32 0, v2
	s_cbranch_execz .LBB574_7
; %bb.6:
	v_lshrrev_b32_e32 v3, 3, v0
	s_delay_alu instid0(VALU_DEP_1)
	v_and_b32_e32 v3, 28, v3
	s_waitcnt lgkmcnt(0)
	ds_store_b32 v3, v1 offset:96
.LBB574_7:
	s_or_b32 exec_lo, exec_lo, s5
	s_delay_alu instid0(SALU_CYCLE_1)
	s_mov_b32 s5, exec_lo
	s_waitcnt lgkmcnt(0)
	s_barrier
	buffer_gl0_inv
	v_cmpx_gt_u32_e32 32, v0
	s_cbranch_execz .LBB574_9
; %bb.8:
	v_lshl_or_b32 v1, v2, 2, 0x60
	v_and_b32_e32 v3, 7, v2
	ds_load_b32 v1, v1
	v_cmp_ne_u32_e32 vcc_lo, 7, v3
	v_add_co_ci_u32_e32 v4, vcc_lo, 0, v2, vcc_lo
	v_cmp_gt_u32_e32 vcc_lo, 6, v3
	s_delay_alu instid0(VALU_DEP_2) | instskip(SKIP_2) | instid1(VALU_DEP_2)
	v_lshlrev_b32_e32 v4, 2, v4
	v_cndmask_b32_e64 v5, 0, 1, vcc_lo
	v_cmp_gt_u32_e32 vcc_lo, 4, v3
	v_lshlrev_b32_e32 v5, 1, v5
	v_cndmask_b32_e64 v3, 0, 1, vcc_lo
	s_waitcnt lgkmcnt(0)
	ds_bpermute_b32 v4, v4, v1
	v_add_lshl_u32 v5, v5, v2, 2
	v_lshlrev_b32_e32 v3, 2, v3
	s_delay_alu instid0(VALU_DEP_1)
	v_add_lshl_u32 v2, v3, v2, 2
	s_waitcnt lgkmcnt(0)
	v_add_nc_u32_e32 v1, v4, v1
	ds_bpermute_b32 v4, v5, v1
	s_waitcnt lgkmcnt(0)
	v_add_nc_u32_e32 v1, v4, v1
	ds_bpermute_b32 v2, v2, v1
	s_waitcnt lgkmcnt(0)
	v_add_nc_u32_e32 v1, v2, v1
.LBB574_9:
	s_or_b32 exec_lo, exec_lo, s5
.LBB574_10:
	v_cmp_eq_u32_e64 s2, 0, v0
	s_and_b32 vcc_lo, exec_lo, s6
	s_cbranch_vccnz .LBB574_15
	s_branch .LBB574_93
.LBB574_11:
	s_mov_b32 s2, 0
                                        ; implicit-def: $vgpr1
	s_cbranch_execnz .LBB574_166
	s_branch .LBB574_224
.LBB574_12:
	s_mov_b32 s2, 0
                                        ; implicit-def: $vgpr1
	s_cbranch_execnz .LBB574_134
	s_branch .LBB574_142
.LBB574_13:
	s_mov_b32 s6, -1
.LBB574_14:
	s_mov_b32 s2, 0
                                        ; implicit-def: $vgpr1
	s_and_b32 vcc_lo, exec_lo, s6
	s_cbranch_vccz .LBB574_93
.LBB574_15:
	s_cmp_eq_u32 s24, 16
	s_cbranch_scc0 .LBB574_22
; %bb.16:
	s_mov_b32 s21, 0
	s_lshl_b32 s2, s20, 12
	s_mov_b32 s3, s21
	s_lshr_b64 s[6:7], s[18:19], 12
	s_lshl_b64 s[4:5], s[2:3], 2
	s_delay_alu instid0(SALU_CYCLE_1)
	s_add_u32 s22, s16, s4
	s_addc_u32 s23, s17, s5
	s_cmp_lg_u64 s[6:7], s[20:21]
	s_cbranch_scc0 .LBB574_94
; %bb.17:
	v_lshlrev_b32_e32 v5, 2, v0
	s_clause 0x1
	global_load_b32 v9, v5, s[22:23]
	global_load_b32 v10, v5, s[22:23] offset:1024
	v_add_co_u32 v7, s3, s22, v5
	s_delay_alu instid0(VALU_DEP_1) | instskip(SKIP_1) | instid1(VALU_DEP_2)
	v_add_co_ci_u32_e64 v8, null, s23, 0, s3
	s_mov_b32 s3, exec_lo
	v_add_co_u32 v1, vcc_lo, 0x1000, v7
	s_delay_alu instid0(VALU_DEP_2)
	v_add_co_ci_u32_e32 v2, vcc_lo, 0, v8, vcc_lo
	v_add_co_u32 v3, vcc_lo, v7, 0x2000
	v_add_co_ci_u32_e32 v4, vcc_lo, 0, v8, vcc_lo
	s_clause 0x3
	global_load_b32 v11, v5, s[22:23] offset:2048
	global_load_b32 v12, v5, s[22:23] offset:3072
	global_load_b32 v13, v[3:4], off offset:-4096
	global_load_b32 v14, v[1:2], off offset:1024
	v_add_co_u32 v5, vcc_lo, 0x2000, v7
	v_add_co_ci_u32_e32 v6, vcc_lo, 0, v8, vcc_lo
	s_clause 0x3
	global_load_b32 v15, v[1:2], off offset:2048
	global_load_b32 v16, v[1:2], off offset:3072
	global_load_b32 v3, v[3:4], off
	global_load_b32 v4, v[5:6], off offset:1024
	v_add_co_u32 v1, vcc_lo, 0x3000, v7
	v_add_co_ci_u32_e32 v2, vcc_lo, 0, v8, vcc_lo
	s_clause 0x5
	global_load_b32 v7, v[5:6], off offset:2048
	global_load_b32 v5, v[5:6], off offset:3072
	global_load_b32 v6, v[1:2], off
	global_load_b32 v8, v[1:2], off offset:1024
	global_load_b32 v17, v[1:2], off offset:2048
	;; [unrolled: 1-line block ×3, first 2 shown]
	s_waitcnt vmcnt(14)
	v_add_nc_u32_e32 v2, v10, v9
	s_waitcnt vmcnt(12)
	s_delay_alu instid0(VALU_DEP_1) | instskip(SKIP_1) | instid1(VALU_DEP_1)
	v_add3_u32 v2, v2, v11, v12
	s_waitcnt vmcnt(10)
	v_add3_u32 v2, v2, v13, v14
	s_waitcnt vmcnt(8)
	s_delay_alu instid0(VALU_DEP_1) | instskip(SKIP_1) | instid1(VALU_DEP_1)
	v_add3_u32 v2, v2, v15, v16
	s_waitcnt vmcnt(6)
	v_add3_u32 v2, v2, v3, v4
	v_mov_b32_e32 v3, 0
	s_waitcnt vmcnt(4)
	s_delay_alu instid0(VALU_DEP_2) | instskip(SKIP_1) | instid1(VALU_DEP_1)
	v_add3_u32 v2, v2, v7, v5
	s_waitcnt vmcnt(2)
	v_add3_u32 v2, v2, v6, v8
	s_waitcnt vmcnt(0)
	s_delay_alu instid0(VALU_DEP_1) | instskip(NEXT) | instid1(VALU_DEP_1)
	v_add3_u32 v1, v2, v17, v1
	v_mov_b32_dpp v2, v1 quad_perm:[1,0,3,2] row_mask:0xf bank_mask:0xf
	s_delay_alu instid0(VALU_DEP_1) | instskip(NEXT) | instid1(VALU_DEP_1)
	v_add_nc_u32_e32 v1, v2, v1
	v_mov_b32_dpp v2, v1 quad_perm:[2,3,0,1] row_mask:0xf bank_mask:0xf
	s_delay_alu instid0(VALU_DEP_1) | instskip(NEXT) | instid1(VALU_DEP_1)
	v_add_nc_u32_e32 v1, v1, v2
	v_mov_b32_dpp v2, v1 row_ror:4 row_mask:0xf bank_mask:0xf
	s_delay_alu instid0(VALU_DEP_1) | instskip(NEXT) | instid1(VALU_DEP_1)
	v_add_nc_u32_e32 v1, v1, v2
	v_mov_b32_dpp v2, v1 row_ror:8 row_mask:0xf bank_mask:0xf
	s_delay_alu instid0(VALU_DEP_1)
	v_add_nc_u32_e32 v1, v1, v2
	ds_swizzle_b32 v2, v1 offset:swizzle(BROADCAST,32,15)
	s_waitcnt lgkmcnt(0)
	v_add_nc_u32_e32 v1, v1, v2
	v_mbcnt_lo_u32_b32 v2, -1, 0
	ds_bpermute_b32 v1, v3, v1 offset:124
	v_cmpx_eq_u32_e32 0, v2
	s_cbranch_execz .LBB574_19
; %bb.18:
	v_lshrrev_b32_e32 v3, 3, v0
	s_delay_alu instid0(VALU_DEP_1)
	v_and_b32_e32 v3, 28, v3
	s_waitcnt lgkmcnt(0)
	ds_store_b32 v3, v1
.LBB574_19:
	s_or_b32 exec_lo, exec_lo, s3
	s_delay_alu instid0(SALU_CYCLE_1)
	s_mov_b32 s3, exec_lo
	s_waitcnt lgkmcnt(0)
	s_barrier
	buffer_gl0_inv
	v_cmpx_gt_u32_e32 32, v0
	s_cbranch_execz .LBB574_21
; %bb.20:
	v_and_b32_e32 v1, 7, v2
	s_delay_alu instid0(VALU_DEP_1) | instskip(SKIP_4) | instid1(VALU_DEP_2)
	v_lshlrev_b32_e32 v3, 2, v1
	v_cmp_ne_u32_e32 vcc_lo, 7, v1
	ds_load_b32 v3, v3
	v_add_co_ci_u32_e32 v4, vcc_lo, 0, v2, vcc_lo
	v_cmp_gt_u32_e32 vcc_lo, 6, v1
	v_lshlrev_b32_e32 v4, 2, v4
	v_cndmask_b32_e64 v5, 0, 1, vcc_lo
	v_cmp_gt_u32_e32 vcc_lo, 4, v1
	s_delay_alu instid0(VALU_DEP_2) | instskip(SKIP_1) | instid1(VALU_DEP_2)
	v_lshlrev_b32_e32 v5, 1, v5
	v_cndmask_b32_e64 v1, 0, 1, vcc_lo
	v_add_lshl_u32 v5, v5, v2, 2
	s_delay_alu instid0(VALU_DEP_2)
	v_lshlrev_b32_e32 v1, 2, v1
	s_waitcnt lgkmcnt(0)
	ds_bpermute_b32 v4, v4, v3
	v_add_lshl_u32 v1, v1, v2, 2
	s_waitcnt lgkmcnt(0)
	v_add_nc_u32_e32 v3, v4, v3
	ds_bpermute_b32 v4, v5, v3
	s_waitcnt lgkmcnt(0)
	v_add_nc_u32_e32 v3, v4, v3
	ds_bpermute_b32 v1, v1, v3
	s_waitcnt lgkmcnt(0)
	v_add_nc_u32_e32 v1, v1, v3
.LBB574_21:
	s_or_b32 exec_lo, exec_lo, s3
	s_mov_b32 s3, 0
	s_branch .LBB574_95
.LBB574_22:
                                        ; implicit-def: $vgpr1
	s_branch .LBB574_142
.LBB574_23:
                                        ; implicit-def: $vgpr1
	s_cbranch_execz .LBB574_10
; %bb.24:
	s_sub_i32 s4, s18, s4
	s_mov_b32 s5, exec_lo
                                        ; implicit-def: $vgpr1
	v_cmpx_gt_u32_e64 s4, v0
	s_cbranch_execz .LBB574_26
; %bb.25:
	v_lshlrev_b32_e32 v1, 2, v0
	global_load_b32 v1, v1, s[2:3]
.LBB574_26:
	s_or_b32 exec_lo, exec_lo, s5
	v_or_b32_e32 v3, 0x100, v0
	v_mov_b32_e32 v2, 0
	s_delay_alu instid0(VALU_DEP_2)
	v_cmp_gt_u32_e32 vcc_lo, s4, v3
	v_mov_b32_e32 v3, 0
	s_and_saveexec_b32 s5, vcc_lo
	s_cbranch_execz .LBB574_28
; %bb.27:
	v_lshlrev_b32_e32 v3, 2, v0
	global_load_b32 v3, v3, s[2:3] offset:1024
.LBB574_28:
	s_or_b32 exec_lo, exec_lo, s5
	v_or_b32_e32 v4, 0x200, v0
	s_mov_b32 s5, exec_lo
	s_delay_alu instid0(VALU_DEP_1)
	v_cmpx_gt_u32_e64 s4, v4
	s_cbranch_execz .LBB574_30
; %bb.29:
	v_lshlrev_b32_e32 v2, 2, v0
	global_load_b32 v2, v2, s[2:3] offset:2048
.LBB574_30:
	s_or_b32 exec_lo, exec_lo, s5
	v_or_b32_e32 v5, 0x300, v0
	v_mov_b32_e32 v4, 0
	s_delay_alu instid0(VALU_DEP_2)
	v_cmp_gt_u32_e32 vcc_lo, s4, v5
	v_mov_b32_e32 v5, 0
	s_and_saveexec_b32 s5, vcc_lo
	s_cbranch_execz .LBB574_32
; %bb.31:
	v_lshlrev_b32_e32 v5, 2, v0
	global_load_b32 v5, v5, s[2:3] offset:3072
.LBB574_32:
	s_or_b32 exec_lo, exec_lo, s5
	v_or_b32_e32 v6, 0x400, v0
	s_mov_b32 s5, exec_lo
	s_delay_alu instid0(VALU_DEP_1)
	v_cmpx_gt_u32_e64 s4, v6
	s_cbranch_execz .LBB574_34
; %bb.33:
	v_lshlrev_b32_e32 v4, 2, v6
	global_load_b32 v4, v4, s[2:3]
.LBB574_34:
	s_or_b32 exec_lo, exec_lo, s5
	v_or_b32_e32 v8, 0x500, v0
	v_dual_mov_b32 v6, 0 :: v_dual_mov_b32 v7, 0
	s_mov_b32 s5, exec_lo
	s_delay_alu instid0(VALU_DEP_2)
	v_cmpx_gt_u32_e64 s4, v8
	s_cbranch_execz .LBB574_36
; %bb.35:
	v_lshlrev_b32_e32 v7, 2, v8
	global_load_b32 v7, v7, s[2:3]
.LBB574_36:
	s_or_b32 exec_lo, exec_lo, s5
	v_or_b32_e32 v8, 0x600, v0
	s_mov_b32 s5, exec_lo
	s_delay_alu instid0(VALU_DEP_1)
	v_cmpx_gt_u32_e64 s4, v8
	s_cbranch_execz .LBB574_38
; %bb.37:
	v_lshlrev_b32_e32 v6, 2, v8
	global_load_b32 v6, v6, s[2:3]
.LBB574_38:
	s_or_b32 exec_lo, exec_lo, s5
	v_or_b32_e32 v10, 0x700, v0
	v_dual_mov_b32 v8, 0 :: v_dual_mov_b32 v9, 0
	s_mov_b32 s5, exec_lo
	s_delay_alu instid0(VALU_DEP_2)
	v_cmpx_gt_u32_e64 s4, v10
	s_cbranch_execz .LBB574_40
; %bb.39:
	v_lshlrev_b32_e32 v9, 2, v10
	global_load_b32 v9, v9, s[2:3]
.LBB574_40:
	;; [unrolled: 21-line block ×13, first 2 shown]
	s_or_b32 exec_lo, exec_lo, s5
	v_or_b32_e32 v32, 0x1e00, v0
	s_mov_b32 s5, exec_lo
	s_delay_alu instid0(VALU_DEP_1)
	v_cmpx_gt_u32_e64 s4, v32
	s_cbranch_execz .LBB574_86
; %bb.85:
	v_lshlrev_b32_e32 v30, 2, v32
	global_load_b32 v30, v30, s[2:3]
.LBB574_86:
	s_or_b32 exec_lo, exec_lo, s5
	v_or_b32_e32 v33, 0x1f00, v0
	v_mov_b32_e32 v32, 0
	s_mov_b32 s5, exec_lo
	s_delay_alu instid0(VALU_DEP_2)
	v_cmpx_gt_u32_e64 s4, v33
	s_cbranch_execz .LBB574_88
; %bb.87:
	v_lshlrev_b32_e32 v32, 2, v33
	global_load_b32 v32, v32, s[2:3]
.LBB574_88:
	s_or_b32 exec_lo, exec_lo, s5
	s_waitcnt vmcnt(0)
	v_add_nc_u32_e32 v1, v3, v1
	s_min_u32 s2, s4, 0x100
	s_mov_b32 s3, exec_lo
	s_delay_alu instid0(VALU_DEP_1) | instskip(SKIP_1) | instid1(VALU_DEP_2)
	v_add3_u32 v1, v1, v2, v5
	v_mbcnt_lo_u32_b32 v2, -1, 0
	v_add3_u32 v1, v1, v4, v7
	s_delay_alu instid0(VALU_DEP_2) | instskip(NEXT) | instid1(VALU_DEP_2)
	v_cmp_ne_u32_e32 vcc_lo, 31, v2
	v_add3_u32 v1, v1, v6, v9
	v_add_co_ci_u32_e32 v3, vcc_lo, 0, v2, vcc_lo
	v_cmp_gt_u32_e32 vcc_lo, 30, v2
	v_add_nc_u32_e32 v6, 1, v2
	s_delay_alu instid0(VALU_DEP_4) | instskip(NEXT) | instid1(VALU_DEP_4)
	v_add3_u32 v1, v1, v8, v11
	v_lshlrev_b32_e32 v3, 2, v3
	v_cndmask_b32_e64 v5, 0, 1, vcc_lo
	s_delay_alu instid0(VALU_DEP_3) | instskip(NEXT) | instid1(VALU_DEP_2)
	v_add3_u32 v1, v1, v10, v13
	v_lshlrev_b32_e32 v5, 1, v5
	s_delay_alu instid0(VALU_DEP_2) | instskip(NEXT) | instid1(VALU_DEP_2)
	v_add3_u32 v1, v1, v12, v15
	v_add_lshl_u32 v5, v5, v2, 2
	s_delay_alu instid0(VALU_DEP_2) | instskip(NEXT) | instid1(VALU_DEP_1)
	v_add3_u32 v1, v1, v14, v17
	v_add3_u32 v1, v1, v16, v19
	s_delay_alu instid0(VALU_DEP_1) | instskip(NEXT) | instid1(VALU_DEP_1)
	v_add3_u32 v1, v1, v18, v21
	v_add3_u32 v1, v1, v20, v23
	s_delay_alu instid0(VALU_DEP_1) | instskip(NEXT) | instid1(VALU_DEP_1)
	;; [unrolled: 3-line block ×3, first 2 shown]
	v_add3_u32 v1, v1, v26, v29
	v_add3_u32 v1, v1, v28, v31
	s_delay_alu instid0(VALU_DEP_1) | instskip(SKIP_2) | instid1(VALU_DEP_1)
	v_add3_u32 v1, v1, v30, v32
	ds_bpermute_b32 v3, v3, v1
	v_and_b32_e32 v4, 0xe0, v0
	v_sub_nc_u32_e64 v4, s2, v4 clamp
	s_delay_alu instid0(VALU_DEP_1) | instskip(SKIP_3) | instid1(VALU_DEP_2)
	v_cmp_lt_u32_e32 vcc_lo, v6, v4
	s_waitcnt lgkmcnt(0)
	v_dual_cndmask_b32 v3, 0, v3 :: v_dual_add_nc_u32 v6, 2, v2
	v_cmp_gt_u32_e32 vcc_lo, 28, v2
	v_add_nc_u32_e32 v1, v3, v1
	ds_bpermute_b32 v3, v5, v1
	v_cndmask_b32_e64 v5, 0, 1, vcc_lo
	v_cmp_lt_u32_e32 vcc_lo, v6, v4
	v_add_nc_u32_e32 v6, 4, v2
	s_delay_alu instid0(VALU_DEP_3) | instskip(NEXT) | instid1(VALU_DEP_1)
	v_lshlrev_b32_e32 v5, 2, v5
	v_add_lshl_u32 v5, v5, v2, 2
	s_waitcnt lgkmcnt(0)
	v_cndmask_b32_e32 v3, 0, v3, vcc_lo
	v_cmp_gt_u32_e32 vcc_lo, 24, v2
	s_delay_alu instid0(VALU_DEP_2) | instskip(SKIP_4) | instid1(VALU_DEP_3)
	v_add_nc_u32_e32 v1, v1, v3
	ds_bpermute_b32 v3, v5, v1
	v_cndmask_b32_e64 v5, 0, 1, vcc_lo
	v_cmp_lt_u32_e32 vcc_lo, v6, v4
	v_add_nc_u32_e32 v6, 8, v2
	v_lshlrev_b32_e32 v5, 3, v5
	s_delay_alu instid0(VALU_DEP_1) | instskip(SKIP_3) | instid1(VALU_DEP_2)
	v_add_lshl_u32 v5, v5, v2, 2
	s_waitcnt lgkmcnt(0)
	v_cndmask_b32_e32 v3, 0, v3, vcc_lo
	v_cmp_gt_u32_e32 vcc_lo, 16, v2
	v_add_nc_u32_e32 v1, v1, v3
	ds_bpermute_b32 v3, v5, v1
	v_cndmask_b32_e64 v5, 0, 1, vcc_lo
	v_cmp_lt_u32_e32 vcc_lo, v6, v4
	s_delay_alu instid0(VALU_DEP_2) | instskip(NEXT) | instid1(VALU_DEP_1)
	v_lshlrev_b32_e32 v5, 4, v5
	v_add_lshl_u32 v5, v5, v2, 2
	s_waitcnt lgkmcnt(0)
	v_cndmask_b32_e32 v3, 0, v3, vcc_lo
	s_delay_alu instid0(VALU_DEP_1) | instskip(SKIP_2) | instid1(VALU_DEP_1)
	v_add_nc_u32_e32 v1, v1, v3
	ds_bpermute_b32 v3, v5, v1
	v_add_nc_u32_e32 v5, 16, v2
	v_cmp_lt_u32_e32 vcc_lo, v5, v4
	s_waitcnt lgkmcnt(0)
	v_cndmask_b32_e32 v3, 0, v3, vcc_lo
	s_delay_alu instid0(VALU_DEP_1)
	v_add_nc_u32_e32 v1, v1, v3
	v_cmpx_eq_u32_e32 0, v2
	s_cbranch_execz .LBB574_90
; %bb.89:
	v_lshrrev_b32_e32 v3, 3, v0
	s_delay_alu instid0(VALU_DEP_1)
	v_and_b32_e32 v3, 28, v3
	ds_store_b32 v3, v1 offset:192
.LBB574_90:
	s_or_b32 exec_lo, exec_lo, s3
	s_delay_alu instid0(SALU_CYCLE_1)
	s_mov_b32 s3, exec_lo
	s_waitcnt lgkmcnt(0)
	s_barrier
	buffer_gl0_inv
	v_cmpx_gt_u32_e32 8, v0
	s_cbranch_execz .LBB574_92
; %bb.91:
	v_and_b32_e32 v3, 7, v2
	s_add_i32 s2, s2, 31
	s_delay_alu instid0(SALU_CYCLE_1) | instskip(NEXT) | instid1(VALU_DEP_1)
	s_lshr_b32 s2, s2, 5
	v_cmp_ne_u32_e32 vcc_lo, 7, v3
	v_add_nc_u32_e32 v6, 1, v3
	v_add_co_ci_u32_e32 v4, vcc_lo, 0, v2, vcc_lo
	v_cmp_gt_u32_e32 vcc_lo, 6, v3
	s_delay_alu instid0(VALU_DEP_2) | instskip(SKIP_3) | instid1(VALU_DEP_3)
	v_lshlrev_b32_e32 v4, 2, v4
	v_cndmask_b32_e64 v5, 0, 1, vcc_lo
	v_cmp_gt_u32_e32 vcc_lo, s2, v6
	v_lshlrev_b32_e32 v1, 2, v2
	v_lshlrev_b32_e32 v5, 1, v5
	ds_load_b32 v1, v1 offset:192
	v_add_lshl_u32 v5, v5, v2, 2
	s_waitcnt lgkmcnt(0)
	ds_bpermute_b32 v4, v4, v1
	s_waitcnt lgkmcnt(0)
	v_cndmask_b32_e32 v4, 0, v4, vcc_lo
	v_cmp_gt_u32_e32 vcc_lo, 4, v3
	s_delay_alu instid0(VALU_DEP_2) | instskip(SKIP_3) | instid1(VALU_DEP_1)
	v_add_nc_u32_e32 v1, v4, v1
	v_cndmask_b32_e64 v6, 0, 1, vcc_lo
	ds_bpermute_b32 v4, v5, v1
	v_add_nc_u32_e32 v5, 2, v3
	v_cmp_gt_u32_e32 vcc_lo, s2, v5
	v_lshlrev_b32_e32 v5, 2, v6
	s_delay_alu instid0(VALU_DEP_1) | instskip(SKIP_2) | instid1(VALU_DEP_1)
	v_add_lshl_u32 v2, v5, v2, 2
	s_waitcnt lgkmcnt(0)
	v_dual_cndmask_b32 v4, 0, v4 :: v_dual_add_nc_u32 v3, 4, v3
	v_add_nc_u32_e32 v1, v1, v4
	s_delay_alu instid0(VALU_DEP_2) | instskip(SKIP_3) | instid1(VALU_DEP_1)
	v_cmp_gt_u32_e32 vcc_lo, s2, v3
	ds_bpermute_b32 v2, v2, v1
	s_waitcnt lgkmcnt(0)
	v_cndmask_b32_e32 v2, 0, v2, vcc_lo
	v_add_nc_u32_e32 v1, v1, v2
.LBB574_92:
	s_or_b32 exec_lo, exec_lo, s3
	v_cmp_eq_u32_e64 s2, 0, v0
	s_and_b32 vcc_lo, exec_lo, s6
	s_cbranch_vccnz .LBB574_15
.LBB574_93:
	s_branch .LBB574_142
.LBB574_94:
	s_mov_b32 s3, -1
                                        ; implicit-def: $vgpr1
.LBB574_95:
	s_delay_alu instid0(SALU_CYCLE_1)
	s_and_b32 vcc_lo, exec_lo, s3
	s_cbranch_vccz .LBB574_133
; %bb.96:
	s_sub_i32 s25, s18, s2
	s_mov_b32 s2, exec_lo
                                        ; implicit-def: $vgpr1_vgpr2_vgpr3_vgpr4_vgpr5_vgpr6_vgpr7_vgpr8_vgpr9_vgpr10_vgpr11_vgpr12_vgpr13_vgpr14_vgpr15_vgpr16
	v_cmpx_gt_u32_e64 s25, v0
	s_cbranch_execz .LBB574_98
; %bb.97:
	v_lshlrev_b32_e32 v1, 2, v0
	global_load_b32 v1, v1, s[22:23]
.LBB574_98:
	s_or_b32 exec_lo, exec_lo, s2
	v_or_b32_e32 v17, 0x100, v0
	s_delay_alu instid0(VALU_DEP_1)
	v_cmp_gt_u32_e32 vcc_lo, s25, v17
	s_and_saveexec_b32 s2, vcc_lo
	s_cbranch_execz .LBB574_100
; %bb.99:
	v_lshlrev_b32_e32 v2, 2, v0
	global_load_b32 v2, v2, s[22:23] offset:1024
.LBB574_100:
	s_or_b32 exec_lo, exec_lo, s2
	v_or_b32_e32 v17, 0x200, v0
	s_delay_alu instid0(VALU_DEP_1) | instskip(NEXT) | instid1(VALU_DEP_1)
	v_cmp_gt_u32_e64 s2, s25, v17
	s_and_saveexec_b32 s3, s2
	s_cbranch_execz .LBB574_102
; %bb.101:
	v_lshlrev_b32_e32 v3, 2, v0
	global_load_b32 v3, v3, s[22:23] offset:2048
.LBB574_102:
	s_or_b32 exec_lo, exec_lo, s3
	v_or_b32_e32 v17, 0x300, v0
	s_delay_alu instid0(VALU_DEP_1) | instskip(NEXT) | instid1(VALU_DEP_1)
	v_cmp_gt_u32_e64 s3, s25, v17
	s_and_saveexec_b32 s4, s3
	;; [unrolled: 10-line block ×3, first 2 shown]
	s_cbranch_execz .LBB574_106
; %bb.105:
	v_lshlrev_b32_e32 v5, 2, v17
	global_load_b32 v5, v5, s[22:23]
.LBB574_106:
	s_or_b32 exec_lo, exec_lo, s5
	v_or_b32_e32 v17, 0x500, v0
	s_delay_alu instid0(VALU_DEP_1) | instskip(NEXT) | instid1(VALU_DEP_1)
	v_cmp_gt_u32_e64 s5, s25, v17
	s_and_saveexec_b32 s6, s5
	s_cbranch_execz .LBB574_108
; %bb.107:
	v_lshlrev_b32_e32 v6, 2, v17
	global_load_b32 v6, v6, s[22:23]
.LBB574_108:
	s_or_b32 exec_lo, exec_lo, s6
	v_or_b32_e32 v17, 0x600, v0
	s_delay_alu instid0(VALU_DEP_1) | instskip(NEXT) | instid1(VALU_DEP_1)
	v_cmp_gt_u32_e64 s6, s25, v17
	s_and_saveexec_b32 s7, s6
	;; [unrolled: 10-line block ×11, first 2 shown]
	s_cbranch_execz .LBB574_128
; %bb.127:
	v_lshlrev_b32_e32 v16, 2, v17
	global_load_b32 v16, v16, s[22:23]
.LBB574_128:
	s_or_b32 exec_lo, exec_lo, s26
	s_waitcnt vmcnt(0)
	v_cndmask_b32_e32 v2, 0, v2, vcc_lo
	v_cndmask_b32_e64 v3, 0, v3, s2
	v_cndmask_b32_e64 v4, 0, v4, s3
	s_min_u32 s2, s25, 0x100
	s_mov_b32 s3, exec_lo
	v_add_nc_u32_e32 v1, v2, v1
	v_cndmask_b32_e64 v2, 0, v5, s4
	v_cndmask_b32_e64 v5, 0, v6, s5
	;; [unrolled: 1-line block ×3, first 2 shown]
	s_delay_alu instid0(VALU_DEP_4) | instskip(SKIP_3) | instid1(VALU_DEP_4)
	v_add3_u32 v1, v1, v3, v4
	v_cndmask_b32_e64 v3, 0, v7, s6
	v_cndmask_b32_e64 v4, 0, v8, s7
	;; [unrolled: 1-line block ×3, first 2 shown]
	v_add3_u32 v1, v1, v2, v5
	v_cndmask_b32_e64 v2, 0, v9, s8
	v_cndmask_b32_e64 v5, 0, v10, s9
	s_delay_alu instid0(VALU_DEP_3) | instskip(SKIP_2) | instid1(VALU_DEP_3)
	v_add3_u32 v1, v1, v3, v4
	v_cndmask_b32_e64 v3, 0, v11, s10
	v_cndmask_b32_e64 v4, 0, v12, s11
	v_add3_u32 v1, v1, v2, v5
	v_mbcnt_lo_u32_b32 v2, -1, 0
	v_cndmask_b32_e64 v5, 0, v13, s12
	s_delay_alu instid0(VALU_DEP_3) | instskip(NEXT) | instid1(VALU_DEP_3)
	v_add3_u32 v1, v1, v3, v4
	v_cmp_ne_u32_e32 vcc_lo, 31, v2
	v_cndmask_b32_e64 v3, 0, v16, s15
	s_delay_alu instid0(VALU_DEP_3) | instskip(SKIP_3) | instid1(VALU_DEP_4)
	v_add3_u32 v1, v1, v5, v6
	v_add_co_ci_u32_e32 v4, vcc_lo, 0, v2, vcc_lo
	v_cmp_gt_u32_e32 vcc_lo, 30, v2
	v_add_nc_u32_e32 v6, 1, v2
	v_add3_u32 v1, v1, v7, v3
	s_delay_alu instid0(VALU_DEP_4) | instskip(SKIP_4) | instid1(VALU_DEP_2)
	v_lshlrev_b32_e32 v4, 2, v4
	v_cndmask_b32_e64 v5, 0, 1, vcc_lo
	ds_bpermute_b32 v3, v4, v1
	v_and_b32_e32 v4, 0xe0, v0
	v_lshlrev_b32_e32 v5, 1, v5
	v_sub_nc_u32_e64 v4, s2, v4 clamp
	s_delay_alu instid0(VALU_DEP_2) | instskip(NEXT) | instid1(VALU_DEP_2)
	v_add_lshl_u32 v5, v5, v2, 2
	v_cmp_lt_u32_e32 vcc_lo, v6, v4
	s_waitcnt lgkmcnt(0)
	v_dual_cndmask_b32 v3, 0, v3 :: v_dual_add_nc_u32 v6, 2, v2
	v_cmp_gt_u32_e32 vcc_lo, 28, v2
	s_delay_alu instid0(VALU_DEP_2) | instskip(SKIP_4) | instid1(VALU_DEP_3)
	v_add_nc_u32_e32 v1, v1, v3
	ds_bpermute_b32 v3, v5, v1
	v_cndmask_b32_e64 v5, 0, 1, vcc_lo
	v_cmp_lt_u32_e32 vcc_lo, v6, v4
	v_add_nc_u32_e32 v6, 4, v2
	v_lshlrev_b32_e32 v5, 2, v5
	s_delay_alu instid0(VALU_DEP_1) | instskip(SKIP_3) | instid1(VALU_DEP_2)
	v_add_lshl_u32 v5, v5, v2, 2
	s_waitcnt lgkmcnt(0)
	v_cndmask_b32_e32 v3, 0, v3, vcc_lo
	v_cmp_gt_u32_e32 vcc_lo, 24, v2
	v_add_nc_u32_e32 v1, v1, v3
	ds_bpermute_b32 v3, v5, v1
	v_cndmask_b32_e64 v5, 0, 1, vcc_lo
	v_cmp_lt_u32_e32 vcc_lo, v6, v4
	v_add_nc_u32_e32 v6, 8, v2
	s_delay_alu instid0(VALU_DEP_3) | instskip(NEXT) | instid1(VALU_DEP_1)
	v_lshlrev_b32_e32 v5, 3, v5
	v_add_lshl_u32 v5, v5, v2, 2
	s_waitcnt lgkmcnt(0)
	v_cndmask_b32_e32 v3, 0, v3, vcc_lo
	v_cmp_gt_u32_e32 vcc_lo, 16, v2
	s_delay_alu instid0(VALU_DEP_2) | instskip(SKIP_3) | instid1(VALU_DEP_2)
	v_add_nc_u32_e32 v1, v1, v3
	ds_bpermute_b32 v3, v5, v1
	v_cndmask_b32_e64 v5, 0, 1, vcc_lo
	v_cmp_lt_u32_e32 vcc_lo, v6, v4
	v_lshlrev_b32_e32 v5, 4, v5
	s_delay_alu instid0(VALU_DEP_1) | instskip(SKIP_2) | instid1(VALU_DEP_1)
	v_add_lshl_u32 v5, v5, v2, 2
	s_waitcnt lgkmcnt(0)
	v_cndmask_b32_e32 v3, 0, v3, vcc_lo
	v_add_nc_u32_e32 v1, v1, v3
	ds_bpermute_b32 v3, v5, v1
	v_add_nc_u32_e32 v5, 16, v2
	s_delay_alu instid0(VALU_DEP_1) | instskip(SKIP_2) | instid1(VALU_DEP_1)
	v_cmp_lt_u32_e32 vcc_lo, v5, v4
	s_waitcnt lgkmcnt(0)
	v_cndmask_b32_e32 v3, 0, v3, vcc_lo
	v_add_nc_u32_e32 v1, v1, v3
	v_cmpx_eq_u32_e32 0, v2
	s_cbranch_execz .LBB574_130
; %bb.129:
	v_lshrrev_b32_e32 v3, 3, v0
	s_delay_alu instid0(VALU_DEP_1)
	v_and_b32_e32 v3, 28, v3
	ds_store_b32 v3, v1 offset:192
.LBB574_130:
	s_or_b32 exec_lo, exec_lo, s3
	s_delay_alu instid0(SALU_CYCLE_1)
	s_mov_b32 s3, exec_lo
	s_waitcnt lgkmcnt(0)
	s_barrier
	buffer_gl0_inv
	v_cmpx_gt_u32_e32 8, v0
	s_cbranch_execz .LBB574_132
; %bb.131:
	v_and_b32_e32 v3, 7, v2
	s_add_i32 s2, s2, 31
	s_delay_alu instid0(SALU_CYCLE_1) | instskip(NEXT) | instid1(VALU_DEP_1)
	s_lshr_b32 s2, s2, 5
	v_cmp_ne_u32_e32 vcc_lo, 7, v3
	v_add_nc_u32_e32 v6, 1, v3
	v_add_co_ci_u32_e32 v4, vcc_lo, 0, v2, vcc_lo
	v_cmp_gt_u32_e32 vcc_lo, 6, v3
	s_delay_alu instid0(VALU_DEP_2) | instskip(SKIP_3) | instid1(VALU_DEP_3)
	v_lshlrev_b32_e32 v4, 2, v4
	v_cndmask_b32_e64 v5, 0, 1, vcc_lo
	v_cmp_gt_u32_e32 vcc_lo, s2, v6
	v_lshlrev_b32_e32 v1, 2, v2
	v_lshlrev_b32_e32 v5, 1, v5
	ds_load_b32 v1, v1 offset:192
	v_add_lshl_u32 v5, v5, v2, 2
	s_waitcnt lgkmcnt(0)
	ds_bpermute_b32 v4, v4, v1
	s_waitcnt lgkmcnt(0)
	v_cndmask_b32_e32 v4, 0, v4, vcc_lo
	v_cmp_gt_u32_e32 vcc_lo, 4, v3
	s_delay_alu instid0(VALU_DEP_2) | instskip(SKIP_3) | instid1(VALU_DEP_1)
	v_add_nc_u32_e32 v1, v4, v1
	v_cndmask_b32_e64 v6, 0, 1, vcc_lo
	ds_bpermute_b32 v4, v5, v1
	v_add_nc_u32_e32 v5, 2, v3
	v_cmp_gt_u32_e32 vcc_lo, s2, v5
	v_lshlrev_b32_e32 v5, 2, v6
	s_delay_alu instid0(VALU_DEP_1) | instskip(SKIP_2) | instid1(VALU_DEP_1)
	v_add_lshl_u32 v2, v5, v2, 2
	s_waitcnt lgkmcnt(0)
	v_dual_cndmask_b32 v4, 0, v4 :: v_dual_add_nc_u32 v3, 4, v3
	v_add_nc_u32_e32 v1, v1, v4
	s_delay_alu instid0(VALU_DEP_2) | instskip(SKIP_3) | instid1(VALU_DEP_1)
	v_cmp_gt_u32_e32 vcc_lo, s2, v3
	ds_bpermute_b32 v2, v2, v1
	s_waitcnt lgkmcnt(0)
	v_cndmask_b32_e32 v2, 0, v2, vcc_lo
	v_add_nc_u32_e32 v1, v1, v2
.LBB574_132:
	s_or_b32 exec_lo, exec_lo, s3
.LBB574_133:
	v_cmp_eq_u32_e64 s2, 0, v0
	s_branch .LBB574_142
.LBB574_134:
	s_cmp_eq_u32 s24, 8
	s_cbranch_scc0 .LBB574_141
; %bb.135:
	s_mov_b32 s21, 0
	s_lshl_b32 s2, s20, 11
	s_mov_b32 s3, s21
	s_lshr_b64 s[6:7], s[18:19], 11
	s_lshl_b64 s[4:5], s[2:3], 2
	s_delay_alu instid0(SALU_CYCLE_1)
	s_add_u32 s8, s16, s4
	s_addc_u32 s9, s17, s5
	s_cmp_lg_u64 s[6:7], s[20:21]
	s_cbranch_scc0 .LBB574_143
; %bb.136:
	v_lshlrev_b32_e32 v3, 2, v0
	s_clause 0x1
	global_load_b32 v4, v3, s[8:9]
	global_load_b32 v5, v3, s[8:9] offset:1024
	v_add_co_u32 v1, s3, s8, v3
	s_delay_alu instid0(VALU_DEP_1) | instskip(SKIP_1) | instid1(VALU_DEP_2)
	v_add_co_ci_u32_e64 v2, null, s9, 0, s3
	s_mov_b32 s3, exec_lo
	v_add_co_u32 v1, vcc_lo, 0x1000, v1
	s_delay_alu instid0(VALU_DEP_2)
	v_add_co_ci_u32_e32 v2, vcc_lo, 0, v2, vcc_lo
	s_clause 0x5
	global_load_b32 v6, v3, s[8:9] offset:2048
	global_load_b32 v3, v3, s[8:9] offset:3072
	global_load_b32 v7, v[1:2], off
	global_load_b32 v8, v[1:2], off offset:1024
	global_load_b32 v9, v[1:2], off offset:2048
	;; [unrolled: 1-line block ×3, first 2 shown]
	s_waitcnt vmcnt(6)
	v_add_nc_u32_e32 v2, v5, v4
	s_waitcnt vmcnt(4)
	s_delay_alu instid0(VALU_DEP_1) | instskip(SKIP_2) | instid1(VALU_DEP_2)
	v_add3_u32 v2, v2, v6, v3
	v_mov_b32_e32 v3, 0
	s_waitcnt vmcnt(2)
	v_add3_u32 v2, v2, v7, v8
	s_waitcnt vmcnt(0)
	s_delay_alu instid0(VALU_DEP_1) | instskip(NEXT) | instid1(VALU_DEP_1)
	v_add3_u32 v1, v2, v9, v1
	v_mov_b32_dpp v2, v1 quad_perm:[1,0,3,2] row_mask:0xf bank_mask:0xf
	s_delay_alu instid0(VALU_DEP_1) | instskip(NEXT) | instid1(VALU_DEP_1)
	v_add_nc_u32_e32 v1, v2, v1
	v_mov_b32_dpp v2, v1 quad_perm:[2,3,0,1] row_mask:0xf bank_mask:0xf
	s_delay_alu instid0(VALU_DEP_1) | instskip(NEXT) | instid1(VALU_DEP_1)
	v_add_nc_u32_e32 v1, v1, v2
	v_mov_b32_dpp v2, v1 row_ror:4 row_mask:0xf bank_mask:0xf
	s_delay_alu instid0(VALU_DEP_1) | instskip(NEXT) | instid1(VALU_DEP_1)
	v_add_nc_u32_e32 v1, v1, v2
	v_mov_b32_dpp v2, v1 row_ror:8 row_mask:0xf bank_mask:0xf
	s_delay_alu instid0(VALU_DEP_1)
	v_add_nc_u32_e32 v1, v1, v2
	ds_swizzle_b32 v2, v1 offset:swizzle(BROADCAST,32,15)
	s_waitcnt lgkmcnt(0)
	v_add_nc_u32_e32 v1, v1, v2
	v_mbcnt_lo_u32_b32 v2, -1, 0
	ds_bpermute_b32 v1, v3, v1 offset:124
	v_cmpx_eq_u32_e32 0, v2
	s_cbranch_execz .LBB574_138
; %bb.137:
	v_lshrrev_b32_e32 v3, 3, v0
	s_delay_alu instid0(VALU_DEP_1)
	v_and_b32_e32 v3, 28, v3
	s_waitcnt lgkmcnt(0)
	ds_store_b32 v3, v1 offset:160
.LBB574_138:
	s_or_b32 exec_lo, exec_lo, s3
	s_delay_alu instid0(SALU_CYCLE_1)
	s_mov_b32 s3, exec_lo
	s_waitcnt lgkmcnt(0)
	s_barrier
	buffer_gl0_inv
	v_cmpx_gt_u32_e32 32, v0
	s_cbranch_execz .LBB574_140
; %bb.139:
	v_and_b32_e32 v1, 7, v2
	s_delay_alu instid0(VALU_DEP_1) | instskip(SKIP_4) | instid1(VALU_DEP_2)
	v_lshlrev_b32_e32 v3, 2, v1
	v_cmp_ne_u32_e32 vcc_lo, 7, v1
	ds_load_b32 v3, v3 offset:160
	v_add_co_ci_u32_e32 v4, vcc_lo, 0, v2, vcc_lo
	v_cmp_gt_u32_e32 vcc_lo, 6, v1
	v_lshlrev_b32_e32 v4, 2, v4
	v_cndmask_b32_e64 v5, 0, 1, vcc_lo
	v_cmp_gt_u32_e32 vcc_lo, 4, v1
	s_delay_alu instid0(VALU_DEP_2) | instskip(SKIP_1) | instid1(VALU_DEP_2)
	v_lshlrev_b32_e32 v5, 1, v5
	v_cndmask_b32_e64 v1, 0, 1, vcc_lo
	v_add_lshl_u32 v5, v5, v2, 2
	s_delay_alu instid0(VALU_DEP_2)
	v_lshlrev_b32_e32 v1, 2, v1
	s_waitcnt lgkmcnt(0)
	ds_bpermute_b32 v4, v4, v3
	v_add_lshl_u32 v1, v1, v2, 2
	s_waitcnt lgkmcnt(0)
	v_add_nc_u32_e32 v3, v4, v3
	ds_bpermute_b32 v4, v5, v3
	s_waitcnt lgkmcnt(0)
	v_add_nc_u32_e32 v3, v4, v3
	ds_bpermute_b32 v1, v1, v3
	s_waitcnt lgkmcnt(0)
	v_add_nc_u32_e32 v1, v1, v3
.LBB574_140:
	s_or_b32 exec_lo, exec_lo, s3
	s_branch .LBB574_165
.LBB574_141:
                                        ; implicit-def: $vgpr1
.LBB574_142:
	s_branch .LBB574_224
.LBB574_143:
                                        ; implicit-def: $vgpr1
	s_cbranch_execz .LBB574_165
; %bb.144:
	s_sub_i32 s10, s18, s2
	s_mov_b32 s2, exec_lo
                                        ; implicit-def: $vgpr1_vgpr2_vgpr3_vgpr4_vgpr5_vgpr6_vgpr7_vgpr8
	v_cmpx_gt_u32_e64 s10, v0
	s_cbranch_execz .LBB574_146
; %bb.145:
	v_lshlrev_b32_e32 v1, 2, v0
	global_load_b32 v1, v1, s[8:9]
.LBB574_146:
	s_or_b32 exec_lo, exec_lo, s2
	v_or_b32_e32 v9, 0x100, v0
	s_delay_alu instid0(VALU_DEP_1)
	v_cmp_gt_u32_e32 vcc_lo, s10, v9
	s_and_saveexec_b32 s2, vcc_lo
	s_cbranch_execz .LBB574_148
; %bb.147:
	v_lshlrev_b32_e32 v2, 2, v0
	global_load_b32 v2, v2, s[8:9] offset:1024
.LBB574_148:
	s_or_b32 exec_lo, exec_lo, s2
	v_or_b32_e32 v9, 0x200, v0
	s_delay_alu instid0(VALU_DEP_1) | instskip(NEXT) | instid1(VALU_DEP_1)
	v_cmp_gt_u32_e64 s2, s10, v9
	s_and_saveexec_b32 s3, s2
	s_cbranch_execz .LBB574_150
; %bb.149:
	v_lshlrev_b32_e32 v3, 2, v0
	global_load_b32 v3, v3, s[8:9] offset:2048
.LBB574_150:
	s_or_b32 exec_lo, exec_lo, s3
	v_or_b32_e32 v9, 0x300, v0
	s_delay_alu instid0(VALU_DEP_1) | instskip(NEXT) | instid1(VALU_DEP_1)
	v_cmp_gt_u32_e64 s3, s10, v9
	s_and_saveexec_b32 s4, s3
	;; [unrolled: 10-line block ×3, first 2 shown]
	s_cbranch_execz .LBB574_154
; %bb.153:
	v_lshlrev_b32_e32 v5, 2, v9
	global_load_b32 v5, v5, s[8:9]
.LBB574_154:
	s_or_b32 exec_lo, exec_lo, s5
	v_or_b32_e32 v9, 0x500, v0
	s_delay_alu instid0(VALU_DEP_1) | instskip(NEXT) | instid1(VALU_DEP_1)
	v_cmp_gt_u32_e64 s5, s10, v9
	s_and_saveexec_b32 s6, s5
	s_cbranch_execz .LBB574_156
; %bb.155:
	v_lshlrev_b32_e32 v6, 2, v9
	global_load_b32 v6, v6, s[8:9]
.LBB574_156:
	s_or_b32 exec_lo, exec_lo, s6
	v_or_b32_e32 v9, 0x600, v0
	s_delay_alu instid0(VALU_DEP_1) | instskip(NEXT) | instid1(VALU_DEP_1)
	v_cmp_gt_u32_e64 s6, s10, v9
	s_and_saveexec_b32 s7, s6
	;; [unrolled: 10-line block ×3, first 2 shown]
	s_cbranch_execz .LBB574_160
; %bb.159:
	v_lshlrev_b32_e32 v8, 2, v9
	global_load_b32 v8, v8, s[8:9]
.LBB574_160:
	s_or_b32 exec_lo, exec_lo, s11
	s_waitcnt vmcnt(0)
	v_cndmask_b32_e32 v2, 0, v2, vcc_lo
	v_cndmask_b32_e64 v3, 0, v3, s2
	v_cndmask_b32_e64 v4, 0, v4, s3
	;; [unrolled: 1-line block ×4, first 2 shown]
	v_add_nc_u32_e32 v1, v2, v1
	v_mbcnt_lo_u32_b32 v2, -1, 0
	v_cndmask_b32_e64 v7, 0, v7, s6
	s_min_u32 s2, s10, 0x100
	s_mov_b32 s3, exec_lo
	v_add3_u32 v1, v1, v3, v4
	v_cmp_ne_u32_e32 vcc_lo, 31, v2
	v_cndmask_b32_e64 v3, 0, v8, s7
	s_delay_alu instid0(VALU_DEP_3) | instskip(SKIP_3) | instid1(VALU_DEP_4)
	v_add3_u32 v1, v1, v5, v6
	v_add_co_ci_u32_e32 v4, vcc_lo, 0, v2, vcc_lo
	v_cmp_gt_u32_e32 vcc_lo, 30, v2
	v_add_nc_u32_e32 v6, 1, v2
	v_add3_u32 v1, v1, v7, v3
	s_delay_alu instid0(VALU_DEP_4) | instskip(SKIP_4) | instid1(VALU_DEP_2)
	v_lshlrev_b32_e32 v4, 2, v4
	v_cndmask_b32_e64 v5, 0, 1, vcc_lo
	ds_bpermute_b32 v3, v4, v1
	v_and_b32_e32 v4, 0xe0, v0
	v_lshlrev_b32_e32 v5, 1, v5
	v_sub_nc_u32_e64 v4, s2, v4 clamp
	s_delay_alu instid0(VALU_DEP_2) | instskip(NEXT) | instid1(VALU_DEP_2)
	v_add_lshl_u32 v5, v5, v2, 2
	v_cmp_lt_u32_e32 vcc_lo, v6, v4
	s_waitcnt lgkmcnt(0)
	v_dual_cndmask_b32 v3, 0, v3 :: v_dual_add_nc_u32 v6, 2, v2
	v_cmp_gt_u32_e32 vcc_lo, 28, v2
	s_delay_alu instid0(VALU_DEP_2) | instskip(SKIP_4) | instid1(VALU_DEP_3)
	v_add_nc_u32_e32 v1, v1, v3
	ds_bpermute_b32 v3, v5, v1
	v_cndmask_b32_e64 v5, 0, 1, vcc_lo
	v_cmp_lt_u32_e32 vcc_lo, v6, v4
	v_add_nc_u32_e32 v6, 4, v2
	v_lshlrev_b32_e32 v5, 2, v5
	s_delay_alu instid0(VALU_DEP_1) | instskip(SKIP_3) | instid1(VALU_DEP_2)
	v_add_lshl_u32 v5, v5, v2, 2
	s_waitcnt lgkmcnt(0)
	v_cndmask_b32_e32 v3, 0, v3, vcc_lo
	v_cmp_gt_u32_e32 vcc_lo, 24, v2
	v_add_nc_u32_e32 v1, v1, v3
	ds_bpermute_b32 v3, v5, v1
	v_cndmask_b32_e64 v5, 0, 1, vcc_lo
	v_cmp_lt_u32_e32 vcc_lo, v6, v4
	v_add_nc_u32_e32 v6, 8, v2
	s_delay_alu instid0(VALU_DEP_3) | instskip(NEXT) | instid1(VALU_DEP_1)
	v_lshlrev_b32_e32 v5, 3, v5
	v_add_lshl_u32 v5, v5, v2, 2
	s_waitcnt lgkmcnt(0)
	v_cndmask_b32_e32 v3, 0, v3, vcc_lo
	v_cmp_gt_u32_e32 vcc_lo, 16, v2
	s_delay_alu instid0(VALU_DEP_2) | instskip(SKIP_3) | instid1(VALU_DEP_2)
	v_add_nc_u32_e32 v1, v1, v3
	ds_bpermute_b32 v3, v5, v1
	v_cndmask_b32_e64 v5, 0, 1, vcc_lo
	v_cmp_lt_u32_e32 vcc_lo, v6, v4
	v_lshlrev_b32_e32 v5, 4, v5
	s_delay_alu instid0(VALU_DEP_1) | instskip(SKIP_2) | instid1(VALU_DEP_1)
	v_add_lshl_u32 v5, v5, v2, 2
	s_waitcnt lgkmcnt(0)
	v_cndmask_b32_e32 v3, 0, v3, vcc_lo
	v_add_nc_u32_e32 v1, v1, v3
	ds_bpermute_b32 v3, v5, v1
	v_add_nc_u32_e32 v5, 16, v2
	s_delay_alu instid0(VALU_DEP_1) | instskip(SKIP_2) | instid1(VALU_DEP_1)
	v_cmp_lt_u32_e32 vcc_lo, v5, v4
	s_waitcnt lgkmcnt(0)
	v_cndmask_b32_e32 v3, 0, v3, vcc_lo
	v_add_nc_u32_e32 v1, v1, v3
	v_cmpx_eq_u32_e32 0, v2
	s_cbranch_execz .LBB574_162
; %bb.161:
	v_lshrrev_b32_e32 v3, 3, v0
	s_delay_alu instid0(VALU_DEP_1)
	v_and_b32_e32 v3, 28, v3
	ds_store_b32 v3, v1 offset:192
.LBB574_162:
	s_or_b32 exec_lo, exec_lo, s3
	s_delay_alu instid0(SALU_CYCLE_1)
	s_mov_b32 s3, exec_lo
	s_waitcnt lgkmcnt(0)
	s_barrier
	buffer_gl0_inv
	v_cmpx_gt_u32_e32 8, v0
	s_cbranch_execz .LBB574_164
; %bb.163:
	v_and_b32_e32 v3, 7, v2
	s_add_i32 s2, s2, 31
	s_delay_alu instid0(SALU_CYCLE_1) | instskip(NEXT) | instid1(VALU_DEP_1)
	s_lshr_b32 s2, s2, 5
	v_cmp_ne_u32_e32 vcc_lo, 7, v3
	v_add_nc_u32_e32 v6, 1, v3
	v_add_co_ci_u32_e32 v4, vcc_lo, 0, v2, vcc_lo
	v_cmp_gt_u32_e32 vcc_lo, 6, v3
	s_delay_alu instid0(VALU_DEP_2) | instskip(SKIP_3) | instid1(VALU_DEP_3)
	v_lshlrev_b32_e32 v4, 2, v4
	v_cndmask_b32_e64 v5, 0, 1, vcc_lo
	v_cmp_gt_u32_e32 vcc_lo, s2, v6
	v_lshlrev_b32_e32 v1, 2, v2
	v_lshlrev_b32_e32 v5, 1, v5
	ds_load_b32 v1, v1 offset:192
	v_add_lshl_u32 v5, v5, v2, 2
	s_waitcnt lgkmcnt(0)
	ds_bpermute_b32 v4, v4, v1
	s_waitcnt lgkmcnt(0)
	v_cndmask_b32_e32 v4, 0, v4, vcc_lo
	v_cmp_gt_u32_e32 vcc_lo, 4, v3
	s_delay_alu instid0(VALU_DEP_2) | instskip(SKIP_3) | instid1(VALU_DEP_1)
	v_add_nc_u32_e32 v1, v4, v1
	v_cndmask_b32_e64 v6, 0, 1, vcc_lo
	ds_bpermute_b32 v4, v5, v1
	v_add_nc_u32_e32 v5, 2, v3
	v_cmp_gt_u32_e32 vcc_lo, s2, v5
	v_lshlrev_b32_e32 v5, 2, v6
	s_delay_alu instid0(VALU_DEP_1) | instskip(SKIP_2) | instid1(VALU_DEP_1)
	v_add_lshl_u32 v2, v5, v2, 2
	s_waitcnt lgkmcnt(0)
	v_dual_cndmask_b32 v4, 0, v4 :: v_dual_add_nc_u32 v3, 4, v3
	v_add_nc_u32_e32 v1, v1, v4
	s_delay_alu instid0(VALU_DEP_2) | instskip(SKIP_3) | instid1(VALU_DEP_1)
	v_cmp_gt_u32_e32 vcc_lo, s2, v3
	ds_bpermute_b32 v2, v2, v1
	s_waitcnt lgkmcnt(0)
	v_cndmask_b32_e32 v2, 0, v2, vcc_lo
	v_add_nc_u32_e32 v1, v1, v2
.LBB574_164:
	s_or_b32 exec_lo, exec_lo, s3
.LBB574_165:
	v_cmp_eq_u32_e64 s2, 0, v0
	s_branch .LBB574_224
.LBB574_166:
	s_cmp_gt_i32 s24, 1
	s_cbranch_scc0 .LBB574_175
; %bb.167:
	s_cmp_gt_i32 s24, 3
	s_cbranch_scc0 .LBB574_176
; %bb.168:
	s_cmp_eq_u32 s24, 4
	s_cbranch_scc0 .LBB574_177
; %bb.169:
	s_mov_b32 s21, 0
	s_lshl_b32 s2, s20, 10
	s_mov_b32 s3, s21
	s_lshr_b64 s[6:7], s[18:19], 10
	s_lshl_b64 s[4:5], s[2:3], 2
	s_delay_alu instid0(SALU_CYCLE_1)
	s_add_u32 s4, s16, s4
	s_addc_u32 s5, s17, s5
	s_cmp_lg_u64 s[6:7], s[20:21]
	s_cbranch_scc0 .LBB574_179
; %bb.170:
	v_lshlrev_b32_e32 v1, 2, v0
	s_mov_b32 s3, exec_lo
	s_clause 0x3
	global_load_b32 v2, v1, s[4:5]
	global_load_b32 v3, v1, s[4:5] offset:1024
	global_load_b32 v4, v1, s[4:5] offset:2048
	;; [unrolled: 1-line block ×3, first 2 shown]
	s_waitcnt vmcnt(2)
	v_add_nc_u32_e32 v2, v3, v2
	s_waitcnt vmcnt(0)
	s_delay_alu instid0(VALU_DEP_1) | instskip(NEXT) | instid1(VALU_DEP_1)
	v_add3_u32 v1, v2, v4, v1
	v_mov_b32_dpp v2, v1 quad_perm:[1,0,3,2] row_mask:0xf bank_mask:0xf
	s_delay_alu instid0(VALU_DEP_1) | instskip(NEXT) | instid1(VALU_DEP_1)
	v_add_nc_u32_e32 v1, v2, v1
	v_mov_b32_dpp v2, v1 quad_perm:[2,3,0,1] row_mask:0xf bank_mask:0xf
	s_delay_alu instid0(VALU_DEP_1) | instskip(NEXT) | instid1(VALU_DEP_1)
	v_add_nc_u32_e32 v1, v1, v2
	v_mov_b32_dpp v2, v1 row_ror:4 row_mask:0xf bank_mask:0xf
	s_delay_alu instid0(VALU_DEP_1) | instskip(NEXT) | instid1(VALU_DEP_1)
	v_add_nc_u32_e32 v1, v1, v2
	v_mov_b32_dpp v2, v1 row_ror:8 row_mask:0xf bank_mask:0xf
	s_delay_alu instid0(VALU_DEP_1)
	v_add_nc_u32_e32 v1, v1, v2
	ds_swizzle_b32 v2, v1 offset:swizzle(BROADCAST,32,15)
	s_waitcnt lgkmcnt(0)
	v_dual_mov_b32 v2, 0 :: v_dual_add_nc_u32 v1, v1, v2
	ds_bpermute_b32 v1, v2, v1 offset:124
	v_mbcnt_lo_u32_b32 v2, -1, 0
	s_delay_alu instid0(VALU_DEP_1)
	v_cmpx_eq_u32_e32 0, v2
	s_cbranch_execz .LBB574_172
; %bb.171:
	v_lshrrev_b32_e32 v3, 3, v0
	s_delay_alu instid0(VALU_DEP_1)
	v_and_b32_e32 v3, 28, v3
	s_waitcnt lgkmcnt(0)
	ds_store_b32 v3, v1 offset:128
.LBB574_172:
	s_or_b32 exec_lo, exec_lo, s3
	s_delay_alu instid0(SALU_CYCLE_1)
	s_mov_b32 s3, exec_lo
	s_waitcnt lgkmcnt(0)
	s_barrier
	buffer_gl0_inv
	v_cmpx_gt_u32_e32 32, v0
	s_cbranch_execz .LBB574_174
; %bb.173:
	v_and_b32_e32 v1, 7, v2
	s_delay_alu instid0(VALU_DEP_1) | instskip(SKIP_4) | instid1(VALU_DEP_2)
	v_lshlrev_b32_e32 v3, 2, v1
	v_cmp_ne_u32_e32 vcc_lo, 7, v1
	ds_load_b32 v3, v3 offset:128
	v_add_co_ci_u32_e32 v4, vcc_lo, 0, v2, vcc_lo
	v_cmp_gt_u32_e32 vcc_lo, 6, v1
	v_lshlrev_b32_e32 v4, 2, v4
	v_cndmask_b32_e64 v5, 0, 1, vcc_lo
	v_cmp_gt_u32_e32 vcc_lo, 4, v1
	s_delay_alu instid0(VALU_DEP_2) | instskip(SKIP_1) | instid1(VALU_DEP_2)
	v_lshlrev_b32_e32 v5, 1, v5
	v_cndmask_b32_e64 v1, 0, 1, vcc_lo
	v_add_lshl_u32 v5, v5, v2, 2
	s_delay_alu instid0(VALU_DEP_2)
	v_lshlrev_b32_e32 v1, 2, v1
	s_waitcnt lgkmcnt(0)
	ds_bpermute_b32 v4, v4, v3
	v_add_lshl_u32 v1, v1, v2, 2
	s_waitcnt lgkmcnt(0)
	v_add_nc_u32_e32 v3, v4, v3
	ds_bpermute_b32 v4, v5, v3
	s_waitcnt lgkmcnt(0)
	v_add_nc_u32_e32 v3, v4, v3
	ds_bpermute_b32 v1, v1, v3
	s_waitcnt lgkmcnt(0)
	v_add_nc_u32_e32 v1, v1, v3
.LBB574_174:
	s_or_b32 exec_lo, exec_lo, s3
	s_mov_b32 s3, 0
	s_branch .LBB574_180
.LBB574_175:
                                        ; implicit-def: $vgpr1
	s_cbranch_execnz .LBB574_215
	s_branch .LBB574_224
.LBB574_176:
                                        ; implicit-def: $vgpr1
	s_cbranch_execz .LBB574_178
	s_branch .LBB574_195
.LBB574_177:
                                        ; implicit-def: $vgpr1
.LBB574_178:
	s_branch .LBB574_224
.LBB574_179:
	s_mov_b32 s3, -1
                                        ; implicit-def: $vgpr1
.LBB574_180:
	s_delay_alu instid0(SALU_CYCLE_1)
	s_and_b32 vcc_lo, exec_lo, s3
	s_cbranch_vccz .LBB574_194
; %bb.181:
	s_sub_i32 s6, s18, s2
	s_mov_b32 s2, exec_lo
                                        ; implicit-def: $vgpr1_vgpr2_vgpr3_vgpr4
	v_cmpx_gt_u32_e64 s6, v0
	s_cbranch_execz .LBB574_183
; %bb.182:
	v_lshlrev_b32_e32 v1, 2, v0
	global_load_b32 v1, v1, s[4:5]
.LBB574_183:
	s_or_b32 exec_lo, exec_lo, s2
	v_or_b32_e32 v5, 0x100, v0
	s_delay_alu instid0(VALU_DEP_1)
	v_cmp_gt_u32_e32 vcc_lo, s6, v5
	s_and_saveexec_b32 s2, vcc_lo
	s_cbranch_execz .LBB574_185
; %bb.184:
	v_lshlrev_b32_e32 v2, 2, v0
	global_load_b32 v2, v2, s[4:5] offset:1024
.LBB574_185:
	s_or_b32 exec_lo, exec_lo, s2
	v_or_b32_e32 v5, 0x200, v0
	s_delay_alu instid0(VALU_DEP_1) | instskip(NEXT) | instid1(VALU_DEP_1)
	v_cmp_gt_u32_e64 s2, s6, v5
	s_and_saveexec_b32 s3, s2
	s_cbranch_execz .LBB574_187
; %bb.186:
	v_lshlrev_b32_e32 v3, 2, v0
	global_load_b32 v3, v3, s[4:5] offset:2048
.LBB574_187:
	s_or_b32 exec_lo, exec_lo, s3
	v_or_b32_e32 v5, 0x300, v0
	s_delay_alu instid0(VALU_DEP_1) | instskip(NEXT) | instid1(VALU_DEP_1)
	v_cmp_gt_u32_e64 s3, s6, v5
	s_and_saveexec_b32 s7, s3
	s_cbranch_execz .LBB574_189
; %bb.188:
	v_lshlrev_b32_e32 v4, 2, v0
	global_load_b32 v4, v4, s[4:5] offset:3072
.LBB574_189:
	s_or_b32 exec_lo, exec_lo, s7
	s_waitcnt vmcnt(0)
	v_cndmask_b32_e32 v5, 0, v2, vcc_lo
	v_mbcnt_lo_u32_b32 v2, -1, 0
	v_cndmask_b32_e64 v3, 0, v3, s2
	v_cndmask_b32_e64 v4, 0, v4, s3
	s_min_u32 s2, s6, 0x100
	v_add_nc_u32_e32 v1, v5, v1
	v_cmp_ne_u32_e32 vcc_lo, 31, v2
	s_mov_b32 s3, exec_lo
	s_delay_alu instid0(VALU_DEP_2) | instskip(SKIP_3) | instid1(VALU_DEP_3)
	v_add3_u32 v1, v1, v3, v4
	v_and_b32_e32 v4, 0xe0, v0
	v_add_co_ci_u32_e32 v5, vcc_lo, 0, v2, vcc_lo
	v_cmp_gt_u32_e32 vcc_lo, 30, v2
	v_sub_nc_u32_e64 v4, s2, v4 clamp
	s_delay_alu instid0(VALU_DEP_3) | instskip(SKIP_4) | instid1(VALU_DEP_2)
	v_lshlrev_b32_e32 v3, 2, v5
	v_cndmask_b32_e64 v5, 0, 1, vcc_lo
	ds_bpermute_b32 v3, v3, v1
	v_add_nc_u32_e32 v6, 1, v2
	v_lshlrev_b32_e32 v5, 1, v5
	v_cmp_lt_u32_e32 vcc_lo, v6, v4
	s_delay_alu instid0(VALU_DEP_2) | instskip(SKIP_3) | instid1(VALU_DEP_2)
	v_add_lshl_u32 v5, v5, v2, 2
	s_waitcnt lgkmcnt(0)
	v_cndmask_b32_e32 v3, 0, v3, vcc_lo
	v_cmp_gt_u32_e32 vcc_lo, 28, v2
	v_add_nc_u32_e32 v1, v3, v1
	ds_bpermute_b32 v3, v5, v1
	v_add_nc_u32_e32 v6, 2, v2
	v_cndmask_b32_e64 v5, 0, 1, vcc_lo
	s_delay_alu instid0(VALU_DEP_2) | instskip(NEXT) | instid1(VALU_DEP_2)
	v_cmp_lt_u32_e32 vcc_lo, v6, v4
	v_lshlrev_b32_e32 v5, 2, v5
	s_delay_alu instid0(VALU_DEP_1) | instskip(SKIP_3) | instid1(VALU_DEP_2)
	v_add_lshl_u32 v5, v5, v2, 2
	s_waitcnt lgkmcnt(0)
	v_cndmask_b32_e32 v3, 0, v3, vcc_lo
	v_cmp_gt_u32_e32 vcc_lo, 24, v2
	v_add_nc_u32_e32 v1, v1, v3
	ds_bpermute_b32 v3, v5, v1
	v_add_nc_u32_e32 v6, 4, v2
	v_cndmask_b32_e64 v5, 0, 1, vcc_lo
	s_delay_alu instid0(VALU_DEP_2) | instskip(NEXT) | instid1(VALU_DEP_2)
	v_cmp_lt_u32_e32 vcc_lo, v6, v4
	v_lshlrev_b32_e32 v5, 3, v5
	s_delay_alu instid0(VALU_DEP_1) | instskip(SKIP_3) | instid1(VALU_DEP_2)
	v_add_lshl_u32 v5, v5, v2, 2
	s_waitcnt lgkmcnt(0)
	v_cndmask_b32_e32 v3, 0, v3, vcc_lo
	v_cmp_gt_u32_e32 vcc_lo, 16, v2
	v_add_nc_u32_e32 v1, v1, v3
	ds_bpermute_b32 v3, v5, v1
	v_add_nc_u32_e32 v6, 8, v2
	v_cndmask_b32_e64 v5, 0, 1, vcc_lo
	s_delay_alu instid0(VALU_DEP_2) | instskip(NEXT) | instid1(VALU_DEP_2)
	v_cmp_lt_u32_e32 vcc_lo, v6, v4
	v_lshlrev_b32_e32 v5, 4, v5
	s_delay_alu instid0(VALU_DEP_1) | instskip(SKIP_2) | instid1(VALU_DEP_1)
	v_add_lshl_u32 v5, v5, v2, 2
	s_waitcnt lgkmcnt(0)
	v_cndmask_b32_e32 v3, 0, v3, vcc_lo
	v_add_nc_u32_e32 v1, v1, v3
	ds_bpermute_b32 v3, v5, v1
	v_add_nc_u32_e32 v5, 16, v2
	s_delay_alu instid0(VALU_DEP_1) | instskip(SKIP_2) | instid1(VALU_DEP_1)
	v_cmp_lt_u32_e32 vcc_lo, v5, v4
	s_waitcnt lgkmcnt(0)
	v_cndmask_b32_e32 v3, 0, v3, vcc_lo
	v_add_nc_u32_e32 v1, v1, v3
	v_cmpx_eq_u32_e32 0, v2
	s_cbranch_execz .LBB574_191
; %bb.190:
	v_lshrrev_b32_e32 v3, 3, v0
	s_delay_alu instid0(VALU_DEP_1)
	v_and_b32_e32 v3, 28, v3
	ds_store_b32 v3, v1 offset:192
.LBB574_191:
	s_or_b32 exec_lo, exec_lo, s3
	s_delay_alu instid0(SALU_CYCLE_1)
	s_mov_b32 s3, exec_lo
	s_waitcnt lgkmcnt(0)
	s_barrier
	buffer_gl0_inv
	v_cmpx_gt_u32_e32 8, v0
	s_cbranch_execz .LBB574_193
; %bb.192:
	v_and_b32_e32 v3, 7, v2
	s_add_i32 s2, s2, 31
	s_delay_alu instid0(SALU_CYCLE_1) | instskip(NEXT) | instid1(VALU_DEP_1)
	s_lshr_b32 s2, s2, 5
	v_cmp_ne_u32_e32 vcc_lo, 7, v3
	v_add_nc_u32_e32 v6, 1, v3
	v_add_co_ci_u32_e32 v4, vcc_lo, 0, v2, vcc_lo
	v_cmp_gt_u32_e32 vcc_lo, 6, v3
	s_delay_alu instid0(VALU_DEP_2) | instskip(SKIP_3) | instid1(VALU_DEP_3)
	v_lshlrev_b32_e32 v4, 2, v4
	v_cndmask_b32_e64 v5, 0, 1, vcc_lo
	v_cmp_gt_u32_e32 vcc_lo, s2, v6
	v_lshlrev_b32_e32 v1, 2, v2
	v_lshlrev_b32_e32 v5, 1, v5
	ds_load_b32 v1, v1 offset:192
	v_add_lshl_u32 v5, v5, v2, 2
	s_waitcnt lgkmcnt(0)
	ds_bpermute_b32 v4, v4, v1
	s_waitcnt lgkmcnt(0)
	v_cndmask_b32_e32 v4, 0, v4, vcc_lo
	v_cmp_gt_u32_e32 vcc_lo, 4, v3
	s_delay_alu instid0(VALU_DEP_2) | instskip(SKIP_3) | instid1(VALU_DEP_1)
	v_add_nc_u32_e32 v1, v4, v1
	v_cndmask_b32_e64 v6, 0, 1, vcc_lo
	ds_bpermute_b32 v4, v5, v1
	v_add_nc_u32_e32 v5, 2, v3
	v_cmp_gt_u32_e32 vcc_lo, s2, v5
	v_lshlrev_b32_e32 v5, 2, v6
	s_delay_alu instid0(VALU_DEP_1) | instskip(SKIP_2) | instid1(VALU_DEP_1)
	v_add_lshl_u32 v2, v5, v2, 2
	s_waitcnt lgkmcnt(0)
	v_dual_cndmask_b32 v4, 0, v4 :: v_dual_add_nc_u32 v3, 4, v3
	v_add_nc_u32_e32 v1, v1, v4
	s_delay_alu instid0(VALU_DEP_2) | instskip(SKIP_3) | instid1(VALU_DEP_1)
	v_cmp_gt_u32_e32 vcc_lo, s2, v3
	ds_bpermute_b32 v2, v2, v1
	s_waitcnt lgkmcnt(0)
	v_cndmask_b32_e32 v2, 0, v2, vcc_lo
	v_add_nc_u32_e32 v1, v1, v2
.LBB574_193:
	s_or_b32 exec_lo, exec_lo, s3
.LBB574_194:
	v_cmp_eq_u32_e64 s2, 0, v0
	s_branch .LBB574_178
.LBB574_195:
	s_cmp_eq_u32 s24, 2
	s_cbranch_scc0 .LBB574_202
; %bb.196:
	s_mov_b32 s21, 0
	s_lshl_b32 s4, s20, 9
	s_mov_b32 s5, s21
	s_lshr_b64 s[6:7], s[18:19], 9
	s_lshl_b64 s[2:3], s[4:5], 2
	s_delay_alu instid0(SALU_CYCLE_1)
	s_add_u32 s2, s16, s2
	s_addc_u32 s3, s17, s3
	s_cmp_lg_u64 s[6:7], s[20:21]
	s_cbranch_scc0 .LBB574_203
; %bb.197:
	v_lshlrev_b32_e32 v1, 2, v0
	s_mov_b32 s5, exec_lo
	s_clause 0x1
	global_load_b32 v2, v1, s[2:3]
	global_load_b32 v1, v1, s[2:3] offset:1024
	s_waitcnt vmcnt(0)
	v_add_nc_u32_e32 v1, v1, v2
	s_delay_alu instid0(VALU_DEP_1) | instskip(NEXT) | instid1(VALU_DEP_1)
	v_mov_b32_dpp v2, v1 quad_perm:[1,0,3,2] row_mask:0xf bank_mask:0xf
	v_add_nc_u32_e32 v1, v2, v1
	s_delay_alu instid0(VALU_DEP_1) | instskip(NEXT) | instid1(VALU_DEP_1)
	v_mov_b32_dpp v2, v1 quad_perm:[2,3,0,1] row_mask:0xf bank_mask:0xf
	v_add_nc_u32_e32 v1, v1, v2
	s_delay_alu instid0(VALU_DEP_1) | instskip(NEXT) | instid1(VALU_DEP_1)
	v_mov_b32_dpp v2, v1 row_ror:4 row_mask:0xf bank_mask:0xf
	v_add_nc_u32_e32 v1, v1, v2
	s_delay_alu instid0(VALU_DEP_1) | instskip(NEXT) | instid1(VALU_DEP_1)
	v_mov_b32_dpp v2, v1 row_ror:8 row_mask:0xf bank_mask:0xf
	v_add_nc_u32_e32 v1, v1, v2
	ds_swizzle_b32 v2, v1 offset:swizzle(BROADCAST,32,15)
	s_waitcnt lgkmcnt(0)
	v_dual_mov_b32 v2, 0 :: v_dual_add_nc_u32 v1, v1, v2
	ds_bpermute_b32 v1, v2, v1 offset:124
	v_mbcnt_lo_u32_b32 v2, -1, 0
	s_delay_alu instid0(VALU_DEP_1)
	v_cmpx_eq_u32_e32 0, v2
	s_cbranch_execz .LBB574_199
; %bb.198:
	v_lshrrev_b32_e32 v3, 3, v0
	s_delay_alu instid0(VALU_DEP_1)
	v_and_b32_e32 v3, 28, v3
	s_waitcnt lgkmcnt(0)
	ds_store_b32 v3, v1 offset:64
.LBB574_199:
	s_or_b32 exec_lo, exec_lo, s5
	s_delay_alu instid0(SALU_CYCLE_1)
	s_mov_b32 s5, exec_lo
	s_waitcnt lgkmcnt(0)
	s_barrier
	buffer_gl0_inv
	v_cmpx_gt_u32_e32 32, v0
	s_cbranch_execz .LBB574_201
; %bb.200:
	v_and_b32_e32 v1, 7, v2
	s_delay_alu instid0(VALU_DEP_1) | instskip(SKIP_4) | instid1(VALU_DEP_2)
	v_lshlrev_b32_e32 v3, 2, v1
	v_cmp_ne_u32_e32 vcc_lo, 7, v1
	ds_load_b32 v3, v3 offset:64
	v_add_co_ci_u32_e32 v4, vcc_lo, 0, v2, vcc_lo
	v_cmp_gt_u32_e32 vcc_lo, 6, v1
	v_lshlrev_b32_e32 v4, 2, v4
	v_cndmask_b32_e64 v5, 0, 1, vcc_lo
	v_cmp_gt_u32_e32 vcc_lo, 4, v1
	s_delay_alu instid0(VALU_DEP_2) | instskip(SKIP_1) | instid1(VALU_DEP_2)
	v_lshlrev_b32_e32 v5, 1, v5
	v_cndmask_b32_e64 v1, 0, 1, vcc_lo
	v_add_lshl_u32 v5, v5, v2, 2
	s_delay_alu instid0(VALU_DEP_2)
	v_lshlrev_b32_e32 v1, 2, v1
	s_waitcnt lgkmcnt(0)
	ds_bpermute_b32 v4, v4, v3
	v_add_lshl_u32 v1, v1, v2, 2
	s_waitcnt lgkmcnt(0)
	v_add_nc_u32_e32 v3, v4, v3
	ds_bpermute_b32 v4, v5, v3
	s_waitcnt lgkmcnt(0)
	v_add_nc_u32_e32 v3, v4, v3
	ds_bpermute_b32 v1, v1, v3
	s_waitcnt lgkmcnt(0)
	v_add_nc_u32_e32 v1, v1, v3
.LBB574_201:
	s_or_b32 exec_lo, exec_lo, s5
	s_mov_b32 s5, 0
	s_branch .LBB574_204
.LBB574_202:
                                        ; implicit-def: $vgpr1
	s_branch .LBB574_224
.LBB574_203:
	s_mov_b32 s5, -1
                                        ; implicit-def: $vgpr1
.LBB574_204:
	s_delay_alu instid0(SALU_CYCLE_1)
	s_and_b32 vcc_lo, exec_lo, s5
	s_cbranch_vccz .LBB574_214
; %bb.205:
	s_sub_i32 s4, s18, s4
	s_mov_b32 s5, exec_lo
                                        ; implicit-def: $vgpr1_vgpr2
	v_cmpx_gt_u32_e64 s4, v0
	s_cbranch_execz .LBB574_207
; %bb.206:
	v_lshlrev_b32_e32 v1, 2, v0
	global_load_b32 v1, v1, s[2:3]
.LBB574_207:
	s_or_b32 exec_lo, exec_lo, s5
	v_or_b32_e32 v3, 0x100, v0
	s_delay_alu instid0(VALU_DEP_1)
	v_cmp_gt_u32_e32 vcc_lo, s4, v3
	s_and_saveexec_b32 s5, vcc_lo
	s_cbranch_execz .LBB574_209
; %bb.208:
	v_lshlrev_b32_e32 v2, 2, v0
	global_load_b32 v2, v2, s[2:3] offset:1024
.LBB574_209:
	s_or_b32 exec_lo, exec_lo, s5
	v_mbcnt_lo_u32_b32 v3, -1, 0
	s_waitcnt vmcnt(0)
	v_cndmask_b32_e32 v2, 0, v2, vcc_lo
	s_min_u32 s2, s4, 0x100
	s_mov_b32 s3, exec_lo
	v_cmp_ne_u32_e32 vcc_lo, 31, v3
	v_add_nc_u32_e32 v6, 1, v3
	v_add_co_ci_u32_e32 v4, vcc_lo, 0, v3, vcc_lo
	v_cmp_gt_u32_e32 vcc_lo, 30, v3
	v_cndmask_b32_e64 v5, 0, 1, vcc_lo
	s_delay_alu instid0(VALU_DEP_1) | instskip(SKIP_3) | instid1(VALU_DEP_4)
	v_lshlrev_b32_e32 v5, 1, v5
	v_add_nc_u32_e32 v1, v2, v1
	v_lshlrev_b32_e32 v2, 2, v4
	v_and_b32_e32 v4, 0xe0, v0
	v_add_lshl_u32 v5, v5, v3, 2
	ds_bpermute_b32 v2, v2, v1
	v_sub_nc_u32_e64 v4, s2, v4 clamp
	s_delay_alu instid0(VALU_DEP_1) | instskip(SKIP_4) | instid1(VALU_DEP_2)
	v_cmp_lt_u32_e32 vcc_lo, v6, v4
	v_add_nc_u32_e32 v6, 2, v3
	s_waitcnt lgkmcnt(0)
	v_cndmask_b32_e32 v2, 0, v2, vcc_lo
	v_cmp_gt_u32_e32 vcc_lo, 28, v3
	v_add_nc_u32_e32 v1, v2, v1
	ds_bpermute_b32 v2, v5, v1
	v_cndmask_b32_e64 v5, 0, 1, vcc_lo
	v_cmp_lt_u32_e32 vcc_lo, v6, v4
	v_add_nc_u32_e32 v6, 4, v3
	s_delay_alu instid0(VALU_DEP_3) | instskip(NEXT) | instid1(VALU_DEP_1)
	v_lshlrev_b32_e32 v5, 2, v5
	v_add_lshl_u32 v5, v5, v3, 2
	s_waitcnt lgkmcnt(0)
	v_cndmask_b32_e32 v2, 0, v2, vcc_lo
	v_cmp_gt_u32_e32 vcc_lo, 24, v3
	s_delay_alu instid0(VALU_DEP_2) | instskip(SKIP_4) | instid1(VALU_DEP_3)
	v_add_nc_u32_e32 v1, v1, v2
	ds_bpermute_b32 v2, v5, v1
	v_cndmask_b32_e64 v5, 0, 1, vcc_lo
	v_cmp_lt_u32_e32 vcc_lo, v6, v4
	v_add_nc_u32_e32 v6, 8, v3
	v_lshlrev_b32_e32 v5, 3, v5
	s_delay_alu instid0(VALU_DEP_1) | instskip(SKIP_3) | instid1(VALU_DEP_2)
	v_add_lshl_u32 v5, v5, v3, 2
	s_waitcnt lgkmcnt(0)
	v_cndmask_b32_e32 v2, 0, v2, vcc_lo
	v_cmp_gt_u32_e32 vcc_lo, 16, v3
	v_add_nc_u32_e32 v1, v1, v2
	ds_bpermute_b32 v2, v5, v1
	v_cndmask_b32_e64 v5, 0, 1, vcc_lo
	v_cmp_lt_u32_e32 vcc_lo, v6, v4
	s_delay_alu instid0(VALU_DEP_2) | instskip(NEXT) | instid1(VALU_DEP_1)
	v_lshlrev_b32_e32 v5, 4, v5
	v_add_lshl_u32 v5, v5, v3, 2
	s_waitcnt lgkmcnt(0)
	v_cndmask_b32_e32 v2, 0, v2, vcc_lo
	s_delay_alu instid0(VALU_DEP_1) | instskip(SKIP_2) | instid1(VALU_DEP_1)
	v_add_nc_u32_e32 v1, v1, v2
	ds_bpermute_b32 v2, v5, v1
	v_add_nc_u32_e32 v5, 16, v3
	v_cmp_lt_u32_e32 vcc_lo, v5, v4
	s_waitcnt lgkmcnt(0)
	v_cndmask_b32_e32 v2, 0, v2, vcc_lo
	s_delay_alu instid0(VALU_DEP_1)
	v_add_nc_u32_e32 v1, v1, v2
	v_cmpx_eq_u32_e32 0, v3
	s_cbranch_execz .LBB574_211
; %bb.210:
	v_lshrrev_b32_e32 v2, 3, v0
	s_delay_alu instid0(VALU_DEP_1)
	v_and_b32_e32 v2, 28, v2
	ds_store_b32 v2, v1 offset:192
.LBB574_211:
	s_or_b32 exec_lo, exec_lo, s3
	s_delay_alu instid0(SALU_CYCLE_1)
	s_mov_b32 s3, exec_lo
	s_waitcnt lgkmcnt(0)
	s_barrier
	buffer_gl0_inv
	v_cmpx_gt_u32_e32 8, v0
	s_cbranch_execz .LBB574_213
; %bb.212:
	v_and_b32_e32 v2, 7, v3
	s_add_i32 s2, s2, 31
	s_delay_alu instid0(SALU_CYCLE_1) | instskip(NEXT) | instid1(VALU_DEP_1)
	s_lshr_b32 s2, s2, 5
	v_cmp_ne_u32_e32 vcc_lo, 7, v2
	v_add_nc_u32_e32 v6, 1, v2
	v_add_co_ci_u32_e32 v4, vcc_lo, 0, v3, vcc_lo
	v_cmp_gt_u32_e32 vcc_lo, 6, v2
	s_delay_alu instid0(VALU_DEP_2) | instskip(SKIP_3) | instid1(VALU_DEP_3)
	v_lshlrev_b32_e32 v4, 2, v4
	v_cndmask_b32_e64 v5, 0, 1, vcc_lo
	v_cmp_gt_u32_e32 vcc_lo, s2, v6
	v_lshlrev_b32_e32 v1, 2, v3
	v_lshlrev_b32_e32 v5, 1, v5
	ds_load_b32 v1, v1 offset:192
	v_add_lshl_u32 v5, v5, v3, 2
	s_waitcnt lgkmcnt(0)
	ds_bpermute_b32 v4, v4, v1
	s_waitcnt lgkmcnt(0)
	v_cndmask_b32_e32 v4, 0, v4, vcc_lo
	v_cmp_gt_u32_e32 vcc_lo, 4, v2
	s_delay_alu instid0(VALU_DEP_2) | instskip(SKIP_4) | instid1(VALU_DEP_2)
	v_add_nc_u32_e32 v1, v4, v1
	v_cndmask_b32_e64 v6, 0, 1, vcc_lo
	ds_bpermute_b32 v4, v5, v1
	v_add_nc_u32_e32 v5, 2, v2
	v_add_nc_u32_e32 v2, 4, v2
	v_cmp_gt_u32_e32 vcc_lo, s2, v5
	v_lshlrev_b32_e32 v5, 2, v6
	s_delay_alu instid0(VALU_DEP_1) | instskip(SKIP_3) | instid1(VALU_DEP_2)
	v_add_lshl_u32 v3, v5, v3, 2
	s_waitcnt lgkmcnt(0)
	v_cndmask_b32_e32 v4, 0, v4, vcc_lo
	v_cmp_gt_u32_e32 vcc_lo, s2, v2
	v_add_nc_u32_e32 v1, v1, v4
	ds_bpermute_b32 v3, v3, v1
	s_waitcnt lgkmcnt(0)
	v_cndmask_b32_e32 v2, 0, v3, vcc_lo
	s_delay_alu instid0(VALU_DEP_1)
	v_add_nc_u32_e32 v1, v1, v2
.LBB574_213:
	s_or_b32 exec_lo, exec_lo, s3
.LBB574_214:
	v_cmp_eq_u32_e64 s2, 0, v0
	s_branch .LBB574_224
.LBB574_215:
	s_cmp_eq_u32 s24, 1
	s_cbranch_scc0 .LBB574_223
; %bb.216:
	s_mov_b32 s3, 0
	v_mbcnt_lo_u32_b32 v2, -1, 0
	s_lshr_b64 s[4:5], s[18:19], 8
	s_mov_b32 s21, s3
	s_lshl_b32 s2, s20, 8
	s_cmp_lg_u64 s[4:5], s[20:21]
	s_cbranch_scc0 .LBB574_227
; %bb.217:
	s_lshl_b64 s[4:5], s[2:3], 2
	v_lshlrev_b32_e32 v1, 2, v0
	s_add_u32 s4, s16, s4
	s_addc_u32 s5, s17, s5
	global_load_b32 v1, v1, s[4:5]
	s_mov_b32 s4, exec_lo
	s_waitcnt vmcnt(0)
	v_mov_b32_dpp v3, v1 quad_perm:[1,0,3,2] row_mask:0xf bank_mask:0xf
	s_delay_alu instid0(VALU_DEP_1) | instskip(NEXT) | instid1(VALU_DEP_1)
	v_add_nc_u32_e32 v1, v3, v1
	v_mov_b32_dpp v3, v1 quad_perm:[2,3,0,1] row_mask:0xf bank_mask:0xf
	s_delay_alu instid0(VALU_DEP_1) | instskip(NEXT) | instid1(VALU_DEP_1)
	v_add_nc_u32_e32 v1, v1, v3
	v_mov_b32_dpp v3, v1 row_ror:4 row_mask:0xf bank_mask:0xf
	s_delay_alu instid0(VALU_DEP_1) | instskip(NEXT) | instid1(VALU_DEP_1)
	v_add_nc_u32_e32 v1, v1, v3
	v_mov_b32_dpp v3, v1 row_ror:8 row_mask:0xf bank_mask:0xf
	s_delay_alu instid0(VALU_DEP_1)
	v_add_nc_u32_e32 v1, v1, v3
	ds_swizzle_b32 v3, v1 offset:swizzle(BROADCAST,32,15)
	s_waitcnt lgkmcnt(0)
	v_add_nc_u32_e32 v1, v1, v3
	v_mov_b32_e32 v3, 0
	ds_bpermute_b32 v1, v3, v1 offset:124
	v_cmpx_eq_u32_e32 0, v2
	s_cbranch_execz .LBB574_219
; %bb.218:
	v_lshrrev_b32_e32 v3, 3, v0
	s_delay_alu instid0(VALU_DEP_1)
	v_and_b32_e32 v3, 28, v3
	s_waitcnt lgkmcnt(0)
	ds_store_b32 v3, v1 offset:32
.LBB574_219:
	s_or_b32 exec_lo, exec_lo, s4
	s_delay_alu instid0(SALU_CYCLE_1)
	s_mov_b32 s4, exec_lo
	s_waitcnt lgkmcnt(0)
	s_barrier
	buffer_gl0_inv
	v_cmpx_gt_u32_e32 32, v0
	s_cbranch_execz .LBB574_221
; %bb.220:
	v_and_b32_e32 v1, 7, v2
	s_delay_alu instid0(VALU_DEP_1) | instskip(SKIP_4) | instid1(VALU_DEP_2)
	v_lshlrev_b32_e32 v3, 2, v1
	v_cmp_ne_u32_e32 vcc_lo, 7, v1
	ds_load_b32 v3, v3 offset:32
	v_add_co_ci_u32_e32 v4, vcc_lo, 0, v2, vcc_lo
	v_cmp_gt_u32_e32 vcc_lo, 6, v1
	v_lshlrev_b32_e32 v4, 2, v4
	v_cndmask_b32_e64 v5, 0, 1, vcc_lo
	v_cmp_gt_u32_e32 vcc_lo, 4, v1
	s_delay_alu instid0(VALU_DEP_2) | instskip(SKIP_1) | instid1(VALU_DEP_2)
	v_lshlrev_b32_e32 v5, 1, v5
	v_cndmask_b32_e64 v1, 0, 1, vcc_lo
	v_add_lshl_u32 v5, v5, v2, 2
	s_delay_alu instid0(VALU_DEP_2)
	v_lshlrev_b32_e32 v1, 2, v1
	s_waitcnt lgkmcnt(0)
	ds_bpermute_b32 v4, v4, v3
	v_add_lshl_u32 v1, v1, v2, 2
	s_waitcnt lgkmcnt(0)
	v_add_nc_u32_e32 v3, v4, v3
	ds_bpermute_b32 v4, v5, v3
	s_waitcnt lgkmcnt(0)
	v_add_nc_u32_e32 v3, v4, v3
	ds_bpermute_b32 v1, v1, v3
	s_waitcnt lgkmcnt(0)
	v_add_nc_u32_e32 v1, v1, v3
.LBB574_221:
	s_or_b32 exec_lo, exec_lo, s4
.LBB574_222:
	v_cmp_eq_u32_e64 s2, 0, v0
	s_delay_alu instid0(VALU_DEP_1)
	s_and_saveexec_b32 s3, s2
	s_cbranch_execnz .LBB574_225
	s_branch .LBB574_226
.LBB574_223:
                                        ; implicit-def: $vgpr1
                                        ; implicit-def: $sgpr20_sgpr21
.LBB574_224:
	s_delay_alu instid0(VALU_DEP_1)
	s_and_saveexec_b32 s3, s2
	s_cbranch_execz .LBB574_226
.LBB574_225:
	s_clause 0x1
	s_load_b64 s[2:3], s[0:1], 0x18
	s_load_b32 s4, s[0:1], 0x20
	s_lshl_b64 s[0:1], s[20:21], 2
	s_waitcnt lgkmcnt(0)
	s_add_u32 s0, s2, s0
	s_addc_u32 s1, s3, s1
	s_cmp_lg_u64 s[18:19], 0
	s_cselect_b32 vcc_lo, -1, 0
	v_dual_cndmask_b32 v0, 0, v1 :: v_dual_mov_b32 v1, 0
	s_delay_alu instid0(VALU_DEP_1)
	v_add_nc_u32_e32 v0, s4, v0
	global_store_b32 v1, v0, s[0:1]
.LBB574_226:
	s_nop 0
	s_sendmsg sendmsg(MSG_DEALLOC_VGPRS)
	s_endpgm
.LBB574_227:
                                        ; implicit-def: $vgpr1
	s_cbranch_execz .LBB574_222
; %bb.228:
	s_sub_i32 s4, s18, s2
	s_mov_b32 s5, exec_lo
                                        ; implicit-def: $vgpr1
	v_cmpx_gt_u32_e64 s4, v0
	s_cbranch_execz .LBB574_230
; %bb.229:
	s_lshl_b64 s[2:3], s[2:3], 2
	v_lshlrev_b32_e32 v1, 2, v0
	s_add_u32 s2, s16, s2
	s_addc_u32 s3, s17, s3
	global_load_b32 v1, v1, s[2:3]
.LBB574_230:
	s_or_b32 exec_lo, exec_lo, s5
	v_cmp_ne_u32_e32 vcc_lo, 31, v2
	s_min_u32 s2, s4, 0x100
	v_add_nc_u32_e32 v5, 1, v2
	s_mov_b32 s3, exec_lo
	v_add_co_ci_u32_e32 v3, vcc_lo, 0, v2, vcc_lo
	v_cmp_gt_u32_e32 vcc_lo, 30, v2
	s_delay_alu instid0(VALU_DEP_2)
	v_lshlrev_b32_e32 v3, 2, v3
	v_cndmask_b32_e64 v6, 0, 1, vcc_lo
	s_waitcnt vmcnt(0)
	ds_bpermute_b32 v3, v3, v1
	v_and_b32_e32 v4, 0xe0, v0
	v_lshlrev_b32_e32 v6, 1, v6
	s_delay_alu instid0(VALU_DEP_2) | instskip(NEXT) | instid1(VALU_DEP_1)
	v_sub_nc_u32_e64 v4, s2, v4 clamp
	v_cmp_lt_u32_e32 vcc_lo, v5, v4
	s_delay_alu instid0(VALU_DEP_3) | instskip(SKIP_3) | instid1(VALU_DEP_2)
	v_add_lshl_u32 v5, v6, v2, 2
	s_waitcnt lgkmcnt(0)
	v_dual_cndmask_b32 v3, 0, v3 :: v_dual_add_nc_u32 v6, 2, v2
	v_cmp_gt_u32_e32 vcc_lo, 28, v2
	v_add_nc_u32_e32 v1, v3, v1
	ds_bpermute_b32 v3, v5, v1
	v_cndmask_b32_e64 v5, 0, 1, vcc_lo
	v_cmp_lt_u32_e32 vcc_lo, v6, v4
	v_add_nc_u32_e32 v6, 4, v2
	s_delay_alu instid0(VALU_DEP_3) | instskip(NEXT) | instid1(VALU_DEP_1)
	v_lshlrev_b32_e32 v5, 2, v5
	v_add_lshl_u32 v5, v5, v2, 2
	s_waitcnt lgkmcnt(0)
	v_cndmask_b32_e32 v3, 0, v3, vcc_lo
	v_cmp_gt_u32_e32 vcc_lo, 24, v2
	s_delay_alu instid0(VALU_DEP_2) | instskip(SKIP_4) | instid1(VALU_DEP_3)
	v_add_nc_u32_e32 v1, v1, v3
	ds_bpermute_b32 v3, v5, v1
	v_cndmask_b32_e64 v5, 0, 1, vcc_lo
	v_cmp_lt_u32_e32 vcc_lo, v6, v4
	v_add_nc_u32_e32 v6, 8, v2
	v_lshlrev_b32_e32 v5, 3, v5
	s_delay_alu instid0(VALU_DEP_1) | instskip(SKIP_3) | instid1(VALU_DEP_2)
	v_add_lshl_u32 v5, v5, v2, 2
	s_waitcnt lgkmcnt(0)
	v_cndmask_b32_e32 v3, 0, v3, vcc_lo
	v_cmp_gt_u32_e32 vcc_lo, 16, v2
	v_add_nc_u32_e32 v1, v1, v3
	ds_bpermute_b32 v3, v5, v1
	v_cndmask_b32_e64 v5, 0, 1, vcc_lo
	v_cmp_lt_u32_e32 vcc_lo, v6, v4
	s_delay_alu instid0(VALU_DEP_2) | instskip(NEXT) | instid1(VALU_DEP_1)
	v_lshlrev_b32_e32 v5, 4, v5
	v_add_lshl_u32 v5, v5, v2, 2
	s_waitcnt lgkmcnt(0)
	v_cndmask_b32_e32 v3, 0, v3, vcc_lo
	s_delay_alu instid0(VALU_DEP_1) | instskip(SKIP_2) | instid1(VALU_DEP_1)
	v_add_nc_u32_e32 v1, v1, v3
	ds_bpermute_b32 v3, v5, v1
	v_add_nc_u32_e32 v5, 16, v2
	v_cmp_lt_u32_e32 vcc_lo, v5, v4
	s_waitcnt lgkmcnt(0)
	v_cndmask_b32_e32 v3, 0, v3, vcc_lo
	s_delay_alu instid0(VALU_DEP_1)
	v_add_nc_u32_e32 v1, v1, v3
	v_cmpx_eq_u32_e32 0, v2
	s_cbranch_execz .LBB574_232
; %bb.231:
	v_lshrrev_b32_e32 v3, 3, v0
	s_delay_alu instid0(VALU_DEP_1)
	v_and_b32_e32 v3, 28, v3
	ds_store_b32 v3, v1 offset:192
.LBB574_232:
	s_or_b32 exec_lo, exec_lo, s3
	s_delay_alu instid0(SALU_CYCLE_1)
	s_mov_b32 s3, exec_lo
	s_waitcnt lgkmcnt(0)
	s_barrier
	buffer_gl0_inv
	v_cmpx_gt_u32_e32 8, v0
	s_cbranch_execz .LBB574_234
; %bb.233:
	v_and_b32_e32 v3, 7, v2
	s_add_i32 s2, s2, 31
	s_delay_alu instid0(SALU_CYCLE_1) | instskip(NEXT) | instid1(VALU_DEP_1)
	s_lshr_b32 s2, s2, 5
	v_cmp_ne_u32_e32 vcc_lo, 7, v3
	v_add_nc_u32_e32 v6, 1, v3
	v_add_co_ci_u32_e32 v4, vcc_lo, 0, v2, vcc_lo
	v_cmp_gt_u32_e32 vcc_lo, 6, v3
	s_delay_alu instid0(VALU_DEP_2) | instskip(SKIP_3) | instid1(VALU_DEP_3)
	v_lshlrev_b32_e32 v4, 2, v4
	v_cndmask_b32_e64 v5, 0, 1, vcc_lo
	v_cmp_gt_u32_e32 vcc_lo, s2, v6
	v_lshlrev_b32_e32 v1, 2, v2
	v_lshlrev_b32_e32 v5, 1, v5
	ds_load_b32 v1, v1 offset:192
	v_add_lshl_u32 v5, v5, v2, 2
	s_waitcnt lgkmcnt(0)
	ds_bpermute_b32 v4, v4, v1
	s_waitcnt lgkmcnt(0)
	v_cndmask_b32_e32 v4, 0, v4, vcc_lo
	v_cmp_gt_u32_e32 vcc_lo, 4, v3
	s_delay_alu instid0(VALU_DEP_2) | instskip(SKIP_3) | instid1(VALU_DEP_1)
	v_add_nc_u32_e32 v1, v4, v1
	v_cndmask_b32_e64 v6, 0, 1, vcc_lo
	ds_bpermute_b32 v4, v5, v1
	v_add_nc_u32_e32 v5, 2, v3
	v_cmp_gt_u32_e32 vcc_lo, s2, v5
	v_lshlrev_b32_e32 v5, 2, v6
	s_delay_alu instid0(VALU_DEP_1) | instskip(SKIP_2) | instid1(VALU_DEP_1)
	v_add_lshl_u32 v2, v5, v2, 2
	s_waitcnt lgkmcnt(0)
	v_dual_cndmask_b32 v4, 0, v4 :: v_dual_add_nc_u32 v3, 4, v3
	v_add_nc_u32_e32 v1, v1, v4
	s_delay_alu instid0(VALU_DEP_2) | instskip(SKIP_3) | instid1(VALU_DEP_1)
	v_cmp_gt_u32_e32 vcc_lo, s2, v3
	ds_bpermute_b32 v2, v2, v1
	s_waitcnt lgkmcnt(0)
	v_cndmask_b32_e32 v2, 0, v2, vcc_lo
	v_add_nc_u32_e32 v1, v1, v2
.LBB574_234:
	s_or_b32 exec_lo, exec_lo, s3
	v_cmp_eq_u32_e64 s2, 0, v0
	s_delay_alu instid0(VALU_DEP_1)
	s_and_saveexec_b32 s3, s2
	s_cbranch_execnz .LBB574_225
	s_branch .LBB574_226
	.section	.rodata,"a",@progbits
	.p2align	6, 0x0
	.amdhsa_kernel _ZN7rocprim17ROCPRIM_400000_NS6detail17trampoline_kernelINS0_14default_configENS1_22reduce_config_selectorIiEEZNS1_11reduce_implILb1ES3_PiS7_iN6hipcub16HIPCUB_304000_NS6detail34convert_binary_result_type_wrapperINS9_3SumENS9_22TransformInputIteratorIbN2at6native12_GLOBAL__N_19NonZeroOpIN3c107complexIfEEEEPKSK_lEEiEEEE10hipError_tPvRmT1_T2_T3_mT4_P12ihipStream_tbEUlT_E1_NS1_11comp_targetILNS1_3genE9ELNS1_11target_archE1100ELNS1_3gpuE3ELNS1_3repE0EEENS1_30default_config_static_selectorELNS0_4arch9wavefront6targetE0EEEvST_
		.amdhsa_group_segment_fixed_size 224
		.amdhsa_private_segment_fixed_size 0
		.amdhsa_kernarg_size 40
		.amdhsa_user_sgpr_count 15
		.amdhsa_user_sgpr_dispatch_ptr 0
		.amdhsa_user_sgpr_queue_ptr 0
		.amdhsa_user_sgpr_kernarg_segment_ptr 1
		.amdhsa_user_sgpr_dispatch_id 0
		.amdhsa_user_sgpr_private_segment_size 0
		.amdhsa_wavefront_size32 1
		.amdhsa_uses_dynamic_stack 0
		.amdhsa_enable_private_segment 0
		.amdhsa_system_sgpr_workgroup_id_x 1
		.amdhsa_system_sgpr_workgroup_id_y 0
		.amdhsa_system_sgpr_workgroup_id_z 0
		.amdhsa_system_sgpr_workgroup_info 0
		.amdhsa_system_vgpr_workitem_id 0
		.amdhsa_next_free_vgpr 34
		.amdhsa_next_free_sgpr 27
		.amdhsa_reserve_vcc 1
		.amdhsa_float_round_mode_32 0
		.amdhsa_float_round_mode_16_64 0
		.amdhsa_float_denorm_mode_32 3
		.amdhsa_float_denorm_mode_16_64 3
		.amdhsa_dx10_clamp 1
		.amdhsa_ieee_mode 1
		.amdhsa_fp16_overflow 0
		.amdhsa_workgroup_processor_mode 1
		.amdhsa_memory_ordered 1
		.amdhsa_forward_progress 0
		.amdhsa_shared_vgpr_count 0
		.amdhsa_exception_fp_ieee_invalid_op 0
		.amdhsa_exception_fp_denorm_src 0
		.amdhsa_exception_fp_ieee_div_zero 0
		.amdhsa_exception_fp_ieee_overflow 0
		.amdhsa_exception_fp_ieee_underflow 0
		.amdhsa_exception_fp_ieee_inexact 0
		.amdhsa_exception_int_div_zero 0
	.end_amdhsa_kernel
	.section	.text._ZN7rocprim17ROCPRIM_400000_NS6detail17trampoline_kernelINS0_14default_configENS1_22reduce_config_selectorIiEEZNS1_11reduce_implILb1ES3_PiS7_iN6hipcub16HIPCUB_304000_NS6detail34convert_binary_result_type_wrapperINS9_3SumENS9_22TransformInputIteratorIbN2at6native12_GLOBAL__N_19NonZeroOpIN3c107complexIfEEEEPKSK_lEEiEEEE10hipError_tPvRmT1_T2_T3_mT4_P12ihipStream_tbEUlT_E1_NS1_11comp_targetILNS1_3genE9ELNS1_11target_archE1100ELNS1_3gpuE3ELNS1_3repE0EEENS1_30default_config_static_selectorELNS0_4arch9wavefront6targetE0EEEvST_,"axG",@progbits,_ZN7rocprim17ROCPRIM_400000_NS6detail17trampoline_kernelINS0_14default_configENS1_22reduce_config_selectorIiEEZNS1_11reduce_implILb1ES3_PiS7_iN6hipcub16HIPCUB_304000_NS6detail34convert_binary_result_type_wrapperINS9_3SumENS9_22TransformInputIteratorIbN2at6native12_GLOBAL__N_19NonZeroOpIN3c107complexIfEEEEPKSK_lEEiEEEE10hipError_tPvRmT1_T2_T3_mT4_P12ihipStream_tbEUlT_E1_NS1_11comp_targetILNS1_3genE9ELNS1_11target_archE1100ELNS1_3gpuE3ELNS1_3repE0EEENS1_30default_config_static_selectorELNS0_4arch9wavefront6targetE0EEEvST_,comdat
.Lfunc_end574:
	.size	_ZN7rocprim17ROCPRIM_400000_NS6detail17trampoline_kernelINS0_14default_configENS1_22reduce_config_selectorIiEEZNS1_11reduce_implILb1ES3_PiS7_iN6hipcub16HIPCUB_304000_NS6detail34convert_binary_result_type_wrapperINS9_3SumENS9_22TransformInputIteratorIbN2at6native12_GLOBAL__N_19NonZeroOpIN3c107complexIfEEEEPKSK_lEEiEEEE10hipError_tPvRmT1_T2_T3_mT4_P12ihipStream_tbEUlT_E1_NS1_11comp_targetILNS1_3genE9ELNS1_11target_archE1100ELNS1_3gpuE3ELNS1_3repE0EEENS1_30default_config_static_selectorELNS0_4arch9wavefront6targetE0EEEvST_, .Lfunc_end574-_ZN7rocprim17ROCPRIM_400000_NS6detail17trampoline_kernelINS0_14default_configENS1_22reduce_config_selectorIiEEZNS1_11reduce_implILb1ES3_PiS7_iN6hipcub16HIPCUB_304000_NS6detail34convert_binary_result_type_wrapperINS9_3SumENS9_22TransformInputIteratorIbN2at6native12_GLOBAL__N_19NonZeroOpIN3c107complexIfEEEEPKSK_lEEiEEEE10hipError_tPvRmT1_T2_T3_mT4_P12ihipStream_tbEUlT_E1_NS1_11comp_targetILNS1_3genE9ELNS1_11target_archE1100ELNS1_3gpuE3ELNS1_3repE0EEENS1_30default_config_static_selectorELNS0_4arch9wavefront6targetE0EEEvST_
                                        ; -- End function
	.section	.AMDGPU.csdata,"",@progbits
; Kernel info:
; codeLenInByte = 10768
; NumSgprs: 29
; NumVgprs: 34
; ScratchSize: 0
; MemoryBound: 0
; FloatMode: 240
; IeeeMode: 1
; LDSByteSize: 224 bytes/workgroup (compile time only)
; SGPRBlocks: 3
; VGPRBlocks: 4
; NumSGPRsForWavesPerEU: 29
; NumVGPRsForWavesPerEU: 34
; Occupancy: 16
; WaveLimiterHint : 1
; COMPUTE_PGM_RSRC2:SCRATCH_EN: 0
; COMPUTE_PGM_RSRC2:USER_SGPR: 15
; COMPUTE_PGM_RSRC2:TRAP_HANDLER: 0
; COMPUTE_PGM_RSRC2:TGID_X_EN: 1
; COMPUTE_PGM_RSRC2:TGID_Y_EN: 0
; COMPUTE_PGM_RSRC2:TGID_Z_EN: 0
; COMPUTE_PGM_RSRC2:TIDIG_COMP_CNT: 0
	.section	.text._ZN7rocprim17ROCPRIM_400000_NS6detail17trampoline_kernelINS0_14default_configENS1_22reduce_config_selectorIiEEZNS1_11reduce_implILb1ES3_PiS7_iN6hipcub16HIPCUB_304000_NS6detail34convert_binary_result_type_wrapperINS9_3SumENS9_22TransformInputIteratorIbN2at6native12_GLOBAL__N_19NonZeroOpIN3c107complexIfEEEEPKSK_lEEiEEEE10hipError_tPvRmT1_T2_T3_mT4_P12ihipStream_tbEUlT_E1_NS1_11comp_targetILNS1_3genE8ELNS1_11target_archE1030ELNS1_3gpuE2ELNS1_3repE0EEENS1_30default_config_static_selectorELNS0_4arch9wavefront6targetE0EEEvST_,"axG",@progbits,_ZN7rocprim17ROCPRIM_400000_NS6detail17trampoline_kernelINS0_14default_configENS1_22reduce_config_selectorIiEEZNS1_11reduce_implILb1ES3_PiS7_iN6hipcub16HIPCUB_304000_NS6detail34convert_binary_result_type_wrapperINS9_3SumENS9_22TransformInputIteratorIbN2at6native12_GLOBAL__N_19NonZeroOpIN3c107complexIfEEEEPKSK_lEEiEEEE10hipError_tPvRmT1_T2_T3_mT4_P12ihipStream_tbEUlT_E1_NS1_11comp_targetILNS1_3genE8ELNS1_11target_archE1030ELNS1_3gpuE2ELNS1_3repE0EEENS1_30default_config_static_selectorELNS0_4arch9wavefront6targetE0EEEvST_,comdat
	.globl	_ZN7rocprim17ROCPRIM_400000_NS6detail17trampoline_kernelINS0_14default_configENS1_22reduce_config_selectorIiEEZNS1_11reduce_implILb1ES3_PiS7_iN6hipcub16HIPCUB_304000_NS6detail34convert_binary_result_type_wrapperINS9_3SumENS9_22TransformInputIteratorIbN2at6native12_GLOBAL__N_19NonZeroOpIN3c107complexIfEEEEPKSK_lEEiEEEE10hipError_tPvRmT1_T2_T3_mT4_P12ihipStream_tbEUlT_E1_NS1_11comp_targetILNS1_3genE8ELNS1_11target_archE1030ELNS1_3gpuE2ELNS1_3repE0EEENS1_30default_config_static_selectorELNS0_4arch9wavefront6targetE0EEEvST_ ; -- Begin function _ZN7rocprim17ROCPRIM_400000_NS6detail17trampoline_kernelINS0_14default_configENS1_22reduce_config_selectorIiEEZNS1_11reduce_implILb1ES3_PiS7_iN6hipcub16HIPCUB_304000_NS6detail34convert_binary_result_type_wrapperINS9_3SumENS9_22TransformInputIteratorIbN2at6native12_GLOBAL__N_19NonZeroOpIN3c107complexIfEEEEPKSK_lEEiEEEE10hipError_tPvRmT1_T2_T3_mT4_P12ihipStream_tbEUlT_E1_NS1_11comp_targetILNS1_3genE8ELNS1_11target_archE1030ELNS1_3gpuE2ELNS1_3repE0EEENS1_30default_config_static_selectorELNS0_4arch9wavefront6targetE0EEEvST_
	.p2align	8
	.type	_ZN7rocprim17ROCPRIM_400000_NS6detail17trampoline_kernelINS0_14default_configENS1_22reduce_config_selectorIiEEZNS1_11reduce_implILb1ES3_PiS7_iN6hipcub16HIPCUB_304000_NS6detail34convert_binary_result_type_wrapperINS9_3SumENS9_22TransformInputIteratorIbN2at6native12_GLOBAL__N_19NonZeroOpIN3c107complexIfEEEEPKSK_lEEiEEEE10hipError_tPvRmT1_T2_T3_mT4_P12ihipStream_tbEUlT_E1_NS1_11comp_targetILNS1_3genE8ELNS1_11target_archE1030ELNS1_3gpuE2ELNS1_3repE0EEENS1_30default_config_static_selectorELNS0_4arch9wavefront6targetE0EEEvST_,@function
_ZN7rocprim17ROCPRIM_400000_NS6detail17trampoline_kernelINS0_14default_configENS1_22reduce_config_selectorIiEEZNS1_11reduce_implILb1ES3_PiS7_iN6hipcub16HIPCUB_304000_NS6detail34convert_binary_result_type_wrapperINS9_3SumENS9_22TransformInputIteratorIbN2at6native12_GLOBAL__N_19NonZeroOpIN3c107complexIfEEEEPKSK_lEEiEEEE10hipError_tPvRmT1_T2_T3_mT4_P12ihipStream_tbEUlT_E1_NS1_11comp_targetILNS1_3genE8ELNS1_11target_archE1030ELNS1_3gpuE2ELNS1_3repE0EEENS1_30default_config_static_selectorELNS0_4arch9wavefront6targetE0EEEvST_: ; @_ZN7rocprim17ROCPRIM_400000_NS6detail17trampoline_kernelINS0_14default_configENS1_22reduce_config_selectorIiEEZNS1_11reduce_implILb1ES3_PiS7_iN6hipcub16HIPCUB_304000_NS6detail34convert_binary_result_type_wrapperINS9_3SumENS9_22TransformInputIteratorIbN2at6native12_GLOBAL__N_19NonZeroOpIN3c107complexIfEEEEPKSK_lEEiEEEE10hipError_tPvRmT1_T2_T3_mT4_P12ihipStream_tbEUlT_E1_NS1_11comp_targetILNS1_3genE8ELNS1_11target_archE1030ELNS1_3gpuE2ELNS1_3repE0EEENS1_30default_config_static_selectorELNS0_4arch9wavefront6targetE0EEEvST_
; %bb.0:
	.section	.rodata,"a",@progbits
	.p2align	6, 0x0
	.amdhsa_kernel _ZN7rocprim17ROCPRIM_400000_NS6detail17trampoline_kernelINS0_14default_configENS1_22reduce_config_selectorIiEEZNS1_11reduce_implILb1ES3_PiS7_iN6hipcub16HIPCUB_304000_NS6detail34convert_binary_result_type_wrapperINS9_3SumENS9_22TransformInputIteratorIbN2at6native12_GLOBAL__N_19NonZeroOpIN3c107complexIfEEEEPKSK_lEEiEEEE10hipError_tPvRmT1_T2_T3_mT4_P12ihipStream_tbEUlT_E1_NS1_11comp_targetILNS1_3genE8ELNS1_11target_archE1030ELNS1_3gpuE2ELNS1_3repE0EEENS1_30default_config_static_selectorELNS0_4arch9wavefront6targetE0EEEvST_
		.amdhsa_group_segment_fixed_size 0
		.amdhsa_private_segment_fixed_size 0
		.amdhsa_kernarg_size 40
		.amdhsa_user_sgpr_count 15
		.amdhsa_user_sgpr_dispatch_ptr 0
		.amdhsa_user_sgpr_queue_ptr 0
		.amdhsa_user_sgpr_kernarg_segment_ptr 1
		.amdhsa_user_sgpr_dispatch_id 0
		.amdhsa_user_sgpr_private_segment_size 0
		.amdhsa_wavefront_size32 1
		.amdhsa_uses_dynamic_stack 0
		.amdhsa_enable_private_segment 0
		.amdhsa_system_sgpr_workgroup_id_x 1
		.amdhsa_system_sgpr_workgroup_id_y 0
		.amdhsa_system_sgpr_workgroup_id_z 0
		.amdhsa_system_sgpr_workgroup_info 0
		.amdhsa_system_vgpr_workitem_id 0
		.amdhsa_next_free_vgpr 1
		.amdhsa_next_free_sgpr 1
		.amdhsa_reserve_vcc 0
		.amdhsa_float_round_mode_32 0
		.amdhsa_float_round_mode_16_64 0
		.amdhsa_float_denorm_mode_32 3
		.amdhsa_float_denorm_mode_16_64 3
		.amdhsa_dx10_clamp 1
		.amdhsa_ieee_mode 1
		.amdhsa_fp16_overflow 0
		.amdhsa_workgroup_processor_mode 1
		.amdhsa_memory_ordered 1
		.amdhsa_forward_progress 0
		.amdhsa_shared_vgpr_count 0
		.amdhsa_exception_fp_ieee_invalid_op 0
		.amdhsa_exception_fp_denorm_src 0
		.amdhsa_exception_fp_ieee_div_zero 0
		.amdhsa_exception_fp_ieee_overflow 0
		.amdhsa_exception_fp_ieee_underflow 0
		.amdhsa_exception_fp_ieee_inexact 0
		.amdhsa_exception_int_div_zero 0
	.end_amdhsa_kernel
	.section	.text._ZN7rocprim17ROCPRIM_400000_NS6detail17trampoline_kernelINS0_14default_configENS1_22reduce_config_selectorIiEEZNS1_11reduce_implILb1ES3_PiS7_iN6hipcub16HIPCUB_304000_NS6detail34convert_binary_result_type_wrapperINS9_3SumENS9_22TransformInputIteratorIbN2at6native12_GLOBAL__N_19NonZeroOpIN3c107complexIfEEEEPKSK_lEEiEEEE10hipError_tPvRmT1_T2_T3_mT4_P12ihipStream_tbEUlT_E1_NS1_11comp_targetILNS1_3genE8ELNS1_11target_archE1030ELNS1_3gpuE2ELNS1_3repE0EEENS1_30default_config_static_selectorELNS0_4arch9wavefront6targetE0EEEvST_,"axG",@progbits,_ZN7rocprim17ROCPRIM_400000_NS6detail17trampoline_kernelINS0_14default_configENS1_22reduce_config_selectorIiEEZNS1_11reduce_implILb1ES3_PiS7_iN6hipcub16HIPCUB_304000_NS6detail34convert_binary_result_type_wrapperINS9_3SumENS9_22TransformInputIteratorIbN2at6native12_GLOBAL__N_19NonZeroOpIN3c107complexIfEEEEPKSK_lEEiEEEE10hipError_tPvRmT1_T2_T3_mT4_P12ihipStream_tbEUlT_E1_NS1_11comp_targetILNS1_3genE8ELNS1_11target_archE1030ELNS1_3gpuE2ELNS1_3repE0EEENS1_30default_config_static_selectorELNS0_4arch9wavefront6targetE0EEEvST_,comdat
.Lfunc_end575:
	.size	_ZN7rocprim17ROCPRIM_400000_NS6detail17trampoline_kernelINS0_14default_configENS1_22reduce_config_selectorIiEEZNS1_11reduce_implILb1ES3_PiS7_iN6hipcub16HIPCUB_304000_NS6detail34convert_binary_result_type_wrapperINS9_3SumENS9_22TransformInputIteratorIbN2at6native12_GLOBAL__N_19NonZeroOpIN3c107complexIfEEEEPKSK_lEEiEEEE10hipError_tPvRmT1_T2_T3_mT4_P12ihipStream_tbEUlT_E1_NS1_11comp_targetILNS1_3genE8ELNS1_11target_archE1030ELNS1_3gpuE2ELNS1_3repE0EEENS1_30default_config_static_selectorELNS0_4arch9wavefront6targetE0EEEvST_, .Lfunc_end575-_ZN7rocprim17ROCPRIM_400000_NS6detail17trampoline_kernelINS0_14default_configENS1_22reduce_config_selectorIiEEZNS1_11reduce_implILb1ES3_PiS7_iN6hipcub16HIPCUB_304000_NS6detail34convert_binary_result_type_wrapperINS9_3SumENS9_22TransformInputIteratorIbN2at6native12_GLOBAL__N_19NonZeroOpIN3c107complexIfEEEEPKSK_lEEiEEEE10hipError_tPvRmT1_T2_T3_mT4_P12ihipStream_tbEUlT_E1_NS1_11comp_targetILNS1_3genE8ELNS1_11target_archE1030ELNS1_3gpuE2ELNS1_3repE0EEENS1_30default_config_static_selectorELNS0_4arch9wavefront6targetE0EEEvST_
                                        ; -- End function
	.section	.AMDGPU.csdata,"",@progbits
; Kernel info:
; codeLenInByte = 0
; NumSgprs: 0
; NumVgprs: 0
; ScratchSize: 0
; MemoryBound: 0
; FloatMode: 240
; IeeeMode: 1
; LDSByteSize: 0 bytes/workgroup (compile time only)
; SGPRBlocks: 0
; VGPRBlocks: 0
; NumSGPRsForWavesPerEU: 1
; NumVGPRsForWavesPerEU: 1
; Occupancy: 16
; WaveLimiterHint : 0
; COMPUTE_PGM_RSRC2:SCRATCH_EN: 0
; COMPUTE_PGM_RSRC2:USER_SGPR: 15
; COMPUTE_PGM_RSRC2:TRAP_HANDLER: 0
; COMPUTE_PGM_RSRC2:TGID_X_EN: 1
; COMPUTE_PGM_RSRC2:TGID_Y_EN: 0
; COMPUTE_PGM_RSRC2:TGID_Z_EN: 0
; COMPUTE_PGM_RSRC2:TIDIG_COMP_CNT: 0
	.section	.text._ZN7rocprim17ROCPRIM_400000_NS6detail17trampoline_kernelINS0_14default_configENS1_22reduce_config_selectorIbEEZNS1_11reduce_implILb1ES3_N6hipcub16HIPCUB_304000_NS22TransformInputIteratorIbN2at6native12_GLOBAL__N_19NonZeroOpIN3c107complexIfEEEEPKSG_lEEPiiNS8_6detail34convert_binary_result_type_wrapperINS8_3SumESK_iEEEE10hipError_tPvRmT1_T2_T3_mT4_P12ihipStream_tbEUlT_E0_NS1_11comp_targetILNS1_3genE0ELNS1_11target_archE4294967295ELNS1_3gpuE0ELNS1_3repE0EEENS1_30default_config_static_selectorELNS0_4arch9wavefront6targetE0EEEvST_,"axG",@progbits,_ZN7rocprim17ROCPRIM_400000_NS6detail17trampoline_kernelINS0_14default_configENS1_22reduce_config_selectorIbEEZNS1_11reduce_implILb1ES3_N6hipcub16HIPCUB_304000_NS22TransformInputIteratorIbN2at6native12_GLOBAL__N_19NonZeroOpIN3c107complexIfEEEEPKSG_lEEPiiNS8_6detail34convert_binary_result_type_wrapperINS8_3SumESK_iEEEE10hipError_tPvRmT1_T2_T3_mT4_P12ihipStream_tbEUlT_E0_NS1_11comp_targetILNS1_3genE0ELNS1_11target_archE4294967295ELNS1_3gpuE0ELNS1_3repE0EEENS1_30default_config_static_selectorELNS0_4arch9wavefront6targetE0EEEvST_,comdat
	.globl	_ZN7rocprim17ROCPRIM_400000_NS6detail17trampoline_kernelINS0_14default_configENS1_22reduce_config_selectorIbEEZNS1_11reduce_implILb1ES3_N6hipcub16HIPCUB_304000_NS22TransformInputIteratorIbN2at6native12_GLOBAL__N_19NonZeroOpIN3c107complexIfEEEEPKSG_lEEPiiNS8_6detail34convert_binary_result_type_wrapperINS8_3SumESK_iEEEE10hipError_tPvRmT1_T2_T3_mT4_P12ihipStream_tbEUlT_E0_NS1_11comp_targetILNS1_3genE0ELNS1_11target_archE4294967295ELNS1_3gpuE0ELNS1_3repE0EEENS1_30default_config_static_selectorELNS0_4arch9wavefront6targetE0EEEvST_ ; -- Begin function _ZN7rocprim17ROCPRIM_400000_NS6detail17trampoline_kernelINS0_14default_configENS1_22reduce_config_selectorIbEEZNS1_11reduce_implILb1ES3_N6hipcub16HIPCUB_304000_NS22TransformInputIteratorIbN2at6native12_GLOBAL__N_19NonZeroOpIN3c107complexIfEEEEPKSG_lEEPiiNS8_6detail34convert_binary_result_type_wrapperINS8_3SumESK_iEEEE10hipError_tPvRmT1_T2_T3_mT4_P12ihipStream_tbEUlT_E0_NS1_11comp_targetILNS1_3genE0ELNS1_11target_archE4294967295ELNS1_3gpuE0ELNS1_3repE0EEENS1_30default_config_static_selectorELNS0_4arch9wavefront6targetE0EEEvST_
	.p2align	8
	.type	_ZN7rocprim17ROCPRIM_400000_NS6detail17trampoline_kernelINS0_14default_configENS1_22reduce_config_selectorIbEEZNS1_11reduce_implILb1ES3_N6hipcub16HIPCUB_304000_NS22TransformInputIteratorIbN2at6native12_GLOBAL__N_19NonZeroOpIN3c107complexIfEEEEPKSG_lEEPiiNS8_6detail34convert_binary_result_type_wrapperINS8_3SumESK_iEEEE10hipError_tPvRmT1_T2_T3_mT4_P12ihipStream_tbEUlT_E0_NS1_11comp_targetILNS1_3genE0ELNS1_11target_archE4294967295ELNS1_3gpuE0ELNS1_3repE0EEENS1_30default_config_static_selectorELNS0_4arch9wavefront6targetE0EEEvST_,@function
_ZN7rocprim17ROCPRIM_400000_NS6detail17trampoline_kernelINS0_14default_configENS1_22reduce_config_selectorIbEEZNS1_11reduce_implILb1ES3_N6hipcub16HIPCUB_304000_NS22TransformInputIteratorIbN2at6native12_GLOBAL__N_19NonZeroOpIN3c107complexIfEEEEPKSG_lEEPiiNS8_6detail34convert_binary_result_type_wrapperINS8_3SumESK_iEEEE10hipError_tPvRmT1_T2_T3_mT4_P12ihipStream_tbEUlT_E0_NS1_11comp_targetILNS1_3genE0ELNS1_11target_archE4294967295ELNS1_3gpuE0ELNS1_3repE0EEENS1_30default_config_static_selectorELNS0_4arch9wavefront6targetE0EEEvST_: ; @_ZN7rocprim17ROCPRIM_400000_NS6detail17trampoline_kernelINS0_14default_configENS1_22reduce_config_selectorIbEEZNS1_11reduce_implILb1ES3_N6hipcub16HIPCUB_304000_NS22TransformInputIteratorIbN2at6native12_GLOBAL__N_19NonZeroOpIN3c107complexIfEEEEPKSG_lEEPiiNS8_6detail34convert_binary_result_type_wrapperINS8_3SumESK_iEEEE10hipError_tPvRmT1_T2_T3_mT4_P12ihipStream_tbEUlT_E0_NS1_11comp_targetILNS1_3genE0ELNS1_11target_archE4294967295ELNS1_3gpuE0ELNS1_3repE0EEENS1_30default_config_static_selectorELNS0_4arch9wavefront6targetE0EEEvST_
; %bb.0:
	.section	.rodata,"a",@progbits
	.p2align	6, 0x0
	.amdhsa_kernel _ZN7rocprim17ROCPRIM_400000_NS6detail17trampoline_kernelINS0_14default_configENS1_22reduce_config_selectorIbEEZNS1_11reduce_implILb1ES3_N6hipcub16HIPCUB_304000_NS22TransformInputIteratorIbN2at6native12_GLOBAL__N_19NonZeroOpIN3c107complexIfEEEEPKSG_lEEPiiNS8_6detail34convert_binary_result_type_wrapperINS8_3SumESK_iEEEE10hipError_tPvRmT1_T2_T3_mT4_P12ihipStream_tbEUlT_E0_NS1_11comp_targetILNS1_3genE0ELNS1_11target_archE4294967295ELNS1_3gpuE0ELNS1_3repE0EEENS1_30default_config_static_selectorELNS0_4arch9wavefront6targetE0EEEvST_
		.amdhsa_group_segment_fixed_size 0
		.amdhsa_private_segment_fixed_size 0
		.amdhsa_kernarg_size 64
		.amdhsa_user_sgpr_count 15
		.amdhsa_user_sgpr_dispatch_ptr 0
		.amdhsa_user_sgpr_queue_ptr 0
		.amdhsa_user_sgpr_kernarg_segment_ptr 1
		.amdhsa_user_sgpr_dispatch_id 0
		.amdhsa_user_sgpr_private_segment_size 0
		.amdhsa_wavefront_size32 1
		.amdhsa_uses_dynamic_stack 0
		.amdhsa_enable_private_segment 0
		.amdhsa_system_sgpr_workgroup_id_x 1
		.amdhsa_system_sgpr_workgroup_id_y 0
		.amdhsa_system_sgpr_workgroup_id_z 0
		.amdhsa_system_sgpr_workgroup_info 0
		.amdhsa_system_vgpr_workitem_id 0
		.amdhsa_next_free_vgpr 1
		.amdhsa_next_free_sgpr 1
		.amdhsa_reserve_vcc 0
		.amdhsa_float_round_mode_32 0
		.amdhsa_float_round_mode_16_64 0
		.amdhsa_float_denorm_mode_32 3
		.amdhsa_float_denorm_mode_16_64 3
		.amdhsa_dx10_clamp 1
		.amdhsa_ieee_mode 1
		.amdhsa_fp16_overflow 0
		.amdhsa_workgroup_processor_mode 1
		.amdhsa_memory_ordered 1
		.amdhsa_forward_progress 0
		.amdhsa_shared_vgpr_count 0
		.amdhsa_exception_fp_ieee_invalid_op 0
		.amdhsa_exception_fp_denorm_src 0
		.amdhsa_exception_fp_ieee_div_zero 0
		.amdhsa_exception_fp_ieee_overflow 0
		.amdhsa_exception_fp_ieee_underflow 0
		.amdhsa_exception_fp_ieee_inexact 0
		.amdhsa_exception_int_div_zero 0
	.end_amdhsa_kernel
	.section	.text._ZN7rocprim17ROCPRIM_400000_NS6detail17trampoline_kernelINS0_14default_configENS1_22reduce_config_selectorIbEEZNS1_11reduce_implILb1ES3_N6hipcub16HIPCUB_304000_NS22TransformInputIteratorIbN2at6native12_GLOBAL__N_19NonZeroOpIN3c107complexIfEEEEPKSG_lEEPiiNS8_6detail34convert_binary_result_type_wrapperINS8_3SumESK_iEEEE10hipError_tPvRmT1_T2_T3_mT4_P12ihipStream_tbEUlT_E0_NS1_11comp_targetILNS1_3genE0ELNS1_11target_archE4294967295ELNS1_3gpuE0ELNS1_3repE0EEENS1_30default_config_static_selectorELNS0_4arch9wavefront6targetE0EEEvST_,"axG",@progbits,_ZN7rocprim17ROCPRIM_400000_NS6detail17trampoline_kernelINS0_14default_configENS1_22reduce_config_selectorIbEEZNS1_11reduce_implILb1ES3_N6hipcub16HIPCUB_304000_NS22TransformInputIteratorIbN2at6native12_GLOBAL__N_19NonZeroOpIN3c107complexIfEEEEPKSG_lEEPiiNS8_6detail34convert_binary_result_type_wrapperINS8_3SumESK_iEEEE10hipError_tPvRmT1_T2_T3_mT4_P12ihipStream_tbEUlT_E0_NS1_11comp_targetILNS1_3genE0ELNS1_11target_archE4294967295ELNS1_3gpuE0ELNS1_3repE0EEENS1_30default_config_static_selectorELNS0_4arch9wavefront6targetE0EEEvST_,comdat
.Lfunc_end576:
	.size	_ZN7rocprim17ROCPRIM_400000_NS6detail17trampoline_kernelINS0_14default_configENS1_22reduce_config_selectorIbEEZNS1_11reduce_implILb1ES3_N6hipcub16HIPCUB_304000_NS22TransformInputIteratorIbN2at6native12_GLOBAL__N_19NonZeroOpIN3c107complexIfEEEEPKSG_lEEPiiNS8_6detail34convert_binary_result_type_wrapperINS8_3SumESK_iEEEE10hipError_tPvRmT1_T2_T3_mT4_P12ihipStream_tbEUlT_E0_NS1_11comp_targetILNS1_3genE0ELNS1_11target_archE4294967295ELNS1_3gpuE0ELNS1_3repE0EEENS1_30default_config_static_selectorELNS0_4arch9wavefront6targetE0EEEvST_, .Lfunc_end576-_ZN7rocprim17ROCPRIM_400000_NS6detail17trampoline_kernelINS0_14default_configENS1_22reduce_config_selectorIbEEZNS1_11reduce_implILb1ES3_N6hipcub16HIPCUB_304000_NS22TransformInputIteratorIbN2at6native12_GLOBAL__N_19NonZeroOpIN3c107complexIfEEEEPKSG_lEEPiiNS8_6detail34convert_binary_result_type_wrapperINS8_3SumESK_iEEEE10hipError_tPvRmT1_T2_T3_mT4_P12ihipStream_tbEUlT_E0_NS1_11comp_targetILNS1_3genE0ELNS1_11target_archE4294967295ELNS1_3gpuE0ELNS1_3repE0EEENS1_30default_config_static_selectorELNS0_4arch9wavefront6targetE0EEEvST_
                                        ; -- End function
	.section	.AMDGPU.csdata,"",@progbits
; Kernel info:
; codeLenInByte = 0
; NumSgprs: 0
; NumVgprs: 0
; ScratchSize: 0
; MemoryBound: 0
; FloatMode: 240
; IeeeMode: 1
; LDSByteSize: 0 bytes/workgroup (compile time only)
; SGPRBlocks: 0
; VGPRBlocks: 0
; NumSGPRsForWavesPerEU: 1
; NumVGPRsForWavesPerEU: 1
; Occupancy: 16
; WaveLimiterHint : 0
; COMPUTE_PGM_RSRC2:SCRATCH_EN: 0
; COMPUTE_PGM_RSRC2:USER_SGPR: 15
; COMPUTE_PGM_RSRC2:TRAP_HANDLER: 0
; COMPUTE_PGM_RSRC2:TGID_X_EN: 1
; COMPUTE_PGM_RSRC2:TGID_Y_EN: 0
; COMPUTE_PGM_RSRC2:TGID_Z_EN: 0
; COMPUTE_PGM_RSRC2:TIDIG_COMP_CNT: 0
	.section	.text._ZN7rocprim17ROCPRIM_400000_NS6detail17trampoline_kernelINS0_14default_configENS1_22reduce_config_selectorIbEEZNS1_11reduce_implILb1ES3_N6hipcub16HIPCUB_304000_NS22TransformInputIteratorIbN2at6native12_GLOBAL__N_19NonZeroOpIN3c107complexIfEEEEPKSG_lEEPiiNS8_6detail34convert_binary_result_type_wrapperINS8_3SumESK_iEEEE10hipError_tPvRmT1_T2_T3_mT4_P12ihipStream_tbEUlT_E0_NS1_11comp_targetILNS1_3genE5ELNS1_11target_archE942ELNS1_3gpuE9ELNS1_3repE0EEENS1_30default_config_static_selectorELNS0_4arch9wavefront6targetE0EEEvST_,"axG",@progbits,_ZN7rocprim17ROCPRIM_400000_NS6detail17trampoline_kernelINS0_14default_configENS1_22reduce_config_selectorIbEEZNS1_11reduce_implILb1ES3_N6hipcub16HIPCUB_304000_NS22TransformInputIteratorIbN2at6native12_GLOBAL__N_19NonZeroOpIN3c107complexIfEEEEPKSG_lEEPiiNS8_6detail34convert_binary_result_type_wrapperINS8_3SumESK_iEEEE10hipError_tPvRmT1_T2_T3_mT4_P12ihipStream_tbEUlT_E0_NS1_11comp_targetILNS1_3genE5ELNS1_11target_archE942ELNS1_3gpuE9ELNS1_3repE0EEENS1_30default_config_static_selectorELNS0_4arch9wavefront6targetE0EEEvST_,comdat
	.globl	_ZN7rocprim17ROCPRIM_400000_NS6detail17trampoline_kernelINS0_14default_configENS1_22reduce_config_selectorIbEEZNS1_11reduce_implILb1ES3_N6hipcub16HIPCUB_304000_NS22TransformInputIteratorIbN2at6native12_GLOBAL__N_19NonZeroOpIN3c107complexIfEEEEPKSG_lEEPiiNS8_6detail34convert_binary_result_type_wrapperINS8_3SumESK_iEEEE10hipError_tPvRmT1_T2_T3_mT4_P12ihipStream_tbEUlT_E0_NS1_11comp_targetILNS1_3genE5ELNS1_11target_archE942ELNS1_3gpuE9ELNS1_3repE0EEENS1_30default_config_static_selectorELNS0_4arch9wavefront6targetE0EEEvST_ ; -- Begin function _ZN7rocprim17ROCPRIM_400000_NS6detail17trampoline_kernelINS0_14default_configENS1_22reduce_config_selectorIbEEZNS1_11reduce_implILb1ES3_N6hipcub16HIPCUB_304000_NS22TransformInputIteratorIbN2at6native12_GLOBAL__N_19NonZeroOpIN3c107complexIfEEEEPKSG_lEEPiiNS8_6detail34convert_binary_result_type_wrapperINS8_3SumESK_iEEEE10hipError_tPvRmT1_T2_T3_mT4_P12ihipStream_tbEUlT_E0_NS1_11comp_targetILNS1_3genE5ELNS1_11target_archE942ELNS1_3gpuE9ELNS1_3repE0EEENS1_30default_config_static_selectorELNS0_4arch9wavefront6targetE0EEEvST_
	.p2align	8
	.type	_ZN7rocprim17ROCPRIM_400000_NS6detail17trampoline_kernelINS0_14default_configENS1_22reduce_config_selectorIbEEZNS1_11reduce_implILb1ES3_N6hipcub16HIPCUB_304000_NS22TransformInputIteratorIbN2at6native12_GLOBAL__N_19NonZeroOpIN3c107complexIfEEEEPKSG_lEEPiiNS8_6detail34convert_binary_result_type_wrapperINS8_3SumESK_iEEEE10hipError_tPvRmT1_T2_T3_mT4_P12ihipStream_tbEUlT_E0_NS1_11comp_targetILNS1_3genE5ELNS1_11target_archE942ELNS1_3gpuE9ELNS1_3repE0EEENS1_30default_config_static_selectorELNS0_4arch9wavefront6targetE0EEEvST_,@function
_ZN7rocprim17ROCPRIM_400000_NS6detail17trampoline_kernelINS0_14default_configENS1_22reduce_config_selectorIbEEZNS1_11reduce_implILb1ES3_N6hipcub16HIPCUB_304000_NS22TransformInputIteratorIbN2at6native12_GLOBAL__N_19NonZeroOpIN3c107complexIfEEEEPKSG_lEEPiiNS8_6detail34convert_binary_result_type_wrapperINS8_3SumESK_iEEEE10hipError_tPvRmT1_T2_T3_mT4_P12ihipStream_tbEUlT_E0_NS1_11comp_targetILNS1_3genE5ELNS1_11target_archE942ELNS1_3gpuE9ELNS1_3repE0EEENS1_30default_config_static_selectorELNS0_4arch9wavefront6targetE0EEEvST_: ; @_ZN7rocprim17ROCPRIM_400000_NS6detail17trampoline_kernelINS0_14default_configENS1_22reduce_config_selectorIbEEZNS1_11reduce_implILb1ES3_N6hipcub16HIPCUB_304000_NS22TransformInputIteratorIbN2at6native12_GLOBAL__N_19NonZeroOpIN3c107complexIfEEEEPKSG_lEEPiiNS8_6detail34convert_binary_result_type_wrapperINS8_3SumESK_iEEEE10hipError_tPvRmT1_T2_T3_mT4_P12ihipStream_tbEUlT_E0_NS1_11comp_targetILNS1_3genE5ELNS1_11target_archE942ELNS1_3gpuE9ELNS1_3repE0EEENS1_30default_config_static_selectorELNS0_4arch9wavefront6targetE0EEEvST_
; %bb.0:
	.section	.rodata,"a",@progbits
	.p2align	6, 0x0
	.amdhsa_kernel _ZN7rocprim17ROCPRIM_400000_NS6detail17trampoline_kernelINS0_14default_configENS1_22reduce_config_selectorIbEEZNS1_11reduce_implILb1ES3_N6hipcub16HIPCUB_304000_NS22TransformInputIteratorIbN2at6native12_GLOBAL__N_19NonZeroOpIN3c107complexIfEEEEPKSG_lEEPiiNS8_6detail34convert_binary_result_type_wrapperINS8_3SumESK_iEEEE10hipError_tPvRmT1_T2_T3_mT4_P12ihipStream_tbEUlT_E0_NS1_11comp_targetILNS1_3genE5ELNS1_11target_archE942ELNS1_3gpuE9ELNS1_3repE0EEENS1_30default_config_static_selectorELNS0_4arch9wavefront6targetE0EEEvST_
		.amdhsa_group_segment_fixed_size 0
		.amdhsa_private_segment_fixed_size 0
		.amdhsa_kernarg_size 64
		.amdhsa_user_sgpr_count 15
		.amdhsa_user_sgpr_dispatch_ptr 0
		.amdhsa_user_sgpr_queue_ptr 0
		.amdhsa_user_sgpr_kernarg_segment_ptr 1
		.amdhsa_user_sgpr_dispatch_id 0
		.amdhsa_user_sgpr_private_segment_size 0
		.amdhsa_wavefront_size32 1
		.amdhsa_uses_dynamic_stack 0
		.amdhsa_enable_private_segment 0
		.amdhsa_system_sgpr_workgroup_id_x 1
		.amdhsa_system_sgpr_workgroup_id_y 0
		.amdhsa_system_sgpr_workgroup_id_z 0
		.amdhsa_system_sgpr_workgroup_info 0
		.amdhsa_system_vgpr_workitem_id 0
		.amdhsa_next_free_vgpr 1
		.amdhsa_next_free_sgpr 1
		.amdhsa_reserve_vcc 0
		.amdhsa_float_round_mode_32 0
		.amdhsa_float_round_mode_16_64 0
		.amdhsa_float_denorm_mode_32 3
		.amdhsa_float_denorm_mode_16_64 3
		.amdhsa_dx10_clamp 1
		.amdhsa_ieee_mode 1
		.amdhsa_fp16_overflow 0
		.amdhsa_workgroup_processor_mode 1
		.amdhsa_memory_ordered 1
		.amdhsa_forward_progress 0
		.amdhsa_shared_vgpr_count 0
		.amdhsa_exception_fp_ieee_invalid_op 0
		.amdhsa_exception_fp_denorm_src 0
		.amdhsa_exception_fp_ieee_div_zero 0
		.amdhsa_exception_fp_ieee_overflow 0
		.amdhsa_exception_fp_ieee_underflow 0
		.amdhsa_exception_fp_ieee_inexact 0
		.amdhsa_exception_int_div_zero 0
	.end_amdhsa_kernel
	.section	.text._ZN7rocprim17ROCPRIM_400000_NS6detail17trampoline_kernelINS0_14default_configENS1_22reduce_config_selectorIbEEZNS1_11reduce_implILb1ES3_N6hipcub16HIPCUB_304000_NS22TransformInputIteratorIbN2at6native12_GLOBAL__N_19NonZeroOpIN3c107complexIfEEEEPKSG_lEEPiiNS8_6detail34convert_binary_result_type_wrapperINS8_3SumESK_iEEEE10hipError_tPvRmT1_T2_T3_mT4_P12ihipStream_tbEUlT_E0_NS1_11comp_targetILNS1_3genE5ELNS1_11target_archE942ELNS1_3gpuE9ELNS1_3repE0EEENS1_30default_config_static_selectorELNS0_4arch9wavefront6targetE0EEEvST_,"axG",@progbits,_ZN7rocprim17ROCPRIM_400000_NS6detail17trampoline_kernelINS0_14default_configENS1_22reduce_config_selectorIbEEZNS1_11reduce_implILb1ES3_N6hipcub16HIPCUB_304000_NS22TransformInputIteratorIbN2at6native12_GLOBAL__N_19NonZeroOpIN3c107complexIfEEEEPKSG_lEEPiiNS8_6detail34convert_binary_result_type_wrapperINS8_3SumESK_iEEEE10hipError_tPvRmT1_T2_T3_mT4_P12ihipStream_tbEUlT_E0_NS1_11comp_targetILNS1_3genE5ELNS1_11target_archE942ELNS1_3gpuE9ELNS1_3repE0EEENS1_30default_config_static_selectorELNS0_4arch9wavefront6targetE0EEEvST_,comdat
.Lfunc_end577:
	.size	_ZN7rocprim17ROCPRIM_400000_NS6detail17trampoline_kernelINS0_14default_configENS1_22reduce_config_selectorIbEEZNS1_11reduce_implILb1ES3_N6hipcub16HIPCUB_304000_NS22TransformInputIteratorIbN2at6native12_GLOBAL__N_19NonZeroOpIN3c107complexIfEEEEPKSG_lEEPiiNS8_6detail34convert_binary_result_type_wrapperINS8_3SumESK_iEEEE10hipError_tPvRmT1_T2_T3_mT4_P12ihipStream_tbEUlT_E0_NS1_11comp_targetILNS1_3genE5ELNS1_11target_archE942ELNS1_3gpuE9ELNS1_3repE0EEENS1_30default_config_static_selectorELNS0_4arch9wavefront6targetE0EEEvST_, .Lfunc_end577-_ZN7rocprim17ROCPRIM_400000_NS6detail17trampoline_kernelINS0_14default_configENS1_22reduce_config_selectorIbEEZNS1_11reduce_implILb1ES3_N6hipcub16HIPCUB_304000_NS22TransformInputIteratorIbN2at6native12_GLOBAL__N_19NonZeroOpIN3c107complexIfEEEEPKSG_lEEPiiNS8_6detail34convert_binary_result_type_wrapperINS8_3SumESK_iEEEE10hipError_tPvRmT1_T2_T3_mT4_P12ihipStream_tbEUlT_E0_NS1_11comp_targetILNS1_3genE5ELNS1_11target_archE942ELNS1_3gpuE9ELNS1_3repE0EEENS1_30default_config_static_selectorELNS0_4arch9wavefront6targetE0EEEvST_
                                        ; -- End function
	.section	.AMDGPU.csdata,"",@progbits
; Kernel info:
; codeLenInByte = 0
; NumSgprs: 0
; NumVgprs: 0
; ScratchSize: 0
; MemoryBound: 0
; FloatMode: 240
; IeeeMode: 1
; LDSByteSize: 0 bytes/workgroup (compile time only)
; SGPRBlocks: 0
; VGPRBlocks: 0
; NumSGPRsForWavesPerEU: 1
; NumVGPRsForWavesPerEU: 1
; Occupancy: 16
; WaveLimiterHint : 0
; COMPUTE_PGM_RSRC2:SCRATCH_EN: 0
; COMPUTE_PGM_RSRC2:USER_SGPR: 15
; COMPUTE_PGM_RSRC2:TRAP_HANDLER: 0
; COMPUTE_PGM_RSRC2:TGID_X_EN: 1
; COMPUTE_PGM_RSRC2:TGID_Y_EN: 0
; COMPUTE_PGM_RSRC2:TGID_Z_EN: 0
; COMPUTE_PGM_RSRC2:TIDIG_COMP_CNT: 0
	.section	.text._ZN7rocprim17ROCPRIM_400000_NS6detail17trampoline_kernelINS0_14default_configENS1_22reduce_config_selectorIbEEZNS1_11reduce_implILb1ES3_N6hipcub16HIPCUB_304000_NS22TransformInputIteratorIbN2at6native12_GLOBAL__N_19NonZeroOpIN3c107complexIfEEEEPKSG_lEEPiiNS8_6detail34convert_binary_result_type_wrapperINS8_3SumESK_iEEEE10hipError_tPvRmT1_T2_T3_mT4_P12ihipStream_tbEUlT_E0_NS1_11comp_targetILNS1_3genE4ELNS1_11target_archE910ELNS1_3gpuE8ELNS1_3repE0EEENS1_30default_config_static_selectorELNS0_4arch9wavefront6targetE0EEEvST_,"axG",@progbits,_ZN7rocprim17ROCPRIM_400000_NS6detail17trampoline_kernelINS0_14default_configENS1_22reduce_config_selectorIbEEZNS1_11reduce_implILb1ES3_N6hipcub16HIPCUB_304000_NS22TransformInputIteratorIbN2at6native12_GLOBAL__N_19NonZeroOpIN3c107complexIfEEEEPKSG_lEEPiiNS8_6detail34convert_binary_result_type_wrapperINS8_3SumESK_iEEEE10hipError_tPvRmT1_T2_T3_mT4_P12ihipStream_tbEUlT_E0_NS1_11comp_targetILNS1_3genE4ELNS1_11target_archE910ELNS1_3gpuE8ELNS1_3repE0EEENS1_30default_config_static_selectorELNS0_4arch9wavefront6targetE0EEEvST_,comdat
	.globl	_ZN7rocprim17ROCPRIM_400000_NS6detail17trampoline_kernelINS0_14default_configENS1_22reduce_config_selectorIbEEZNS1_11reduce_implILb1ES3_N6hipcub16HIPCUB_304000_NS22TransformInputIteratorIbN2at6native12_GLOBAL__N_19NonZeroOpIN3c107complexIfEEEEPKSG_lEEPiiNS8_6detail34convert_binary_result_type_wrapperINS8_3SumESK_iEEEE10hipError_tPvRmT1_T2_T3_mT4_P12ihipStream_tbEUlT_E0_NS1_11comp_targetILNS1_3genE4ELNS1_11target_archE910ELNS1_3gpuE8ELNS1_3repE0EEENS1_30default_config_static_selectorELNS0_4arch9wavefront6targetE0EEEvST_ ; -- Begin function _ZN7rocprim17ROCPRIM_400000_NS6detail17trampoline_kernelINS0_14default_configENS1_22reduce_config_selectorIbEEZNS1_11reduce_implILb1ES3_N6hipcub16HIPCUB_304000_NS22TransformInputIteratorIbN2at6native12_GLOBAL__N_19NonZeroOpIN3c107complexIfEEEEPKSG_lEEPiiNS8_6detail34convert_binary_result_type_wrapperINS8_3SumESK_iEEEE10hipError_tPvRmT1_T2_T3_mT4_P12ihipStream_tbEUlT_E0_NS1_11comp_targetILNS1_3genE4ELNS1_11target_archE910ELNS1_3gpuE8ELNS1_3repE0EEENS1_30default_config_static_selectorELNS0_4arch9wavefront6targetE0EEEvST_
	.p2align	8
	.type	_ZN7rocprim17ROCPRIM_400000_NS6detail17trampoline_kernelINS0_14default_configENS1_22reduce_config_selectorIbEEZNS1_11reduce_implILb1ES3_N6hipcub16HIPCUB_304000_NS22TransformInputIteratorIbN2at6native12_GLOBAL__N_19NonZeroOpIN3c107complexIfEEEEPKSG_lEEPiiNS8_6detail34convert_binary_result_type_wrapperINS8_3SumESK_iEEEE10hipError_tPvRmT1_T2_T3_mT4_P12ihipStream_tbEUlT_E0_NS1_11comp_targetILNS1_3genE4ELNS1_11target_archE910ELNS1_3gpuE8ELNS1_3repE0EEENS1_30default_config_static_selectorELNS0_4arch9wavefront6targetE0EEEvST_,@function
_ZN7rocprim17ROCPRIM_400000_NS6detail17trampoline_kernelINS0_14default_configENS1_22reduce_config_selectorIbEEZNS1_11reduce_implILb1ES3_N6hipcub16HIPCUB_304000_NS22TransformInputIteratorIbN2at6native12_GLOBAL__N_19NonZeroOpIN3c107complexIfEEEEPKSG_lEEPiiNS8_6detail34convert_binary_result_type_wrapperINS8_3SumESK_iEEEE10hipError_tPvRmT1_T2_T3_mT4_P12ihipStream_tbEUlT_E0_NS1_11comp_targetILNS1_3genE4ELNS1_11target_archE910ELNS1_3gpuE8ELNS1_3repE0EEENS1_30default_config_static_selectorELNS0_4arch9wavefront6targetE0EEEvST_: ; @_ZN7rocprim17ROCPRIM_400000_NS6detail17trampoline_kernelINS0_14default_configENS1_22reduce_config_selectorIbEEZNS1_11reduce_implILb1ES3_N6hipcub16HIPCUB_304000_NS22TransformInputIteratorIbN2at6native12_GLOBAL__N_19NonZeroOpIN3c107complexIfEEEEPKSG_lEEPiiNS8_6detail34convert_binary_result_type_wrapperINS8_3SumESK_iEEEE10hipError_tPvRmT1_T2_T3_mT4_P12ihipStream_tbEUlT_E0_NS1_11comp_targetILNS1_3genE4ELNS1_11target_archE910ELNS1_3gpuE8ELNS1_3repE0EEENS1_30default_config_static_selectorELNS0_4arch9wavefront6targetE0EEEvST_
; %bb.0:
	.section	.rodata,"a",@progbits
	.p2align	6, 0x0
	.amdhsa_kernel _ZN7rocprim17ROCPRIM_400000_NS6detail17trampoline_kernelINS0_14default_configENS1_22reduce_config_selectorIbEEZNS1_11reduce_implILb1ES3_N6hipcub16HIPCUB_304000_NS22TransformInputIteratorIbN2at6native12_GLOBAL__N_19NonZeroOpIN3c107complexIfEEEEPKSG_lEEPiiNS8_6detail34convert_binary_result_type_wrapperINS8_3SumESK_iEEEE10hipError_tPvRmT1_T2_T3_mT4_P12ihipStream_tbEUlT_E0_NS1_11comp_targetILNS1_3genE4ELNS1_11target_archE910ELNS1_3gpuE8ELNS1_3repE0EEENS1_30default_config_static_selectorELNS0_4arch9wavefront6targetE0EEEvST_
		.amdhsa_group_segment_fixed_size 0
		.amdhsa_private_segment_fixed_size 0
		.amdhsa_kernarg_size 64
		.amdhsa_user_sgpr_count 15
		.amdhsa_user_sgpr_dispatch_ptr 0
		.amdhsa_user_sgpr_queue_ptr 0
		.amdhsa_user_sgpr_kernarg_segment_ptr 1
		.amdhsa_user_sgpr_dispatch_id 0
		.amdhsa_user_sgpr_private_segment_size 0
		.amdhsa_wavefront_size32 1
		.amdhsa_uses_dynamic_stack 0
		.amdhsa_enable_private_segment 0
		.amdhsa_system_sgpr_workgroup_id_x 1
		.amdhsa_system_sgpr_workgroup_id_y 0
		.amdhsa_system_sgpr_workgroup_id_z 0
		.amdhsa_system_sgpr_workgroup_info 0
		.amdhsa_system_vgpr_workitem_id 0
		.amdhsa_next_free_vgpr 1
		.amdhsa_next_free_sgpr 1
		.amdhsa_reserve_vcc 0
		.amdhsa_float_round_mode_32 0
		.amdhsa_float_round_mode_16_64 0
		.amdhsa_float_denorm_mode_32 3
		.amdhsa_float_denorm_mode_16_64 3
		.amdhsa_dx10_clamp 1
		.amdhsa_ieee_mode 1
		.amdhsa_fp16_overflow 0
		.amdhsa_workgroup_processor_mode 1
		.amdhsa_memory_ordered 1
		.amdhsa_forward_progress 0
		.amdhsa_shared_vgpr_count 0
		.amdhsa_exception_fp_ieee_invalid_op 0
		.amdhsa_exception_fp_denorm_src 0
		.amdhsa_exception_fp_ieee_div_zero 0
		.amdhsa_exception_fp_ieee_overflow 0
		.amdhsa_exception_fp_ieee_underflow 0
		.amdhsa_exception_fp_ieee_inexact 0
		.amdhsa_exception_int_div_zero 0
	.end_amdhsa_kernel
	.section	.text._ZN7rocprim17ROCPRIM_400000_NS6detail17trampoline_kernelINS0_14default_configENS1_22reduce_config_selectorIbEEZNS1_11reduce_implILb1ES3_N6hipcub16HIPCUB_304000_NS22TransformInputIteratorIbN2at6native12_GLOBAL__N_19NonZeroOpIN3c107complexIfEEEEPKSG_lEEPiiNS8_6detail34convert_binary_result_type_wrapperINS8_3SumESK_iEEEE10hipError_tPvRmT1_T2_T3_mT4_P12ihipStream_tbEUlT_E0_NS1_11comp_targetILNS1_3genE4ELNS1_11target_archE910ELNS1_3gpuE8ELNS1_3repE0EEENS1_30default_config_static_selectorELNS0_4arch9wavefront6targetE0EEEvST_,"axG",@progbits,_ZN7rocprim17ROCPRIM_400000_NS6detail17trampoline_kernelINS0_14default_configENS1_22reduce_config_selectorIbEEZNS1_11reduce_implILb1ES3_N6hipcub16HIPCUB_304000_NS22TransformInputIteratorIbN2at6native12_GLOBAL__N_19NonZeroOpIN3c107complexIfEEEEPKSG_lEEPiiNS8_6detail34convert_binary_result_type_wrapperINS8_3SumESK_iEEEE10hipError_tPvRmT1_T2_T3_mT4_P12ihipStream_tbEUlT_E0_NS1_11comp_targetILNS1_3genE4ELNS1_11target_archE910ELNS1_3gpuE8ELNS1_3repE0EEENS1_30default_config_static_selectorELNS0_4arch9wavefront6targetE0EEEvST_,comdat
.Lfunc_end578:
	.size	_ZN7rocprim17ROCPRIM_400000_NS6detail17trampoline_kernelINS0_14default_configENS1_22reduce_config_selectorIbEEZNS1_11reduce_implILb1ES3_N6hipcub16HIPCUB_304000_NS22TransformInputIteratorIbN2at6native12_GLOBAL__N_19NonZeroOpIN3c107complexIfEEEEPKSG_lEEPiiNS8_6detail34convert_binary_result_type_wrapperINS8_3SumESK_iEEEE10hipError_tPvRmT1_T2_T3_mT4_P12ihipStream_tbEUlT_E0_NS1_11comp_targetILNS1_3genE4ELNS1_11target_archE910ELNS1_3gpuE8ELNS1_3repE0EEENS1_30default_config_static_selectorELNS0_4arch9wavefront6targetE0EEEvST_, .Lfunc_end578-_ZN7rocprim17ROCPRIM_400000_NS6detail17trampoline_kernelINS0_14default_configENS1_22reduce_config_selectorIbEEZNS1_11reduce_implILb1ES3_N6hipcub16HIPCUB_304000_NS22TransformInputIteratorIbN2at6native12_GLOBAL__N_19NonZeroOpIN3c107complexIfEEEEPKSG_lEEPiiNS8_6detail34convert_binary_result_type_wrapperINS8_3SumESK_iEEEE10hipError_tPvRmT1_T2_T3_mT4_P12ihipStream_tbEUlT_E0_NS1_11comp_targetILNS1_3genE4ELNS1_11target_archE910ELNS1_3gpuE8ELNS1_3repE0EEENS1_30default_config_static_selectorELNS0_4arch9wavefront6targetE0EEEvST_
                                        ; -- End function
	.section	.AMDGPU.csdata,"",@progbits
; Kernel info:
; codeLenInByte = 0
; NumSgprs: 0
; NumVgprs: 0
; ScratchSize: 0
; MemoryBound: 0
; FloatMode: 240
; IeeeMode: 1
; LDSByteSize: 0 bytes/workgroup (compile time only)
; SGPRBlocks: 0
; VGPRBlocks: 0
; NumSGPRsForWavesPerEU: 1
; NumVGPRsForWavesPerEU: 1
; Occupancy: 16
; WaveLimiterHint : 0
; COMPUTE_PGM_RSRC2:SCRATCH_EN: 0
; COMPUTE_PGM_RSRC2:USER_SGPR: 15
; COMPUTE_PGM_RSRC2:TRAP_HANDLER: 0
; COMPUTE_PGM_RSRC2:TGID_X_EN: 1
; COMPUTE_PGM_RSRC2:TGID_Y_EN: 0
; COMPUTE_PGM_RSRC2:TGID_Z_EN: 0
; COMPUTE_PGM_RSRC2:TIDIG_COMP_CNT: 0
	.section	.text._ZN7rocprim17ROCPRIM_400000_NS6detail17trampoline_kernelINS0_14default_configENS1_22reduce_config_selectorIbEEZNS1_11reduce_implILb1ES3_N6hipcub16HIPCUB_304000_NS22TransformInputIteratorIbN2at6native12_GLOBAL__N_19NonZeroOpIN3c107complexIfEEEEPKSG_lEEPiiNS8_6detail34convert_binary_result_type_wrapperINS8_3SumESK_iEEEE10hipError_tPvRmT1_T2_T3_mT4_P12ihipStream_tbEUlT_E0_NS1_11comp_targetILNS1_3genE3ELNS1_11target_archE908ELNS1_3gpuE7ELNS1_3repE0EEENS1_30default_config_static_selectorELNS0_4arch9wavefront6targetE0EEEvST_,"axG",@progbits,_ZN7rocprim17ROCPRIM_400000_NS6detail17trampoline_kernelINS0_14default_configENS1_22reduce_config_selectorIbEEZNS1_11reduce_implILb1ES3_N6hipcub16HIPCUB_304000_NS22TransformInputIteratorIbN2at6native12_GLOBAL__N_19NonZeroOpIN3c107complexIfEEEEPKSG_lEEPiiNS8_6detail34convert_binary_result_type_wrapperINS8_3SumESK_iEEEE10hipError_tPvRmT1_T2_T3_mT4_P12ihipStream_tbEUlT_E0_NS1_11comp_targetILNS1_3genE3ELNS1_11target_archE908ELNS1_3gpuE7ELNS1_3repE0EEENS1_30default_config_static_selectorELNS0_4arch9wavefront6targetE0EEEvST_,comdat
	.globl	_ZN7rocprim17ROCPRIM_400000_NS6detail17trampoline_kernelINS0_14default_configENS1_22reduce_config_selectorIbEEZNS1_11reduce_implILb1ES3_N6hipcub16HIPCUB_304000_NS22TransformInputIteratorIbN2at6native12_GLOBAL__N_19NonZeroOpIN3c107complexIfEEEEPKSG_lEEPiiNS8_6detail34convert_binary_result_type_wrapperINS8_3SumESK_iEEEE10hipError_tPvRmT1_T2_T3_mT4_P12ihipStream_tbEUlT_E0_NS1_11comp_targetILNS1_3genE3ELNS1_11target_archE908ELNS1_3gpuE7ELNS1_3repE0EEENS1_30default_config_static_selectorELNS0_4arch9wavefront6targetE0EEEvST_ ; -- Begin function _ZN7rocprim17ROCPRIM_400000_NS6detail17trampoline_kernelINS0_14default_configENS1_22reduce_config_selectorIbEEZNS1_11reduce_implILb1ES3_N6hipcub16HIPCUB_304000_NS22TransformInputIteratorIbN2at6native12_GLOBAL__N_19NonZeroOpIN3c107complexIfEEEEPKSG_lEEPiiNS8_6detail34convert_binary_result_type_wrapperINS8_3SumESK_iEEEE10hipError_tPvRmT1_T2_T3_mT4_P12ihipStream_tbEUlT_E0_NS1_11comp_targetILNS1_3genE3ELNS1_11target_archE908ELNS1_3gpuE7ELNS1_3repE0EEENS1_30default_config_static_selectorELNS0_4arch9wavefront6targetE0EEEvST_
	.p2align	8
	.type	_ZN7rocprim17ROCPRIM_400000_NS6detail17trampoline_kernelINS0_14default_configENS1_22reduce_config_selectorIbEEZNS1_11reduce_implILb1ES3_N6hipcub16HIPCUB_304000_NS22TransformInputIteratorIbN2at6native12_GLOBAL__N_19NonZeroOpIN3c107complexIfEEEEPKSG_lEEPiiNS8_6detail34convert_binary_result_type_wrapperINS8_3SumESK_iEEEE10hipError_tPvRmT1_T2_T3_mT4_P12ihipStream_tbEUlT_E0_NS1_11comp_targetILNS1_3genE3ELNS1_11target_archE908ELNS1_3gpuE7ELNS1_3repE0EEENS1_30default_config_static_selectorELNS0_4arch9wavefront6targetE0EEEvST_,@function
_ZN7rocprim17ROCPRIM_400000_NS6detail17trampoline_kernelINS0_14default_configENS1_22reduce_config_selectorIbEEZNS1_11reduce_implILb1ES3_N6hipcub16HIPCUB_304000_NS22TransformInputIteratorIbN2at6native12_GLOBAL__N_19NonZeroOpIN3c107complexIfEEEEPKSG_lEEPiiNS8_6detail34convert_binary_result_type_wrapperINS8_3SumESK_iEEEE10hipError_tPvRmT1_T2_T3_mT4_P12ihipStream_tbEUlT_E0_NS1_11comp_targetILNS1_3genE3ELNS1_11target_archE908ELNS1_3gpuE7ELNS1_3repE0EEENS1_30default_config_static_selectorELNS0_4arch9wavefront6targetE0EEEvST_: ; @_ZN7rocprim17ROCPRIM_400000_NS6detail17trampoline_kernelINS0_14default_configENS1_22reduce_config_selectorIbEEZNS1_11reduce_implILb1ES3_N6hipcub16HIPCUB_304000_NS22TransformInputIteratorIbN2at6native12_GLOBAL__N_19NonZeroOpIN3c107complexIfEEEEPKSG_lEEPiiNS8_6detail34convert_binary_result_type_wrapperINS8_3SumESK_iEEEE10hipError_tPvRmT1_T2_T3_mT4_P12ihipStream_tbEUlT_E0_NS1_11comp_targetILNS1_3genE3ELNS1_11target_archE908ELNS1_3gpuE7ELNS1_3repE0EEENS1_30default_config_static_selectorELNS0_4arch9wavefront6targetE0EEEvST_
; %bb.0:
	.section	.rodata,"a",@progbits
	.p2align	6, 0x0
	.amdhsa_kernel _ZN7rocprim17ROCPRIM_400000_NS6detail17trampoline_kernelINS0_14default_configENS1_22reduce_config_selectorIbEEZNS1_11reduce_implILb1ES3_N6hipcub16HIPCUB_304000_NS22TransformInputIteratorIbN2at6native12_GLOBAL__N_19NonZeroOpIN3c107complexIfEEEEPKSG_lEEPiiNS8_6detail34convert_binary_result_type_wrapperINS8_3SumESK_iEEEE10hipError_tPvRmT1_T2_T3_mT4_P12ihipStream_tbEUlT_E0_NS1_11comp_targetILNS1_3genE3ELNS1_11target_archE908ELNS1_3gpuE7ELNS1_3repE0EEENS1_30default_config_static_selectorELNS0_4arch9wavefront6targetE0EEEvST_
		.amdhsa_group_segment_fixed_size 0
		.amdhsa_private_segment_fixed_size 0
		.amdhsa_kernarg_size 64
		.amdhsa_user_sgpr_count 15
		.amdhsa_user_sgpr_dispatch_ptr 0
		.amdhsa_user_sgpr_queue_ptr 0
		.amdhsa_user_sgpr_kernarg_segment_ptr 1
		.amdhsa_user_sgpr_dispatch_id 0
		.amdhsa_user_sgpr_private_segment_size 0
		.amdhsa_wavefront_size32 1
		.amdhsa_uses_dynamic_stack 0
		.amdhsa_enable_private_segment 0
		.amdhsa_system_sgpr_workgroup_id_x 1
		.amdhsa_system_sgpr_workgroup_id_y 0
		.amdhsa_system_sgpr_workgroup_id_z 0
		.amdhsa_system_sgpr_workgroup_info 0
		.amdhsa_system_vgpr_workitem_id 0
		.amdhsa_next_free_vgpr 1
		.amdhsa_next_free_sgpr 1
		.amdhsa_reserve_vcc 0
		.amdhsa_float_round_mode_32 0
		.amdhsa_float_round_mode_16_64 0
		.amdhsa_float_denorm_mode_32 3
		.amdhsa_float_denorm_mode_16_64 3
		.amdhsa_dx10_clamp 1
		.amdhsa_ieee_mode 1
		.amdhsa_fp16_overflow 0
		.amdhsa_workgroup_processor_mode 1
		.amdhsa_memory_ordered 1
		.amdhsa_forward_progress 0
		.amdhsa_shared_vgpr_count 0
		.amdhsa_exception_fp_ieee_invalid_op 0
		.amdhsa_exception_fp_denorm_src 0
		.amdhsa_exception_fp_ieee_div_zero 0
		.amdhsa_exception_fp_ieee_overflow 0
		.amdhsa_exception_fp_ieee_underflow 0
		.amdhsa_exception_fp_ieee_inexact 0
		.amdhsa_exception_int_div_zero 0
	.end_amdhsa_kernel
	.section	.text._ZN7rocprim17ROCPRIM_400000_NS6detail17trampoline_kernelINS0_14default_configENS1_22reduce_config_selectorIbEEZNS1_11reduce_implILb1ES3_N6hipcub16HIPCUB_304000_NS22TransformInputIteratorIbN2at6native12_GLOBAL__N_19NonZeroOpIN3c107complexIfEEEEPKSG_lEEPiiNS8_6detail34convert_binary_result_type_wrapperINS8_3SumESK_iEEEE10hipError_tPvRmT1_T2_T3_mT4_P12ihipStream_tbEUlT_E0_NS1_11comp_targetILNS1_3genE3ELNS1_11target_archE908ELNS1_3gpuE7ELNS1_3repE0EEENS1_30default_config_static_selectorELNS0_4arch9wavefront6targetE0EEEvST_,"axG",@progbits,_ZN7rocprim17ROCPRIM_400000_NS6detail17trampoline_kernelINS0_14default_configENS1_22reduce_config_selectorIbEEZNS1_11reduce_implILb1ES3_N6hipcub16HIPCUB_304000_NS22TransformInputIteratorIbN2at6native12_GLOBAL__N_19NonZeroOpIN3c107complexIfEEEEPKSG_lEEPiiNS8_6detail34convert_binary_result_type_wrapperINS8_3SumESK_iEEEE10hipError_tPvRmT1_T2_T3_mT4_P12ihipStream_tbEUlT_E0_NS1_11comp_targetILNS1_3genE3ELNS1_11target_archE908ELNS1_3gpuE7ELNS1_3repE0EEENS1_30default_config_static_selectorELNS0_4arch9wavefront6targetE0EEEvST_,comdat
.Lfunc_end579:
	.size	_ZN7rocprim17ROCPRIM_400000_NS6detail17trampoline_kernelINS0_14default_configENS1_22reduce_config_selectorIbEEZNS1_11reduce_implILb1ES3_N6hipcub16HIPCUB_304000_NS22TransformInputIteratorIbN2at6native12_GLOBAL__N_19NonZeroOpIN3c107complexIfEEEEPKSG_lEEPiiNS8_6detail34convert_binary_result_type_wrapperINS8_3SumESK_iEEEE10hipError_tPvRmT1_T2_T3_mT4_P12ihipStream_tbEUlT_E0_NS1_11comp_targetILNS1_3genE3ELNS1_11target_archE908ELNS1_3gpuE7ELNS1_3repE0EEENS1_30default_config_static_selectorELNS0_4arch9wavefront6targetE0EEEvST_, .Lfunc_end579-_ZN7rocprim17ROCPRIM_400000_NS6detail17trampoline_kernelINS0_14default_configENS1_22reduce_config_selectorIbEEZNS1_11reduce_implILb1ES3_N6hipcub16HIPCUB_304000_NS22TransformInputIteratorIbN2at6native12_GLOBAL__N_19NonZeroOpIN3c107complexIfEEEEPKSG_lEEPiiNS8_6detail34convert_binary_result_type_wrapperINS8_3SumESK_iEEEE10hipError_tPvRmT1_T2_T3_mT4_P12ihipStream_tbEUlT_E0_NS1_11comp_targetILNS1_3genE3ELNS1_11target_archE908ELNS1_3gpuE7ELNS1_3repE0EEENS1_30default_config_static_selectorELNS0_4arch9wavefront6targetE0EEEvST_
                                        ; -- End function
	.section	.AMDGPU.csdata,"",@progbits
; Kernel info:
; codeLenInByte = 0
; NumSgprs: 0
; NumVgprs: 0
; ScratchSize: 0
; MemoryBound: 0
; FloatMode: 240
; IeeeMode: 1
; LDSByteSize: 0 bytes/workgroup (compile time only)
; SGPRBlocks: 0
; VGPRBlocks: 0
; NumSGPRsForWavesPerEU: 1
; NumVGPRsForWavesPerEU: 1
; Occupancy: 16
; WaveLimiterHint : 0
; COMPUTE_PGM_RSRC2:SCRATCH_EN: 0
; COMPUTE_PGM_RSRC2:USER_SGPR: 15
; COMPUTE_PGM_RSRC2:TRAP_HANDLER: 0
; COMPUTE_PGM_RSRC2:TGID_X_EN: 1
; COMPUTE_PGM_RSRC2:TGID_Y_EN: 0
; COMPUTE_PGM_RSRC2:TGID_Z_EN: 0
; COMPUTE_PGM_RSRC2:TIDIG_COMP_CNT: 0
	.section	.text._ZN7rocprim17ROCPRIM_400000_NS6detail17trampoline_kernelINS0_14default_configENS1_22reduce_config_selectorIbEEZNS1_11reduce_implILb1ES3_N6hipcub16HIPCUB_304000_NS22TransformInputIteratorIbN2at6native12_GLOBAL__N_19NonZeroOpIN3c107complexIfEEEEPKSG_lEEPiiNS8_6detail34convert_binary_result_type_wrapperINS8_3SumESK_iEEEE10hipError_tPvRmT1_T2_T3_mT4_P12ihipStream_tbEUlT_E0_NS1_11comp_targetILNS1_3genE2ELNS1_11target_archE906ELNS1_3gpuE6ELNS1_3repE0EEENS1_30default_config_static_selectorELNS0_4arch9wavefront6targetE0EEEvST_,"axG",@progbits,_ZN7rocprim17ROCPRIM_400000_NS6detail17trampoline_kernelINS0_14default_configENS1_22reduce_config_selectorIbEEZNS1_11reduce_implILb1ES3_N6hipcub16HIPCUB_304000_NS22TransformInputIteratorIbN2at6native12_GLOBAL__N_19NonZeroOpIN3c107complexIfEEEEPKSG_lEEPiiNS8_6detail34convert_binary_result_type_wrapperINS8_3SumESK_iEEEE10hipError_tPvRmT1_T2_T3_mT4_P12ihipStream_tbEUlT_E0_NS1_11comp_targetILNS1_3genE2ELNS1_11target_archE906ELNS1_3gpuE6ELNS1_3repE0EEENS1_30default_config_static_selectorELNS0_4arch9wavefront6targetE0EEEvST_,comdat
	.globl	_ZN7rocprim17ROCPRIM_400000_NS6detail17trampoline_kernelINS0_14default_configENS1_22reduce_config_selectorIbEEZNS1_11reduce_implILb1ES3_N6hipcub16HIPCUB_304000_NS22TransformInputIteratorIbN2at6native12_GLOBAL__N_19NonZeroOpIN3c107complexIfEEEEPKSG_lEEPiiNS8_6detail34convert_binary_result_type_wrapperINS8_3SumESK_iEEEE10hipError_tPvRmT1_T2_T3_mT4_P12ihipStream_tbEUlT_E0_NS1_11comp_targetILNS1_3genE2ELNS1_11target_archE906ELNS1_3gpuE6ELNS1_3repE0EEENS1_30default_config_static_selectorELNS0_4arch9wavefront6targetE0EEEvST_ ; -- Begin function _ZN7rocprim17ROCPRIM_400000_NS6detail17trampoline_kernelINS0_14default_configENS1_22reduce_config_selectorIbEEZNS1_11reduce_implILb1ES3_N6hipcub16HIPCUB_304000_NS22TransformInputIteratorIbN2at6native12_GLOBAL__N_19NonZeroOpIN3c107complexIfEEEEPKSG_lEEPiiNS8_6detail34convert_binary_result_type_wrapperINS8_3SumESK_iEEEE10hipError_tPvRmT1_T2_T3_mT4_P12ihipStream_tbEUlT_E0_NS1_11comp_targetILNS1_3genE2ELNS1_11target_archE906ELNS1_3gpuE6ELNS1_3repE0EEENS1_30default_config_static_selectorELNS0_4arch9wavefront6targetE0EEEvST_
	.p2align	8
	.type	_ZN7rocprim17ROCPRIM_400000_NS6detail17trampoline_kernelINS0_14default_configENS1_22reduce_config_selectorIbEEZNS1_11reduce_implILb1ES3_N6hipcub16HIPCUB_304000_NS22TransformInputIteratorIbN2at6native12_GLOBAL__N_19NonZeroOpIN3c107complexIfEEEEPKSG_lEEPiiNS8_6detail34convert_binary_result_type_wrapperINS8_3SumESK_iEEEE10hipError_tPvRmT1_T2_T3_mT4_P12ihipStream_tbEUlT_E0_NS1_11comp_targetILNS1_3genE2ELNS1_11target_archE906ELNS1_3gpuE6ELNS1_3repE0EEENS1_30default_config_static_selectorELNS0_4arch9wavefront6targetE0EEEvST_,@function
_ZN7rocprim17ROCPRIM_400000_NS6detail17trampoline_kernelINS0_14default_configENS1_22reduce_config_selectorIbEEZNS1_11reduce_implILb1ES3_N6hipcub16HIPCUB_304000_NS22TransformInputIteratorIbN2at6native12_GLOBAL__N_19NonZeroOpIN3c107complexIfEEEEPKSG_lEEPiiNS8_6detail34convert_binary_result_type_wrapperINS8_3SumESK_iEEEE10hipError_tPvRmT1_T2_T3_mT4_P12ihipStream_tbEUlT_E0_NS1_11comp_targetILNS1_3genE2ELNS1_11target_archE906ELNS1_3gpuE6ELNS1_3repE0EEENS1_30default_config_static_selectorELNS0_4arch9wavefront6targetE0EEEvST_: ; @_ZN7rocprim17ROCPRIM_400000_NS6detail17trampoline_kernelINS0_14default_configENS1_22reduce_config_selectorIbEEZNS1_11reduce_implILb1ES3_N6hipcub16HIPCUB_304000_NS22TransformInputIteratorIbN2at6native12_GLOBAL__N_19NonZeroOpIN3c107complexIfEEEEPKSG_lEEPiiNS8_6detail34convert_binary_result_type_wrapperINS8_3SumESK_iEEEE10hipError_tPvRmT1_T2_T3_mT4_P12ihipStream_tbEUlT_E0_NS1_11comp_targetILNS1_3genE2ELNS1_11target_archE906ELNS1_3gpuE6ELNS1_3repE0EEENS1_30default_config_static_selectorELNS0_4arch9wavefront6targetE0EEEvST_
; %bb.0:
	.section	.rodata,"a",@progbits
	.p2align	6, 0x0
	.amdhsa_kernel _ZN7rocprim17ROCPRIM_400000_NS6detail17trampoline_kernelINS0_14default_configENS1_22reduce_config_selectorIbEEZNS1_11reduce_implILb1ES3_N6hipcub16HIPCUB_304000_NS22TransformInputIteratorIbN2at6native12_GLOBAL__N_19NonZeroOpIN3c107complexIfEEEEPKSG_lEEPiiNS8_6detail34convert_binary_result_type_wrapperINS8_3SumESK_iEEEE10hipError_tPvRmT1_T2_T3_mT4_P12ihipStream_tbEUlT_E0_NS1_11comp_targetILNS1_3genE2ELNS1_11target_archE906ELNS1_3gpuE6ELNS1_3repE0EEENS1_30default_config_static_selectorELNS0_4arch9wavefront6targetE0EEEvST_
		.amdhsa_group_segment_fixed_size 0
		.amdhsa_private_segment_fixed_size 0
		.amdhsa_kernarg_size 64
		.amdhsa_user_sgpr_count 15
		.amdhsa_user_sgpr_dispatch_ptr 0
		.amdhsa_user_sgpr_queue_ptr 0
		.amdhsa_user_sgpr_kernarg_segment_ptr 1
		.amdhsa_user_sgpr_dispatch_id 0
		.amdhsa_user_sgpr_private_segment_size 0
		.amdhsa_wavefront_size32 1
		.amdhsa_uses_dynamic_stack 0
		.amdhsa_enable_private_segment 0
		.amdhsa_system_sgpr_workgroup_id_x 1
		.amdhsa_system_sgpr_workgroup_id_y 0
		.amdhsa_system_sgpr_workgroup_id_z 0
		.amdhsa_system_sgpr_workgroup_info 0
		.amdhsa_system_vgpr_workitem_id 0
		.amdhsa_next_free_vgpr 1
		.amdhsa_next_free_sgpr 1
		.amdhsa_reserve_vcc 0
		.amdhsa_float_round_mode_32 0
		.amdhsa_float_round_mode_16_64 0
		.amdhsa_float_denorm_mode_32 3
		.amdhsa_float_denorm_mode_16_64 3
		.amdhsa_dx10_clamp 1
		.amdhsa_ieee_mode 1
		.amdhsa_fp16_overflow 0
		.amdhsa_workgroup_processor_mode 1
		.amdhsa_memory_ordered 1
		.amdhsa_forward_progress 0
		.amdhsa_shared_vgpr_count 0
		.amdhsa_exception_fp_ieee_invalid_op 0
		.amdhsa_exception_fp_denorm_src 0
		.amdhsa_exception_fp_ieee_div_zero 0
		.amdhsa_exception_fp_ieee_overflow 0
		.amdhsa_exception_fp_ieee_underflow 0
		.amdhsa_exception_fp_ieee_inexact 0
		.amdhsa_exception_int_div_zero 0
	.end_amdhsa_kernel
	.section	.text._ZN7rocprim17ROCPRIM_400000_NS6detail17trampoline_kernelINS0_14default_configENS1_22reduce_config_selectorIbEEZNS1_11reduce_implILb1ES3_N6hipcub16HIPCUB_304000_NS22TransformInputIteratorIbN2at6native12_GLOBAL__N_19NonZeroOpIN3c107complexIfEEEEPKSG_lEEPiiNS8_6detail34convert_binary_result_type_wrapperINS8_3SumESK_iEEEE10hipError_tPvRmT1_T2_T3_mT4_P12ihipStream_tbEUlT_E0_NS1_11comp_targetILNS1_3genE2ELNS1_11target_archE906ELNS1_3gpuE6ELNS1_3repE0EEENS1_30default_config_static_selectorELNS0_4arch9wavefront6targetE0EEEvST_,"axG",@progbits,_ZN7rocprim17ROCPRIM_400000_NS6detail17trampoline_kernelINS0_14default_configENS1_22reduce_config_selectorIbEEZNS1_11reduce_implILb1ES3_N6hipcub16HIPCUB_304000_NS22TransformInputIteratorIbN2at6native12_GLOBAL__N_19NonZeroOpIN3c107complexIfEEEEPKSG_lEEPiiNS8_6detail34convert_binary_result_type_wrapperINS8_3SumESK_iEEEE10hipError_tPvRmT1_T2_T3_mT4_P12ihipStream_tbEUlT_E0_NS1_11comp_targetILNS1_3genE2ELNS1_11target_archE906ELNS1_3gpuE6ELNS1_3repE0EEENS1_30default_config_static_selectorELNS0_4arch9wavefront6targetE0EEEvST_,comdat
.Lfunc_end580:
	.size	_ZN7rocprim17ROCPRIM_400000_NS6detail17trampoline_kernelINS0_14default_configENS1_22reduce_config_selectorIbEEZNS1_11reduce_implILb1ES3_N6hipcub16HIPCUB_304000_NS22TransformInputIteratorIbN2at6native12_GLOBAL__N_19NonZeroOpIN3c107complexIfEEEEPKSG_lEEPiiNS8_6detail34convert_binary_result_type_wrapperINS8_3SumESK_iEEEE10hipError_tPvRmT1_T2_T3_mT4_P12ihipStream_tbEUlT_E0_NS1_11comp_targetILNS1_3genE2ELNS1_11target_archE906ELNS1_3gpuE6ELNS1_3repE0EEENS1_30default_config_static_selectorELNS0_4arch9wavefront6targetE0EEEvST_, .Lfunc_end580-_ZN7rocprim17ROCPRIM_400000_NS6detail17trampoline_kernelINS0_14default_configENS1_22reduce_config_selectorIbEEZNS1_11reduce_implILb1ES3_N6hipcub16HIPCUB_304000_NS22TransformInputIteratorIbN2at6native12_GLOBAL__N_19NonZeroOpIN3c107complexIfEEEEPKSG_lEEPiiNS8_6detail34convert_binary_result_type_wrapperINS8_3SumESK_iEEEE10hipError_tPvRmT1_T2_T3_mT4_P12ihipStream_tbEUlT_E0_NS1_11comp_targetILNS1_3genE2ELNS1_11target_archE906ELNS1_3gpuE6ELNS1_3repE0EEENS1_30default_config_static_selectorELNS0_4arch9wavefront6targetE0EEEvST_
                                        ; -- End function
	.section	.AMDGPU.csdata,"",@progbits
; Kernel info:
; codeLenInByte = 0
; NumSgprs: 0
; NumVgprs: 0
; ScratchSize: 0
; MemoryBound: 0
; FloatMode: 240
; IeeeMode: 1
; LDSByteSize: 0 bytes/workgroup (compile time only)
; SGPRBlocks: 0
; VGPRBlocks: 0
; NumSGPRsForWavesPerEU: 1
; NumVGPRsForWavesPerEU: 1
; Occupancy: 16
; WaveLimiterHint : 0
; COMPUTE_PGM_RSRC2:SCRATCH_EN: 0
; COMPUTE_PGM_RSRC2:USER_SGPR: 15
; COMPUTE_PGM_RSRC2:TRAP_HANDLER: 0
; COMPUTE_PGM_RSRC2:TGID_X_EN: 1
; COMPUTE_PGM_RSRC2:TGID_Y_EN: 0
; COMPUTE_PGM_RSRC2:TGID_Z_EN: 0
; COMPUTE_PGM_RSRC2:TIDIG_COMP_CNT: 0
	.section	.text._ZN7rocprim17ROCPRIM_400000_NS6detail17trampoline_kernelINS0_14default_configENS1_22reduce_config_selectorIbEEZNS1_11reduce_implILb1ES3_N6hipcub16HIPCUB_304000_NS22TransformInputIteratorIbN2at6native12_GLOBAL__N_19NonZeroOpIN3c107complexIfEEEEPKSG_lEEPiiNS8_6detail34convert_binary_result_type_wrapperINS8_3SumESK_iEEEE10hipError_tPvRmT1_T2_T3_mT4_P12ihipStream_tbEUlT_E0_NS1_11comp_targetILNS1_3genE10ELNS1_11target_archE1201ELNS1_3gpuE5ELNS1_3repE0EEENS1_30default_config_static_selectorELNS0_4arch9wavefront6targetE0EEEvST_,"axG",@progbits,_ZN7rocprim17ROCPRIM_400000_NS6detail17trampoline_kernelINS0_14default_configENS1_22reduce_config_selectorIbEEZNS1_11reduce_implILb1ES3_N6hipcub16HIPCUB_304000_NS22TransformInputIteratorIbN2at6native12_GLOBAL__N_19NonZeroOpIN3c107complexIfEEEEPKSG_lEEPiiNS8_6detail34convert_binary_result_type_wrapperINS8_3SumESK_iEEEE10hipError_tPvRmT1_T2_T3_mT4_P12ihipStream_tbEUlT_E0_NS1_11comp_targetILNS1_3genE10ELNS1_11target_archE1201ELNS1_3gpuE5ELNS1_3repE0EEENS1_30default_config_static_selectorELNS0_4arch9wavefront6targetE0EEEvST_,comdat
	.globl	_ZN7rocprim17ROCPRIM_400000_NS6detail17trampoline_kernelINS0_14default_configENS1_22reduce_config_selectorIbEEZNS1_11reduce_implILb1ES3_N6hipcub16HIPCUB_304000_NS22TransformInputIteratorIbN2at6native12_GLOBAL__N_19NonZeroOpIN3c107complexIfEEEEPKSG_lEEPiiNS8_6detail34convert_binary_result_type_wrapperINS8_3SumESK_iEEEE10hipError_tPvRmT1_T2_T3_mT4_P12ihipStream_tbEUlT_E0_NS1_11comp_targetILNS1_3genE10ELNS1_11target_archE1201ELNS1_3gpuE5ELNS1_3repE0EEENS1_30default_config_static_selectorELNS0_4arch9wavefront6targetE0EEEvST_ ; -- Begin function _ZN7rocprim17ROCPRIM_400000_NS6detail17trampoline_kernelINS0_14default_configENS1_22reduce_config_selectorIbEEZNS1_11reduce_implILb1ES3_N6hipcub16HIPCUB_304000_NS22TransformInputIteratorIbN2at6native12_GLOBAL__N_19NonZeroOpIN3c107complexIfEEEEPKSG_lEEPiiNS8_6detail34convert_binary_result_type_wrapperINS8_3SumESK_iEEEE10hipError_tPvRmT1_T2_T3_mT4_P12ihipStream_tbEUlT_E0_NS1_11comp_targetILNS1_3genE10ELNS1_11target_archE1201ELNS1_3gpuE5ELNS1_3repE0EEENS1_30default_config_static_selectorELNS0_4arch9wavefront6targetE0EEEvST_
	.p2align	8
	.type	_ZN7rocprim17ROCPRIM_400000_NS6detail17trampoline_kernelINS0_14default_configENS1_22reduce_config_selectorIbEEZNS1_11reduce_implILb1ES3_N6hipcub16HIPCUB_304000_NS22TransformInputIteratorIbN2at6native12_GLOBAL__N_19NonZeroOpIN3c107complexIfEEEEPKSG_lEEPiiNS8_6detail34convert_binary_result_type_wrapperINS8_3SumESK_iEEEE10hipError_tPvRmT1_T2_T3_mT4_P12ihipStream_tbEUlT_E0_NS1_11comp_targetILNS1_3genE10ELNS1_11target_archE1201ELNS1_3gpuE5ELNS1_3repE0EEENS1_30default_config_static_selectorELNS0_4arch9wavefront6targetE0EEEvST_,@function
_ZN7rocprim17ROCPRIM_400000_NS6detail17trampoline_kernelINS0_14default_configENS1_22reduce_config_selectorIbEEZNS1_11reduce_implILb1ES3_N6hipcub16HIPCUB_304000_NS22TransformInputIteratorIbN2at6native12_GLOBAL__N_19NonZeroOpIN3c107complexIfEEEEPKSG_lEEPiiNS8_6detail34convert_binary_result_type_wrapperINS8_3SumESK_iEEEE10hipError_tPvRmT1_T2_T3_mT4_P12ihipStream_tbEUlT_E0_NS1_11comp_targetILNS1_3genE10ELNS1_11target_archE1201ELNS1_3gpuE5ELNS1_3repE0EEENS1_30default_config_static_selectorELNS0_4arch9wavefront6targetE0EEEvST_: ; @_ZN7rocprim17ROCPRIM_400000_NS6detail17trampoline_kernelINS0_14default_configENS1_22reduce_config_selectorIbEEZNS1_11reduce_implILb1ES3_N6hipcub16HIPCUB_304000_NS22TransformInputIteratorIbN2at6native12_GLOBAL__N_19NonZeroOpIN3c107complexIfEEEEPKSG_lEEPiiNS8_6detail34convert_binary_result_type_wrapperINS8_3SumESK_iEEEE10hipError_tPvRmT1_T2_T3_mT4_P12ihipStream_tbEUlT_E0_NS1_11comp_targetILNS1_3genE10ELNS1_11target_archE1201ELNS1_3gpuE5ELNS1_3repE0EEENS1_30default_config_static_selectorELNS0_4arch9wavefront6targetE0EEEvST_
; %bb.0:
	.section	.rodata,"a",@progbits
	.p2align	6, 0x0
	.amdhsa_kernel _ZN7rocprim17ROCPRIM_400000_NS6detail17trampoline_kernelINS0_14default_configENS1_22reduce_config_selectorIbEEZNS1_11reduce_implILb1ES3_N6hipcub16HIPCUB_304000_NS22TransformInputIteratorIbN2at6native12_GLOBAL__N_19NonZeroOpIN3c107complexIfEEEEPKSG_lEEPiiNS8_6detail34convert_binary_result_type_wrapperINS8_3SumESK_iEEEE10hipError_tPvRmT1_T2_T3_mT4_P12ihipStream_tbEUlT_E0_NS1_11comp_targetILNS1_3genE10ELNS1_11target_archE1201ELNS1_3gpuE5ELNS1_3repE0EEENS1_30default_config_static_selectorELNS0_4arch9wavefront6targetE0EEEvST_
		.amdhsa_group_segment_fixed_size 0
		.amdhsa_private_segment_fixed_size 0
		.amdhsa_kernarg_size 64
		.amdhsa_user_sgpr_count 15
		.amdhsa_user_sgpr_dispatch_ptr 0
		.amdhsa_user_sgpr_queue_ptr 0
		.amdhsa_user_sgpr_kernarg_segment_ptr 1
		.amdhsa_user_sgpr_dispatch_id 0
		.amdhsa_user_sgpr_private_segment_size 0
		.amdhsa_wavefront_size32 1
		.amdhsa_uses_dynamic_stack 0
		.amdhsa_enable_private_segment 0
		.amdhsa_system_sgpr_workgroup_id_x 1
		.amdhsa_system_sgpr_workgroup_id_y 0
		.amdhsa_system_sgpr_workgroup_id_z 0
		.amdhsa_system_sgpr_workgroup_info 0
		.amdhsa_system_vgpr_workitem_id 0
		.amdhsa_next_free_vgpr 1
		.amdhsa_next_free_sgpr 1
		.amdhsa_reserve_vcc 0
		.amdhsa_float_round_mode_32 0
		.amdhsa_float_round_mode_16_64 0
		.amdhsa_float_denorm_mode_32 3
		.amdhsa_float_denorm_mode_16_64 3
		.amdhsa_dx10_clamp 1
		.amdhsa_ieee_mode 1
		.amdhsa_fp16_overflow 0
		.amdhsa_workgroup_processor_mode 1
		.amdhsa_memory_ordered 1
		.amdhsa_forward_progress 0
		.amdhsa_shared_vgpr_count 0
		.amdhsa_exception_fp_ieee_invalid_op 0
		.amdhsa_exception_fp_denorm_src 0
		.amdhsa_exception_fp_ieee_div_zero 0
		.amdhsa_exception_fp_ieee_overflow 0
		.amdhsa_exception_fp_ieee_underflow 0
		.amdhsa_exception_fp_ieee_inexact 0
		.amdhsa_exception_int_div_zero 0
	.end_amdhsa_kernel
	.section	.text._ZN7rocprim17ROCPRIM_400000_NS6detail17trampoline_kernelINS0_14default_configENS1_22reduce_config_selectorIbEEZNS1_11reduce_implILb1ES3_N6hipcub16HIPCUB_304000_NS22TransformInputIteratorIbN2at6native12_GLOBAL__N_19NonZeroOpIN3c107complexIfEEEEPKSG_lEEPiiNS8_6detail34convert_binary_result_type_wrapperINS8_3SumESK_iEEEE10hipError_tPvRmT1_T2_T3_mT4_P12ihipStream_tbEUlT_E0_NS1_11comp_targetILNS1_3genE10ELNS1_11target_archE1201ELNS1_3gpuE5ELNS1_3repE0EEENS1_30default_config_static_selectorELNS0_4arch9wavefront6targetE0EEEvST_,"axG",@progbits,_ZN7rocprim17ROCPRIM_400000_NS6detail17trampoline_kernelINS0_14default_configENS1_22reduce_config_selectorIbEEZNS1_11reduce_implILb1ES3_N6hipcub16HIPCUB_304000_NS22TransformInputIteratorIbN2at6native12_GLOBAL__N_19NonZeroOpIN3c107complexIfEEEEPKSG_lEEPiiNS8_6detail34convert_binary_result_type_wrapperINS8_3SumESK_iEEEE10hipError_tPvRmT1_T2_T3_mT4_P12ihipStream_tbEUlT_E0_NS1_11comp_targetILNS1_3genE10ELNS1_11target_archE1201ELNS1_3gpuE5ELNS1_3repE0EEENS1_30default_config_static_selectorELNS0_4arch9wavefront6targetE0EEEvST_,comdat
.Lfunc_end581:
	.size	_ZN7rocprim17ROCPRIM_400000_NS6detail17trampoline_kernelINS0_14default_configENS1_22reduce_config_selectorIbEEZNS1_11reduce_implILb1ES3_N6hipcub16HIPCUB_304000_NS22TransformInputIteratorIbN2at6native12_GLOBAL__N_19NonZeroOpIN3c107complexIfEEEEPKSG_lEEPiiNS8_6detail34convert_binary_result_type_wrapperINS8_3SumESK_iEEEE10hipError_tPvRmT1_T2_T3_mT4_P12ihipStream_tbEUlT_E0_NS1_11comp_targetILNS1_3genE10ELNS1_11target_archE1201ELNS1_3gpuE5ELNS1_3repE0EEENS1_30default_config_static_selectorELNS0_4arch9wavefront6targetE0EEEvST_, .Lfunc_end581-_ZN7rocprim17ROCPRIM_400000_NS6detail17trampoline_kernelINS0_14default_configENS1_22reduce_config_selectorIbEEZNS1_11reduce_implILb1ES3_N6hipcub16HIPCUB_304000_NS22TransformInputIteratorIbN2at6native12_GLOBAL__N_19NonZeroOpIN3c107complexIfEEEEPKSG_lEEPiiNS8_6detail34convert_binary_result_type_wrapperINS8_3SumESK_iEEEE10hipError_tPvRmT1_T2_T3_mT4_P12ihipStream_tbEUlT_E0_NS1_11comp_targetILNS1_3genE10ELNS1_11target_archE1201ELNS1_3gpuE5ELNS1_3repE0EEENS1_30default_config_static_selectorELNS0_4arch9wavefront6targetE0EEEvST_
                                        ; -- End function
	.section	.AMDGPU.csdata,"",@progbits
; Kernel info:
; codeLenInByte = 0
; NumSgprs: 0
; NumVgprs: 0
; ScratchSize: 0
; MemoryBound: 0
; FloatMode: 240
; IeeeMode: 1
; LDSByteSize: 0 bytes/workgroup (compile time only)
; SGPRBlocks: 0
; VGPRBlocks: 0
; NumSGPRsForWavesPerEU: 1
; NumVGPRsForWavesPerEU: 1
; Occupancy: 16
; WaveLimiterHint : 0
; COMPUTE_PGM_RSRC2:SCRATCH_EN: 0
; COMPUTE_PGM_RSRC2:USER_SGPR: 15
; COMPUTE_PGM_RSRC2:TRAP_HANDLER: 0
; COMPUTE_PGM_RSRC2:TGID_X_EN: 1
; COMPUTE_PGM_RSRC2:TGID_Y_EN: 0
; COMPUTE_PGM_RSRC2:TGID_Z_EN: 0
; COMPUTE_PGM_RSRC2:TIDIG_COMP_CNT: 0
	.section	.text._ZN7rocprim17ROCPRIM_400000_NS6detail17trampoline_kernelINS0_14default_configENS1_22reduce_config_selectorIbEEZNS1_11reduce_implILb1ES3_N6hipcub16HIPCUB_304000_NS22TransformInputIteratorIbN2at6native12_GLOBAL__N_19NonZeroOpIN3c107complexIfEEEEPKSG_lEEPiiNS8_6detail34convert_binary_result_type_wrapperINS8_3SumESK_iEEEE10hipError_tPvRmT1_T2_T3_mT4_P12ihipStream_tbEUlT_E0_NS1_11comp_targetILNS1_3genE10ELNS1_11target_archE1200ELNS1_3gpuE4ELNS1_3repE0EEENS1_30default_config_static_selectorELNS0_4arch9wavefront6targetE0EEEvST_,"axG",@progbits,_ZN7rocprim17ROCPRIM_400000_NS6detail17trampoline_kernelINS0_14default_configENS1_22reduce_config_selectorIbEEZNS1_11reduce_implILb1ES3_N6hipcub16HIPCUB_304000_NS22TransformInputIteratorIbN2at6native12_GLOBAL__N_19NonZeroOpIN3c107complexIfEEEEPKSG_lEEPiiNS8_6detail34convert_binary_result_type_wrapperINS8_3SumESK_iEEEE10hipError_tPvRmT1_T2_T3_mT4_P12ihipStream_tbEUlT_E0_NS1_11comp_targetILNS1_3genE10ELNS1_11target_archE1200ELNS1_3gpuE4ELNS1_3repE0EEENS1_30default_config_static_selectorELNS0_4arch9wavefront6targetE0EEEvST_,comdat
	.globl	_ZN7rocprim17ROCPRIM_400000_NS6detail17trampoline_kernelINS0_14default_configENS1_22reduce_config_selectorIbEEZNS1_11reduce_implILb1ES3_N6hipcub16HIPCUB_304000_NS22TransformInputIteratorIbN2at6native12_GLOBAL__N_19NonZeroOpIN3c107complexIfEEEEPKSG_lEEPiiNS8_6detail34convert_binary_result_type_wrapperINS8_3SumESK_iEEEE10hipError_tPvRmT1_T2_T3_mT4_P12ihipStream_tbEUlT_E0_NS1_11comp_targetILNS1_3genE10ELNS1_11target_archE1200ELNS1_3gpuE4ELNS1_3repE0EEENS1_30default_config_static_selectorELNS0_4arch9wavefront6targetE0EEEvST_ ; -- Begin function _ZN7rocprim17ROCPRIM_400000_NS6detail17trampoline_kernelINS0_14default_configENS1_22reduce_config_selectorIbEEZNS1_11reduce_implILb1ES3_N6hipcub16HIPCUB_304000_NS22TransformInputIteratorIbN2at6native12_GLOBAL__N_19NonZeroOpIN3c107complexIfEEEEPKSG_lEEPiiNS8_6detail34convert_binary_result_type_wrapperINS8_3SumESK_iEEEE10hipError_tPvRmT1_T2_T3_mT4_P12ihipStream_tbEUlT_E0_NS1_11comp_targetILNS1_3genE10ELNS1_11target_archE1200ELNS1_3gpuE4ELNS1_3repE0EEENS1_30default_config_static_selectorELNS0_4arch9wavefront6targetE0EEEvST_
	.p2align	8
	.type	_ZN7rocprim17ROCPRIM_400000_NS6detail17trampoline_kernelINS0_14default_configENS1_22reduce_config_selectorIbEEZNS1_11reduce_implILb1ES3_N6hipcub16HIPCUB_304000_NS22TransformInputIteratorIbN2at6native12_GLOBAL__N_19NonZeroOpIN3c107complexIfEEEEPKSG_lEEPiiNS8_6detail34convert_binary_result_type_wrapperINS8_3SumESK_iEEEE10hipError_tPvRmT1_T2_T3_mT4_P12ihipStream_tbEUlT_E0_NS1_11comp_targetILNS1_3genE10ELNS1_11target_archE1200ELNS1_3gpuE4ELNS1_3repE0EEENS1_30default_config_static_selectorELNS0_4arch9wavefront6targetE0EEEvST_,@function
_ZN7rocprim17ROCPRIM_400000_NS6detail17trampoline_kernelINS0_14default_configENS1_22reduce_config_selectorIbEEZNS1_11reduce_implILb1ES3_N6hipcub16HIPCUB_304000_NS22TransformInputIteratorIbN2at6native12_GLOBAL__N_19NonZeroOpIN3c107complexIfEEEEPKSG_lEEPiiNS8_6detail34convert_binary_result_type_wrapperINS8_3SumESK_iEEEE10hipError_tPvRmT1_T2_T3_mT4_P12ihipStream_tbEUlT_E0_NS1_11comp_targetILNS1_3genE10ELNS1_11target_archE1200ELNS1_3gpuE4ELNS1_3repE0EEENS1_30default_config_static_selectorELNS0_4arch9wavefront6targetE0EEEvST_: ; @_ZN7rocprim17ROCPRIM_400000_NS6detail17trampoline_kernelINS0_14default_configENS1_22reduce_config_selectorIbEEZNS1_11reduce_implILb1ES3_N6hipcub16HIPCUB_304000_NS22TransformInputIteratorIbN2at6native12_GLOBAL__N_19NonZeroOpIN3c107complexIfEEEEPKSG_lEEPiiNS8_6detail34convert_binary_result_type_wrapperINS8_3SumESK_iEEEE10hipError_tPvRmT1_T2_T3_mT4_P12ihipStream_tbEUlT_E0_NS1_11comp_targetILNS1_3genE10ELNS1_11target_archE1200ELNS1_3gpuE4ELNS1_3repE0EEENS1_30default_config_static_selectorELNS0_4arch9wavefront6targetE0EEEvST_
; %bb.0:
	.section	.rodata,"a",@progbits
	.p2align	6, 0x0
	.amdhsa_kernel _ZN7rocprim17ROCPRIM_400000_NS6detail17trampoline_kernelINS0_14default_configENS1_22reduce_config_selectorIbEEZNS1_11reduce_implILb1ES3_N6hipcub16HIPCUB_304000_NS22TransformInputIteratorIbN2at6native12_GLOBAL__N_19NonZeroOpIN3c107complexIfEEEEPKSG_lEEPiiNS8_6detail34convert_binary_result_type_wrapperINS8_3SumESK_iEEEE10hipError_tPvRmT1_T2_T3_mT4_P12ihipStream_tbEUlT_E0_NS1_11comp_targetILNS1_3genE10ELNS1_11target_archE1200ELNS1_3gpuE4ELNS1_3repE0EEENS1_30default_config_static_selectorELNS0_4arch9wavefront6targetE0EEEvST_
		.amdhsa_group_segment_fixed_size 0
		.amdhsa_private_segment_fixed_size 0
		.amdhsa_kernarg_size 64
		.amdhsa_user_sgpr_count 15
		.amdhsa_user_sgpr_dispatch_ptr 0
		.amdhsa_user_sgpr_queue_ptr 0
		.amdhsa_user_sgpr_kernarg_segment_ptr 1
		.amdhsa_user_sgpr_dispatch_id 0
		.amdhsa_user_sgpr_private_segment_size 0
		.amdhsa_wavefront_size32 1
		.amdhsa_uses_dynamic_stack 0
		.amdhsa_enable_private_segment 0
		.amdhsa_system_sgpr_workgroup_id_x 1
		.amdhsa_system_sgpr_workgroup_id_y 0
		.amdhsa_system_sgpr_workgroup_id_z 0
		.amdhsa_system_sgpr_workgroup_info 0
		.amdhsa_system_vgpr_workitem_id 0
		.amdhsa_next_free_vgpr 1
		.amdhsa_next_free_sgpr 1
		.amdhsa_reserve_vcc 0
		.amdhsa_float_round_mode_32 0
		.amdhsa_float_round_mode_16_64 0
		.amdhsa_float_denorm_mode_32 3
		.amdhsa_float_denorm_mode_16_64 3
		.amdhsa_dx10_clamp 1
		.amdhsa_ieee_mode 1
		.amdhsa_fp16_overflow 0
		.amdhsa_workgroup_processor_mode 1
		.amdhsa_memory_ordered 1
		.amdhsa_forward_progress 0
		.amdhsa_shared_vgpr_count 0
		.amdhsa_exception_fp_ieee_invalid_op 0
		.amdhsa_exception_fp_denorm_src 0
		.amdhsa_exception_fp_ieee_div_zero 0
		.amdhsa_exception_fp_ieee_overflow 0
		.amdhsa_exception_fp_ieee_underflow 0
		.amdhsa_exception_fp_ieee_inexact 0
		.amdhsa_exception_int_div_zero 0
	.end_amdhsa_kernel
	.section	.text._ZN7rocprim17ROCPRIM_400000_NS6detail17trampoline_kernelINS0_14default_configENS1_22reduce_config_selectorIbEEZNS1_11reduce_implILb1ES3_N6hipcub16HIPCUB_304000_NS22TransformInputIteratorIbN2at6native12_GLOBAL__N_19NonZeroOpIN3c107complexIfEEEEPKSG_lEEPiiNS8_6detail34convert_binary_result_type_wrapperINS8_3SumESK_iEEEE10hipError_tPvRmT1_T2_T3_mT4_P12ihipStream_tbEUlT_E0_NS1_11comp_targetILNS1_3genE10ELNS1_11target_archE1200ELNS1_3gpuE4ELNS1_3repE0EEENS1_30default_config_static_selectorELNS0_4arch9wavefront6targetE0EEEvST_,"axG",@progbits,_ZN7rocprim17ROCPRIM_400000_NS6detail17trampoline_kernelINS0_14default_configENS1_22reduce_config_selectorIbEEZNS1_11reduce_implILb1ES3_N6hipcub16HIPCUB_304000_NS22TransformInputIteratorIbN2at6native12_GLOBAL__N_19NonZeroOpIN3c107complexIfEEEEPKSG_lEEPiiNS8_6detail34convert_binary_result_type_wrapperINS8_3SumESK_iEEEE10hipError_tPvRmT1_T2_T3_mT4_P12ihipStream_tbEUlT_E0_NS1_11comp_targetILNS1_3genE10ELNS1_11target_archE1200ELNS1_3gpuE4ELNS1_3repE0EEENS1_30default_config_static_selectorELNS0_4arch9wavefront6targetE0EEEvST_,comdat
.Lfunc_end582:
	.size	_ZN7rocprim17ROCPRIM_400000_NS6detail17trampoline_kernelINS0_14default_configENS1_22reduce_config_selectorIbEEZNS1_11reduce_implILb1ES3_N6hipcub16HIPCUB_304000_NS22TransformInputIteratorIbN2at6native12_GLOBAL__N_19NonZeroOpIN3c107complexIfEEEEPKSG_lEEPiiNS8_6detail34convert_binary_result_type_wrapperINS8_3SumESK_iEEEE10hipError_tPvRmT1_T2_T3_mT4_P12ihipStream_tbEUlT_E0_NS1_11comp_targetILNS1_3genE10ELNS1_11target_archE1200ELNS1_3gpuE4ELNS1_3repE0EEENS1_30default_config_static_selectorELNS0_4arch9wavefront6targetE0EEEvST_, .Lfunc_end582-_ZN7rocprim17ROCPRIM_400000_NS6detail17trampoline_kernelINS0_14default_configENS1_22reduce_config_selectorIbEEZNS1_11reduce_implILb1ES3_N6hipcub16HIPCUB_304000_NS22TransformInputIteratorIbN2at6native12_GLOBAL__N_19NonZeroOpIN3c107complexIfEEEEPKSG_lEEPiiNS8_6detail34convert_binary_result_type_wrapperINS8_3SumESK_iEEEE10hipError_tPvRmT1_T2_T3_mT4_P12ihipStream_tbEUlT_E0_NS1_11comp_targetILNS1_3genE10ELNS1_11target_archE1200ELNS1_3gpuE4ELNS1_3repE0EEENS1_30default_config_static_selectorELNS0_4arch9wavefront6targetE0EEEvST_
                                        ; -- End function
	.section	.AMDGPU.csdata,"",@progbits
; Kernel info:
; codeLenInByte = 0
; NumSgprs: 0
; NumVgprs: 0
; ScratchSize: 0
; MemoryBound: 0
; FloatMode: 240
; IeeeMode: 1
; LDSByteSize: 0 bytes/workgroup (compile time only)
; SGPRBlocks: 0
; VGPRBlocks: 0
; NumSGPRsForWavesPerEU: 1
; NumVGPRsForWavesPerEU: 1
; Occupancy: 16
; WaveLimiterHint : 0
; COMPUTE_PGM_RSRC2:SCRATCH_EN: 0
; COMPUTE_PGM_RSRC2:USER_SGPR: 15
; COMPUTE_PGM_RSRC2:TRAP_HANDLER: 0
; COMPUTE_PGM_RSRC2:TGID_X_EN: 1
; COMPUTE_PGM_RSRC2:TGID_Y_EN: 0
; COMPUTE_PGM_RSRC2:TGID_Z_EN: 0
; COMPUTE_PGM_RSRC2:TIDIG_COMP_CNT: 0
	.section	.text._ZN7rocprim17ROCPRIM_400000_NS6detail17trampoline_kernelINS0_14default_configENS1_22reduce_config_selectorIbEEZNS1_11reduce_implILb1ES3_N6hipcub16HIPCUB_304000_NS22TransformInputIteratorIbN2at6native12_GLOBAL__N_19NonZeroOpIN3c107complexIfEEEEPKSG_lEEPiiNS8_6detail34convert_binary_result_type_wrapperINS8_3SumESK_iEEEE10hipError_tPvRmT1_T2_T3_mT4_P12ihipStream_tbEUlT_E0_NS1_11comp_targetILNS1_3genE9ELNS1_11target_archE1100ELNS1_3gpuE3ELNS1_3repE0EEENS1_30default_config_static_selectorELNS0_4arch9wavefront6targetE0EEEvST_,"axG",@progbits,_ZN7rocprim17ROCPRIM_400000_NS6detail17trampoline_kernelINS0_14default_configENS1_22reduce_config_selectorIbEEZNS1_11reduce_implILb1ES3_N6hipcub16HIPCUB_304000_NS22TransformInputIteratorIbN2at6native12_GLOBAL__N_19NonZeroOpIN3c107complexIfEEEEPKSG_lEEPiiNS8_6detail34convert_binary_result_type_wrapperINS8_3SumESK_iEEEE10hipError_tPvRmT1_T2_T3_mT4_P12ihipStream_tbEUlT_E0_NS1_11comp_targetILNS1_3genE9ELNS1_11target_archE1100ELNS1_3gpuE3ELNS1_3repE0EEENS1_30default_config_static_selectorELNS0_4arch9wavefront6targetE0EEEvST_,comdat
	.globl	_ZN7rocprim17ROCPRIM_400000_NS6detail17trampoline_kernelINS0_14default_configENS1_22reduce_config_selectorIbEEZNS1_11reduce_implILb1ES3_N6hipcub16HIPCUB_304000_NS22TransformInputIteratorIbN2at6native12_GLOBAL__N_19NonZeroOpIN3c107complexIfEEEEPKSG_lEEPiiNS8_6detail34convert_binary_result_type_wrapperINS8_3SumESK_iEEEE10hipError_tPvRmT1_T2_T3_mT4_P12ihipStream_tbEUlT_E0_NS1_11comp_targetILNS1_3genE9ELNS1_11target_archE1100ELNS1_3gpuE3ELNS1_3repE0EEENS1_30default_config_static_selectorELNS0_4arch9wavefront6targetE0EEEvST_ ; -- Begin function _ZN7rocprim17ROCPRIM_400000_NS6detail17trampoline_kernelINS0_14default_configENS1_22reduce_config_selectorIbEEZNS1_11reduce_implILb1ES3_N6hipcub16HIPCUB_304000_NS22TransformInputIteratorIbN2at6native12_GLOBAL__N_19NonZeroOpIN3c107complexIfEEEEPKSG_lEEPiiNS8_6detail34convert_binary_result_type_wrapperINS8_3SumESK_iEEEE10hipError_tPvRmT1_T2_T3_mT4_P12ihipStream_tbEUlT_E0_NS1_11comp_targetILNS1_3genE9ELNS1_11target_archE1100ELNS1_3gpuE3ELNS1_3repE0EEENS1_30default_config_static_selectorELNS0_4arch9wavefront6targetE0EEEvST_
	.p2align	8
	.type	_ZN7rocprim17ROCPRIM_400000_NS6detail17trampoline_kernelINS0_14default_configENS1_22reduce_config_selectorIbEEZNS1_11reduce_implILb1ES3_N6hipcub16HIPCUB_304000_NS22TransformInputIteratorIbN2at6native12_GLOBAL__N_19NonZeroOpIN3c107complexIfEEEEPKSG_lEEPiiNS8_6detail34convert_binary_result_type_wrapperINS8_3SumESK_iEEEE10hipError_tPvRmT1_T2_T3_mT4_P12ihipStream_tbEUlT_E0_NS1_11comp_targetILNS1_3genE9ELNS1_11target_archE1100ELNS1_3gpuE3ELNS1_3repE0EEENS1_30default_config_static_selectorELNS0_4arch9wavefront6targetE0EEEvST_,@function
_ZN7rocprim17ROCPRIM_400000_NS6detail17trampoline_kernelINS0_14default_configENS1_22reduce_config_selectorIbEEZNS1_11reduce_implILb1ES3_N6hipcub16HIPCUB_304000_NS22TransformInputIteratorIbN2at6native12_GLOBAL__N_19NonZeroOpIN3c107complexIfEEEEPKSG_lEEPiiNS8_6detail34convert_binary_result_type_wrapperINS8_3SumESK_iEEEE10hipError_tPvRmT1_T2_T3_mT4_P12ihipStream_tbEUlT_E0_NS1_11comp_targetILNS1_3genE9ELNS1_11target_archE1100ELNS1_3gpuE3ELNS1_3repE0EEENS1_30default_config_static_selectorELNS0_4arch9wavefront6targetE0EEEvST_: ; @_ZN7rocprim17ROCPRIM_400000_NS6detail17trampoline_kernelINS0_14default_configENS1_22reduce_config_selectorIbEEZNS1_11reduce_implILb1ES3_N6hipcub16HIPCUB_304000_NS22TransformInputIteratorIbN2at6native12_GLOBAL__N_19NonZeroOpIN3c107complexIfEEEEPKSG_lEEPiiNS8_6detail34convert_binary_result_type_wrapperINS8_3SumESK_iEEEE10hipError_tPvRmT1_T2_T3_mT4_P12ihipStream_tbEUlT_E0_NS1_11comp_targetILNS1_3genE9ELNS1_11target_archE1100ELNS1_3gpuE3ELNS1_3repE0EEENS1_30default_config_static_selectorELNS0_4arch9wavefront6targetE0EEEvST_
; %bb.0:
	s_clause 0x2
	s_load_b256 s[24:31], s[0:1], 0x10
	s_load_b64 s[2:3], s[0:1], 0x0
	s_load_b64 s[36:37], s[0:1], 0x30
	s_mov_b32 s39, 0
	v_lshlrev_b32_e32 v18, 3, v0
	v_mbcnt_lo_u32_b32 v17, -1, 0
	s_mov_b32 s34, s15
	s_mov_b32 s35, s39
	s_waitcnt lgkmcnt(0)
	s_lshl_b64 s[4:5], s[24:25], 3
	s_delay_alu instid0(SALU_CYCLE_1) | instskip(SKIP_4) | instid1(SALU_CYCLE_1)
	s_add_u32 s6, s2, s4
	s_addc_u32 s7, s3, s5
	s_lshl_b32 s38, s15, 11
	s_lshr_b64 s[4:5], s[26:27], 11
	s_lshl_b64 s[2:3], s[38:39], 3
	s_add_u32 s24, s6, s2
	s_addc_u32 s25, s7, s3
	s_cmp_lg_u64 s[4:5], s[34:35]
	s_cbranch_scc0 .LBB583_6
; %bb.1:
	v_add_co_u32 v25, s2, s24, v18
	s_delay_alu instid0(VALU_DEP_1)
	v_add_co_ci_u32_e64 v26, null, s25, 0, s2
	s_clause 0x3
	global_load_b64 v[1:2], v18, s[24:25]
	global_load_b64 v[3:4], v18, s[24:25] offset:1024
	global_load_b64 v[5:6], v18, s[24:25] offset:2048
	;; [unrolled: 1-line block ×3, first 2 shown]
	v_add_co_u32 v9, vcc_lo, v25, 0x2000
	v_add_co_ci_u32_e32 v10, vcc_lo, 0, v26, vcc_lo
	v_add_co_u32 v11, vcc_lo, 0x1000, v25
	v_add_co_ci_u32_e32 v12, vcc_lo, 0, v26, vcc_lo
	global_load_b64 v[13:14], v[9:10], off offset:-4096
	v_add_co_u32 v15, vcc_lo, 0x2000, v25
	v_add_co_ci_u32_e32 v16, vcc_lo, 0, v26, vcc_lo
	s_clause 0x4
	global_load_b64 v[19:20], v[11:12], off offset:1024
	global_load_b64 v[21:22], v[11:12], off offset:2048
	global_load_b64 v[9:10], v[9:10], off
	global_load_b64 v[11:12], v[11:12], off offset:3072
	global_load_b64 v[23:24], v[15:16], off offset:1024
	v_add_co_u32 v25, vcc_lo, 0x3000, v25
	v_add_co_ci_u32_e32 v26, vcc_lo, 0, v26, vcc_lo
	s_clause 0x5
	global_load_b64 v[27:28], v[15:16], off offset:2048
	global_load_b64 v[15:16], v[15:16], off offset:3072
	global_load_b64 v[29:30], v[25:26], off
	global_load_b64 v[31:32], v[25:26], off offset:1024
	global_load_b64 v[33:34], v[25:26], off offset:2048
	;; [unrolled: 1-line block ×3, first 2 shown]
	s_waitcnt vmcnt(15)
	v_cmp_neq_f32_e32 vcc_lo, 0, v1
	v_cmp_neq_f32_e64 s2, 0, v2
	s_waitcnt vmcnt(13)
	v_cmp_neq_f32_e64 s5, 0, v5
	v_cmp_neq_f32_e64 s6, 0, v6
	v_cmp_neq_f32_e64 s3, 0, v3
	v_cmp_neq_f32_e64 s4, 0, v4
	s_or_b32 s2, vcc_lo, s2
	s_waitcnt vmcnt(12)
	v_cmp_neq_f32_e64 s7, 0, v7
	v_cndmask_b32_e64 v1, 0, 1, s2
	s_or_b32 s2, s5, s6
	v_cmp_neq_f32_e64 s8, 0, v8
	v_cndmask_b32_e64 v2, 0, 1, s2
	s_waitcnt vmcnt(11)
	v_cmp_neq_f32_e32 vcc_lo, 0, v13
	v_cmp_neq_f32_e64 s2, 0, v14
	s_or_b32 s3, s3, s4
	s_waitcnt vmcnt(10)
	v_cmp_neq_f32_e64 s5, 0, v19
	v_add_co_ci_u32_e64 v1, s3, 0, v1, s3
	v_cmp_neq_f32_e64 s6, 0, v20
	s_waitcnt vmcnt(9)
	v_cmp_neq_f32_e64 s9, 0, v21
	v_cmp_neq_f32_e64 s10, 0, v22
	s_or_b32 s2, vcc_lo, s2
	s_or_b32 vcc_lo, s7, s8
	s_waitcnt vmcnt(8)
	v_cmp_neq_f32_e64 s13, 0, v9
	v_cmp_neq_f32_e64 s14, 0, v10
	v_cndmask_b32_e64 v3, 0, 1, s2
	v_add_co_ci_u32_e32 v1, vcc_lo, v1, v2, vcc_lo
	s_waitcnt vmcnt(5)
	v_cmp_neq_f32_e64 s17, 0, v27
	v_cmp_neq_f32_e64 s18, 0, v28
	;; [unrolled: 1-line block ×4, first 2 shown]
	s_or_b32 s2, s9, s10
	s_or_b32 vcc_lo, s5, s6
	s_waitcnt vmcnt(3)
	v_cmp_neq_f32_e64 s21, 0, v29
	v_cmp_neq_f32_e64 s22, 0, v30
	v_cndmask_b32_e64 v4, 0, 1, s2
	s_or_b32 s2, s13, s14
	v_add_co_ci_u32_e32 v1, vcc_lo, v1, v3, vcc_lo
	v_cndmask_b32_e64 v5, 0, 1, s2
	s_or_b32 s2, s17, s18
	v_cmp_neq_f32_e64 s15, 0, v23
	v_cmp_neq_f32_e64 s16, 0, v24
	s_or_b32 s3, s11, s12
	v_cndmask_b32_e64 v6, 0, 1, s2
	s_or_b32 s2, s21, s22
	v_add_co_ci_u32_e64 v1, s3, v1, v4, s3
	v_cndmask_b32_e64 v2, 0, 1, s2
	s_waitcnt vmcnt(1)
	v_cmp_neq_f32_e64 s2, 0, v33
	v_cmp_neq_f32_e64 s3, 0, v34
	;; [unrolled: 1-line block ×4, first 2 shown]
	s_or_b32 s5, s15, s16
	v_cmp_neq_f32_e32 vcc_lo, 0, v31
	v_add_co_ci_u32_e64 v1, s5, v1, v5, s5
	s_or_b32 s2, s2, s3
	v_cmp_neq_f32_e64 s4, 0, v32
	v_cndmask_b32_e64 v3, 0, 1, s2
	s_or_b32 s2, s19, s20
	s_waitcnt vmcnt(0)
	v_cmp_neq_f32_e64 s3, 0, v26
	v_add_co_ci_u32_e64 v1, s2, v1, v6, s2
	v_cmp_neq_f32_e64 s2, 0, v25
	s_or_b32 vcc_lo, vcc_lo, s4
	s_delay_alu instid0(VALU_DEP_2) | instskip(NEXT) | instid1(VALU_DEP_2)
	v_add_co_ci_u32_e32 v1, vcc_lo, v1, v2, vcc_lo
	s_or_b32 vcc_lo, s2, s3
	s_mov_b32 s2, exec_lo
	s_delay_alu instid0(VALU_DEP_1) | instskip(SKIP_1) | instid1(VALU_DEP_2)
	v_add_co_ci_u32_e32 v1, vcc_lo, v1, v3, vcc_lo
	v_mov_b32_e32 v3, 0
	v_mov_b32_dpp v2, v1 quad_perm:[1,0,3,2] row_mask:0xf bank_mask:0xf
	s_delay_alu instid0(VALU_DEP_1) | instskip(NEXT) | instid1(VALU_DEP_1)
	v_add_nc_u32_e32 v1, v1, v2
	v_mov_b32_dpp v2, v1 quad_perm:[2,3,0,1] row_mask:0xf bank_mask:0xf
	s_delay_alu instid0(VALU_DEP_1) | instskip(NEXT) | instid1(VALU_DEP_1)
	v_add_nc_u32_e32 v1, v1, v2
	v_mov_b32_dpp v2, v1 row_ror:4 row_mask:0xf bank_mask:0xf
	s_delay_alu instid0(VALU_DEP_1) | instskip(NEXT) | instid1(VALU_DEP_1)
	v_add_nc_u32_e32 v1, v1, v2
	v_mov_b32_dpp v2, v1 row_ror:8 row_mask:0xf bank_mask:0xf
	s_delay_alu instid0(VALU_DEP_1)
	v_add_nc_u32_e32 v1, v1, v2
	ds_swizzle_b32 v2, v1 offset:swizzle(BROADCAST,32,15)
	s_waitcnt lgkmcnt(0)
	v_add_nc_u32_e32 v1, v1, v2
	ds_bpermute_b32 v1, v3, v1 offset:124
	v_cmpx_eq_u32_e32 0, v17
	s_cbranch_execz .LBB583_3
; %bb.2:
	v_lshrrev_b32_e32 v2, 3, v0
	s_delay_alu instid0(VALU_DEP_1)
	v_and_b32_e32 v2, 12, v2
	s_waitcnt lgkmcnt(0)
	ds_store_b32 v2, v1
.LBB583_3:
	s_or_b32 exec_lo, exec_lo, s2
	s_delay_alu instid0(SALU_CYCLE_1)
	s_mov_b32 s2, exec_lo
	s_waitcnt lgkmcnt(0)
	s_barrier
	buffer_gl0_inv
	v_cmpx_gt_u32_e32 32, v0
	s_cbranch_execz .LBB583_5
; %bb.4:
	v_and_b32_e32 v1, 3, v17
	s_delay_alu instid0(VALU_DEP_1) | instskip(SKIP_4) | instid1(VALU_DEP_2)
	v_lshlrev_b32_e32 v2, 2, v1
	v_cmp_ne_u32_e32 vcc_lo, 3, v1
	ds_load_b32 v2, v2
	v_add_co_ci_u32_e32 v3, vcc_lo, 0, v17, vcc_lo
	v_cmp_gt_u32_e32 vcc_lo, 2, v1
	v_lshlrev_b32_e32 v3, 2, v3
	v_cndmask_b32_e64 v1, 0, 1, vcc_lo
	s_delay_alu instid0(VALU_DEP_1) | instskip(NEXT) | instid1(VALU_DEP_1)
	v_lshlrev_b32_e32 v1, 1, v1
	v_add_lshl_u32 v1, v1, v17, 2
	s_waitcnt lgkmcnt(0)
	ds_bpermute_b32 v3, v3, v2
	s_waitcnt lgkmcnt(0)
	v_add_nc_u32_e32 v2, v3, v2
	ds_bpermute_b32 v1, v1, v2
	s_waitcnt lgkmcnt(0)
	v_add_nc_u32_e32 v1, v1, v2
.LBB583_5:
	s_or_b32 exec_lo, exec_lo, s2
	s_branch .LBB583_44
.LBB583_6:
                                        ; implicit-def: $vgpr1
	s_cbranch_execz .LBB583_44
; %bb.7:
	s_sub_i32 s18, s26, s38
	s_mov_b32 s3, exec_lo
                                        ; implicit-def: $vgpr1_vgpr2_vgpr3_vgpr4_vgpr5_vgpr6_vgpr7_vgpr8_vgpr9_vgpr10_vgpr11_vgpr12_vgpr13_vgpr14_vgpr15_vgpr16
	v_cmpx_gt_u32_e64 s18, v0
	s_cbranch_execz .LBB583_9
; %bb.8:
	global_load_b64 v[1:2], v18, s[24:25]
	s_waitcnt vmcnt(0)
	v_cmp_neq_f32_e32 vcc_lo, 0, v1
	v_cmp_neq_f32_e64 s2, 0, v2
	s_delay_alu instid0(VALU_DEP_1) | instskip(NEXT) | instid1(SALU_CYCLE_1)
	s_or_b32 s2, vcc_lo, s2
	v_cndmask_b32_e64 v1, 0, 1, s2
.LBB583_9:
	s_or_b32 exec_lo, exec_lo, s3
	v_or_b32_e32 v19, 0x80, v0
	s_delay_alu instid0(VALU_DEP_1)
	v_cmp_gt_u32_e32 vcc_lo, s18, v19
	s_and_saveexec_b32 s4, vcc_lo
	s_cbranch_execz .LBB583_11
; %bb.10:
	global_load_b64 v[19:20], v18, s[24:25] offset:1024
	s_waitcnt vmcnt(0)
	v_cmp_neq_f32_e64 s2, 0, v19
	v_cmp_neq_f32_e64 s3, 0, v20
	s_delay_alu instid0(VALU_DEP_1) | instskip(NEXT) | instid1(SALU_CYCLE_1)
	s_or_b32 s2, s2, s3
	v_cndmask_b32_e64 v2, 0, 1, s2
.LBB583_11:
	s_or_b32 exec_lo, exec_lo, s4
	v_or_b32_e32 v19, 0x100, v0
	s_delay_alu instid0(VALU_DEP_1) | instskip(NEXT) | instid1(VALU_DEP_1)
	v_cmp_gt_u32_e64 s2, s18, v19
	s_and_saveexec_b32 s5, s2
	s_cbranch_execz .LBB583_13
; %bb.12:
	global_load_b64 v[19:20], v18, s[24:25] offset:2048
	s_waitcnt vmcnt(0)
	v_cmp_neq_f32_e64 s3, 0, v19
	v_cmp_neq_f32_e64 s4, 0, v20
	s_delay_alu instid0(VALU_DEP_1) | instskip(NEXT) | instid1(SALU_CYCLE_1)
	s_or_b32 s3, s3, s4
	v_cndmask_b32_e64 v3, 0, 1, s3
.LBB583_13:
	s_or_b32 exec_lo, exec_lo, s5
	v_or_b32_e32 v19, 0x180, v0
	s_delay_alu instid0(VALU_DEP_1) | instskip(NEXT) | instid1(VALU_DEP_1)
	v_cmp_gt_u32_e64 s3, s18, v19
	s_and_saveexec_b32 s6, s3
	;; [unrolled: 15-line block ×3, first 2 shown]
	s_cbranch_execz .LBB583_17
; %bb.16:
	v_lshlrev_b32_e32 v5, 3, v18
	global_load_b64 v[18:19], v5, s[24:25]
	s_waitcnt vmcnt(0)
	v_cmp_neq_f32_e64 s5, 0, v18
	v_cmp_neq_f32_e64 s6, 0, v19
	s_delay_alu instid0(VALU_DEP_1) | instskip(NEXT) | instid1(SALU_CYCLE_1)
	s_or_b32 s5, s5, s6
	v_cndmask_b32_e64 v5, 0, 1, s5
.LBB583_17:
	s_or_b32 exec_lo, exec_lo, s7
	v_or_b32_e32 v18, 0x280, v0
	s_delay_alu instid0(VALU_DEP_1) | instskip(NEXT) | instid1(VALU_DEP_1)
	v_cmp_gt_u32_e64 s5, s18, v18
	s_and_saveexec_b32 s8, s5
	s_cbranch_execz .LBB583_19
; %bb.18:
	v_lshlrev_b32_e32 v6, 3, v18
	global_load_b64 v[18:19], v6, s[24:25]
	s_waitcnt vmcnt(0)
	v_cmp_neq_f32_e64 s6, 0, v18
	v_cmp_neq_f32_e64 s7, 0, v19
	s_delay_alu instid0(VALU_DEP_1) | instskip(NEXT) | instid1(SALU_CYCLE_1)
	s_or_b32 s6, s6, s7
	v_cndmask_b32_e64 v6, 0, 1, s6
.LBB583_19:
	s_or_b32 exec_lo, exec_lo, s8
	v_or_b32_e32 v18, 0x300, v0
	s_delay_alu instid0(VALU_DEP_1) | instskip(NEXT) | instid1(VALU_DEP_1)
	v_cmp_gt_u32_e64 s6, s18, v18
	s_and_saveexec_b32 s9, s6
	;; [unrolled: 16-line block ×11, first 2 shown]
	s_cbranch_execz .LBB583_39
; %bb.38:
	v_lshlrev_b32_e32 v16, 3, v18
	global_load_b64 v[18:19], v16, s[24:25]
	s_waitcnt vmcnt(0)
	v_cmp_neq_f32_e64 s16, 0, v18
	v_cmp_neq_f32_e64 s17, 0, v19
	s_delay_alu instid0(VALU_DEP_1) | instskip(NEXT) | instid1(SALU_CYCLE_1)
	s_or_b32 s16, s16, s17
	v_cndmask_b32_e64 v16, 0, 1, s16
.LBB583_39:
	s_or_b32 exec_lo, exec_lo, s19
	v_cndmask_b32_e32 v2, 0, v2, vcc_lo
	v_cndmask_b32_e64 v3, 0, v3, s2
	v_cndmask_b32_e64 v4, 0, v4, s3
	v_cmp_ne_u32_e32 vcc_lo, 31, v17
	s_min_u32 s2, s18, 0x80
	v_add_nc_u32_e32 v1, v2, v1
	v_cndmask_b32_e64 v2, 0, v5, s4
	v_cndmask_b32_e64 v5, 0, v6, s5
	;; [unrolled: 1-line block ×3, first 2 shown]
	s_mov_b32 s3, exec_lo
	v_add3_u32 v1, v1, v3, v4
	v_cndmask_b32_e64 v3, 0, v7, s6
	v_cndmask_b32_e64 v4, 0, v8, s7
	s_delay_alu instid0(VALU_DEP_3) | instskip(SKIP_2) | instid1(VALU_DEP_3)
	v_add3_u32 v1, v1, v2, v5
	v_cndmask_b32_e64 v2, 0, v9, s8
	v_cndmask_b32_e64 v5, 0, v10, s9
	v_add3_u32 v1, v1, v3, v4
	v_cndmask_b32_e64 v3, 0, v11, s10
	v_cndmask_b32_e64 v4, 0, v12, s11
	s_delay_alu instid0(VALU_DEP_3) | instskip(SKIP_2) | instid1(VALU_DEP_3)
	v_add3_u32 v1, v1, v2, v5
	v_cndmask_b32_e64 v2, 0, v13, s12
	v_cndmask_b32_e64 v5, 0, v14, s13
	v_add3_u32 v1, v1, v3, v4
	v_cndmask_b32_e64 v3, 0, v16, s15
	v_add_co_ci_u32_e32 v4, vcc_lo, 0, v17, vcc_lo
	v_cmp_gt_u32_e32 vcc_lo, 30, v17
	s_delay_alu instid0(VALU_DEP_4) | instskip(NEXT) | instid1(VALU_DEP_3)
	v_add3_u32 v1, v1, v2, v5
	v_lshlrev_b32_e32 v2, 2, v4
	v_add_nc_u32_e32 v4, 1, v17
	v_cndmask_b32_e64 v5, 0, 1, vcc_lo
	s_delay_alu instid0(VALU_DEP_4) | instskip(SKIP_1) | instid1(VALU_DEP_3)
	v_add3_u32 v1, v1, v6, v3
	v_and_b32_e32 v3, 0x60, v0
	v_lshlrev_b32_e32 v5, 1, v5
	ds_bpermute_b32 v2, v2, v1
	v_sub_nc_u32_e64 v3, s2, v3 clamp
	s_delay_alu instid0(VALU_DEP_1) | instskip(SKIP_4) | instid1(VALU_DEP_2)
	v_cmp_lt_u32_e32 vcc_lo, v4, v3
	v_add_lshl_u32 v4, v5, v17, 2
	s_waitcnt lgkmcnt(0)
	v_dual_cndmask_b32 v2, 0, v2 :: v_dual_add_nc_u32 v5, 2, v17
	v_cmp_gt_u32_e32 vcc_lo, 28, v17
	v_add_nc_u32_e32 v1, v1, v2
	ds_bpermute_b32 v2, v4, v1
	v_cndmask_b32_e64 v4, 0, 1, vcc_lo
	v_cmp_lt_u32_e32 vcc_lo, v5, v3
	v_add_nc_u32_e32 v5, 4, v17
	s_delay_alu instid0(VALU_DEP_3) | instskip(NEXT) | instid1(VALU_DEP_1)
	v_lshlrev_b32_e32 v4, 2, v4
	v_add_lshl_u32 v4, v4, v17, 2
	s_waitcnt lgkmcnt(0)
	v_cndmask_b32_e32 v2, 0, v2, vcc_lo
	v_cmp_gt_u32_e32 vcc_lo, 24, v17
	s_delay_alu instid0(VALU_DEP_2) | instskip(SKIP_4) | instid1(VALU_DEP_3)
	v_add_nc_u32_e32 v1, v1, v2
	ds_bpermute_b32 v2, v4, v1
	v_cndmask_b32_e64 v4, 0, 1, vcc_lo
	v_cmp_lt_u32_e32 vcc_lo, v5, v3
	v_add_nc_u32_e32 v5, 8, v17
	v_lshlrev_b32_e32 v4, 3, v4
	s_delay_alu instid0(VALU_DEP_1) | instskip(SKIP_3) | instid1(VALU_DEP_2)
	v_add_lshl_u32 v4, v4, v17, 2
	s_waitcnt lgkmcnt(0)
	v_cndmask_b32_e32 v2, 0, v2, vcc_lo
	v_cmp_gt_u32_e32 vcc_lo, 16, v17
	v_add_nc_u32_e32 v1, v1, v2
	ds_bpermute_b32 v2, v4, v1
	v_cndmask_b32_e64 v4, 0, 1, vcc_lo
	v_cmp_lt_u32_e32 vcc_lo, v5, v3
	s_delay_alu instid0(VALU_DEP_2) | instskip(NEXT) | instid1(VALU_DEP_1)
	v_lshlrev_b32_e32 v4, 4, v4
	v_add_lshl_u32 v4, v4, v17, 2
	s_waitcnt lgkmcnt(0)
	v_cndmask_b32_e32 v2, 0, v2, vcc_lo
	s_delay_alu instid0(VALU_DEP_1) | instskip(SKIP_2) | instid1(VALU_DEP_1)
	v_add_nc_u32_e32 v1, v1, v2
	ds_bpermute_b32 v2, v4, v1
	v_add_nc_u32_e32 v4, 16, v17
	v_cmp_lt_u32_e32 vcc_lo, v4, v3
	s_waitcnt lgkmcnt(0)
	v_cndmask_b32_e32 v2, 0, v2, vcc_lo
	s_delay_alu instid0(VALU_DEP_1)
	v_add_nc_u32_e32 v1, v1, v2
	v_cmpx_eq_u32_e32 0, v17
	s_cbranch_execz .LBB583_41
; %bb.40:
	v_lshrrev_b32_e32 v2, 3, v0
	s_delay_alu instid0(VALU_DEP_1)
	v_and_b32_e32 v2, 12, v2
	ds_store_b32 v2, v1 offset:16
.LBB583_41:
	s_or_b32 exec_lo, exec_lo, s3
	s_delay_alu instid0(SALU_CYCLE_1)
	s_mov_b32 s3, exec_lo
	s_waitcnt lgkmcnt(0)
	s_barrier
	buffer_gl0_inv
	v_cmpx_gt_u32_e32 4, v0
	s_cbranch_execz .LBB583_43
; %bb.42:
	v_lshlrev_b32_e32 v1, 2, v17
	v_and_b32_e32 v2, 3, v17
	s_add_i32 s2, s2, 31
	s_delay_alu instid0(SALU_CYCLE_1)
	s_lshr_b32 s2, s2, 5
	ds_load_b32 v1, v1 offset:16
	v_cmp_ne_u32_e32 vcc_lo, 3, v2
	v_add_nc_u32_e32 v4, 1, v2
	v_add_co_ci_u32_e32 v3, vcc_lo, 0, v17, vcc_lo
	v_cmp_gt_u32_e32 vcc_lo, 2, v2
	s_delay_alu instid0(VALU_DEP_2) | instskip(SKIP_2) | instid1(VALU_DEP_2)
	v_lshlrev_b32_e32 v3, 2, v3
	v_cndmask_b32_e64 v5, 0, 1, vcc_lo
	v_cmp_gt_u32_e32 vcc_lo, s2, v4
	v_lshlrev_b32_e32 v4, 1, v5
	s_waitcnt lgkmcnt(0)
	ds_bpermute_b32 v3, v3, v1
	s_waitcnt lgkmcnt(0)
	v_dual_cndmask_b32 v3, 0, v3 :: v_dual_add_nc_u32 v2, 2, v2
	s_delay_alu instid0(VALU_DEP_1) | instskip(SKIP_1) | instid1(VALU_DEP_3)
	v_add_nc_u32_e32 v1, v3, v1
	v_add_lshl_u32 v3, v4, v17, 2
	v_cmp_gt_u32_e32 vcc_lo, s2, v2
	ds_bpermute_b32 v3, v3, v1
	s_waitcnt lgkmcnt(0)
	v_cndmask_b32_e32 v2, 0, v3, vcc_lo
	s_delay_alu instid0(VALU_DEP_1)
	v_add_nc_u32_e32 v1, v1, v2
.LBB583_43:
	s_or_b32 exec_lo, exec_lo, s3
.LBB583_44:
	s_load_b32 s0, s[0:1], 0x38
	s_mov_b32 s1, exec_lo
	v_cmpx_eq_u32_e32 0, v0
	s_cbranch_execz .LBB583_46
; %bb.45:
	s_mul_i32 s1, s36, s31
	s_mul_hi_u32 s2, s36, s30
	s_mul_i32 s3, s37, s30
	s_add_i32 s1, s2, s1
	s_mul_i32 s2, s36, s30
	s_add_i32 s3, s1, s3
	s_delay_alu instid0(SALU_CYCLE_1) | instskip(NEXT) | instid1(SALU_CYCLE_1)
	s_lshl_b64 s[2:3], s[2:3], 2
	s_add_u32 s2, s28, s2
	s_addc_u32 s3, s29, s3
	s_cmp_eq_u64 s[26:27], 0
	s_cselect_b32 s1, -1, 0
	s_waitcnt lgkmcnt(0)
	v_cndmask_b32_e64 v0, v1, s0, s1
	s_lshl_b64 s[0:1], s[34:35], 2
	v_mov_b32_e32 v1, 0
	s_add_u32 s0, s2, s0
	s_addc_u32 s1, s3, s1
	global_store_b32 v1, v0, s[0:1]
.LBB583_46:
	s_nop 0
	s_sendmsg sendmsg(MSG_DEALLOC_VGPRS)
	s_endpgm
	.section	.rodata,"a",@progbits
	.p2align	6, 0x0
	.amdhsa_kernel _ZN7rocprim17ROCPRIM_400000_NS6detail17trampoline_kernelINS0_14default_configENS1_22reduce_config_selectorIbEEZNS1_11reduce_implILb1ES3_N6hipcub16HIPCUB_304000_NS22TransformInputIteratorIbN2at6native12_GLOBAL__N_19NonZeroOpIN3c107complexIfEEEEPKSG_lEEPiiNS8_6detail34convert_binary_result_type_wrapperINS8_3SumESK_iEEEE10hipError_tPvRmT1_T2_T3_mT4_P12ihipStream_tbEUlT_E0_NS1_11comp_targetILNS1_3genE9ELNS1_11target_archE1100ELNS1_3gpuE3ELNS1_3repE0EEENS1_30default_config_static_selectorELNS0_4arch9wavefront6targetE0EEEvST_
		.amdhsa_group_segment_fixed_size 32
		.amdhsa_private_segment_fixed_size 0
		.amdhsa_kernarg_size 64
		.amdhsa_user_sgpr_count 15
		.amdhsa_user_sgpr_dispatch_ptr 0
		.amdhsa_user_sgpr_queue_ptr 0
		.amdhsa_user_sgpr_kernarg_segment_ptr 1
		.amdhsa_user_sgpr_dispatch_id 0
		.amdhsa_user_sgpr_private_segment_size 0
		.amdhsa_wavefront_size32 1
		.amdhsa_uses_dynamic_stack 0
		.amdhsa_enable_private_segment 0
		.amdhsa_system_sgpr_workgroup_id_x 1
		.amdhsa_system_sgpr_workgroup_id_y 0
		.amdhsa_system_sgpr_workgroup_id_z 0
		.amdhsa_system_sgpr_workgroup_info 0
		.amdhsa_system_vgpr_workitem_id 0
		.amdhsa_next_free_vgpr 35
		.amdhsa_next_free_sgpr 40
		.amdhsa_reserve_vcc 1
		.amdhsa_float_round_mode_32 0
		.amdhsa_float_round_mode_16_64 0
		.amdhsa_float_denorm_mode_32 3
		.amdhsa_float_denorm_mode_16_64 3
		.amdhsa_dx10_clamp 1
		.amdhsa_ieee_mode 1
		.amdhsa_fp16_overflow 0
		.amdhsa_workgroup_processor_mode 1
		.amdhsa_memory_ordered 1
		.amdhsa_forward_progress 0
		.amdhsa_shared_vgpr_count 0
		.amdhsa_exception_fp_ieee_invalid_op 0
		.amdhsa_exception_fp_denorm_src 0
		.amdhsa_exception_fp_ieee_div_zero 0
		.amdhsa_exception_fp_ieee_overflow 0
		.amdhsa_exception_fp_ieee_underflow 0
		.amdhsa_exception_fp_ieee_inexact 0
		.amdhsa_exception_int_div_zero 0
	.end_amdhsa_kernel
	.section	.text._ZN7rocprim17ROCPRIM_400000_NS6detail17trampoline_kernelINS0_14default_configENS1_22reduce_config_selectorIbEEZNS1_11reduce_implILb1ES3_N6hipcub16HIPCUB_304000_NS22TransformInputIteratorIbN2at6native12_GLOBAL__N_19NonZeroOpIN3c107complexIfEEEEPKSG_lEEPiiNS8_6detail34convert_binary_result_type_wrapperINS8_3SumESK_iEEEE10hipError_tPvRmT1_T2_T3_mT4_P12ihipStream_tbEUlT_E0_NS1_11comp_targetILNS1_3genE9ELNS1_11target_archE1100ELNS1_3gpuE3ELNS1_3repE0EEENS1_30default_config_static_selectorELNS0_4arch9wavefront6targetE0EEEvST_,"axG",@progbits,_ZN7rocprim17ROCPRIM_400000_NS6detail17trampoline_kernelINS0_14default_configENS1_22reduce_config_selectorIbEEZNS1_11reduce_implILb1ES3_N6hipcub16HIPCUB_304000_NS22TransformInputIteratorIbN2at6native12_GLOBAL__N_19NonZeroOpIN3c107complexIfEEEEPKSG_lEEPiiNS8_6detail34convert_binary_result_type_wrapperINS8_3SumESK_iEEEE10hipError_tPvRmT1_T2_T3_mT4_P12ihipStream_tbEUlT_E0_NS1_11comp_targetILNS1_3genE9ELNS1_11target_archE1100ELNS1_3gpuE3ELNS1_3repE0EEENS1_30default_config_static_selectorELNS0_4arch9wavefront6targetE0EEEvST_,comdat
.Lfunc_end583:
	.size	_ZN7rocprim17ROCPRIM_400000_NS6detail17trampoline_kernelINS0_14default_configENS1_22reduce_config_selectorIbEEZNS1_11reduce_implILb1ES3_N6hipcub16HIPCUB_304000_NS22TransformInputIteratorIbN2at6native12_GLOBAL__N_19NonZeroOpIN3c107complexIfEEEEPKSG_lEEPiiNS8_6detail34convert_binary_result_type_wrapperINS8_3SumESK_iEEEE10hipError_tPvRmT1_T2_T3_mT4_P12ihipStream_tbEUlT_E0_NS1_11comp_targetILNS1_3genE9ELNS1_11target_archE1100ELNS1_3gpuE3ELNS1_3repE0EEENS1_30default_config_static_selectorELNS0_4arch9wavefront6targetE0EEEvST_, .Lfunc_end583-_ZN7rocprim17ROCPRIM_400000_NS6detail17trampoline_kernelINS0_14default_configENS1_22reduce_config_selectorIbEEZNS1_11reduce_implILb1ES3_N6hipcub16HIPCUB_304000_NS22TransformInputIteratorIbN2at6native12_GLOBAL__N_19NonZeroOpIN3c107complexIfEEEEPKSG_lEEPiiNS8_6detail34convert_binary_result_type_wrapperINS8_3SumESK_iEEEE10hipError_tPvRmT1_T2_T3_mT4_P12ihipStream_tbEUlT_E0_NS1_11comp_targetILNS1_3genE9ELNS1_11target_archE1100ELNS1_3gpuE3ELNS1_3repE0EEENS1_30default_config_static_selectorELNS0_4arch9wavefront6targetE0EEEvST_
                                        ; -- End function
	.section	.AMDGPU.csdata,"",@progbits
; Kernel info:
; codeLenInByte = 3132
; NumSgprs: 42
; NumVgprs: 35
; ScratchSize: 0
; MemoryBound: 0
; FloatMode: 240
; IeeeMode: 1
; LDSByteSize: 32 bytes/workgroup (compile time only)
; SGPRBlocks: 5
; VGPRBlocks: 4
; NumSGPRsForWavesPerEU: 42
; NumVGPRsForWavesPerEU: 35
; Occupancy: 16
; WaveLimiterHint : 1
; COMPUTE_PGM_RSRC2:SCRATCH_EN: 0
; COMPUTE_PGM_RSRC2:USER_SGPR: 15
; COMPUTE_PGM_RSRC2:TRAP_HANDLER: 0
; COMPUTE_PGM_RSRC2:TGID_X_EN: 1
; COMPUTE_PGM_RSRC2:TGID_Y_EN: 0
; COMPUTE_PGM_RSRC2:TGID_Z_EN: 0
; COMPUTE_PGM_RSRC2:TIDIG_COMP_CNT: 0
	.section	.text._ZN7rocprim17ROCPRIM_400000_NS6detail17trampoline_kernelINS0_14default_configENS1_22reduce_config_selectorIbEEZNS1_11reduce_implILb1ES3_N6hipcub16HIPCUB_304000_NS22TransformInputIteratorIbN2at6native12_GLOBAL__N_19NonZeroOpIN3c107complexIfEEEEPKSG_lEEPiiNS8_6detail34convert_binary_result_type_wrapperINS8_3SumESK_iEEEE10hipError_tPvRmT1_T2_T3_mT4_P12ihipStream_tbEUlT_E0_NS1_11comp_targetILNS1_3genE8ELNS1_11target_archE1030ELNS1_3gpuE2ELNS1_3repE0EEENS1_30default_config_static_selectorELNS0_4arch9wavefront6targetE0EEEvST_,"axG",@progbits,_ZN7rocprim17ROCPRIM_400000_NS6detail17trampoline_kernelINS0_14default_configENS1_22reduce_config_selectorIbEEZNS1_11reduce_implILb1ES3_N6hipcub16HIPCUB_304000_NS22TransformInputIteratorIbN2at6native12_GLOBAL__N_19NonZeroOpIN3c107complexIfEEEEPKSG_lEEPiiNS8_6detail34convert_binary_result_type_wrapperINS8_3SumESK_iEEEE10hipError_tPvRmT1_T2_T3_mT4_P12ihipStream_tbEUlT_E0_NS1_11comp_targetILNS1_3genE8ELNS1_11target_archE1030ELNS1_3gpuE2ELNS1_3repE0EEENS1_30default_config_static_selectorELNS0_4arch9wavefront6targetE0EEEvST_,comdat
	.globl	_ZN7rocprim17ROCPRIM_400000_NS6detail17trampoline_kernelINS0_14default_configENS1_22reduce_config_selectorIbEEZNS1_11reduce_implILb1ES3_N6hipcub16HIPCUB_304000_NS22TransformInputIteratorIbN2at6native12_GLOBAL__N_19NonZeroOpIN3c107complexIfEEEEPKSG_lEEPiiNS8_6detail34convert_binary_result_type_wrapperINS8_3SumESK_iEEEE10hipError_tPvRmT1_T2_T3_mT4_P12ihipStream_tbEUlT_E0_NS1_11comp_targetILNS1_3genE8ELNS1_11target_archE1030ELNS1_3gpuE2ELNS1_3repE0EEENS1_30default_config_static_selectorELNS0_4arch9wavefront6targetE0EEEvST_ ; -- Begin function _ZN7rocprim17ROCPRIM_400000_NS6detail17trampoline_kernelINS0_14default_configENS1_22reduce_config_selectorIbEEZNS1_11reduce_implILb1ES3_N6hipcub16HIPCUB_304000_NS22TransformInputIteratorIbN2at6native12_GLOBAL__N_19NonZeroOpIN3c107complexIfEEEEPKSG_lEEPiiNS8_6detail34convert_binary_result_type_wrapperINS8_3SumESK_iEEEE10hipError_tPvRmT1_T2_T3_mT4_P12ihipStream_tbEUlT_E0_NS1_11comp_targetILNS1_3genE8ELNS1_11target_archE1030ELNS1_3gpuE2ELNS1_3repE0EEENS1_30default_config_static_selectorELNS0_4arch9wavefront6targetE0EEEvST_
	.p2align	8
	.type	_ZN7rocprim17ROCPRIM_400000_NS6detail17trampoline_kernelINS0_14default_configENS1_22reduce_config_selectorIbEEZNS1_11reduce_implILb1ES3_N6hipcub16HIPCUB_304000_NS22TransformInputIteratorIbN2at6native12_GLOBAL__N_19NonZeroOpIN3c107complexIfEEEEPKSG_lEEPiiNS8_6detail34convert_binary_result_type_wrapperINS8_3SumESK_iEEEE10hipError_tPvRmT1_T2_T3_mT4_P12ihipStream_tbEUlT_E0_NS1_11comp_targetILNS1_3genE8ELNS1_11target_archE1030ELNS1_3gpuE2ELNS1_3repE0EEENS1_30default_config_static_selectorELNS0_4arch9wavefront6targetE0EEEvST_,@function
_ZN7rocprim17ROCPRIM_400000_NS6detail17trampoline_kernelINS0_14default_configENS1_22reduce_config_selectorIbEEZNS1_11reduce_implILb1ES3_N6hipcub16HIPCUB_304000_NS22TransformInputIteratorIbN2at6native12_GLOBAL__N_19NonZeroOpIN3c107complexIfEEEEPKSG_lEEPiiNS8_6detail34convert_binary_result_type_wrapperINS8_3SumESK_iEEEE10hipError_tPvRmT1_T2_T3_mT4_P12ihipStream_tbEUlT_E0_NS1_11comp_targetILNS1_3genE8ELNS1_11target_archE1030ELNS1_3gpuE2ELNS1_3repE0EEENS1_30default_config_static_selectorELNS0_4arch9wavefront6targetE0EEEvST_: ; @_ZN7rocprim17ROCPRIM_400000_NS6detail17trampoline_kernelINS0_14default_configENS1_22reduce_config_selectorIbEEZNS1_11reduce_implILb1ES3_N6hipcub16HIPCUB_304000_NS22TransformInputIteratorIbN2at6native12_GLOBAL__N_19NonZeroOpIN3c107complexIfEEEEPKSG_lEEPiiNS8_6detail34convert_binary_result_type_wrapperINS8_3SumESK_iEEEE10hipError_tPvRmT1_T2_T3_mT4_P12ihipStream_tbEUlT_E0_NS1_11comp_targetILNS1_3genE8ELNS1_11target_archE1030ELNS1_3gpuE2ELNS1_3repE0EEENS1_30default_config_static_selectorELNS0_4arch9wavefront6targetE0EEEvST_
; %bb.0:
	.section	.rodata,"a",@progbits
	.p2align	6, 0x0
	.amdhsa_kernel _ZN7rocprim17ROCPRIM_400000_NS6detail17trampoline_kernelINS0_14default_configENS1_22reduce_config_selectorIbEEZNS1_11reduce_implILb1ES3_N6hipcub16HIPCUB_304000_NS22TransformInputIteratorIbN2at6native12_GLOBAL__N_19NonZeroOpIN3c107complexIfEEEEPKSG_lEEPiiNS8_6detail34convert_binary_result_type_wrapperINS8_3SumESK_iEEEE10hipError_tPvRmT1_T2_T3_mT4_P12ihipStream_tbEUlT_E0_NS1_11comp_targetILNS1_3genE8ELNS1_11target_archE1030ELNS1_3gpuE2ELNS1_3repE0EEENS1_30default_config_static_selectorELNS0_4arch9wavefront6targetE0EEEvST_
		.amdhsa_group_segment_fixed_size 0
		.amdhsa_private_segment_fixed_size 0
		.amdhsa_kernarg_size 64
		.amdhsa_user_sgpr_count 15
		.amdhsa_user_sgpr_dispatch_ptr 0
		.amdhsa_user_sgpr_queue_ptr 0
		.amdhsa_user_sgpr_kernarg_segment_ptr 1
		.amdhsa_user_sgpr_dispatch_id 0
		.amdhsa_user_sgpr_private_segment_size 0
		.amdhsa_wavefront_size32 1
		.amdhsa_uses_dynamic_stack 0
		.amdhsa_enable_private_segment 0
		.amdhsa_system_sgpr_workgroup_id_x 1
		.amdhsa_system_sgpr_workgroup_id_y 0
		.amdhsa_system_sgpr_workgroup_id_z 0
		.amdhsa_system_sgpr_workgroup_info 0
		.amdhsa_system_vgpr_workitem_id 0
		.amdhsa_next_free_vgpr 1
		.amdhsa_next_free_sgpr 1
		.amdhsa_reserve_vcc 0
		.amdhsa_float_round_mode_32 0
		.amdhsa_float_round_mode_16_64 0
		.amdhsa_float_denorm_mode_32 3
		.amdhsa_float_denorm_mode_16_64 3
		.amdhsa_dx10_clamp 1
		.amdhsa_ieee_mode 1
		.amdhsa_fp16_overflow 0
		.amdhsa_workgroup_processor_mode 1
		.amdhsa_memory_ordered 1
		.amdhsa_forward_progress 0
		.amdhsa_shared_vgpr_count 0
		.amdhsa_exception_fp_ieee_invalid_op 0
		.amdhsa_exception_fp_denorm_src 0
		.amdhsa_exception_fp_ieee_div_zero 0
		.amdhsa_exception_fp_ieee_overflow 0
		.amdhsa_exception_fp_ieee_underflow 0
		.amdhsa_exception_fp_ieee_inexact 0
		.amdhsa_exception_int_div_zero 0
	.end_amdhsa_kernel
	.section	.text._ZN7rocprim17ROCPRIM_400000_NS6detail17trampoline_kernelINS0_14default_configENS1_22reduce_config_selectorIbEEZNS1_11reduce_implILb1ES3_N6hipcub16HIPCUB_304000_NS22TransformInputIteratorIbN2at6native12_GLOBAL__N_19NonZeroOpIN3c107complexIfEEEEPKSG_lEEPiiNS8_6detail34convert_binary_result_type_wrapperINS8_3SumESK_iEEEE10hipError_tPvRmT1_T2_T3_mT4_P12ihipStream_tbEUlT_E0_NS1_11comp_targetILNS1_3genE8ELNS1_11target_archE1030ELNS1_3gpuE2ELNS1_3repE0EEENS1_30default_config_static_selectorELNS0_4arch9wavefront6targetE0EEEvST_,"axG",@progbits,_ZN7rocprim17ROCPRIM_400000_NS6detail17trampoline_kernelINS0_14default_configENS1_22reduce_config_selectorIbEEZNS1_11reduce_implILb1ES3_N6hipcub16HIPCUB_304000_NS22TransformInputIteratorIbN2at6native12_GLOBAL__N_19NonZeroOpIN3c107complexIfEEEEPKSG_lEEPiiNS8_6detail34convert_binary_result_type_wrapperINS8_3SumESK_iEEEE10hipError_tPvRmT1_T2_T3_mT4_P12ihipStream_tbEUlT_E0_NS1_11comp_targetILNS1_3genE8ELNS1_11target_archE1030ELNS1_3gpuE2ELNS1_3repE0EEENS1_30default_config_static_selectorELNS0_4arch9wavefront6targetE0EEEvST_,comdat
.Lfunc_end584:
	.size	_ZN7rocprim17ROCPRIM_400000_NS6detail17trampoline_kernelINS0_14default_configENS1_22reduce_config_selectorIbEEZNS1_11reduce_implILb1ES3_N6hipcub16HIPCUB_304000_NS22TransformInputIteratorIbN2at6native12_GLOBAL__N_19NonZeroOpIN3c107complexIfEEEEPKSG_lEEPiiNS8_6detail34convert_binary_result_type_wrapperINS8_3SumESK_iEEEE10hipError_tPvRmT1_T2_T3_mT4_P12ihipStream_tbEUlT_E0_NS1_11comp_targetILNS1_3genE8ELNS1_11target_archE1030ELNS1_3gpuE2ELNS1_3repE0EEENS1_30default_config_static_selectorELNS0_4arch9wavefront6targetE0EEEvST_, .Lfunc_end584-_ZN7rocprim17ROCPRIM_400000_NS6detail17trampoline_kernelINS0_14default_configENS1_22reduce_config_selectorIbEEZNS1_11reduce_implILb1ES3_N6hipcub16HIPCUB_304000_NS22TransformInputIteratorIbN2at6native12_GLOBAL__N_19NonZeroOpIN3c107complexIfEEEEPKSG_lEEPiiNS8_6detail34convert_binary_result_type_wrapperINS8_3SumESK_iEEEE10hipError_tPvRmT1_T2_T3_mT4_P12ihipStream_tbEUlT_E0_NS1_11comp_targetILNS1_3genE8ELNS1_11target_archE1030ELNS1_3gpuE2ELNS1_3repE0EEENS1_30default_config_static_selectorELNS0_4arch9wavefront6targetE0EEEvST_
                                        ; -- End function
	.section	.AMDGPU.csdata,"",@progbits
; Kernel info:
; codeLenInByte = 0
; NumSgprs: 0
; NumVgprs: 0
; ScratchSize: 0
; MemoryBound: 0
; FloatMode: 240
; IeeeMode: 1
; LDSByteSize: 0 bytes/workgroup (compile time only)
; SGPRBlocks: 0
; VGPRBlocks: 0
; NumSGPRsForWavesPerEU: 1
; NumVGPRsForWavesPerEU: 1
; Occupancy: 16
; WaveLimiterHint : 0
; COMPUTE_PGM_RSRC2:SCRATCH_EN: 0
; COMPUTE_PGM_RSRC2:USER_SGPR: 15
; COMPUTE_PGM_RSRC2:TRAP_HANDLER: 0
; COMPUTE_PGM_RSRC2:TGID_X_EN: 1
; COMPUTE_PGM_RSRC2:TGID_Y_EN: 0
; COMPUTE_PGM_RSRC2:TGID_Z_EN: 0
; COMPUTE_PGM_RSRC2:TIDIG_COMP_CNT: 0
	.section	.text._ZN7rocprim17ROCPRIM_400000_NS6detail17trampoline_kernelINS0_14default_configENS1_22reduce_config_selectorIbEEZNS1_11reduce_implILb1ES3_N6hipcub16HIPCUB_304000_NS22TransformInputIteratorIbN2at6native12_GLOBAL__N_19NonZeroOpIN3c107complexIfEEEEPKSG_lEEPiiNS8_6detail34convert_binary_result_type_wrapperINS8_3SumESK_iEEEE10hipError_tPvRmT1_T2_T3_mT4_P12ihipStream_tbEUlT_E1_NS1_11comp_targetILNS1_3genE0ELNS1_11target_archE4294967295ELNS1_3gpuE0ELNS1_3repE0EEENS1_30default_config_static_selectorELNS0_4arch9wavefront6targetE0EEEvST_,"axG",@progbits,_ZN7rocprim17ROCPRIM_400000_NS6detail17trampoline_kernelINS0_14default_configENS1_22reduce_config_selectorIbEEZNS1_11reduce_implILb1ES3_N6hipcub16HIPCUB_304000_NS22TransformInputIteratorIbN2at6native12_GLOBAL__N_19NonZeroOpIN3c107complexIfEEEEPKSG_lEEPiiNS8_6detail34convert_binary_result_type_wrapperINS8_3SumESK_iEEEE10hipError_tPvRmT1_T2_T3_mT4_P12ihipStream_tbEUlT_E1_NS1_11comp_targetILNS1_3genE0ELNS1_11target_archE4294967295ELNS1_3gpuE0ELNS1_3repE0EEENS1_30default_config_static_selectorELNS0_4arch9wavefront6targetE0EEEvST_,comdat
	.globl	_ZN7rocprim17ROCPRIM_400000_NS6detail17trampoline_kernelINS0_14default_configENS1_22reduce_config_selectorIbEEZNS1_11reduce_implILb1ES3_N6hipcub16HIPCUB_304000_NS22TransformInputIteratorIbN2at6native12_GLOBAL__N_19NonZeroOpIN3c107complexIfEEEEPKSG_lEEPiiNS8_6detail34convert_binary_result_type_wrapperINS8_3SumESK_iEEEE10hipError_tPvRmT1_T2_T3_mT4_P12ihipStream_tbEUlT_E1_NS1_11comp_targetILNS1_3genE0ELNS1_11target_archE4294967295ELNS1_3gpuE0ELNS1_3repE0EEENS1_30default_config_static_selectorELNS0_4arch9wavefront6targetE0EEEvST_ ; -- Begin function _ZN7rocprim17ROCPRIM_400000_NS6detail17trampoline_kernelINS0_14default_configENS1_22reduce_config_selectorIbEEZNS1_11reduce_implILb1ES3_N6hipcub16HIPCUB_304000_NS22TransformInputIteratorIbN2at6native12_GLOBAL__N_19NonZeroOpIN3c107complexIfEEEEPKSG_lEEPiiNS8_6detail34convert_binary_result_type_wrapperINS8_3SumESK_iEEEE10hipError_tPvRmT1_T2_T3_mT4_P12ihipStream_tbEUlT_E1_NS1_11comp_targetILNS1_3genE0ELNS1_11target_archE4294967295ELNS1_3gpuE0ELNS1_3repE0EEENS1_30default_config_static_selectorELNS0_4arch9wavefront6targetE0EEEvST_
	.p2align	8
	.type	_ZN7rocprim17ROCPRIM_400000_NS6detail17trampoline_kernelINS0_14default_configENS1_22reduce_config_selectorIbEEZNS1_11reduce_implILb1ES3_N6hipcub16HIPCUB_304000_NS22TransformInputIteratorIbN2at6native12_GLOBAL__N_19NonZeroOpIN3c107complexIfEEEEPKSG_lEEPiiNS8_6detail34convert_binary_result_type_wrapperINS8_3SumESK_iEEEE10hipError_tPvRmT1_T2_T3_mT4_P12ihipStream_tbEUlT_E1_NS1_11comp_targetILNS1_3genE0ELNS1_11target_archE4294967295ELNS1_3gpuE0ELNS1_3repE0EEENS1_30default_config_static_selectorELNS0_4arch9wavefront6targetE0EEEvST_,@function
_ZN7rocprim17ROCPRIM_400000_NS6detail17trampoline_kernelINS0_14default_configENS1_22reduce_config_selectorIbEEZNS1_11reduce_implILb1ES3_N6hipcub16HIPCUB_304000_NS22TransformInputIteratorIbN2at6native12_GLOBAL__N_19NonZeroOpIN3c107complexIfEEEEPKSG_lEEPiiNS8_6detail34convert_binary_result_type_wrapperINS8_3SumESK_iEEEE10hipError_tPvRmT1_T2_T3_mT4_P12ihipStream_tbEUlT_E1_NS1_11comp_targetILNS1_3genE0ELNS1_11target_archE4294967295ELNS1_3gpuE0ELNS1_3repE0EEENS1_30default_config_static_selectorELNS0_4arch9wavefront6targetE0EEEvST_: ; @_ZN7rocprim17ROCPRIM_400000_NS6detail17trampoline_kernelINS0_14default_configENS1_22reduce_config_selectorIbEEZNS1_11reduce_implILb1ES3_N6hipcub16HIPCUB_304000_NS22TransformInputIteratorIbN2at6native12_GLOBAL__N_19NonZeroOpIN3c107complexIfEEEEPKSG_lEEPiiNS8_6detail34convert_binary_result_type_wrapperINS8_3SumESK_iEEEE10hipError_tPvRmT1_T2_T3_mT4_P12ihipStream_tbEUlT_E1_NS1_11comp_targetILNS1_3genE0ELNS1_11target_archE4294967295ELNS1_3gpuE0ELNS1_3repE0EEENS1_30default_config_static_selectorELNS0_4arch9wavefront6targetE0EEEvST_
; %bb.0:
	.section	.rodata,"a",@progbits
	.p2align	6, 0x0
	.amdhsa_kernel _ZN7rocprim17ROCPRIM_400000_NS6detail17trampoline_kernelINS0_14default_configENS1_22reduce_config_selectorIbEEZNS1_11reduce_implILb1ES3_N6hipcub16HIPCUB_304000_NS22TransformInputIteratorIbN2at6native12_GLOBAL__N_19NonZeroOpIN3c107complexIfEEEEPKSG_lEEPiiNS8_6detail34convert_binary_result_type_wrapperINS8_3SumESK_iEEEE10hipError_tPvRmT1_T2_T3_mT4_P12ihipStream_tbEUlT_E1_NS1_11comp_targetILNS1_3genE0ELNS1_11target_archE4294967295ELNS1_3gpuE0ELNS1_3repE0EEENS1_30default_config_static_selectorELNS0_4arch9wavefront6targetE0EEEvST_
		.amdhsa_group_segment_fixed_size 0
		.amdhsa_private_segment_fixed_size 0
		.amdhsa_kernarg_size 48
		.amdhsa_user_sgpr_count 15
		.amdhsa_user_sgpr_dispatch_ptr 0
		.amdhsa_user_sgpr_queue_ptr 0
		.amdhsa_user_sgpr_kernarg_segment_ptr 1
		.amdhsa_user_sgpr_dispatch_id 0
		.amdhsa_user_sgpr_private_segment_size 0
		.amdhsa_wavefront_size32 1
		.amdhsa_uses_dynamic_stack 0
		.amdhsa_enable_private_segment 0
		.amdhsa_system_sgpr_workgroup_id_x 1
		.amdhsa_system_sgpr_workgroup_id_y 0
		.amdhsa_system_sgpr_workgroup_id_z 0
		.amdhsa_system_sgpr_workgroup_info 0
		.amdhsa_system_vgpr_workitem_id 0
		.amdhsa_next_free_vgpr 1
		.amdhsa_next_free_sgpr 1
		.amdhsa_reserve_vcc 0
		.amdhsa_float_round_mode_32 0
		.amdhsa_float_round_mode_16_64 0
		.amdhsa_float_denorm_mode_32 3
		.amdhsa_float_denorm_mode_16_64 3
		.amdhsa_dx10_clamp 1
		.amdhsa_ieee_mode 1
		.amdhsa_fp16_overflow 0
		.amdhsa_workgroup_processor_mode 1
		.amdhsa_memory_ordered 1
		.amdhsa_forward_progress 0
		.amdhsa_shared_vgpr_count 0
		.amdhsa_exception_fp_ieee_invalid_op 0
		.amdhsa_exception_fp_denorm_src 0
		.amdhsa_exception_fp_ieee_div_zero 0
		.amdhsa_exception_fp_ieee_overflow 0
		.amdhsa_exception_fp_ieee_underflow 0
		.amdhsa_exception_fp_ieee_inexact 0
		.amdhsa_exception_int_div_zero 0
	.end_amdhsa_kernel
	.section	.text._ZN7rocprim17ROCPRIM_400000_NS6detail17trampoline_kernelINS0_14default_configENS1_22reduce_config_selectorIbEEZNS1_11reduce_implILb1ES3_N6hipcub16HIPCUB_304000_NS22TransformInputIteratorIbN2at6native12_GLOBAL__N_19NonZeroOpIN3c107complexIfEEEEPKSG_lEEPiiNS8_6detail34convert_binary_result_type_wrapperINS8_3SumESK_iEEEE10hipError_tPvRmT1_T2_T3_mT4_P12ihipStream_tbEUlT_E1_NS1_11comp_targetILNS1_3genE0ELNS1_11target_archE4294967295ELNS1_3gpuE0ELNS1_3repE0EEENS1_30default_config_static_selectorELNS0_4arch9wavefront6targetE0EEEvST_,"axG",@progbits,_ZN7rocprim17ROCPRIM_400000_NS6detail17trampoline_kernelINS0_14default_configENS1_22reduce_config_selectorIbEEZNS1_11reduce_implILb1ES3_N6hipcub16HIPCUB_304000_NS22TransformInputIteratorIbN2at6native12_GLOBAL__N_19NonZeroOpIN3c107complexIfEEEEPKSG_lEEPiiNS8_6detail34convert_binary_result_type_wrapperINS8_3SumESK_iEEEE10hipError_tPvRmT1_T2_T3_mT4_P12ihipStream_tbEUlT_E1_NS1_11comp_targetILNS1_3genE0ELNS1_11target_archE4294967295ELNS1_3gpuE0ELNS1_3repE0EEENS1_30default_config_static_selectorELNS0_4arch9wavefront6targetE0EEEvST_,comdat
.Lfunc_end585:
	.size	_ZN7rocprim17ROCPRIM_400000_NS6detail17trampoline_kernelINS0_14default_configENS1_22reduce_config_selectorIbEEZNS1_11reduce_implILb1ES3_N6hipcub16HIPCUB_304000_NS22TransformInputIteratorIbN2at6native12_GLOBAL__N_19NonZeroOpIN3c107complexIfEEEEPKSG_lEEPiiNS8_6detail34convert_binary_result_type_wrapperINS8_3SumESK_iEEEE10hipError_tPvRmT1_T2_T3_mT4_P12ihipStream_tbEUlT_E1_NS1_11comp_targetILNS1_3genE0ELNS1_11target_archE4294967295ELNS1_3gpuE0ELNS1_3repE0EEENS1_30default_config_static_selectorELNS0_4arch9wavefront6targetE0EEEvST_, .Lfunc_end585-_ZN7rocprim17ROCPRIM_400000_NS6detail17trampoline_kernelINS0_14default_configENS1_22reduce_config_selectorIbEEZNS1_11reduce_implILb1ES3_N6hipcub16HIPCUB_304000_NS22TransformInputIteratorIbN2at6native12_GLOBAL__N_19NonZeroOpIN3c107complexIfEEEEPKSG_lEEPiiNS8_6detail34convert_binary_result_type_wrapperINS8_3SumESK_iEEEE10hipError_tPvRmT1_T2_T3_mT4_P12ihipStream_tbEUlT_E1_NS1_11comp_targetILNS1_3genE0ELNS1_11target_archE4294967295ELNS1_3gpuE0ELNS1_3repE0EEENS1_30default_config_static_selectorELNS0_4arch9wavefront6targetE0EEEvST_
                                        ; -- End function
	.section	.AMDGPU.csdata,"",@progbits
; Kernel info:
; codeLenInByte = 0
; NumSgprs: 0
; NumVgprs: 0
; ScratchSize: 0
; MemoryBound: 0
; FloatMode: 240
; IeeeMode: 1
; LDSByteSize: 0 bytes/workgroup (compile time only)
; SGPRBlocks: 0
; VGPRBlocks: 0
; NumSGPRsForWavesPerEU: 1
; NumVGPRsForWavesPerEU: 1
; Occupancy: 16
; WaveLimiterHint : 0
; COMPUTE_PGM_RSRC2:SCRATCH_EN: 0
; COMPUTE_PGM_RSRC2:USER_SGPR: 15
; COMPUTE_PGM_RSRC2:TRAP_HANDLER: 0
; COMPUTE_PGM_RSRC2:TGID_X_EN: 1
; COMPUTE_PGM_RSRC2:TGID_Y_EN: 0
; COMPUTE_PGM_RSRC2:TGID_Z_EN: 0
; COMPUTE_PGM_RSRC2:TIDIG_COMP_CNT: 0
	.section	.text._ZN7rocprim17ROCPRIM_400000_NS6detail17trampoline_kernelINS0_14default_configENS1_22reduce_config_selectorIbEEZNS1_11reduce_implILb1ES3_N6hipcub16HIPCUB_304000_NS22TransformInputIteratorIbN2at6native12_GLOBAL__N_19NonZeroOpIN3c107complexIfEEEEPKSG_lEEPiiNS8_6detail34convert_binary_result_type_wrapperINS8_3SumESK_iEEEE10hipError_tPvRmT1_T2_T3_mT4_P12ihipStream_tbEUlT_E1_NS1_11comp_targetILNS1_3genE5ELNS1_11target_archE942ELNS1_3gpuE9ELNS1_3repE0EEENS1_30default_config_static_selectorELNS0_4arch9wavefront6targetE0EEEvST_,"axG",@progbits,_ZN7rocprim17ROCPRIM_400000_NS6detail17trampoline_kernelINS0_14default_configENS1_22reduce_config_selectorIbEEZNS1_11reduce_implILb1ES3_N6hipcub16HIPCUB_304000_NS22TransformInputIteratorIbN2at6native12_GLOBAL__N_19NonZeroOpIN3c107complexIfEEEEPKSG_lEEPiiNS8_6detail34convert_binary_result_type_wrapperINS8_3SumESK_iEEEE10hipError_tPvRmT1_T2_T3_mT4_P12ihipStream_tbEUlT_E1_NS1_11comp_targetILNS1_3genE5ELNS1_11target_archE942ELNS1_3gpuE9ELNS1_3repE0EEENS1_30default_config_static_selectorELNS0_4arch9wavefront6targetE0EEEvST_,comdat
	.globl	_ZN7rocprim17ROCPRIM_400000_NS6detail17trampoline_kernelINS0_14default_configENS1_22reduce_config_selectorIbEEZNS1_11reduce_implILb1ES3_N6hipcub16HIPCUB_304000_NS22TransformInputIteratorIbN2at6native12_GLOBAL__N_19NonZeroOpIN3c107complexIfEEEEPKSG_lEEPiiNS8_6detail34convert_binary_result_type_wrapperINS8_3SumESK_iEEEE10hipError_tPvRmT1_T2_T3_mT4_P12ihipStream_tbEUlT_E1_NS1_11comp_targetILNS1_3genE5ELNS1_11target_archE942ELNS1_3gpuE9ELNS1_3repE0EEENS1_30default_config_static_selectorELNS0_4arch9wavefront6targetE0EEEvST_ ; -- Begin function _ZN7rocprim17ROCPRIM_400000_NS6detail17trampoline_kernelINS0_14default_configENS1_22reduce_config_selectorIbEEZNS1_11reduce_implILb1ES3_N6hipcub16HIPCUB_304000_NS22TransformInputIteratorIbN2at6native12_GLOBAL__N_19NonZeroOpIN3c107complexIfEEEEPKSG_lEEPiiNS8_6detail34convert_binary_result_type_wrapperINS8_3SumESK_iEEEE10hipError_tPvRmT1_T2_T3_mT4_P12ihipStream_tbEUlT_E1_NS1_11comp_targetILNS1_3genE5ELNS1_11target_archE942ELNS1_3gpuE9ELNS1_3repE0EEENS1_30default_config_static_selectorELNS0_4arch9wavefront6targetE0EEEvST_
	.p2align	8
	.type	_ZN7rocprim17ROCPRIM_400000_NS6detail17trampoline_kernelINS0_14default_configENS1_22reduce_config_selectorIbEEZNS1_11reduce_implILb1ES3_N6hipcub16HIPCUB_304000_NS22TransformInputIteratorIbN2at6native12_GLOBAL__N_19NonZeroOpIN3c107complexIfEEEEPKSG_lEEPiiNS8_6detail34convert_binary_result_type_wrapperINS8_3SumESK_iEEEE10hipError_tPvRmT1_T2_T3_mT4_P12ihipStream_tbEUlT_E1_NS1_11comp_targetILNS1_3genE5ELNS1_11target_archE942ELNS1_3gpuE9ELNS1_3repE0EEENS1_30default_config_static_selectorELNS0_4arch9wavefront6targetE0EEEvST_,@function
_ZN7rocprim17ROCPRIM_400000_NS6detail17trampoline_kernelINS0_14default_configENS1_22reduce_config_selectorIbEEZNS1_11reduce_implILb1ES3_N6hipcub16HIPCUB_304000_NS22TransformInputIteratorIbN2at6native12_GLOBAL__N_19NonZeroOpIN3c107complexIfEEEEPKSG_lEEPiiNS8_6detail34convert_binary_result_type_wrapperINS8_3SumESK_iEEEE10hipError_tPvRmT1_T2_T3_mT4_P12ihipStream_tbEUlT_E1_NS1_11comp_targetILNS1_3genE5ELNS1_11target_archE942ELNS1_3gpuE9ELNS1_3repE0EEENS1_30default_config_static_selectorELNS0_4arch9wavefront6targetE0EEEvST_: ; @_ZN7rocprim17ROCPRIM_400000_NS6detail17trampoline_kernelINS0_14default_configENS1_22reduce_config_selectorIbEEZNS1_11reduce_implILb1ES3_N6hipcub16HIPCUB_304000_NS22TransformInputIteratorIbN2at6native12_GLOBAL__N_19NonZeroOpIN3c107complexIfEEEEPKSG_lEEPiiNS8_6detail34convert_binary_result_type_wrapperINS8_3SumESK_iEEEE10hipError_tPvRmT1_T2_T3_mT4_P12ihipStream_tbEUlT_E1_NS1_11comp_targetILNS1_3genE5ELNS1_11target_archE942ELNS1_3gpuE9ELNS1_3repE0EEENS1_30default_config_static_selectorELNS0_4arch9wavefront6targetE0EEEvST_
; %bb.0:
	.section	.rodata,"a",@progbits
	.p2align	6, 0x0
	.amdhsa_kernel _ZN7rocprim17ROCPRIM_400000_NS6detail17trampoline_kernelINS0_14default_configENS1_22reduce_config_selectorIbEEZNS1_11reduce_implILb1ES3_N6hipcub16HIPCUB_304000_NS22TransformInputIteratorIbN2at6native12_GLOBAL__N_19NonZeroOpIN3c107complexIfEEEEPKSG_lEEPiiNS8_6detail34convert_binary_result_type_wrapperINS8_3SumESK_iEEEE10hipError_tPvRmT1_T2_T3_mT4_P12ihipStream_tbEUlT_E1_NS1_11comp_targetILNS1_3genE5ELNS1_11target_archE942ELNS1_3gpuE9ELNS1_3repE0EEENS1_30default_config_static_selectorELNS0_4arch9wavefront6targetE0EEEvST_
		.amdhsa_group_segment_fixed_size 0
		.amdhsa_private_segment_fixed_size 0
		.amdhsa_kernarg_size 48
		.amdhsa_user_sgpr_count 15
		.amdhsa_user_sgpr_dispatch_ptr 0
		.amdhsa_user_sgpr_queue_ptr 0
		.amdhsa_user_sgpr_kernarg_segment_ptr 1
		.amdhsa_user_sgpr_dispatch_id 0
		.amdhsa_user_sgpr_private_segment_size 0
		.amdhsa_wavefront_size32 1
		.amdhsa_uses_dynamic_stack 0
		.amdhsa_enable_private_segment 0
		.amdhsa_system_sgpr_workgroup_id_x 1
		.amdhsa_system_sgpr_workgroup_id_y 0
		.amdhsa_system_sgpr_workgroup_id_z 0
		.amdhsa_system_sgpr_workgroup_info 0
		.amdhsa_system_vgpr_workitem_id 0
		.amdhsa_next_free_vgpr 1
		.amdhsa_next_free_sgpr 1
		.amdhsa_reserve_vcc 0
		.amdhsa_float_round_mode_32 0
		.amdhsa_float_round_mode_16_64 0
		.amdhsa_float_denorm_mode_32 3
		.amdhsa_float_denorm_mode_16_64 3
		.amdhsa_dx10_clamp 1
		.amdhsa_ieee_mode 1
		.amdhsa_fp16_overflow 0
		.amdhsa_workgroup_processor_mode 1
		.amdhsa_memory_ordered 1
		.amdhsa_forward_progress 0
		.amdhsa_shared_vgpr_count 0
		.amdhsa_exception_fp_ieee_invalid_op 0
		.amdhsa_exception_fp_denorm_src 0
		.amdhsa_exception_fp_ieee_div_zero 0
		.amdhsa_exception_fp_ieee_overflow 0
		.amdhsa_exception_fp_ieee_underflow 0
		.amdhsa_exception_fp_ieee_inexact 0
		.amdhsa_exception_int_div_zero 0
	.end_amdhsa_kernel
	.section	.text._ZN7rocprim17ROCPRIM_400000_NS6detail17trampoline_kernelINS0_14default_configENS1_22reduce_config_selectorIbEEZNS1_11reduce_implILb1ES3_N6hipcub16HIPCUB_304000_NS22TransformInputIteratorIbN2at6native12_GLOBAL__N_19NonZeroOpIN3c107complexIfEEEEPKSG_lEEPiiNS8_6detail34convert_binary_result_type_wrapperINS8_3SumESK_iEEEE10hipError_tPvRmT1_T2_T3_mT4_P12ihipStream_tbEUlT_E1_NS1_11comp_targetILNS1_3genE5ELNS1_11target_archE942ELNS1_3gpuE9ELNS1_3repE0EEENS1_30default_config_static_selectorELNS0_4arch9wavefront6targetE0EEEvST_,"axG",@progbits,_ZN7rocprim17ROCPRIM_400000_NS6detail17trampoline_kernelINS0_14default_configENS1_22reduce_config_selectorIbEEZNS1_11reduce_implILb1ES3_N6hipcub16HIPCUB_304000_NS22TransformInputIteratorIbN2at6native12_GLOBAL__N_19NonZeroOpIN3c107complexIfEEEEPKSG_lEEPiiNS8_6detail34convert_binary_result_type_wrapperINS8_3SumESK_iEEEE10hipError_tPvRmT1_T2_T3_mT4_P12ihipStream_tbEUlT_E1_NS1_11comp_targetILNS1_3genE5ELNS1_11target_archE942ELNS1_3gpuE9ELNS1_3repE0EEENS1_30default_config_static_selectorELNS0_4arch9wavefront6targetE0EEEvST_,comdat
.Lfunc_end586:
	.size	_ZN7rocprim17ROCPRIM_400000_NS6detail17trampoline_kernelINS0_14default_configENS1_22reduce_config_selectorIbEEZNS1_11reduce_implILb1ES3_N6hipcub16HIPCUB_304000_NS22TransformInputIteratorIbN2at6native12_GLOBAL__N_19NonZeroOpIN3c107complexIfEEEEPKSG_lEEPiiNS8_6detail34convert_binary_result_type_wrapperINS8_3SumESK_iEEEE10hipError_tPvRmT1_T2_T3_mT4_P12ihipStream_tbEUlT_E1_NS1_11comp_targetILNS1_3genE5ELNS1_11target_archE942ELNS1_3gpuE9ELNS1_3repE0EEENS1_30default_config_static_selectorELNS0_4arch9wavefront6targetE0EEEvST_, .Lfunc_end586-_ZN7rocprim17ROCPRIM_400000_NS6detail17trampoline_kernelINS0_14default_configENS1_22reduce_config_selectorIbEEZNS1_11reduce_implILb1ES3_N6hipcub16HIPCUB_304000_NS22TransformInputIteratorIbN2at6native12_GLOBAL__N_19NonZeroOpIN3c107complexIfEEEEPKSG_lEEPiiNS8_6detail34convert_binary_result_type_wrapperINS8_3SumESK_iEEEE10hipError_tPvRmT1_T2_T3_mT4_P12ihipStream_tbEUlT_E1_NS1_11comp_targetILNS1_3genE5ELNS1_11target_archE942ELNS1_3gpuE9ELNS1_3repE0EEENS1_30default_config_static_selectorELNS0_4arch9wavefront6targetE0EEEvST_
                                        ; -- End function
	.section	.AMDGPU.csdata,"",@progbits
; Kernel info:
; codeLenInByte = 0
; NumSgprs: 0
; NumVgprs: 0
; ScratchSize: 0
; MemoryBound: 0
; FloatMode: 240
; IeeeMode: 1
; LDSByteSize: 0 bytes/workgroup (compile time only)
; SGPRBlocks: 0
; VGPRBlocks: 0
; NumSGPRsForWavesPerEU: 1
; NumVGPRsForWavesPerEU: 1
; Occupancy: 16
; WaveLimiterHint : 0
; COMPUTE_PGM_RSRC2:SCRATCH_EN: 0
; COMPUTE_PGM_RSRC2:USER_SGPR: 15
; COMPUTE_PGM_RSRC2:TRAP_HANDLER: 0
; COMPUTE_PGM_RSRC2:TGID_X_EN: 1
; COMPUTE_PGM_RSRC2:TGID_Y_EN: 0
; COMPUTE_PGM_RSRC2:TGID_Z_EN: 0
; COMPUTE_PGM_RSRC2:TIDIG_COMP_CNT: 0
	.section	.text._ZN7rocprim17ROCPRIM_400000_NS6detail17trampoline_kernelINS0_14default_configENS1_22reduce_config_selectorIbEEZNS1_11reduce_implILb1ES3_N6hipcub16HIPCUB_304000_NS22TransformInputIteratorIbN2at6native12_GLOBAL__N_19NonZeroOpIN3c107complexIfEEEEPKSG_lEEPiiNS8_6detail34convert_binary_result_type_wrapperINS8_3SumESK_iEEEE10hipError_tPvRmT1_T2_T3_mT4_P12ihipStream_tbEUlT_E1_NS1_11comp_targetILNS1_3genE4ELNS1_11target_archE910ELNS1_3gpuE8ELNS1_3repE0EEENS1_30default_config_static_selectorELNS0_4arch9wavefront6targetE0EEEvST_,"axG",@progbits,_ZN7rocprim17ROCPRIM_400000_NS6detail17trampoline_kernelINS0_14default_configENS1_22reduce_config_selectorIbEEZNS1_11reduce_implILb1ES3_N6hipcub16HIPCUB_304000_NS22TransformInputIteratorIbN2at6native12_GLOBAL__N_19NonZeroOpIN3c107complexIfEEEEPKSG_lEEPiiNS8_6detail34convert_binary_result_type_wrapperINS8_3SumESK_iEEEE10hipError_tPvRmT1_T2_T3_mT4_P12ihipStream_tbEUlT_E1_NS1_11comp_targetILNS1_3genE4ELNS1_11target_archE910ELNS1_3gpuE8ELNS1_3repE0EEENS1_30default_config_static_selectorELNS0_4arch9wavefront6targetE0EEEvST_,comdat
	.globl	_ZN7rocprim17ROCPRIM_400000_NS6detail17trampoline_kernelINS0_14default_configENS1_22reduce_config_selectorIbEEZNS1_11reduce_implILb1ES3_N6hipcub16HIPCUB_304000_NS22TransformInputIteratorIbN2at6native12_GLOBAL__N_19NonZeroOpIN3c107complexIfEEEEPKSG_lEEPiiNS8_6detail34convert_binary_result_type_wrapperINS8_3SumESK_iEEEE10hipError_tPvRmT1_T2_T3_mT4_P12ihipStream_tbEUlT_E1_NS1_11comp_targetILNS1_3genE4ELNS1_11target_archE910ELNS1_3gpuE8ELNS1_3repE0EEENS1_30default_config_static_selectorELNS0_4arch9wavefront6targetE0EEEvST_ ; -- Begin function _ZN7rocprim17ROCPRIM_400000_NS6detail17trampoline_kernelINS0_14default_configENS1_22reduce_config_selectorIbEEZNS1_11reduce_implILb1ES3_N6hipcub16HIPCUB_304000_NS22TransformInputIteratorIbN2at6native12_GLOBAL__N_19NonZeroOpIN3c107complexIfEEEEPKSG_lEEPiiNS8_6detail34convert_binary_result_type_wrapperINS8_3SumESK_iEEEE10hipError_tPvRmT1_T2_T3_mT4_P12ihipStream_tbEUlT_E1_NS1_11comp_targetILNS1_3genE4ELNS1_11target_archE910ELNS1_3gpuE8ELNS1_3repE0EEENS1_30default_config_static_selectorELNS0_4arch9wavefront6targetE0EEEvST_
	.p2align	8
	.type	_ZN7rocprim17ROCPRIM_400000_NS6detail17trampoline_kernelINS0_14default_configENS1_22reduce_config_selectorIbEEZNS1_11reduce_implILb1ES3_N6hipcub16HIPCUB_304000_NS22TransformInputIteratorIbN2at6native12_GLOBAL__N_19NonZeroOpIN3c107complexIfEEEEPKSG_lEEPiiNS8_6detail34convert_binary_result_type_wrapperINS8_3SumESK_iEEEE10hipError_tPvRmT1_T2_T3_mT4_P12ihipStream_tbEUlT_E1_NS1_11comp_targetILNS1_3genE4ELNS1_11target_archE910ELNS1_3gpuE8ELNS1_3repE0EEENS1_30default_config_static_selectorELNS0_4arch9wavefront6targetE0EEEvST_,@function
_ZN7rocprim17ROCPRIM_400000_NS6detail17trampoline_kernelINS0_14default_configENS1_22reduce_config_selectorIbEEZNS1_11reduce_implILb1ES3_N6hipcub16HIPCUB_304000_NS22TransformInputIteratorIbN2at6native12_GLOBAL__N_19NonZeroOpIN3c107complexIfEEEEPKSG_lEEPiiNS8_6detail34convert_binary_result_type_wrapperINS8_3SumESK_iEEEE10hipError_tPvRmT1_T2_T3_mT4_P12ihipStream_tbEUlT_E1_NS1_11comp_targetILNS1_3genE4ELNS1_11target_archE910ELNS1_3gpuE8ELNS1_3repE0EEENS1_30default_config_static_selectorELNS0_4arch9wavefront6targetE0EEEvST_: ; @_ZN7rocprim17ROCPRIM_400000_NS6detail17trampoline_kernelINS0_14default_configENS1_22reduce_config_selectorIbEEZNS1_11reduce_implILb1ES3_N6hipcub16HIPCUB_304000_NS22TransformInputIteratorIbN2at6native12_GLOBAL__N_19NonZeroOpIN3c107complexIfEEEEPKSG_lEEPiiNS8_6detail34convert_binary_result_type_wrapperINS8_3SumESK_iEEEE10hipError_tPvRmT1_T2_T3_mT4_P12ihipStream_tbEUlT_E1_NS1_11comp_targetILNS1_3genE4ELNS1_11target_archE910ELNS1_3gpuE8ELNS1_3repE0EEENS1_30default_config_static_selectorELNS0_4arch9wavefront6targetE0EEEvST_
; %bb.0:
	.section	.rodata,"a",@progbits
	.p2align	6, 0x0
	.amdhsa_kernel _ZN7rocprim17ROCPRIM_400000_NS6detail17trampoline_kernelINS0_14default_configENS1_22reduce_config_selectorIbEEZNS1_11reduce_implILb1ES3_N6hipcub16HIPCUB_304000_NS22TransformInputIteratorIbN2at6native12_GLOBAL__N_19NonZeroOpIN3c107complexIfEEEEPKSG_lEEPiiNS8_6detail34convert_binary_result_type_wrapperINS8_3SumESK_iEEEE10hipError_tPvRmT1_T2_T3_mT4_P12ihipStream_tbEUlT_E1_NS1_11comp_targetILNS1_3genE4ELNS1_11target_archE910ELNS1_3gpuE8ELNS1_3repE0EEENS1_30default_config_static_selectorELNS0_4arch9wavefront6targetE0EEEvST_
		.amdhsa_group_segment_fixed_size 0
		.amdhsa_private_segment_fixed_size 0
		.amdhsa_kernarg_size 48
		.amdhsa_user_sgpr_count 15
		.amdhsa_user_sgpr_dispatch_ptr 0
		.amdhsa_user_sgpr_queue_ptr 0
		.amdhsa_user_sgpr_kernarg_segment_ptr 1
		.amdhsa_user_sgpr_dispatch_id 0
		.amdhsa_user_sgpr_private_segment_size 0
		.amdhsa_wavefront_size32 1
		.amdhsa_uses_dynamic_stack 0
		.amdhsa_enable_private_segment 0
		.amdhsa_system_sgpr_workgroup_id_x 1
		.amdhsa_system_sgpr_workgroup_id_y 0
		.amdhsa_system_sgpr_workgroup_id_z 0
		.amdhsa_system_sgpr_workgroup_info 0
		.amdhsa_system_vgpr_workitem_id 0
		.amdhsa_next_free_vgpr 1
		.amdhsa_next_free_sgpr 1
		.amdhsa_reserve_vcc 0
		.amdhsa_float_round_mode_32 0
		.amdhsa_float_round_mode_16_64 0
		.amdhsa_float_denorm_mode_32 3
		.amdhsa_float_denorm_mode_16_64 3
		.amdhsa_dx10_clamp 1
		.amdhsa_ieee_mode 1
		.amdhsa_fp16_overflow 0
		.amdhsa_workgroup_processor_mode 1
		.amdhsa_memory_ordered 1
		.amdhsa_forward_progress 0
		.amdhsa_shared_vgpr_count 0
		.amdhsa_exception_fp_ieee_invalid_op 0
		.amdhsa_exception_fp_denorm_src 0
		.amdhsa_exception_fp_ieee_div_zero 0
		.amdhsa_exception_fp_ieee_overflow 0
		.amdhsa_exception_fp_ieee_underflow 0
		.amdhsa_exception_fp_ieee_inexact 0
		.amdhsa_exception_int_div_zero 0
	.end_amdhsa_kernel
	.section	.text._ZN7rocprim17ROCPRIM_400000_NS6detail17trampoline_kernelINS0_14default_configENS1_22reduce_config_selectorIbEEZNS1_11reduce_implILb1ES3_N6hipcub16HIPCUB_304000_NS22TransformInputIteratorIbN2at6native12_GLOBAL__N_19NonZeroOpIN3c107complexIfEEEEPKSG_lEEPiiNS8_6detail34convert_binary_result_type_wrapperINS8_3SumESK_iEEEE10hipError_tPvRmT1_T2_T3_mT4_P12ihipStream_tbEUlT_E1_NS1_11comp_targetILNS1_3genE4ELNS1_11target_archE910ELNS1_3gpuE8ELNS1_3repE0EEENS1_30default_config_static_selectorELNS0_4arch9wavefront6targetE0EEEvST_,"axG",@progbits,_ZN7rocprim17ROCPRIM_400000_NS6detail17trampoline_kernelINS0_14default_configENS1_22reduce_config_selectorIbEEZNS1_11reduce_implILb1ES3_N6hipcub16HIPCUB_304000_NS22TransformInputIteratorIbN2at6native12_GLOBAL__N_19NonZeroOpIN3c107complexIfEEEEPKSG_lEEPiiNS8_6detail34convert_binary_result_type_wrapperINS8_3SumESK_iEEEE10hipError_tPvRmT1_T2_T3_mT4_P12ihipStream_tbEUlT_E1_NS1_11comp_targetILNS1_3genE4ELNS1_11target_archE910ELNS1_3gpuE8ELNS1_3repE0EEENS1_30default_config_static_selectorELNS0_4arch9wavefront6targetE0EEEvST_,comdat
.Lfunc_end587:
	.size	_ZN7rocprim17ROCPRIM_400000_NS6detail17trampoline_kernelINS0_14default_configENS1_22reduce_config_selectorIbEEZNS1_11reduce_implILb1ES3_N6hipcub16HIPCUB_304000_NS22TransformInputIteratorIbN2at6native12_GLOBAL__N_19NonZeroOpIN3c107complexIfEEEEPKSG_lEEPiiNS8_6detail34convert_binary_result_type_wrapperINS8_3SumESK_iEEEE10hipError_tPvRmT1_T2_T3_mT4_P12ihipStream_tbEUlT_E1_NS1_11comp_targetILNS1_3genE4ELNS1_11target_archE910ELNS1_3gpuE8ELNS1_3repE0EEENS1_30default_config_static_selectorELNS0_4arch9wavefront6targetE0EEEvST_, .Lfunc_end587-_ZN7rocprim17ROCPRIM_400000_NS6detail17trampoline_kernelINS0_14default_configENS1_22reduce_config_selectorIbEEZNS1_11reduce_implILb1ES3_N6hipcub16HIPCUB_304000_NS22TransformInputIteratorIbN2at6native12_GLOBAL__N_19NonZeroOpIN3c107complexIfEEEEPKSG_lEEPiiNS8_6detail34convert_binary_result_type_wrapperINS8_3SumESK_iEEEE10hipError_tPvRmT1_T2_T3_mT4_P12ihipStream_tbEUlT_E1_NS1_11comp_targetILNS1_3genE4ELNS1_11target_archE910ELNS1_3gpuE8ELNS1_3repE0EEENS1_30default_config_static_selectorELNS0_4arch9wavefront6targetE0EEEvST_
                                        ; -- End function
	.section	.AMDGPU.csdata,"",@progbits
; Kernel info:
; codeLenInByte = 0
; NumSgprs: 0
; NumVgprs: 0
; ScratchSize: 0
; MemoryBound: 0
; FloatMode: 240
; IeeeMode: 1
; LDSByteSize: 0 bytes/workgroup (compile time only)
; SGPRBlocks: 0
; VGPRBlocks: 0
; NumSGPRsForWavesPerEU: 1
; NumVGPRsForWavesPerEU: 1
; Occupancy: 16
; WaveLimiterHint : 0
; COMPUTE_PGM_RSRC2:SCRATCH_EN: 0
; COMPUTE_PGM_RSRC2:USER_SGPR: 15
; COMPUTE_PGM_RSRC2:TRAP_HANDLER: 0
; COMPUTE_PGM_RSRC2:TGID_X_EN: 1
; COMPUTE_PGM_RSRC2:TGID_Y_EN: 0
; COMPUTE_PGM_RSRC2:TGID_Z_EN: 0
; COMPUTE_PGM_RSRC2:TIDIG_COMP_CNT: 0
	.section	.text._ZN7rocprim17ROCPRIM_400000_NS6detail17trampoline_kernelINS0_14default_configENS1_22reduce_config_selectorIbEEZNS1_11reduce_implILb1ES3_N6hipcub16HIPCUB_304000_NS22TransformInputIteratorIbN2at6native12_GLOBAL__N_19NonZeroOpIN3c107complexIfEEEEPKSG_lEEPiiNS8_6detail34convert_binary_result_type_wrapperINS8_3SumESK_iEEEE10hipError_tPvRmT1_T2_T3_mT4_P12ihipStream_tbEUlT_E1_NS1_11comp_targetILNS1_3genE3ELNS1_11target_archE908ELNS1_3gpuE7ELNS1_3repE0EEENS1_30default_config_static_selectorELNS0_4arch9wavefront6targetE0EEEvST_,"axG",@progbits,_ZN7rocprim17ROCPRIM_400000_NS6detail17trampoline_kernelINS0_14default_configENS1_22reduce_config_selectorIbEEZNS1_11reduce_implILb1ES3_N6hipcub16HIPCUB_304000_NS22TransformInputIteratorIbN2at6native12_GLOBAL__N_19NonZeroOpIN3c107complexIfEEEEPKSG_lEEPiiNS8_6detail34convert_binary_result_type_wrapperINS8_3SumESK_iEEEE10hipError_tPvRmT1_T2_T3_mT4_P12ihipStream_tbEUlT_E1_NS1_11comp_targetILNS1_3genE3ELNS1_11target_archE908ELNS1_3gpuE7ELNS1_3repE0EEENS1_30default_config_static_selectorELNS0_4arch9wavefront6targetE0EEEvST_,comdat
	.globl	_ZN7rocprim17ROCPRIM_400000_NS6detail17trampoline_kernelINS0_14default_configENS1_22reduce_config_selectorIbEEZNS1_11reduce_implILb1ES3_N6hipcub16HIPCUB_304000_NS22TransformInputIteratorIbN2at6native12_GLOBAL__N_19NonZeroOpIN3c107complexIfEEEEPKSG_lEEPiiNS8_6detail34convert_binary_result_type_wrapperINS8_3SumESK_iEEEE10hipError_tPvRmT1_T2_T3_mT4_P12ihipStream_tbEUlT_E1_NS1_11comp_targetILNS1_3genE3ELNS1_11target_archE908ELNS1_3gpuE7ELNS1_3repE0EEENS1_30default_config_static_selectorELNS0_4arch9wavefront6targetE0EEEvST_ ; -- Begin function _ZN7rocprim17ROCPRIM_400000_NS6detail17trampoline_kernelINS0_14default_configENS1_22reduce_config_selectorIbEEZNS1_11reduce_implILb1ES3_N6hipcub16HIPCUB_304000_NS22TransformInputIteratorIbN2at6native12_GLOBAL__N_19NonZeroOpIN3c107complexIfEEEEPKSG_lEEPiiNS8_6detail34convert_binary_result_type_wrapperINS8_3SumESK_iEEEE10hipError_tPvRmT1_T2_T3_mT4_P12ihipStream_tbEUlT_E1_NS1_11comp_targetILNS1_3genE3ELNS1_11target_archE908ELNS1_3gpuE7ELNS1_3repE0EEENS1_30default_config_static_selectorELNS0_4arch9wavefront6targetE0EEEvST_
	.p2align	8
	.type	_ZN7rocprim17ROCPRIM_400000_NS6detail17trampoline_kernelINS0_14default_configENS1_22reduce_config_selectorIbEEZNS1_11reduce_implILb1ES3_N6hipcub16HIPCUB_304000_NS22TransformInputIteratorIbN2at6native12_GLOBAL__N_19NonZeroOpIN3c107complexIfEEEEPKSG_lEEPiiNS8_6detail34convert_binary_result_type_wrapperINS8_3SumESK_iEEEE10hipError_tPvRmT1_T2_T3_mT4_P12ihipStream_tbEUlT_E1_NS1_11comp_targetILNS1_3genE3ELNS1_11target_archE908ELNS1_3gpuE7ELNS1_3repE0EEENS1_30default_config_static_selectorELNS0_4arch9wavefront6targetE0EEEvST_,@function
_ZN7rocprim17ROCPRIM_400000_NS6detail17trampoline_kernelINS0_14default_configENS1_22reduce_config_selectorIbEEZNS1_11reduce_implILb1ES3_N6hipcub16HIPCUB_304000_NS22TransformInputIteratorIbN2at6native12_GLOBAL__N_19NonZeroOpIN3c107complexIfEEEEPKSG_lEEPiiNS8_6detail34convert_binary_result_type_wrapperINS8_3SumESK_iEEEE10hipError_tPvRmT1_T2_T3_mT4_P12ihipStream_tbEUlT_E1_NS1_11comp_targetILNS1_3genE3ELNS1_11target_archE908ELNS1_3gpuE7ELNS1_3repE0EEENS1_30default_config_static_selectorELNS0_4arch9wavefront6targetE0EEEvST_: ; @_ZN7rocprim17ROCPRIM_400000_NS6detail17trampoline_kernelINS0_14default_configENS1_22reduce_config_selectorIbEEZNS1_11reduce_implILb1ES3_N6hipcub16HIPCUB_304000_NS22TransformInputIteratorIbN2at6native12_GLOBAL__N_19NonZeroOpIN3c107complexIfEEEEPKSG_lEEPiiNS8_6detail34convert_binary_result_type_wrapperINS8_3SumESK_iEEEE10hipError_tPvRmT1_T2_T3_mT4_P12ihipStream_tbEUlT_E1_NS1_11comp_targetILNS1_3genE3ELNS1_11target_archE908ELNS1_3gpuE7ELNS1_3repE0EEENS1_30default_config_static_selectorELNS0_4arch9wavefront6targetE0EEEvST_
; %bb.0:
	.section	.rodata,"a",@progbits
	.p2align	6, 0x0
	.amdhsa_kernel _ZN7rocprim17ROCPRIM_400000_NS6detail17trampoline_kernelINS0_14default_configENS1_22reduce_config_selectorIbEEZNS1_11reduce_implILb1ES3_N6hipcub16HIPCUB_304000_NS22TransformInputIteratorIbN2at6native12_GLOBAL__N_19NonZeroOpIN3c107complexIfEEEEPKSG_lEEPiiNS8_6detail34convert_binary_result_type_wrapperINS8_3SumESK_iEEEE10hipError_tPvRmT1_T2_T3_mT4_P12ihipStream_tbEUlT_E1_NS1_11comp_targetILNS1_3genE3ELNS1_11target_archE908ELNS1_3gpuE7ELNS1_3repE0EEENS1_30default_config_static_selectorELNS0_4arch9wavefront6targetE0EEEvST_
		.amdhsa_group_segment_fixed_size 0
		.amdhsa_private_segment_fixed_size 0
		.amdhsa_kernarg_size 48
		.amdhsa_user_sgpr_count 15
		.amdhsa_user_sgpr_dispatch_ptr 0
		.amdhsa_user_sgpr_queue_ptr 0
		.amdhsa_user_sgpr_kernarg_segment_ptr 1
		.amdhsa_user_sgpr_dispatch_id 0
		.amdhsa_user_sgpr_private_segment_size 0
		.amdhsa_wavefront_size32 1
		.amdhsa_uses_dynamic_stack 0
		.amdhsa_enable_private_segment 0
		.amdhsa_system_sgpr_workgroup_id_x 1
		.amdhsa_system_sgpr_workgroup_id_y 0
		.amdhsa_system_sgpr_workgroup_id_z 0
		.amdhsa_system_sgpr_workgroup_info 0
		.amdhsa_system_vgpr_workitem_id 0
		.amdhsa_next_free_vgpr 1
		.amdhsa_next_free_sgpr 1
		.amdhsa_reserve_vcc 0
		.amdhsa_float_round_mode_32 0
		.amdhsa_float_round_mode_16_64 0
		.amdhsa_float_denorm_mode_32 3
		.amdhsa_float_denorm_mode_16_64 3
		.amdhsa_dx10_clamp 1
		.amdhsa_ieee_mode 1
		.amdhsa_fp16_overflow 0
		.amdhsa_workgroup_processor_mode 1
		.amdhsa_memory_ordered 1
		.amdhsa_forward_progress 0
		.amdhsa_shared_vgpr_count 0
		.amdhsa_exception_fp_ieee_invalid_op 0
		.amdhsa_exception_fp_denorm_src 0
		.amdhsa_exception_fp_ieee_div_zero 0
		.amdhsa_exception_fp_ieee_overflow 0
		.amdhsa_exception_fp_ieee_underflow 0
		.amdhsa_exception_fp_ieee_inexact 0
		.amdhsa_exception_int_div_zero 0
	.end_amdhsa_kernel
	.section	.text._ZN7rocprim17ROCPRIM_400000_NS6detail17trampoline_kernelINS0_14default_configENS1_22reduce_config_selectorIbEEZNS1_11reduce_implILb1ES3_N6hipcub16HIPCUB_304000_NS22TransformInputIteratorIbN2at6native12_GLOBAL__N_19NonZeroOpIN3c107complexIfEEEEPKSG_lEEPiiNS8_6detail34convert_binary_result_type_wrapperINS8_3SumESK_iEEEE10hipError_tPvRmT1_T2_T3_mT4_P12ihipStream_tbEUlT_E1_NS1_11comp_targetILNS1_3genE3ELNS1_11target_archE908ELNS1_3gpuE7ELNS1_3repE0EEENS1_30default_config_static_selectorELNS0_4arch9wavefront6targetE0EEEvST_,"axG",@progbits,_ZN7rocprim17ROCPRIM_400000_NS6detail17trampoline_kernelINS0_14default_configENS1_22reduce_config_selectorIbEEZNS1_11reduce_implILb1ES3_N6hipcub16HIPCUB_304000_NS22TransformInputIteratorIbN2at6native12_GLOBAL__N_19NonZeroOpIN3c107complexIfEEEEPKSG_lEEPiiNS8_6detail34convert_binary_result_type_wrapperINS8_3SumESK_iEEEE10hipError_tPvRmT1_T2_T3_mT4_P12ihipStream_tbEUlT_E1_NS1_11comp_targetILNS1_3genE3ELNS1_11target_archE908ELNS1_3gpuE7ELNS1_3repE0EEENS1_30default_config_static_selectorELNS0_4arch9wavefront6targetE0EEEvST_,comdat
.Lfunc_end588:
	.size	_ZN7rocprim17ROCPRIM_400000_NS6detail17trampoline_kernelINS0_14default_configENS1_22reduce_config_selectorIbEEZNS1_11reduce_implILb1ES3_N6hipcub16HIPCUB_304000_NS22TransformInputIteratorIbN2at6native12_GLOBAL__N_19NonZeroOpIN3c107complexIfEEEEPKSG_lEEPiiNS8_6detail34convert_binary_result_type_wrapperINS8_3SumESK_iEEEE10hipError_tPvRmT1_T2_T3_mT4_P12ihipStream_tbEUlT_E1_NS1_11comp_targetILNS1_3genE3ELNS1_11target_archE908ELNS1_3gpuE7ELNS1_3repE0EEENS1_30default_config_static_selectorELNS0_4arch9wavefront6targetE0EEEvST_, .Lfunc_end588-_ZN7rocprim17ROCPRIM_400000_NS6detail17trampoline_kernelINS0_14default_configENS1_22reduce_config_selectorIbEEZNS1_11reduce_implILb1ES3_N6hipcub16HIPCUB_304000_NS22TransformInputIteratorIbN2at6native12_GLOBAL__N_19NonZeroOpIN3c107complexIfEEEEPKSG_lEEPiiNS8_6detail34convert_binary_result_type_wrapperINS8_3SumESK_iEEEE10hipError_tPvRmT1_T2_T3_mT4_P12ihipStream_tbEUlT_E1_NS1_11comp_targetILNS1_3genE3ELNS1_11target_archE908ELNS1_3gpuE7ELNS1_3repE0EEENS1_30default_config_static_selectorELNS0_4arch9wavefront6targetE0EEEvST_
                                        ; -- End function
	.section	.AMDGPU.csdata,"",@progbits
; Kernel info:
; codeLenInByte = 0
; NumSgprs: 0
; NumVgprs: 0
; ScratchSize: 0
; MemoryBound: 0
; FloatMode: 240
; IeeeMode: 1
; LDSByteSize: 0 bytes/workgroup (compile time only)
; SGPRBlocks: 0
; VGPRBlocks: 0
; NumSGPRsForWavesPerEU: 1
; NumVGPRsForWavesPerEU: 1
; Occupancy: 16
; WaveLimiterHint : 0
; COMPUTE_PGM_RSRC2:SCRATCH_EN: 0
; COMPUTE_PGM_RSRC2:USER_SGPR: 15
; COMPUTE_PGM_RSRC2:TRAP_HANDLER: 0
; COMPUTE_PGM_RSRC2:TGID_X_EN: 1
; COMPUTE_PGM_RSRC2:TGID_Y_EN: 0
; COMPUTE_PGM_RSRC2:TGID_Z_EN: 0
; COMPUTE_PGM_RSRC2:TIDIG_COMP_CNT: 0
	.section	.text._ZN7rocprim17ROCPRIM_400000_NS6detail17trampoline_kernelINS0_14default_configENS1_22reduce_config_selectorIbEEZNS1_11reduce_implILb1ES3_N6hipcub16HIPCUB_304000_NS22TransformInputIteratorIbN2at6native12_GLOBAL__N_19NonZeroOpIN3c107complexIfEEEEPKSG_lEEPiiNS8_6detail34convert_binary_result_type_wrapperINS8_3SumESK_iEEEE10hipError_tPvRmT1_T2_T3_mT4_P12ihipStream_tbEUlT_E1_NS1_11comp_targetILNS1_3genE2ELNS1_11target_archE906ELNS1_3gpuE6ELNS1_3repE0EEENS1_30default_config_static_selectorELNS0_4arch9wavefront6targetE0EEEvST_,"axG",@progbits,_ZN7rocprim17ROCPRIM_400000_NS6detail17trampoline_kernelINS0_14default_configENS1_22reduce_config_selectorIbEEZNS1_11reduce_implILb1ES3_N6hipcub16HIPCUB_304000_NS22TransformInputIteratorIbN2at6native12_GLOBAL__N_19NonZeroOpIN3c107complexIfEEEEPKSG_lEEPiiNS8_6detail34convert_binary_result_type_wrapperINS8_3SumESK_iEEEE10hipError_tPvRmT1_T2_T3_mT4_P12ihipStream_tbEUlT_E1_NS1_11comp_targetILNS1_3genE2ELNS1_11target_archE906ELNS1_3gpuE6ELNS1_3repE0EEENS1_30default_config_static_selectorELNS0_4arch9wavefront6targetE0EEEvST_,comdat
	.globl	_ZN7rocprim17ROCPRIM_400000_NS6detail17trampoline_kernelINS0_14default_configENS1_22reduce_config_selectorIbEEZNS1_11reduce_implILb1ES3_N6hipcub16HIPCUB_304000_NS22TransformInputIteratorIbN2at6native12_GLOBAL__N_19NonZeroOpIN3c107complexIfEEEEPKSG_lEEPiiNS8_6detail34convert_binary_result_type_wrapperINS8_3SumESK_iEEEE10hipError_tPvRmT1_T2_T3_mT4_P12ihipStream_tbEUlT_E1_NS1_11comp_targetILNS1_3genE2ELNS1_11target_archE906ELNS1_3gpuE6ELNS1_3repE0EEENS1_30default_config_static_selectorELNS0_4arch9wavefront6targetE0EEEvST_ ; -- Begin function _ZN7rocprim17ROCPRIM_400000_NS6detail17trampoline_kernelINS0_14default_configENS1_22reduce_config_selectorIbEEZNS1_11reduce_implILb1ES3_N6hipcub16HIPCUB_304000_NS22TransformInputIteratorIbN2at6native12_GLOBAL__N_19NonZeroOpIN3c107complexIfEEEEPKSG_lEEPiiNS8_6detail34convert_binary_result_type_wrapperINS8_3SumESK_iEEEE10hipError_tPvRmT1_T2_T3_mT4_P12ihipStream_tbEUlT_E1_NS1_11comp_targetILNS1_3genE2ELNS1_11target_archE906ELNS1_3gpuE6ELNS1_3repE0EEENS1_30default_config_static_selectorELNS0_4arch9wavefront6targetE0EEEvST_
	.p2align	8
	.type	_ZN7rocprim17ROCPRIM_400000_NS6detail17trampoline_kernelINS0_14default_configENS1_22reduce_config_selectorIbEEZNS1_11reduce_implILb1ES3_N6hipcub16HIPCUB_304000_NS22TransformInputIteratorIbN2at6native12_GLOBAL__N_19NonZeroOpIN3c107complexIfEEEEPKSG_lEEPiiNS8_6detail34convert_binary_result_type_wrapperINS8_3SumESK_iEEEE10hipError_tPvRmT1_T2_T3_mT4_P12ihipStream_tbEUlT_E1_NS1_11comp_targetILNS1_3genE2ELNS1_11target_archE906ELNS1_3gpuE6ELNS1_3repE0EEENS1_30default_config_static_selectorELNS0_4arch9wavefront6targetE0EEEvST_,@function
_ZN7rocprim17ROCPRIM_400000_NS6detail17trampoline_kernelINS0_14default_configENS1_22reduce_config_selectorIbEEZNS1_11reduce_implILb1ES3_N6hipcub16HIPCUB_304000_NS22TransformInputIteratorIbN2at6native12_GLOBAL__N_19NonZeroOpIN3c107complexIfEEEEPKSG_lEEPiiNS8_6detail34convert_binary_result_type_wrapperINS8_3SumESK_iEEEE10hipError_tPvRmT1_T2_T3_mT4_P12ihipStream_tbEUlT_E1_NS1_11comp_targetILNS1_3genE2ELNS1_11target_archE906ELNS1_3gpuE6ELNS1_3repE0EEENS1_30default_config_static_selectorELNS0_4arch9wavefront6targetE0EEEvST_: ; @_ZN7rocprim17ROCPRIM_400000_NS6detail17trampoline_kernelINS0_14default_configENS1_22reduce_config_selectorIbEEZNS1_11reduce_implILb1ES3_N6hipcub16HIPCUB_304000_NS22TransformInputIteratorIbN2at6native12_GLOBAL__N_19NonZeroOpIN3c107complexIfEEEEPKSG_lEEPiiNS8_6detail34convert_binary_result_type_wrapperINS8_3SumESK_iEEEE10hipError_tPvRmT1_T2_T3_mT4_P12ihipStream_tbEUlT_E1_NS1_11comp_targetILNS1_3genE2ELNS1_11target_archE906ELNS1_3gpuE6ELNS1_3repE0EEENS1_30default_config_static_selectorELNS0_4arch9wavefront6targetE0EEEvST_
; %bb.0:
	.section	.rodata,"a",@progbits
	.p2align	6, 0x0
	.amdhsa_kernel _ZN7rocprim17ROCPRIM_400000_NS6detail17trampoline_kernelINS0_14default_configENS1_22reduce_config_selectorIbEEZNS1_11reduce_implILb1ES3_N6hipcub16HIPCUB_304000_NS22TransformInputIteratorIbN2at6native12_GLOBAL__N_19NonZeroOpIN3c107complexIfEEEEPKSG_lEEPiiNS8_6detail34convert_binary_result_type_wrapperINS8_3SumESK_iEEEE10hipError_tPvRmT1_T2_T3_mT4_P12ihipStream_tbEUlT_E1_NS1_11comp_targetILNS1_3genE2ELNS1_11target_archE906ELNS1_3gpuE6ELNS1_3repE0EEENS1_30default_config_static_selectorELNS0_4arch9wavefront6targetE0EEEvST_
		.amdhsa_group_segment_fixed_size 0
		.amdhsa_private_segment_fixed_size 0
		.amdhsa_kernarg_size 48
		.amdhsa_user_sgpr_count 15
		.amdhsa_user_sgpr_dispatch_ptr 0
		.amdhsa_user_sgpr_queue_ptr 0
		.amdhsa_user_sgpr_kernarg_segment_ptr 1
		.amdhsa_user_sgpr_dispatch_id 0
		.amdhsa_user_sgpr_private_segment_size 0
		.amdhsa_wavefront_size32 1
		.amdhsa_uses_dynamic_stack 0
		.amdhsa_enable_private_segment 0
		.amdhsa_system_sgpr_workgroup_id_x 1
		.amdhsa_system_sgpr_workgroup_id_y 0
		.amdhsa_system_sgpr_workgroup_id_z 0
		.amdhsa_system_sgpr_workgroup_info 0
		.amdhsa_system_vgpr_workitem_id 0
		.amdhsa_next_free_vgpr 1
		.amdhsa_next_free_sgpr 1
		.amdhsa_reserve_vcc 0
		.amdhsa_float_round_mode_32 0
		.amdhsa_float_round_mode_16_64 0
		.amdhsa_float_denorm_mode_32 3
		.amdhsa_float_denorm_mode_16_64 3
		.amdhsa_dx10_clamp 1
		.amdhsa_ieee_mode 1
		.amdhsa_fp16_overflow 0
		.amdhsa_workgroup_processor_mode 1
		.amdhsa_memory_ordered 1
		.amdhsa_forward_progress 0
		.amdhsa_shared_vgpr_count 0
		.amdhsa_exception_fp_ieee_invalid_op 0
		.amdhsa_exception_fp_denorm_src 0
		.amdhsa_exception_fp_ieee_div_zero 0
		.amdhsa_exception_fp_ieee_overflow 0
		.amdhsa_exception_fp_ieee_underflow 0
		.amdhsa_exception_fp_ieee_inexact 0
		.amdhsa_exception_int_div_zero 0
	.end_amdhsa_kernel
	.section	.text._ZN7rocprim17ROCPRIM_400000_NS6detail17trampoline_kernelINS0_14default_configENS1_22reduce_config_selectorIbEEZNS1_11reduce_implILb1ES3_N6hipcub16HIPCUB_304000_NS22TransformInputIteratorIbN2at6native12_GLOBAL__N_19NonZeroOpIN3c107complexIfEEEEPKSG_lEEPiiNS8_6detail34convert_binary_result_type_wrapperINS8_3SumESK_iEEEE10hipError_tPvRmT1_T2_T3_mT4_P12ihipStream_tbEUlT_E1_NS1_11comp_targetILNS1_3genE2ELNS1_11target_archE906ELNS1_3gpuE6ELNS1_3repE0EEENS1_30default_config_static_selectorELNS0_4arch9wavefront6targetE0EEEvST_,"axG",@progbits,_ZN7rocprim17ROCPRIM_400000_NS6detail17trampoline_kernelINS0_14default_configENS1_22reduce_config_selectorIbEEZNS1_11reduce_implILb1ES3_N6hipcub16HIPCUB_304000_NS22TransformInputIteratorIbN2at6native12_GLOBAL__N_19NonZeroOpIN3c107complexIfEEEEPKSG_lEEPiiNS8_6detail34convert_binary_result_type_wrapperINS8_3SumESK_iEEEE10hipError_tPvRmT1_T2_T3_mT4_P12ihipStream_tbEUlT_E1_NS1_11comp_targetILNS1_3genE2ELNS1_11target_archE906ELNS1_3gpuE6ELNS1_3repE0EEENS1_30default_config_static_selectorELNS0_4arch9wavefront6targetE0EEEvST_,comdat
.Lfunc_end589:
	.size	_ZN7rocprim17ROCPRIM_400000_NS6detail17trampoline_kernelINS0_14default_configENS1_22reduce_config_selectorIbEEZNS1_11reduce_implILb1ES3_N6hipcub16HIPCUB_304000_NS22TransformInputIteratorIbN2at6native12_GLOBAL__N_19NonZeroOpIN3c107complexIfEEEEPKSG_lEEPiiNS8_6detail34convert_binary_result_type_wrapperINS8_3SumESK_iEEEE10hipError_tPvRmT1_T2_T3_mT4_P12ihipStream_tbEUlT_E1_NS1_11comp_targetILNS1_3genE2ELNS1_11target_archE906ELNS1_3gpuE6ELNS1_3repE0EEENS1_30default_config_static_selectorELNS0_4arch9wavefront6targetE0EEEvST_, .Lfunc_end589-_ZN7rocprim17ROCPRIM_400000_NS6detail17trampoline_kernelINS0_14default_configENS1_22reduce_config_selectorIbEEZNS1_11reduce_implILb1ES3_N6hipcub16HIPCUB_304000_NS22TransformInputIteratorIbN2at6native12_GLOBAL__N_19NonZeroOpIN3c107complexIfEEEEPKSG_lEEPiiNS8_6detail34convert_binary_result_type_wrapperINS8_3SumESK_iEEEE10hipError_tPvRmT1_T2_T3_mT4_P12ihipStream_tbEUlT_E1_NS1_11comp_targetILNS1_3genE2ELNS1_11target_archE906ELNS1_3gpuE6ELNS1_3repE0EEENS1_30default_config_static_selectorELNS0_4arch9wavefront6targetE0EEEvST_
                                        ; -- End function
	.section	.AMDGPU.csdata,"",@progbits
; Kernel info:
; codeLenInByte = 0
; NumSgprs: 0
; NumVgprs: 0
; ScratchSize: 0
; MemoryBound: 0
; FloatMode: 240
; IeeeMode: 1
; LDSByteSize: 0 bytes/workgroup (compile time only)
; SGPRBlocks: 0
; VGPRBlocks: 0
; NumSGPRsForWavesPerEU: 1
; NumVGPRsForWavesPerEU: 1
; Occupancy: 16
; WaveLimiterHint : 0
; COMPUTE_PGM_RSRC2:SCRATCH_EN: 0
; COMPUTE_PGM_RSRC2:USER_SGPR: 15
; COMPUTE_PGM_RSRC2:TRAP_HANDLER: 0
; COMPUTE_PGM_RSRC2:TGID_X_EN: 1
; COMPUTE_PGM_RSRC2:TGID_Y_EN: 0
; COMPUTE_PGM_RSRC2:TGID_Z_EN: 0
; COMPUTE_PGM_RSRC2:TIDIG_COMP_CNT: 0
	.section	.text._ZN7rocprim17ROCPRIM_400000_NS6detail17trampoline_kernelINS0_14default_configENS1_22reduce_config_selectorIbEEZNS1_11reduce_implILb1ES3_N6hipcub16HIPCUB_304000_NS22TransformInputIteratorIbN2at6native12_GLOBAL__N_19NonZeroOpIN3c107complexIfEEEEPKSG_lEEPiiNS8_6detail34convert_binary_result_type_wrapperINS8_3SumESK_iEEEE10hipError_tPvRmT1_T2_T3_mT4_P12ihipStream_tbEUlT_E1_NS1_11comp_targetILNS1_3genE10ELNS1_11target_archE1201ELNS1_3gpuE5ELNS1_3repE0EEENS1_30default_config_static_selectorELNS0_4arch9wavefront6targetE0EEEvST_,"axG",@progbits,_ZN7rocprim17ROCPRIM_400000_NS6detail17trampoline_kernelINS0_14default_configENS1_22reduce_config_selectorIbEEZNS1_11reduce_implILb1ES3_N6hipcub16HIPCUB_304000_NS22TransformInputIteratorIbN2at6native12_GLOBAL__N_19NonZeroOpIN3c107complexIfEEEEPKSG_lEEPiiNS8_6detail34convert_binary_result_type_wrapperINS8_3SumESK_iEEEE10hipError_tPvRmT1_T2_T3_mT4_P12ihipStream_tbEUlT_E1_NS1_11comp_targetILNS1_3genE10ELNS1_11target_archE1201ELNS1_3gpuE5ELNS1_3repE0EEENS1_30default_config_static_selectorELNS0_4arch9wavefront6targetE0EEEvST_,comdat
	.globl	_ZN7rocprim17ROCPRIM_400000_NS6detail17trampoline_kernelINS0_14default_configENS1_22reduce_config_selectorIbEEZNS1_11reduce_implILb1ES3_N6hipcub16HIPCUB_304000_NS22TransformInputIteratorIbN2at6native12_GLOBAL__N_19NonZeroOpIN3c107complexIfEEEEPKSG_lEEPiiNS8_6detail34convert_binary_result_type_wrapperINS8_3SumESK_iEEEE10hipError_tPvRmT1_T2_T3_mT4_P12ihipStream_tbEUlT_E1_NS1_11comp_targetILNS1_3genE10ELNS1_11target_archE1201ELNS1_3gpuE5ELNS1_3repE0EEENS1_30default_config_static_selectorELNS0_4arch9wavefront6targetE0EEEvST_ ; -- Begin function _ZN7rocprim17ROCPRIM_400000_NS6detail17trampoline_kernelINS0_14default_configENS1_22reduce_config_selectorIbEEZNS1_11reduce_implILb1ES3_N6hipcub16HIPCUB_304000_NS22TransformInputIteratorIbN2at6native12_GLOBAL__N_19NonZeroOpIN3c107complexIfEEEEPKSG_lEEPiiNS8_6detail34convert_binary_result_type_wrapperINS8_3SumESK_iEEEE10hipError_tPvRmT1_T2_T3_mT4_P12ihipStream_tbEUlT_E1_NS1_11comp_targetILNS1_3genE10ELNS1_11target_archE1201ELNS1_3gpuE5ELNS1_3repE0EEENS1_30default_config_static_selectorELNS0_4arch9wavefront6targetE0EEEvST_
	.p2align	8
	.type	_ZN7rocprim17ROCPRIM_400000_NS6detail17trampoline_kernelINS0_14default_configENS1_22reduce_config_selectorIbEEZNS1_11reduce_implILb1ES3_N6hipcub16HIPCUB_304000_NS22TransformInputIteratorIbN2at6native12_GLOBAL__N_19NonZeroOpIN3c107complexIfEEEEPKSG_lEEPiiNS8_6detail34convert_binary_result_type_wrapperINS8_3SumESK_iEEEE10hipError_tPvRmT1_T2_T3_mT4_P12ihipStream_tbEUlT_E1_NS1_11comp_targetILNS1_3genE10ELNS1_11target_archE1201ELNS1_3gpuE5ELNS1_3repE0EEENS1_30default_config_static_selectorELNS0_4arch9wavefront6targetE0EEEvST_,@function
_ZN7rocprim17ROCPRIM_400000_NS6detail17trampoline_kernelINS0_14default_configENS1_22reduce_config_selectorIbEEZNS1_11reduce_implILb1ES3_N6hipcub16HIPCUB_304000_NS22TransformInputIteratorIbN2at6native12_GLOBAL__N_19NonZeroOpIN3c107complexIfEEEEPKSG_lEEPiiNS8_6detail34convert_binary_result_type_wrapperINS8_3SumESK_iEEEE10hipError_tPvRmT1_T2_T3_mT4_P12ihipStream_tbEUlT_E1_NS1_11comp_targetILNS1_3genE10ELNS1_11target_archE1201ELNS1_3gpuE5ELNS1_3repE0EEENS1_30default_config_static_selectorELNS0_4arch9wavefront6targetE0EEEvST_: ; @_ZN7rocprim17ROCPRIM_400000_NS6detail17trampoline_kernelINS0_14default_configENS1_22reduce_config_selectorIbEEZNS1_11reduce_implILb1ES3_N6hipcub16HIPCUB_304000_NS22TransformInputIteratorIbN2at6native12_GLOBAL__N_19NonZeroOpIN3c107complexIfEEEEPKSG_lEEPiiNS8_6detail34convert_binary_result_type_wrapperINS8_3SumESK_iEEEE10hipError_tPvRmT1_T2_T3_mT4_P12ihipStream_tbEUlT_E1_NS1_11comp_targetILNS1_3genE10ELNS1_11target_archE1201ELNS1_3gpuE5ELNS1_3repE0EEENS1_30default_config_static_selectorELNS0_4arch9wavefront6targetE0EEEvST_
; %bb.0:
	.section	.rodata,"a",@progbits
	.p2align	6, 0x0
	.amdhsa_kernel _ZN7rocprim17ROCPRIM_400000_NS6detail17trampoline_kernelINS0_14default_configENS1_22reduce_config_selectorIbEEZNS1_11reduce_implILb1ES3_N6hipcub16HIPCUB_304000_NS22TransformInputIteratorIbN2at6native12_GLOBAL__N_19NonZeroOpIN3c107complexIfEEEEPKSG_lEEPiiNS8_6detail34convert_binary_result_type_wrapperINS8_3SumESK_iEEEE10hipError_tPvRmT1_T2_T3_mT4_P12ihipStream_tbEUlT_E1_NS1_11comp_targetILNS1_3genE10ELNS1_11target_archE1201ELNS1_3gpuE5ELNS1_3repE0EEENS1_30default_config_static_selectorELNS0_4arch9wavefront6targetE0EEEvST_
		.amdhsa_group_segment_fixed_size 0
		.amdhsa_private_segment_fixed_size 0
		.amdhsa_kernarg_size 48
		.amdhsa_user_sgpr_count 15
		.amdhsa_user_sgpr_dispatch_ptr 0
		.amdhsa_user_sgpr_queue_ptr 0
		.amdhsa_user_sgpr_kernarg_segment_ptr 1
		.amdhsa_user_sgpr_dispatch_id 0
		.amdhsa_user_sgpr_private_segment_size 0
		.amdhsa_wavefront_size32 1
		.amdhsa_uses_dynamic_stack 0
		.amdhsa_enable_private_segment 0
		.amdhsa_system_sgpr_workgroup_id_x 1
		.amdhsa_system_sgpr_workgroup_id_y 0
		.amdhsa_system_sgpr_workgroup_id_z 0
		.amdhsa_system_sgpr_workgroup_info 0
		.amdhsa_system_vgpr_workitem_id 0
		.amdhsa_next_free_vgpr 1
		.amdhsa_next_free_sgpr 1
		.amdhsa_reserve_vcc 0
		.amdhsa_float_round_mode_32 0
		.amdhsa_float_round_mode_16_64 0
		.amdhsa_float_denorm_mode_32 3
		.amdhsa_float_denorm_mode_16_64 3
		.amdhsa_dx10_clamp 1
		.amdhsa_ieee_mode 1
		.amdhsa_fp16_overflow 0
		.amdhsa_workgroup_processor_mode 1
		.amdhsa_memory_ordered 1
		.amdhsa_forward_progress 0
		.amdhsa_shared_vgpr_count 0
		.amdhsa_exception_fp_ieee_invalid_op 0
		.amdhsa_exception_fp_denorm_src 0
		.amdhsa_exception_fp_ieee_div_zero 0
		.amdhsa_exception_fp_ieee_overflow 0
		.amdhsa_exception_fp_ieee_underflow 0
		.amdhsa_exception_fp_ieee_inexact 0
		.amdhsa_exception_int_div_zero 0
	.end_amdhsa_kernel
	.section	.text._ZN7rocprim17ROCPRIM_400000_NS6detail17trampoline_kernelINS0_14default_configENS1_22reduce_config_selectorIbEEZNS1_11reduce_implILb1ES3_N6hipcub16HIPCUB_304000_NS22TransformInputIteratorIbN2at6native12_GLOBAL__N_19NonZeroOpIN3c107complexIfEEEEPKSG_lEEPiiNS8_6detail34convert_binary_result_type_wrapperINS8_3SumESK_iEEEE10hipError_tPvRmT1_T2_T3_mT4_P12ihipStream_tbEUlT_E1_NS1_11comp_targetILNS1_3genE10ELNS1_11target_archE1201ELNS1_3gpuE5ELNS1_3repE0EEENS1_30default_config_static_selectorELNS0_4arch9wavefront6targetE0EEEvST_,"axG",@progbits,_ZN7rocprim17ROCPRIM_400000_NS6detail17trampoline_kernelINS0_14default_configENS1_22reduce_config_selectorIbEEZNS1_11reduce_implILb1ES3_N6hipcub16HIPCUB_304000_NS22TransformInputIteratorIbN2at6native12_GLOBAL__N_19NonZeroOpIN3c107complexIfEEEEPKSG_lEEPiiNS8_6detail34convert_binary_result_type_wrapperINS8_3SumESK_iEEEE10hipError_tPvRmT1_T2_T3_mT4_P12ihipStream_tbEUlT_E1_NS1_11comp_targetILNS1_3genE10ELNS1_11target_archE1201ELNS1_3gpuE5ELNS1_3repE0EEENS1_30default_config_static_selectorELNS0_4arch9wavefront6targetE0EEEvST_,comdat
.Lfunc_end590:
	.size	_ZN7rocprim17ROCPRIM_400000_NS6detail17trampoline_kernelINS0_14default_configENS1_22reduce_config_selectorIbEEZNS1_11reduce_implILb1ES3_N6hipcub16HIPCUB_304000_NS22TransformInputIteratorIbN2at6native12_GLOBAL__N_19NonZeroOpIN3c107complexIfEEEEPKSG_lEEPiiNS8_6detail34convert_binary_result_type_wrapperINS8_3SumESK_iEEEE10hipError_tPvRmT1_T2_T3_mT4_P12ihipStream_tbEUlT_E1_NS1_11comp_targetILNS1_3genE10ELNS1_11target_archE1201ELNS1_3gpuE5ELNS1_3repE0EEENS1_30default_config_static_selectorELNS0_4arch9wavefront6targetE0EEEvST_, .Lfunc_end590-_ZN7rocprim17ROCPRIM_400000_NS6detail17trampoline_kernelINS0_14default_configENS1_22reduce_config_selectorIbEEZNS1_11reduce_implILb1ES3_N6hipcub16HIPCUB_304000_NS22TransformInputIteratorIbN2at6native12_GLOBAL__N_19NonZeroOpIN3c107complexIfEEEEPKSG_lEEPiiNS8_6detail34convert_binary_result_type_wrapperINS8_3SumESK_iEEEE10hipError_tPvRmT1_T2_T3_mT4_P12ihipStream_tbEUlT_E1_NS1_11comp_targetILNS1_3genE10ELNS1_11target_archE1201ELNS1_3gpuE5ELNS1_3repE0EEENS1_30default_config_static_selectorELNS0_4arch9wavefront6targetE0EEEvST_
                                        ; -- End function
	.section	.AMDGPU.csdata,"",@progbits
; Kernel info:
; codeLenInByte = 0
; NumSgprs: 0
; NumVgprs: 0
; ScratchSize: 0
; MemoryBound: 0
; FloatMode: 240
; IeeeMode: 1
; LDSByteSize: 0 bytes/workgroup (compile time only)
; SGPRBlocks: 0
; VGPRBlocks: 0
; NumSGPRsForWavesPerEU: 1
; NumVGPRsForWavesPerEU: 1
; Occupancy: 16
; WaveLimiterHint : 0
; COMPUTE_PGM_RSRC2:SCRATCH_EN: 0
; COMPUTE_PGM_RSRC2:USER_SGPR: 15
; COMPUTE_PGM_RSRC2:TRAP_HANDLER: 0
; COMPUTE_PGM_RSRC2:TGID_X_EN: 1
; COMPUTE_PGM_RSRC2:TGID_Y_EN: 0
; COMPUTE_PGM_RSRC2:TGID_Z_EN: 0
; COMPUTE_PGM_RSRC2:TIDIG_COMP_CNT: 0
	.section	.text._ZN7rocprim17ROCPRIM_400000_NS6detail17trampoline_kernelINS0_14default_configENS1_22reduce_config_selectorIbEEZNS1_11reduce_implILb1ES3_N6hipcub16HIPCUB_304000_NS22TransformInputIteratorIbN2at6native12_GLOBAL__N_19NonZeroOpIN3c107complexIfEEEEPKSG_lEEPiiNS8_6detail34convert_binary_result_type_wrapperINS8_3SumESK_iEEEE10hipError_tPvRmT1_T2_T3_mT4_P12ihipStream_tbEUlT_E1_NS1_11comp_targetILNS1_3genE10ELNS1_11target_archE1200ELNS1_3gpuE4ELNS1_3repE0EEENS1_30default_config_static_selectorELNS0_4arch9wavefront6targetE0EEEvST_,"axG",@progbits,_ZN7rocprim17ROCPRIM_400000_NS6detail17trampoline_kernelINS0_14default_configENS1_22reduce_config_selectorIbEEZNS1_11reduce_implILb1ES3_N6hipcub16HIPCUB_304000_NS22TransformInputIteratorIbN2at6native12_GLOBAL__N_19NonZeroOpIN3c107complexIfEEEEPKSG_lEEPiiNS8_6detail34convert_binary_result_type_wrapperINS8_3SumESK_iEEEE10hipError_tPvRmT1_T2_T3_mT4_P12ihipStream_tbEUlT_E1_NS1_11comp_targetILNS1_3genE10ELNS1_11target_archE1200ELNS1_3gpuE4ELNS1_3repE0EEENS1_30default_config_static_selectorELNS0_4arch9wavefront6targetE0EEEvST_,comdat
	.globl	_ZN7rocprim17ROCPRIM_400000_NS6detail17trampoline_kernelINS0_14default_configENS1_22reduce_config_selectorIbEEZNS1_11reduce_implILb1ES3_N6hipcub16HIPCUB_304000_NS22TransformInputIteratorIbN2at6native12_GLOBAL__N_19NonZeroOpIN3c107complexIfEEEEPKSG_lEEPiiNS8_6detail34convert_binary_result_type_wrapperINS8_3SumESK_iEEEE10hipError_tPvRmT1_T2_T3_mT4_P12ihipStream_tbEUlT_E1_NS1_11comp_targetILNS1_3genE10ELNS1_11target_archE1200ELNS1_3gpuE4ELNS1_3repE0EEENS1_30default_config_static_selectorELNS0_4arch9wavefront6targetE0EEEvST_ ; -- Begin function _ZN7rocprim17ROCPRIM_400000_NS6detail17trampoline_kernelINS0_14default_configENS1_22reduce_config_selectorIbEEZNS1_11reduce_implILb1ES3_N6hipcub16HIPCUB_304000_NS22TransformInputIteratorIbN2at6native12_GLOBAL__N_19NonZeroOpIN3c107complexIfEEEEPKSG_lEEPiiNS8_6detail34convert_binary_result_type_wrapperINS8_3SumESK_iEEEE10hipError_tPvRmT1_T2_T3_mT4_P12ihipStream_tbEUlT_E1_NS1_11comp_targetILNS1_3genE10ELNS1_11target_archE1200ELNS1_3gpuE4ELNS1_3repE0EEENS1_30default_config_static_selectorELNS0_4arch9wavefront6targetE0EEEvST_
	.p2align	8
	.type	_ZN7rocprim17ROCPRIM_400000_NS6detail17trampoline_kernelINS0_14default_configENS1_22reduce_config_selectorIbEEZNS1_11reduce_implILb1ES3_N6hipcub16HIPCUB_304000_NS22TransformInputIteratorIbN2at6native12_GLOBAL__N_19NonZeroOpIN3c107complexIfEEEEPKSG_lEEPiiNS8_6detail34convert_binary_result_type_wrapperINS8_3SumESK_iEEEE10hipError_tPvRmT1_T2_T3_mT4_P12ihipStream_tbEUlT_E1_NS1_11comp_targetILNS1_3genE10ELNS1_11target_archE1200ELNS1_3gpuE4ELNS1_3repE0EEENS1_30default_config_static_selectorELNS0_4arch9wavefront6targetE0EEEvST_,@function
_ZN7rocprim17ROCPRIM_400000_NS6detail17trampoline_kernelINS0_14default_configENS1_22reduce_config_selectorIbEEZNS1_11reduce_implILb1ES3_N6hipcub16HIPCUB_304000_NS22TransformInputIteratorIbN2at6native12_GLOBAL__N_19NonZeroOpIN3c107complexIfEEEEPKSG_lEEPiiNS8_6detail34convert_binary_result_type_wrapperINS8_3SumESK_iEEEE10hipError_tPvRmT1_T2_T3_mT4_P12ihipStream_tbEUlT_E1_NS1_11comp_targetILNS1_3genE10ELNS1_11target_archE1200ELNS1_3gpuE4ELNS1_3repE0EEENS1_30default_config_static_selectorELNS0_4arch9wavefront6targetE0EEEvST_: ; @_ZN7rocprim17ROCPRIM_400000_NS6detail17trampoline_kernelINS0_14default_configENS1_22reduce_config_selectorIbEEZNS1_11reduce_implILb1ES3_N6hipcub16HIPCUB_304000_NS22TransformInputIteratorIbN2at6native12_GLOBAL__N_19NonZeroOpIN3c107complexIfEEEEPKSG_lEEPiiNS8_6detail34convert_binary_result_type_wrapperINS8_3SumESK_iEEEE10hipError_tPvRmT1_T2_T3_mT4_P12ihipStream_tbEUlT_E1_NS1_11comp_targetILNS1_3genE10ELNS1_11target_archE1200ELNS1_3gpuE4ELNS1_3repE0EEENS1_30default_config_static_selectorELNS0_4arch9wavefront6targetE0EEEvST_
; %bb.0:
	.section	.rodata,"a",@progbits
	.p2align	6, 0x0
	.amdhsa_kernel _ZN7rocprim17ROCPRIM_400000_NS6detail17trampoline_kernelINS0_14default_configENS1_22reduce_config_selectorIbEEZNS1_11reduce_implILb1ES3_N6hipcub16HIPCUB_304000_NS22TransformInputIteratorIbN2at6native12_GLOBAL__N_19NonZeroOpIN3c107complexIfEEEEPKSG_lEEPiiNS8_6detail34convert_binary_result_type_wrapperINS8_3SumESK_iEEEE10hipError_tPvRmT1_T2_T3_mT4_P12ihipStream_tbEUlT_E1_NS1_11comp_targetILNS1_3genE10ELNS1_11target_archE1200ELNS1_3gpuE4ELNS1_3repE0EEENS1_30default_config_static_selectorELNS0_4arch9wavefront6targetE0EEEvST_
		.amdhsa_group_segment_fixed_size 0
		.amdhsa_private_segment_fixed_size 0
		.amdhsa_kernarg_size 48
		.amdhsa_user_sgpr_count 15
		.amdhsa_user_sgpr_dispatch_ptr 0
		.amdhsa_user_sgpr_queue_ptr 0
		.amdhsa_user_sgpr_kernarg_segment_ptr 1
		.amdhsa_user_sgpr_dispatch_id 0
		.amdhsa_user_sgpr_private_segment_size 0
		.amdhsa_wavefront_size32 1
		.amdhsa_uses_dynamic_stack 0
		.amdhsa_enable_private_segment 0
		.amdhsa_system_sgpr_workgroup_id_x 1
		.amdhsa_system_sgpr_workgroup_id_y 0
		.amdhsa_system_sgpr_workgroup_id_z 0
		.amdhsa_system_sgpr_workgroup_info 0
		.amdhsa_system_vgpr_workitem_id 0
		.amdhsa_next_free_vgpr 1
		.amdhsa_next_free_sgpr 1
		.amdhsa_reserve_vcc 0
		.amdhsa_float_round_mode_32 0
		.amdhsa_float_round_mode_16_64 0
		.amdhsa_float_denorm_mode_32 3
		.amdhsa_float_denorm_mode_16_64 3
		.amdhsa_dx10_clamp 1
		.amdhsa_ieee_mode 1
		.amdhsa_fp16_overflow 0
		.amdhsa_workgroup_processor_mode 1
		.amdhsa_memory_ordered 1
		.amdhsa_forward_progress 0
		.amdhsa_shared_vgpr_count 0
		.amdhsa_exception_fp_ieee_invalid_op 0
		.amdhsa_exception_fp_denorm_src 0
		.amdhsa_exception_fp_ieee_div_zero 0
		.amdhsa_exception_fp_ieee_overflow 0
		.amdhsa_exception_fp_ieee_underflow 0
		.amdhsa_exception_fp_ieee_inexact 0
		.amdhsa_exception_int_div_zero 0
	.end_amdhsa_kernel
	.section	.text._ZN7rocprim17ROCPRIM_400000_NS6detail17trampoline_kernelINS0_14default_configENS1_22reduce_config_selectorIbEEZNS1_11reduce_implILb1ES3_N6hipcub16HIPCUB_304000_NS22TransformInputIteratorIbN2at6native12_GLOBAL__N_19NonZeroOpIN3c107complexIfEEEEPKSG_lEEPiiNS8_6detail34convert_binary_result_type_wrapperINS8_3SumESK_iEEEE10hipError_tPvRmT1_T2_T3_mT4_P12ihipStream_tbEUlT_E1_NS1_11comp_targetILNS1_3genE10ELNS1_11target_archE1200ELNS1_3gpuE4ELNS1_3repE0EEENS1_30default_config_static_selectorELNS0_4arch9wavefront6targetE0EEEvST_,"axG",@progbits,_ZN7rocprim17ROCPRIM_400000_NS6detail17trampoline_kernelINS0_14default_configENS1_22reduce_config_selectorIbEEZNS1_11reduce_implILb1ES3_N6hipcub16HIPCUB_304000_NS22TransformInputIteratorIbN2at6native12_GLOBAL__N_19NonZeroOpIN3c107complexIfEEEEPKSG_lEEPiiNS8_6detail34convert_binary_result_type_wrapperINS8_3SumESK_iEEEE10hipError_tPvRmT1_T2_T3_mT4_P12ihipStream_tbEUlT_E1_NS1_11comp_targetILNS1_3genE10ELNS1_11target_archE1200ELNS1_3gpuE4ELNS1_3repE0EEENS1_30default_config_static_selectorELNS0_4arch9wavefront6targetE0EEEvST_,comdat
.Lfunc_end591:
	.size	_ZN7rocprim17ROCPRIM_400000_NS6detail17trampoline_kernelINS0_14default_configENS1_22reduce_config_selectorIbEEZNS1_11reduce_implILb1ES3_N6hipcub16HIPCUB_304000_NS22TransformInputIteratorIbN2at6native12_GLOBAL__N_19NonZeroOpIN3c107complexIfEEEEPKSG_lEEPiiNS8_6detail34convert_binary_result_type_wrapperINS8_3SumESK_iEEEE10hipError_tPvRmT1_T2_T3_mT4_P12ihipStream_tbEUlT_E1_NS1_11comp_targetILNS1_3genE10ELNS1_11target_archE1200ELNS1_3gpuE4ELNS1_3repE0EEENS1_30default_config_static_selectorELNS0_4arch9wavefront6targetE0EEEvST_, .Lfunc_end591-_ZN7rocprim17ROCPRIM_400000_NS6detail17trampoline_kernelINS0_14default_configENS1_22reduce_config_selectorIbEEZNS1_11reduce_implILb1ES3_N6hipcub16HIPCUB_304000_NS22TransformInputIteratorIbN2at6native12_GLOBAL__N_19NonZeroOpIN3c107complexIfEEEEPKSG_lEEPiiNS8_6detail34convert_binary_result_type_wrapperINS8_3SumESK_iEEEE10hipError_tPvRmT1_T2_T3_mT4_P12ihipStream_tbEUlT_E1_NS1_11comp_targetILNS1_3genE10ELNS1_11target_archE1200ELNS1_3gpuE4ELNS1_3repE0EEENS1_30default_config_static_selectorELNS0_4arch9wavefront6targetE0EEEvST_
                                        ; -- End function
	.section	.AMDGPU.csdata,"",@progbits
; Kernel info:
; codeLenInByte = 0
; NumSgprs: 0
; NumVgprs: 0
; ScratchSize: 0
; MemoryBound: 0
; FloatMode: 240
; IeeeMode: 1
; LDSByteSize: 0 bytes/workgroup (compile time only)
; SGPRBlocks: 0
; VGPRBlocks: 0
; NumSGPRsForWavesPerEU: 1
; NumVGPRsForWavesPerEU: 1
; Occupancy: 16
; WaveLimiterHint : 0
; COMPUTE_PGM_RSRC2:SCRATCH_EN: 0
; COMPUTE_PGM_RSRC2:USER_SGPR: 15
; COMPUTE_PGM_RSRC2:TRAP_HANDLER: 0
; COMPUTE_PGM_RSRC2:TGID_X_EN: 1
; COMPUTE_PGM_RSRC2:TGID_Y_EN: 0
; COMPUTE_PGM_RSRC2:TGID_Z_EN: 0
; COMPUTE_PGM_RSRC2:TIDIG_COMP_CNT: 0
	.section	.text._ZN7rocprim17ROCPRIM_400000_NS6detail17trampoline_kernelINS0_14default_configENS1_22reduce_config_selectorIbEEZNS1_11reduce_implILb1ES3_N6hipcub16HIPCUB_304000_NS22TransformInputIteratorIbN2at6native12_GLOBAL__N_19NonZeroOpIN3c107complexIfEEEEPKSG_lEEPiiNS8_6detail34convert_binary_result_type_wrapperINS8_3SumESK_iEEEE10hipError_tPvRmT1_T2_T3_mT4_P12ihipStream_tbEUlT_E1_NS1_11comp_targetILNS1_3genE9ELNS1_11target_archE1100ELNS1_3gpuE3ELNS1_3repE0EEENS1_30default_config_static_selectorELNS0_4arch9wavefront6targetE0EEEvST_,"axG",@progbits,_ZN7rocprim17ROCPRIM_400000_NS6detail17trampoline_kernelINS0_14default_configENS1_22reduce_config_selectorIbEEZNS1_11reduce_implILb1ES3_N6hipcub16HIPCUB_304000_NS22TransformInputIteratorIbN2at6native12_GLOBAL__N_19NonZeroOpIN3c107complexIfEEEEPKSG_lEEPiiNS8_6detail34convert_binary_result_type_wrapperINS8_3SumESK_iEEEE10hipError_tPvRmT1_T2_T3_mT4_P12ihipStream_tbEUlT_E1_NS1_11comp_targetILNS1_3genE9ELNS1_11target_archE1100ELNS1_3gpuE3ELNS1_3repE0EEENS1_30default_config_static_selectorELNS0_4arch9wavefront6targetE0EEEvST_,comdat
	.globl	_ZN7rocprim17ROCPRIM_400000_NS6detail17trampoline_kernelINS0_14default_configENS1_22reduce_config_selectorIbEEZNS1_11reduce_implILb1ES3_N6hipcub16HIPCUB_304000_NS22TransformInputIteratorIbN2at6native12_GLOBAL__N_19NonZeroOpIN3c107complexIfEEEEPKSG_lEEPiiNS8_6detail34convert_binary_result_type_wrapperINS8_3SumESK_iEEEE10hipError_tPvRmT1_T2_T3_mT4_P12ihipStream_tbEUlT_E1_NS1_11comp_targetILNS1_3genE9ELNS1_11target_archE1100ELNS1_3gpuE3ELNS1_3repE0EEENS1_30default_config_static_selectorELNS0_4arch9wavefront6targetE0EEEvST_ ; -- Begin function _ZN7rocprim17ROCPRIM_400000_NS6detail17trampoline_kernelINS0_14default_configENS1_22reduce_config_selectorIbEEZNS1_11reduce_implILb1ES3_N6hipcub16HIPCUB_304000_NS22TransformInputIteratorIbN2at6native12_GLOBAL__N_19NonZeroOpIN3c107complexIfEEEEPKSG_lEEPiiNS8_6detail34convert_binary_result_type_wrapperINS8_3SumESK_iEEEE10hipError_tPvRmT1_T2_T3_mT4_P12ihipStream_tbEUlT_E1_NS1_11comp_targetILNS1_3genE9ELNS1_11target_archE1100ELNS1_3gpuE3ELNS1_3repE0EEENS1_30default_config_static_selectorELNS0_4arch9wavefront6targetE0EEEvST_
	.p2align	8
	.type	_ZN7rocprim17ROCPRIM_400000_NS6detail17trampoline_kernelINS0_14default_configENS1_22reduce_config_selectorIbEEZNS1_11reduce_implILb1ES3_N6hipcub16HIPCUB_304000_NS22TransformInputIteratorIbN2at6native12_GLOBAL__N_19NonZeroOpIN3c107complexIfEEEEPKSG_lEEPiiNS8_6detail34convert_binary_result_type_wrapperINS8_3SumESK_iEEEE10hipError_tPvRmT1_T2_T3_mT4_P12ihipStream_tbEUlT_E1_NS1_11comp_targetILNS1_3genE9ELNS1_11target_archE1100ELNS1_3gpuE3ELNS1_3repE0EEENS1_30default_config_static_selectorELNS0_4arch9wavefront6targetE0EEEvST_,@function
_ZN7rocprim17ROCPRIM_400000_NS6detail17trampoline_kernelINS0_14default_configENS1_22reduce_config_selectorIbEEZNS1_11reduce_implILb1ES3_N6hipcub16HIPCUB_304000_NS22TransformInputIteratorIbN2at6native12_GLOBAL__N_19NonZeroOpIN3c107complexIfEEEEPKSG_lEEPiiNS8_6detail34convert_binary_result_type_wrapperINS8_3SumESK_iEEEE10hipError_tPvRmT1_T2_T3_mT4_P12ihipStream_tbEUlT_E1_NS1_11comp_targetILNS1_3genE9ELNS1_11target_archE1100ELNS1_3gpuE3ELNS1_3repE0EEENS1_30default_config_static_selectorELNS0_4arch9wavefront6targetE0EEEvST_: ; @_ZN7rocprim17ROCPRIM_400000_NS6detail17trampoline_kernelINS0_14default_configENS1_22reduce_config_selectorIbEEZNS1_11reduce_implILb1ES3_N6hipcub16HIPCUB_304000_NS22TransformInputIteratorIbN2at6native12_GLOBAL__N_19NonZeroOpIN3c107complexIfEEEEPKSG_lEEPiiNS8_6detail34convert_binary_result_type_wrapperINS8_3SumESK_iEEEE10hipError_tPvRmT1_T2_T3_mT4_P12ihipStream_tbEUlT_E1_NS1_11comp_targetILNS1_3genE9ELNS1_11target_archE1100ELNS1_3gpuE3ELNS1_3repE0EEENS1_30default_config_static_selectorELNS0_4arch9wavefront6targetE0EEEvST_
; %bb.0:
	s_clause 0x2
	s_load_b32 s104, s[0:1], 0x4
	s_load_b64 s[92:93], s[0:1], 0x8
	s_load_b128 s[96:99], s[0:1], 0x18
	s_mov_b32 s94, s15
	s_waitcnt lgkmcnt(0)
	s_cmp_lt_i32 s104, 16
	s_cbranch_scc1 .LBB592_12
; %bb.1:
	s_cmp_gt_i32 s104, 63
	s_cbranch_scc0 .LBB592_13
; %bb.2:
	s_cmpk_gt_i32 s104, 0x7f
	s_cbranch_scc0 .LBB592_22
; %bb.3:
	s_cmpk_eq_i32 s104, 0x80
	s_mov_b32 vcc_hi, 0
	s_cbranch_scc0 .LBB592_23
; %bb.4:
	s_mov_b32 s95, 0
	s_lshl_b32 s100, s94, 14
	s_mov_b32 s101, s95
	s_lshr_b64 s[4:5], s[96:97], 14
	s_lshl_b64 s[2:3], s[100:101], 3
	s_delay_alu instid0(SALU_CYCLE_1)
	s_add_u32 s102, s92, s2
	s_addc_u32 s103, s93, s3
	s_cmp_lg_u64 s[4:5], s[94:95]
	s_cbranch_scc0 .LBB592_34
; %bb.5:
	v_lshlrev_b32_e32 v3, 3, v0
	s_clause 0x1
	global_load_b64 v[1:2], v3, s[102:103]
	global_load_b64 v[7:8], v3, s[102:103] offset:1024
	v_add_co_u32 v131, s2, s102, v3
	s_delay_alu instid0(VALU_DEP_1) | instskip(NEXT) | instid1(VALU_DEP_2)
	v_add_co_ci_u32_e64 v132, null, s103, 0, s2
	v_add_co_u32 v13, vcc_lo, v131, 0x2000
	s_delay_alu instid0(VALU_DEP_2)
	v_add_co_ci_u32_e32 v14, vcc_lo, 0, v132, vcc_lo
	s_clause 0x2
	global_load_b64 v[21:22], v3, s[102:103] offset:2048
	global_load_b64 v[19:20], v3, s[102:103] offset:3072
	global_load_b64 v[3:4], v[13:14], off offset:-4096
	v_add_co_u32 v11, vcc_lo, 0x1000, v131
	v_add_co_ci_u32_e32 v12, vcc_lo, 0, v132, vcc_lo
	s_clause 0x3
	global_load_b64 v[5:6], v[11:12], off offset:1024
	global_load_b64 v[9:10], v[11:12], off offset:2048
	;; [unrolled: 1-line block ×3, first 2 shown]
	global_load_b64 v[13:14], v[13:14], off
	v_add_co_u32 v23, vcc_lo, 0x2000, v131
	v_add_co_ci_u32_e32 v24, vcc_lo, 0, v132, vcc_lo
	v_add_co_u32 v33, vcc_lo, v131, 0x4000
	s_clause 0x1
	global_load_b64 v[15:16], v[23:24], off offset:1024
	global_load_b64 v[17:18], v[23:24], off offset:2048
	v_add_co_ci_u32_e32 v34, vcc_lo, 0, v132, vcc_lo
	v_add_co_u32 v31, vcc_lo, 0x3000, v131
	s_clause 0x1
	global_load_b64 v[25:26], v[23:24], off offset:3072
	global_load_b64 v[23:24], v[33:34], off offset:-4096
	v_add_co_ci_u32_e32 v32, vcc_lo, 0, v132, vcc_lo
	s_clause 0x2
	global_load_b64 v[27:28], v[31:32], off offset:1024
	global_load_b64 v[29:30], v[31:32], off offset:2048
	;; [unrolled: 1-line block ×3, first 2 shown]
	v_add_co_u32 v39, vcc_lo, 0x4000, v131
	v_add_co_ci_u32_e32 v40, vcc_lo, 0, v132, vcc_lo
	s_clause 0x2
	global_load_b64 v[33:34], v[33:34], off
	global_load_b64 v[35:36], v[39:40], off offset:1024
	global_load_b64 v[37:38], v[39:40], off offset:2048
	v_add_co_u32 v49, vcc_lo, v131, 0x6000
	v_add_co_ci_u32_e32 v50, vcc_lo, 0, v132, vcc_lo
	s_clause 0x1
	global_load_b64 v[39:40], v[39:40], off offset:3072
	global_load_b64 v[41:42], v[49:50], off offset:-4096
	v_add_co_u32 v45, vcc_lo, 0x5000, v131
	v_add_co_ci_u32_e32 v46, vcc_lo, 0, v132, vcc_lo
	s_clause 0x2
	global_load_b64 v[43:44], v[45:46], off offset:1024
	global_load_b64 v[47:48], v[45:46], off offset:2048
	;; [unrolled: 1-line block ×3, first 2 shown]
	v_add_co_u32 v55, vcc_lo, 0x6000, v131
	v_add_co_ci_u32_e32 v56, vcc_lo, 0, v132, vcc_lo
	s_clause 0x2
	global_load_b64 v[49:50], v[49:50], off
	global_load_b64 v[51:52], v[55:56], off offset:1024
	global_load_b64 v[53:54], v[55:56], off offset:2048
	v_add_co_u32 v65, vcc_lo, v131, 0x8000
	v_add_co_ci_u32_e32 v66, vcc_lo, 0, v132, vcc_lo
	s_clause 0x1
	global_load_b64 v[55:56], v[55:56], off offset:3072
	global_load_b64 v[57:58], v[65:66], off offset:-4096
	v_add_co_u32 v61, vcc_lo, 0x7000, v131
	v_add_co_ci_u32_e32 v62, vcc_lo, 0, v132, vcc_lo
	s_clause 0x3
	global_load_b64 v[59:60], v[61:62], off offset:1024
	global_load_b64 v[63:64], v[61:62], off offset:2048
	;; [unrolled: 1-line block ×3, first 2 shown]
	global_load_b64 v[65:66], v[65:66], off
	v_add_co_u32 v67, vcc_lo, 0x8000, v131
	v_add_co_ci_u32_e32 v68, vcc_lo, 0, v132, vcc_lo
	v_add_co_u32 v75, vcc_lo, v131, 0xa000
	v_add_co_ci_u32_e32 v76, vcc_lo, 0, v132, vcc_lo
	s_clause 0x1
	global_load_b64 v[81:82], v[67:68], off offset:1024
	global_load_b64 v[71:72], v[67:68], off offset:2048
	v_add_co_u32 v69, vcc_lo, 0x9000, v131
	v_add_co_ci_u32_e32 v70, vcc_lo, 0, v132, vcc_lo
	s_clause 0x5
	global_load_b64 v[73:74], v[67:68], off offset:3072
	global_load_b64 v[77:78], v[75:76], off offset:-4096
	global_load_b64 v[83:84], v[69:70], off offset:1024
	global_load_b64 v[67:68], v[69:70], off offset:2048
	;; [unrolled: 1-line block ×3, first 2 shown]
	global_load_b64 v[79:80], v[75:76], off
	v_add_co_u32 v85, vcc_lo, 0xa000, v131
	v_add_co_ci_u32_e32 v86, vcc_lo, 0, v132, vcc_lo
	v_add_co_u32 v97, vcc_lo, v131, 0xc000
	v_add_co_ci_u32_e32 v98, vcc_lo, 0, v132, vcc_lo
	global_load_b64 v[75:76], v[85:86], off offset:1024
	v_add_co_u32 v87, vcc_lo, 0xb000, v131
	v_add_co_ci_u32_e32 v88, vcc_lo, 0, v132, vcc_lo
	s_clause 0x5
	global_load_b64 v[95:96], v[85:86], off offset:2048
	global_load_b64 v[91:92], v[85:86], off offset:3072
	global_load_b64 v[89:90], v[97:98], off offset:-4096
	global_load_b64 v[93:94], v[87:88], off offset:1024
	global_load_b64 v[85:86], v[87:88], off offset:2048
	;; [unrolled: 1-line block ×3, first 2 shown]
	v_add_co_u32 v103, vcc_lo, 0xc000, v131
	v_add_co_ci_u32_e32 v104, vcc_lo, 0, v132, vcc_lo
	v_add_co_u32 v113, vcc_lo, v131, 0xe000
	v_add_co_ci_u32_e32 v114, vcc_lo, 0, v132, vcc_lo
	;; [unrolled: 2-line block ×4, first 2 shown]
	s_clause 0x4
	global_load_b64 v[97:98], v[97:98], off
	global_load_b64 v[101:102], v[103:104], off offset:1024
	global_load_b64 v[99:100], v[103:104], off offset:2048
	;; [unrolled: 1-line block ×3, first 2 shown]
	global_load_b64 v[109:110], v[113:114], off offset:-4096
	v_add_co_u32 v129, vcc_lo, v131, 0x10000
	v_add_co_ci_u32_e32 v130, vcc_lo, 0, v132, vcc_lo
	v_add_co_u32 v125, vcc_lo, 0xf000, v131
	v_add_co_ci_u32_e32 v126, vcc_lo, 0, v132, vcc_lo
	v_add_co_u32 v133, vcc_lo, 0x10000, v131
	s_clause 0x3
	global_load_b64 v[105:106], v[111:112], off offset:1024
	global_load_b64 v[107:108], v[111:112], off offset:2048
	;; [unrolled: 1-line block ×3, first 2 shown]
	global_load_b64 v[115:116], v[113:114], off
	v_add_co_ci_u32_e32 v134, vcc_lo, 0, v132, vcc_lo
	v_add_co_u32 v135, vcc_lo, v131, 0x12000
	v_add_co_ci_u32_e32 v136, vcc_lo, 0, v132, vcc_lo
	s_clause 0x1
	global_load_b64 v[117:118], v[119:120], off offset:1024
	global_load_b64 v[113:114], v[119:120], off offset:2048
	v_add_co_u32 v137, vcc_lo, 0x1f000, v131
	v_add_co_ci_u32_e32 v138, vcc_lo, 0, v132, vcc_lo
	s_clause 0x5
	global_load_b64 v[119:120], v[119:120], off offset:3072
	global_load_b64 v[121:122], v[129:130], off offset:-4096
	global_load_b64 v[123:124], v[125:126], off offset:1024
	global_load_b64 v[127:128], v[125:126], off offset:2048
	;; [unrolled: 1-line block ×3, first 2 shown]
	global_load_b64 v[129:130], v[129:130], off
	s_waitcnt vmcnt(62)
	v_cmp_neq_f32_e64 s34, 0, v1
	v_cmp_neq_f32_e32 vcc_lo, 0, v7
	v_cmp_neq_f32_e64 s2, 0, v8
	s_clause 0x2
	global_load_b64 v[7:8], v[133:134], off offset:1024
	global_load_b64 v[139:140], v[133:134], off offset:2048
	;; [unrolled: 1-line block ×3, first 2 shown]
	v_cmp_neq_f32_e64 s35, 0, v2
	global_load_b64 v[1:2], v[137:138], off offset:3072
	s_or_b32 vcc_lo, vcc_lo, s2
	s_or_b32 s34, s34, s35
	v_cmp_neq_f32_e64 s36, 0, v21
	v_cmp_neq_f32_e64 s37, 0, v22
	s_waitcnt vmcnt(62)
	v_cmp_neq_f32_e64 s40, 0, v3
	v_add_co_u32 v3, s5, 0x11000, v131
	v_cmp_neq_f32_e64 s41, 0, v4
	v_add_co_ci_u32_e64 v4, s5, 0, v132, s5
	global_load_b64 v[21:22], v[135:136], off offset:-4096
	v_cmp_neq_f32_e64 s5, 0, v5
	v_cmp_neq_f32_e64 s6, 0, v6
	global_load_b64 v[5:6], v[3:4], off offset:1024
	v_cmp_neq_f32_e64 s42, 0, v9
	v_cmp_neq_f32_e64 s43, 0, v10
	global_load_b64 v[9:10], v[3:4], off offset:2048
	v_cmp_neq_f32_e64 s3, 0, v19
	v_cmp_neq_f32_e64 s4, 0, v20
	s_clause 0x1
	global_load_b64 v[19:20], v[135:136], off
	global_load_b64 v[3:4], v[3:4], off offset:3072
	s_waitcnt vmcnt(62)
	v_cmp_neq_f32_e64 s7, 0, v11
	v_add_co_u32 v11, s9, 0x12000, v131
	v_cmp_neq_f32_e64 s8, 0, v12
	v_add_co_ci_u32_e64 v12, s9, 0, v132, s9
	v_cmp_neq_f32_e64 s46, 0, v17
	v_add_co_u32 v17, s11, v131, 0x14000
	v_cmp_neq_f32_e64 s44, 0, v13
	v_add_co_u32 v13, s9, 0x13000, v131
	v_cmp_neq_f32_e64 s47, 0, v18
	v_add_co_ci_u32_e64 v18, s11, 0, v132, s11
	v_cmp_neq_f32_e64 s45, 0, v14
	v_add_co_ci_u32_e64 v14, s9, 0, v132, s9
	v_cmp_neq_f32_e64 s9, 0, v15
	v_cmp_neq_f32_e64 s10, 0, v16
	global_load_b64 v[15:16], v[11:12], off offset:1024
	v_cmp_neq_f32_e64 s11, 0, v25
	v_cmp_neq_f32_e64 s12, 0, v26
	s_clause 0x1
	global_load_b64 v[25:26], v[11:12], off offset:2048
	global_load_b64 v[11:12], v[11:12], off offset:3072
	s_waitcnt vmcnt(62)
	v_cmp_neq_f32_e64 s48, 0, v23
	v_add_co_u32 v23, s13, 0x14000, v131
	v_cmp_neq_f32_e64 s49, 0, v24
	v_add_co_ci_u32_e64 v24, s13, 0, v132, s13
	v_cmp_neq_f32_e64 s13, 0, v27
	v_cmp_neq_f32_e64 s14, 0, v28
	global_load_b64 v[27:28], v[17:18], off offset:-4096
	v_cmp_neq_f32_e64 s50, 0, v29
	v_cmp_neq_f32_e64 s51, 0, v30
	s_waitcnt vmcnt(62)
	v_cmp_neq_f32_e64 s15, 0, v31
	v_cmp_neq_f32_e64 s16, 0, v32
	s_clause 0x2
	global_load_b64 v[29:30], v[13:14], off offset:1024
	global_load_b64 v[31:32], v[13:14], off offset:2048
	global_load_b64 v[17:18], v[17:18], off
	s_waitcnt vmcnt(62)
	v_cmp_neq_f32_e64 s52, 0, v33
	v_add_co_u32 v33, s17, v131, 0x16000
	v_cmp_neq_f32_e64 s53, 0, v34
	v_add_co_ci_u32_e64 v34, s17, 0, v132, s17
	v_cmp_neq_f32_e64 s17, 0, v35
	v_cmp_neq_f32_e64 s18, 0, v36
	;; [unrolled: 1-line block ×4, first 2 shown]
	s_clause 0x2
	global_load_b64 v[13:14], v[13:14], off offset:3072
	global_load_b64 v[35:36], v[23:24], off offset:1024
	;; [unrolled: 1-line block ×3, first 2 shown]
	s_waitcnt vmcnt(62)
	v_cmp_neq_f32_e64 s19, 0, v39
	v_cmp_neq_f32_e64 s20, 0, v40
	s_clause 0x1
	global_load_b64 v[39:40], v[33:34], off offset:-4096
	global_load_b64 v[23:24], v[23:24], off offset:3072
	v_cmp_neq_f32_e64 s56, 0, v41
	v_add_co_u32 v41, s21, 0x15000, v131
	v_cmp_neq_f32_e64 s57, 0, v42
	v_add_co_ci_u32_e64 v42, s21, 0, v132, s21
	v_cmp_neq_f32_e64 s21, 0, v43
	v_cmp_neq_f32_e64 s22, 0, v44
	s_waitcnt vmcnt(62)
	v_cmp_neq_f32_e64 s58, 0, v47
	v_cmp_neq_f32_e64 s59, 0, v48
	s_clause 0x3
	global_load_b64 v[43:44], v[41:42], off offset:1024
	global_load_b64 v[47:48], v[41:42], off offset:2048
	;; [unrolled: 1-line block ×3, first 2 shown]
	global_load_b64 v[33:34], v[33:34], off
	v_cmp_neq_f32_e64 s23, 0, v45
	v_add_co_u32 v45, s25, 0x16000, v131
	v_cmp_neq_f32_e64 s24, 0, v46
	v_add_co_ci_u32_e64 v46, s25, 0, v132, s25
	s_waitcnt vmcnt(62)
	v_cmp_neq_f32_e64 s60, 0, v49
	v_cmp_neq_f32_e64 s61, 0, v50
	;; [unrolled: 1-line block ×3, first 2 shown]
	global_load_b64 v[49:50], v[45:46], off offset:1024
	v_cmp_neq_f32_e64 s26, 0, v52
	global_load_b64 v[51:52], v[45:46], off offset:2048
	v_cmp_neq_f32_e64 s62, 0, v53
	v_add_co_u32 v53, s27, v131, 0x18000
	v_cmp_neq_f32_e64 s63, 0, v54
	v_add_co_ci_u32_e64 v54, s27, 0, v132, s27
	v_cmp_neq_f32_e64 s27, 0, v55
	v_cmp_neq_f32_e64 s28, 0, v56
	s_waitcnt vmcnt(62)
	v_cmp_neq_f32_e64 s64, 0, v57
	global_load_b64 v[55:56], v[53:54], off offset:-4096
	v_add_co_u32 v57, s29, 0x17000, v131
	v_cmp_neq_f32_e64 s65, 0, v58
	v_add_co_ci_u32_e64 v58, s29, 0, v132, s29
	global_load_b64 v[45:46], v[45:46], off offset:3072
	v_cmp_neq_f32_e64 s29, 0, v59
	v_cmp_neq_f32_e64 s30, 0, v60
	s_waitcnt vmcnt(62)
	v_cmp_neq_f32_e64 s66, 0, v63
	v_cmp_neq_f32_e64 s67, 0, v64
	s_clause 0x1
	global_load_b64 v[59:60], v[57:58], off offset:1024
	global_load_b64 v[63:64], v[57:58], off offset:2048
	s_waitcnt vmcnt(62)
	v_cmp_neq_f32_e64 s68, 0, v65
	v_cmp_neq_f32_e64 s69, 0, v66
	s_clause 0x2
	global_load_b64 v[65:66], v[137:138], off offset:2048
	global_load_b64 v[57:58], v[57:58], off offset:3072
	global_load_b64 v[53:54], v[53:54], off
	v_cmp_neq_f32_e64 s31, 0, v61
	v_add_co_u32 v61, s38, 0x18000, v131
	v_cmp_neq_f32_e64 s33, 0, v62
	v_add_co_ci_u32_e64 v62, s38, 0, v132, s38
	s_or_b32 s36, s36, s37
	s_waitcnt vmcnt(62)
	v_cmp_neq_f32_e64 s70, 0, v71
	v_cndmask_b32_e64 v136, 0, 1, s36
	v_cmp_neq_f32_e64 s71, 0, v72
	v_cmp_neq_f32_e64 s36, 0, v73
	;; [unrolled: 1-line block ×3, first 2 shown]
	s_clause 0x1
	global_load_b64 v[71:72], v[61:62], off offset:1024
	global_load_b64 v[73:74], v[61:62], off offset:2048
	s_or_b32 s40, s40, s41
	s_waitcnt vmcnt(62)
	v_cmp_neq_f32_e64 s74, 0, v67
	v_cndmask_b32_e64 v141, 0, 1, s40
	s_or_b32 s40, s42, s43
	v_add_co_u32 v67, s41, v131, 0x1a000
	v_cndmask_b32_e64 v142, 0, 1, s40
	s_or_b32 s40, s44, s45
	v_cmp_neq_f32_e64 s75, 0, v68
	v_cndmask_b32_e64 v143, 0, 1, s40
	s_or_b32 s40, s46, s47
	v_add_co_ci_u32_e64 v68, s41, 0, v132, s41
	v_cndmask_b32_e64 v144, 0, 1, s40
	s_or_b32 s40, s48, s49
	s_waitcnt vmcnt(61)
	v_cmp_neq_f32_e64 s41, 0, v70
	v_cndmask_b32_e64 v145, 0, 1, s40
	v_cmp_neq_f32_e64 s40, 0, v69
	s_clause 0x1
	global_load_b64 v[61:62], v[61:62], off offset:3072
	global_load_b64 v[69:70], v[67:68], off offset:-4096
	s_or_b32 s42, s50, s51
	s_waitcnt vmcnt(61)
	v_cmp_neq_f32_e64 s43, 0, v76
	v_cndmask_b32_e64 v146, 0, 1, s42
	s_or_b32 s42, s52, s53
	v_cmp_neq_f32_e64 s72, 0, v77
	v_cndmask_b32_e64 v147, 0, 1, s42
	v_cmp_neq_f32_e64 s42, 0, v75
	v_add_co_u32 v75, s44, 0x19000, v131
	s_delay_alu instid0(VALU_DEP_1)
	v_add_co_ci_u32_e64 v76, s44, 0, v132, s44
	v_cmp_neq_f32_e64 s73, 0, v78
	v_cmp_neq_f32_e64 s76, 0, v79
	;; [unrolled: 1-line block ×3, first 2 shown]
	s_clause 0x3
	global_load_b64 v[77:78], v[75:76], off offset:1024
	global_load_b64 v[79:80], v[75:76], off offset:2048
	;; [unrolled: 1-line block ×3, first 2 shown]
	global_load_b64 v[67:68], v[67:68], off
	v_cndmask_b32_e64 v135, 0, 1, s34
	v_cmp_neq_f32_e64 s34, 0, v81
	v_add_co_u32 v81, s50, 0x1a000, v131
	v_cmp_neq_f32_e64 s35, 0, v82
	v_add_co_ci_u32_e64 v82, s50, 0, v132, s50
	v_cmp_neq_f32_e64 s37, 0, v83
	v_cmp_neq_f32_e64 s39, 0, v84
	s_waitcnt vmcnt(60)
	v_cmp_neq_f32_e64 s82, 0, v85
	v_cmp_neq_f32_e64 s83, 0, v86
	s_clause 0x1
	global_load_b64 v[83:84], v[81:82], off offset:1024
	global_load_b64 v[85:86], v[81:82], off offset:2048
	s_or_b32 s48, s58, s59
	s_waitcnt vmcnt(61)
	v_cmp_neq_f32_e64 s49, 0, v88
	v_cndmask_b32_e64 v150, 0, 1, s48
	s_or_b32 s48, s60, s61
	v_cmp_neq_f32_e64 s80, 0, v89
	v_cndmask_b32_e64 v151, 0, 1, s48
	s_or_b32 s48, s62, s63
	v_cmp_neq_f32_e64 s81, 0, v90
	v_cndmask_b32_e64 v152, 0, 1, s48
	v_cmp_neq_f32_e64 s48, 0, v87
	v_add_co_u32 v87, s53, v131, 0x1c000
	s_delay_alu instid0(VALU_DEP_1)
	v_add_co_ci_u32_e64 v88, s53, 0, v132, s53
	s_clause 0x1
	global_load_b64 v[81:82], v[81:82], off offset:3072
	global_load_b64 v[89:90], v[87:88], off offset:-4096
	s_or_b32 s46, s54, s55
	v_cmp_neq_f32_e64 s44, 0, v91
	v_cndmask_b32_e64 v148, 0, 1, s46
	s_or_b32 s46, s56, s57
	v_add_co_u32 v91, s56, 0x1b000, v131
	v_cmp_neq_f32_e64 s45, 0, v92
	v_add_co_ci_u32_e64 v92, s56, 0, v132, s56
	v_cmp_neq_f32_e64 s78, 0, v95
	v_cmp_neq_f32_e64 s79, 0, v96
	v_cndmask_b32_e64 v149, 0, 1, s46
	v_cmp_neq_f32_e64 s46, 0, v93
	v_cmp_neq_f32_e64 s47, 0, v94
	s_clause 0x3
	global_load_b64 v[93:94], v[91:92], off offset:1024
	global_load_b64 v[95:96], v[91:92], off offset:2048
	;; [unrolled: 1-line block ×3, first 2 shown]
	global_load_b64 v[87:88], v[87:88], off
	s_or_b32 s52, s64, s65
	s_waitcnt vmcnt(62)
	v_cmp_neq_f32_e64 s84, 0, v97
	v_add_co_u32 v97, s62, 0x1c000, v131
	v_cndmask_b32_e64 v153, 0, 1, s52
	v_cmp_neq_f32_e64 s52, 0, v103
	v_add_co_u32 v103, s65, v131, 0x1e000
	v_cmp_neq_f32_e64 s85, 0, v98
	v_add_co_ci_u32_e64 v98, s62, 0, v132, s62
	v_cmp_neq_f32_e64 s53, 0, v104
	s_or_b32 s54, s66, s67
	v_add_co_ci_u32_e64 v104, s65, 0, v132, s65
	v_cndmask_b32_e64 v154, 0, 1, s54
	s_or_b32 s54, s68, s69
	v_cmp_neq_f32_e64 s50, 0, v101
	v_cmp_neq_f32_e64 s51, 0, v102
	;; [unrolled: 1-line block ×4, first 2 shown]
	v_cndmask_b32_e64 v155, 0, 1, s54
	s_waitcnt vmcnt(61)
	v_cmp_neq_f32_e64 s54, 0, v105
	v_cmp_neq_f32_e64 s55, 0, v106
	s_clause 0x3
	global_load_b64 v[99:100], v[97:98], off offset:1024
	global_load_b64 v[101:102], v[97:98], off offset:2048
	;; [unrolled: 1-line block ×3, first 2 shown]
	global_load_b64 v[105:106], v[103:104], off offset:-4096
	s_or_b32 s58, s70, s71
	s_waitcnt vmcnt(62)
	v_cmp_neq_f32_e64 s56, 0, v111
	v_cndmask_b32_e64 v111, 0, 1, s58
	s_or_b32 s58, s72, s73
	s_or_b32 s66, s82, s83
	v_cmp_neq_f32_e64 s57, 0, v112
	v_cndmask_b32_e64 v112, 0, 1, s58
	s_waitcnt vmcnt(61)
	v_cmp_neq_f32_e64 s58, 0, v117
	v_cndmask_b32_e64 v117, 0, 1, s66
	s_or_b32 s66, s84, s85
	v_cmp_neq_f32_e64 s59, 0, v118
	v_cndmask_b32_e64 v118, 0, 1, s66
	v_cmp_neq_f32_e64 s88, 0, v109
	v_cmp_neq_f32_e64 s89, 0, v110
	;; [unrolled: 1-line block ×4, first 2 shown]
	s_or_b32 s70, s86, s87
	s_or_b32 s60, s74, s75
	v_cmp_neq_f32_e64 s92, 0, v115
	v_cmp_neq_f32_e64 s93, 0, v116
	s_waitcnt vmcnt(60)
	v_cmp_neq_f32_e64 s72, 0, v113
	v_cmp_neq_f32_e64 s73, 0, v114
	v_cndmask_b32_e64 v115, 0, 1, s60
	s_or_b32 s60, s76, s77
	s_or_b32 s84, s90, s91
	v_cndmask_b32_e64 v116, 0, 1, s60
	s_or_b32 s60, s78, s79
	s_or_b32 s72, s72, s73
	v_cndmask_b32_e64 v113, 0, 1, s60
	s_waitcnt vmcnt(59)
	v_cmp_neq_f32_e64 s60, 0, v119
	v_cndmask_b32_e64 v119, 0, 1, s84
	s_or_b32 s84, s92, s93
	v_cmp_neq_f32_e64 s61, 0, v120
	s_waitcnt vmcnt(58)
	v_cmp_neq_f32_e64 s74, 0, v121
	v_cmp_neq_f32_e64 s75, 0, v122
	v_cndmask_b32_e64 v120, 0, 1, s84
	s_waitcnt vmcnt(56)
	v_cmp_neq_f32_e64 s76, 0, v127
	v_cmp_neq_f32_e64 s77, 0, v128
	s_or_b32 s64, s80, s81
	s_waitcnt vmcnt(54)
	v_cmp_neq_f32_e64 s78, 0, v129
	v_cmp_neq_f32_e64 s79, 0, v130
	v_cndmask_b32_e64 v114, 0, 1, s64
	s_or_b32 s76, s76, s77
	v_cmp_neq_f32_e64 s62, 0, v123
	v_cndmask_b32_e64 v121, 0, 1, s76
	s_or_b32 s76, s78, s79
	v_cmp_neq_f32_e64 s63, 0, v124
	v_cndmask_b32_e64 v122, 0, 1, s76
	v_cmp_neq_f32_e64 s64, 0, v125
	v_cmp_neq_f32_e64 s65, 0, v126
	s_waitcnt vmcnt(53)
	v_cmp_neq_f32_e64 s66, 0, v7
	v_add_co_u32 v7, s68, 0x1d000, v131
	v_cmp_neq_f32_e64 s67, 0, v8
	v_add_co_ci_u32_e64 v8, s68, 0, v132, s68
	s_clause 0x1
	global_load_b64 v[107:108], v[7:8], off offset:1024
	global_load_b64 v[109:110], v[7:8], off offset:2048
	s_waitcnt vmcnt(54)
	v_cmp_neq_f32_e64 s80, 0, v139
	v_cmp_neq_f32_e64 s81, 0, v140
	s_waitcnt vmcnt(53)
	v_cmp_neq_f32_e64 s68, 0, v133
	v_cmp_neq_f32_e64 s69, 0, v134
	s_delay_alu instid0(VALU_DEP_3)
	s_or_b32 s78, s80, s81
	s_waitcnt vmcnt(51)
	v_cmp_neq_f32_e64 s82, 0, v21
	v_cndmask_b32_e64 v21, 0, 1, s70
	s_or_b32 s70, s88, s89
	v_cmp_neq_f32_e64 s83, 0, v22
	v_cndmask_b32_e64 v22, 0, 1, s70
	s_waitcnt vmcnt(50)
	v_cmp_neq_f32_e64 s70, 0, v5
	v_cmp_neq_f32_e64 s71, 0, v6
	s_clause 0x1
	global_load_b64 v[5:6], v[7:8], off offset:3072
	global_load_b64 v[7:8], v[103:104], off
	s_waitcnt vmcnt(51)
	v_cmp_neq_f32_e64 s84, 0, v9
	v_cndmask_b32_e64 v103, 0, 1, s72
	v_add_co_u32 v9, s72, 0x1e000, v131
	v_cmp_neq_f32_e64 s85, 0, v10
	v_add_co_ci_u32_e64 v10, s72, 0, v132, s72
	s_or_b32 s72, s74, s75
	s_waitcnt vmcnt(49)
	v_cmp_neq_f32_e64 s73, 0, v4
	v_cndmask_b32_e64 v104, 0, 1, s72
	v_cmp_neq_f32_e64 s72, 0, v3
	v_cmp_neq_f32_e64 s74, 0, v19
	;; [unrolled: 1-line block ×3, first 2 shown]
	s_clause 0x1
	global_load_b64 v[3:4], v[9:10], off offset:1024
	global_load_b64 v[19:20], v[9:10], off offset:2048
	s_or_b32 s80, s82, s83
	s_or_b32 s82, s84, s85
	;; [unrolled: 1-line block ×3, first 2 shown]
	s_waitcnt vmcnt(50)
	v_cmp_neq_f32_e64 s86, 0, v15
	v_cmp_neq_f32_e64 s87, 0, v16
	s_waitcnt vmcnt(49)
	v_cmp_neq_f32_e64 s76, 0, v25
	v_cndmask_b32_e64 v25, 0, 1, s78
	s_waitcnt vmcnt(48)
	v_cmp_neq_f32_e64 s78, 0, v11
	v_cmp_neq_f32_e64 s79, 0, v12
	s_clause 0x1
	global_load_b64 v[9:10], v[9:10], off offset:3072
	global_load_b64 v[11:12], v[137:138], off
	v_cmp_neq_f32_e64 s77, 0, v26
	v_cndmask_b32_e64 v26, 0, 1, s80
	global_load_b64 v[15:16], v[137:138], off offset:1024
	s_waitcnt vmcnt(50)
	v_cmp_neq_f32_e64 s80, 0, v27
	v_cmp_neq_f32_e64 s81, 0, v28
	s_or_b32 s76, s76, s77
	v_cndmask_b32_e64 v28, 0, 1, s74
	s_waitcnt vmcnt(49)
	v_cmp_neq_f32_e64 s77, 0, v30
	s_waitcnt vmcnt(48)
	v_cmp_neq_f32_e64 s74, 0, v31
	v_cmp_neq_f32_e64 s75, 0, v32
	v_cndmask_b32_e64 v31, 0, 1, s76
	s_or_b32 s76, s80, s81
	s_waitcnt vmcnt(47)
	v_cmp_neq_f32_e64 s80, 0, v17
	v_cmp_neq_f32_e64 s81, 0, v18
	s_or_b32 s74, s74, s75
	v_cndmask_b32_e64 v32, 0, 1, s76
	v_cndmask_b32_e64 v17, 0, 1, s74
	v_cmp_neq_f32_e64 s76, 0, v29
	s_or_b32 s80, s80, s81
	s_waitcnt vmcnt(46)
	v_cmp_neq_f32_e64 s74, 0, v13
	v_cndmask_b32_e64 v13, 0, 1, s80
	s_waitcnt vmcnt(44)
	v_cmp_neq_f32_e64 s80, 0, v37
	v_cmp_neq_f32_e64 s81, 0, v38
	s_waitcnt vmcnt(43)
	v_cmp_neq_f32_e64 s84, 0, v39
	v_cmp_neq_f32_e64 s85, 0, v40
	;; [unrolled: 1-line block ×3, first 2 shown]
	v_cndmask_b32_e64 v27, 0, 1, s82
	s_or_b32 s80, s80, s81
	s_waitcnt vmcnt(42)
	v_cmp_neq_f32_e64 s81, 0, v24
	v_cndmask_b32_e64 v14, 0, 1, s80
	v_cmp_neq_f32_e64 s80, 0, v23
	v_add_co_ci_u32_e32 v23, vcc_lo, 0, v135, vcc_lo
	s_or_b32 vcc_lo, s3, s4
	s_or_b32 s84, s84, s85
	s_waitcnt vmcnt(40)
	v_cmp_neq_f32_e64 s85, 0, v47
	v_cmp_neq_f32_e64 s88, 0, v48
	v_add_co_ci_u32_e32 v23, vcc_lo, v23, v136, vcc_lo
	s_or_b32 s3, s5, s6
	s_or_b32 s5, s7, s8
	s_delay_alu instid0(VALU_DEP_2) | instskip(NEXT) | instid1(VALU_DEP_1)
	s_or_b32 s2, s85, s88
	v_add_co_ci_u32_e64 v23, s3, v23, v141, s3
	v_cndmask_b32_e64 v24, 0, 1, s2
	s_waitcnt vmcnt(38)
	v_cmp_neq_f32_e64 s2, 0, v33
	v_cmp_neq_f32_e64 s3, 0, v34
	v_add_co_ci_u32_e64 v23, s5, v23, v142, s5
	s_or_b32 s5, s11, s12
	s_or_b32 s7, s13, s14
	s_delay_alu instid0(VALU_DEP_2)
	s_or_b32 s2, s2, s3
	s_waitcnt vmcnt(36)
	v_cmp_neq_f32_e64 s3, 0, v51
	v_cndmask_b32_e64 v29, 0, 1, s2
	s_or_b32 s2, s9, s10
	s_or_b32 s9, s19, s20
	v_add_co_ci_u32_e64 v23, s2, v23, v143, s2
	s_or_b32 s11, s25, s26
	s_or_b32 s13, s31, s33
	v_cmp_neq_f32_e64 s82, 0, v35
	s_delay_alu instid0(VALU_DEP_2) | instskip(SKIP_3) | instid1(VALU_DEP_3)
	v_add_co_ci_u32_e64 v23, s5, v23, v144, s5
	v_cmp_neq_f32_e64 s5, 0, v52
	v_cmp_neq_f32_e64 s83, 0, v36
	s_or_b32 s19, s50, s51
	v_add_co_ci_u32_e64 v23, s7, v23, v145, s7
	s_delay_alu instid0(VALU_DEP_3)
	s_or_b32 s3, s3, s5
	s_or_b32 s7, s17, s18
	v_cndmask_b32_e64 v30, 0, 1, s3
	s_or_b32 s3, s15, s16
	s_waitcnt vmcnt(35)
	v_cmp_neq_f32_e64 s5, 0, v55
	v_add_co_ci_u32_e64 v23, s3, v23, v146, s3
	s_or_b32 s15, s37, s39
	s_or_b32 s17, s44, s45
	;; [unrolled: 1-line block ×3, first 2 shown]
	s_delay_alu instid0(VALU_DEP_1) | instskip(SKIP_3) | instid1(VALU_DEP_4)
	v_add_co_ci_u32_e64 v23, s7, v23, v147, s7
	v_cmp_neq_f32_e64 s7, 0, v56
	v_cndmask_b32_e64 v18, 0, 1, s84
	v_cmp_neq_f32_e64 s84, 0, v43
	v_add_co_ci_u32_e64 v23, s9, v23, v148, s9
	s_delay_alu instid0(VALU_DEP_4)
	s_or_b32 s5, s5, s7
	s_or_b32 s9, s23, s24
	v_cndmask_b32_e64 v33, 0, 1, s5
	s_or_b32 s5, s21, s22
	s_waitcnt vmcnt(32)
	v_cmp_neq_f32_e64 s7, 0, v63
	v_add_co_ci_u32_e64 v23, s5, v23, v149, s5
	s_or_b32 s21, s56, s57
	s_or_b32 s23, s62, s63
	v_cmp_neq_f32_e64 s89, 0, v44
	s_delay_alu instid0(VALU_DEP_2) | instskip(SKIP_3) | instid1(VALU_DEP_4)
	v_add_co_ci_u32_e64 v23, s9, v23, v150, s9
	v_cmp_neq_f32_e64 s9, 0, v64
	v_cmp_neq_f32_e32 vcc_lo, 0, v41
	v_cmp_neq_f32_e64 s4, 0, v42
	v_add_co_ci_u32_e64 v23, s11, v23, v151, s11
	s_delay_alu instid0(VALU_DEP_4)
	s_or_b32 s7, s7, s9
	s_or_b32 s11, s29, s30
	v_cndmask_b32_e64 v34, 0, 1, s7
	s_or_b32 s7, s27, s28
	s_waitcnt vmcnt(29)
	v_cmp_neq_f32_e64 s9, 0, v53
	v_add_co_ci_u32_e64 v23, s7, v23, v152, s7
	s_or_b32 s27, s86, s87
	s_or_b32 s29, s74, s75
	;; [unrolled: 1-line block ×3, first 2 shown]
	s_delay_alu instid0(VALU_DEP_1) | instskip(SKIP_3) | instid1(VALU_DEP_4)
	v_add_co_ci_u32_e64 v23, s11, v23, v153, s11
	v_cmp_neq_f32_e64 s11, 0, v54
	v_cmp_neq_f32_e64 s2, 0, v49
	;; [unrolled: 1-line block ×3, first 2 shown]
	v_add_co_ci_u32_e64 v23, s13, v23, v154, s13
	s_delay_alu instid0(VALU_DEP_4)
	s_or_b32 s9, s9, s11
	s_or_b32 s13, s36, s38
	v_cndmask_b32_e64 v35, 0, 1, s9
	s_or_b32 s9, s34, s35
	s_waitcnt vmcnt(27)
	v_cmp_neq_f32_e64 s11, 0, v73
	v_add_co_ci_u32_e64 v23, s9, v23, v155, s9
	s_or_b32 vcc_lo, vcc_lo, s4
	v_cmp_neq_f32_e64 s3, 0, v45
	v_cmp_neq_f32_e64 s8, 0, v46
	s_delay_alu instid0(VALU_DEP_3) | instskip(SKIP_3) | instid1(VALU_DEP_3)
	v_add_co_ci_u32_e64 v23, s13, v23, v111, s13
	v_cmp_neq_f32_e64 s13, 0, v74
	s_or_b32 s2, s2, s6
	v_cmp_neq_f32_e64 s5, 0, v59
	v_add_co_ci_u32_e64 v23, s15, v23, v112, s15
	s_delay_alu instid0(VALU_DEP_3)
	s_or_b32 s11, s11, s13
	s_or_b32 s15, s42, s43
	v_cndmask_b32_e64 v36, 0, 1, s11
	s_or_b32 s11, s40, s41
	s_waitcnt vmcnt(25)
	v_cmp_neq_f32_e64 s13, 0, v69
	v_add_co_ci_u32_e64 v23, s11, v23, v115, s11
	v_cmp_neq_f32_e64 s10, 0, v60
	s_or_b32 s3, s3, s8
	v_cmp_neq_f32_e64 s7, 0, v57
	s_delay_alu instid0(VALU_DEP_3) | instskip(SKIP_3) | instid1(VALU_DEP_4)
	v_add_co_ci_u32_e64 v23, s15, v23, v116, s15
	v_cmp_neq_f32_e64 s15, 0, v70
	v_cmp_neq_f32_e64 s12, 0, v58
	;; [unrolled: 1-line block ×3, first 2 shown]
	v_add_co_ci_u32_e64 v23, s17, v23, v113, s17
	s_delay_alu instid0(VALU_DEP_4)
	s_or_b32 s13, s13, s15
	s_or_b32 s17, s48, s49
	v_cndmask_b32_e64 v37, 0, 1, s13
	s_or_b32 s13, s46, s47
	s_waitcnt vmcnt(23)
	v_cmp_neq_f32_e64 s15, 0, v79
	v_add_co_ci_u32_e64 v23, s13, v23, v114, s13
	v_cmp_neq_f32_e64 s14, 0, v72
	v_cmp_neq_f32_e64 s11, 0, v61
	;; [unrolled: 1-line block ×3, first 2 shown]
	s_delay_alu instid0(VALU_DEP_4) | instskip(SKIP_3) | instid1(VALU_DEP_4)
	v_add_co_ci_u32_e64 v23, s17, v23, v117, s17
	v_cmp_neq_f32_e64 s17, 0, v80
	v_cmp_neq_f32_e64 s13, 0, v77
	;; [unrolled: 1-line block ×3, first 2 shown]
	v_add_co_ci_u32_e64 v23, s19, v23, v118, s19
	s_delay_alu instid0(VALU_DEP_4)
	s_or_b32 s15, s15, s17
	s_or_b32 s19, s54, s55
	v_cndmask_b32_e64 v38, 0, 1, s15
	s_or_b32 s15, s52, s53
	s_waitcnt vmcnt(21)
	v_cmp_neq_f32_e64 s17, 0, v67
	v_add_co_ci_u32_e64 v21, s15, v23, v21, s15
	v_cmp_neq_f32_e64 s15, 0, v75
	v_cmp_neq_f32_e64 s20, 0, v76
	s_waitcnt vmcnt(20)
	v_cmp_neq_f32_e64 s22, 0, v84
	v_add_co_ci_u32_e64 v21, s19, v21, v22, s19
	v_cmp_neq_f32_e64 s19, 0, v68
	s_waitcnt vmcnt(18)
	v_cmp_neq_f32_e64 s24, 0, v82
	s_waitcnt vmcnt(16)
	v_cmp_neq_f32_e64 s26, 0, v94
	v_add_co_ci_u32_e64 v21, s21, v21, v119, s21
	s_or_b32 s17, s17, s19
	s_or_b32 s21, s60, s61
	v_cndmask_b32_e64 v22, 0, 1, s17
	s_or_b32 s17, s58, s59
	v_cmp_neq_f32_e64 s19, 0, v85
	v_add_co_ci_u32_e64 v21, s17, v21, v120, s17
	s_waitcnt vmcnt(9)
	v_cmp_neq_f32_e64 s4, 0, v105
	v_cmp_neq_f32_e64 s17, 0, v83
	;; [unrolled: 1-line block ×3, first 2 shown]
	v_add_co_ci_u32_e64 v21, s21, v21, v103, s21
	v_cmp_neq_f32_e64 s21, 0, v86
	v_cmp_neq_f32_e64 s30, 0, v100
	;; [unrolled: 1-line block ×3, first 2 shown]
	s_delay_alu instid0(VALU_DEP_4) | instskip(NEXT) | instid1(VALU_DEP_4)
	v_add_co_ci_u32_e64 v21, s23, v21, v104, s23
	s_or_b32 s19, s19, s21
	s_or_b32 s23, s66, s67
	v_cndmask_b32_e64 v23, 0, 1, s19
	s_or_b32 s19, s64, s65
	v_cmp_neq_f32_e64 s21, 0, v89
	v_add_co_ci_u32_e64 v21, s19, v21, v121, s19
	v_cmp_neq_f32_e64 s19, 0, v81
	s_delay_alu instid0(VALU_DEP_2) | instskip(SKIP_1) | instid1(VALU_DEP_2)
	v_add_co_ci_u32_e64 v21, s23, v21, v122, s23
	v_cmp_neq_f32_e64 s23, 0, v90
	v_add_co_ci_u32_e64 v21, s25, v21, v25, s25
	s_delay_alu instid0(VALU_DEP_2)
	s_or_b32 s21, s21, s23
	s_or_b32 s25, s72, s73
	v_cndmask_b32_e64 v25, 0, 1, s21
	s_or_b32 s21, s70, s71
	v_cmp_neq_f32_e64 s23, 0, v95
	v_add_co_ci_u32_e64 v21, s21, v21, v26, s21
	v_cmp_neq_f32_e64 s21, 0, v93
	s_delay_alu instid0(VALU_DEP_2) | instskip(SKIP_1) | instid1(VALU_DEP_2)
	v_add_co_ci_u32_e64 v21, s25, v21, v27, s25
	v_cmp_neq_f32_e64 s25, 0, v96
	v_add_co_ci_u32_e64 v21, s27, v21, v28, s27
	s_delay_alu instid0(VALU_DEP_2)
	;; [unrolled: 12-line block ×3, first 2 shown]
	s_or_b32 s25, s25, s27
	s_or_b32 s29, s80, s81
	v_cndmask_b32_e64 v21, 0, 1, s25
	s_or_b32 s25, s82, s83
	v_cmp_neq_f32_e64 s27, 0, v101
	v_add_co_ci_u32_e64 v13, s25, v17, v13, s25
	v_cmp_neq_f32_e64 s25, 0, v99
	s_delay_alu instid0(VALU_DEP_2) | instskip(SKIP_1) | instid1(VALU_DEP_2)
	v_add_co_ci_u32_e64 v13, s29, v13, v14, s29
	v_cmp_neq_f32_e64 s29, 0, v102
	v_add_co_ci_u32_e64 v13, s31, v13, v18, s31
	s_delay_alu instid0(VALU_DEP_2) | instskip(NEXT) | instid1(SALU_CYCLE_1)
	s_or_b32 s27, s27, s29
	v_cndmask_b32_e64 v14, 0, 1, s27
	s_delay_alu instid0(VALU_DEP_2) | instskip(SKIP_1) | instid1(VALU_DEP_2)
	v_add_co_ci_u32_e32 v13, vcc_lo, v13, v24, vcc_lo
	v_cmp_neq_f32_e32 vcc_lo, 0, v97
	v_add_co_ci_u32_e64 v13, s2, v13, v29, s2
	v_cmp_neq_f32_e64 s2, 0, v106
	s_or_b32 vcc_lo, vcc_lo, s6
	s_delay_alu instid0(VALU_DEP_2) | instskip(NEXT) | instid1(VALU_DEP_2)
	v_add_co_ci_u32_e64 v13, s3, v13, v30, s3
	s_or_b32 s2, s4, s2
	s_or_b32 s4, s7, s12
	v_cndmask_b32_e64 v17, 0, 1, s2
	s_or_b32 s2, s5, s10
	s_waitcnt vmcnt(7)
	v_cmp_neq_f32_e64 s3, 0, v109
	v_add_co_ci_u32_e64 v13, s2, v13, v33, s2
	s_or_b32 s7, s9, s14
	s_or_b32 s9, s15, s20
	s_waitcnt vmcnt(6)
	v_cmp_neq_f32_e64 s8, 0, v6
	v_add_co_ci_u32_e64 v13, s4, v13, v34, s4
	v_cmp_neq_f32_e64 s4, 0, v110
	v_cmp_neq_f32_e64 s2, 0, v107
	s_waitcnt vmcnt(4)
	v_cmp_neq_f32_e64 s10, 0, v4
	v_add_co_ci_u32_e64 v13, s7, v13, v35, s7
	s_or_b32 s3, s3, s4
	s_or_b32 s7, s13, s18
	v_cndmask_b32_e64 v18, 0, 1, s3
	s_or_b32 s3, s11, s16
	v_cmp_neq_f32_e64 s4, 0, v7
	v_add_co_ci_u32_e64 v13, s3, v13, v36, s3
	v_cmp_neq_f32_e64 s3, 0, v5
	s_or_b32 s11, s21, s26
	v_cmp_neq_f32_e64 s5, 0, v108
	s_delay_alu instid0(VALU_DEP_3)
	v_add_co_ci_u32_e64 v5, s7, v13, v37, s7
	v_cmp_neq_f32_e64 s7, 0, v8
	s_or_b32 s3, s3, s8
	s_waitcnt vmcnt(2)
	v_cmp_neq_f32_e64 s12, 0, v10
	v_add_co_ci_u32_e64 v5, s9, v5, v38, s9
	s_or_b32 s4, s4, s7
	s_or_b32 s9, s19, s24
	v_cndmask_b32_e64 v6, 0, 1, s4
	s_or_b32 s4, s17, s22
	v_cmp_neq_f32_e64 s7, 0, v19
	v_add_co_ci_u32_e64 v5, s4, v5, v22, s4
	v_cmp_neq_f32_e64 s4, 0, v3
	s_delay_alu instid0(VALU_DEP_2) | instskip(SKIP_1) | instid1(VALU_DEP_3)
	v_add_co_ci_u32_e64 v3, s9, v5, v23, s9
	v_cmp_neq_f32_e64 s9, 0, v20
	s_or_b32 s4, s4, s10
	s_delay_alu instid0(VALU_DEP_2) | instskip(NEXT) | instid1(VALU_DEP_2)
	v_add_co_ci_u32_e64 v3, s11, v3, v25, s11
	s_or_b32 s7, s7, s9
	s_or_b32 s11, s25, s30
	v_cndmask_b32_e64 v4, 0, 1, s7
	s_or_b32 s7, s23, s28
	s_waitcnt vmcnt(1)
	v_cmp_neq_f32_e64 s9, 0, v11
	v_add_co_ci_u32_e64 v3, s7, v3, v26, s7
	v_cmp_neq_f32_e64 s7, 0, v9
	s_delay_alu instid0(VALU_DEP_2) | instskip(SKIP_1) | instid1(VALU_DEP_2)
	v_add_co_ci_u32_e64 v3, s11, v3, v21, s11
	v_cmp_neq_f32_e64 s11, 0, v12
	v_add_co_ci_u32_e32 v3, vcc_lo, v3, v14, vcc_lo
	s_or_b32 vcc_lo, s2, s5
	v_cmp_neq_f32_e64 s2, 0, v65
	s_delay_alu instid0(VALU_DEP_3) | instskip(NEXT) | instid1(VALU_DEP_2)
	s_or_b32 s6, s9, s11
	v_add_co_ci_u32_e32 v3, vcc_lo, v3, v17, vcc_lo
	s_waitcnt vmcnt(0)
	v_cmp_neq_f32_e32 vcc_lo, 0, v15
	v_cmp_neq_f32_e64 s5, 0, v16
	v_cndmask_b32_e64 v5, 0, 1, s6
	v_add_co_ci_u32_e64 v3, s3, v3, v18, s3
	v_cmp_neq_f32_e64 s3, 0, v66
	s_delay_alu instid0(VALU_DEP_4) | instskip(NEXT) | instid1(VALU_DEP_2)
	s_or_b32 vcc_lo, vcc_lo, s5
	v_add_co_ci_u32_e64 v3, s4, v3, v6, s4
	s_delay_alu instid0(VALU_DEP_2) | instskip(SKIP_3) | instid1(SALU_CYCLE_1)
	s_or_b32 s2, s2, s3
	v_cmp_neq_f32_e64 s3, 0, v2
	v_cndmask_b32_e64 v6, 0, 1, s2
	s_or_b32 s2, s7, s12
	v_add_co_ci_u32_e64 v3, s2, v3, v4, s2
	v_cmp_neq_f32_e64 s2, 0, v1
	s_delay_alu instid0(VALU_DEP_2) | instskip(NEXT) | instid1(VALU_DEP_2)
	v_add_co_ci_u32_e32 v1, vcc_lo, v3, v5, vcc_lo
	s_or_b32 vcc_lo, s2, s3
	v_mov_b32_e32 v3, 0
	s_mov_b32 s2, exec_lo
	s_delay_alu instid0(VALU_DEP_2) | instskip(NEXT) | instid1(VALU_DEP_1)
	v_add_co_ci_u32_e32 v1, vcc_lo, v1, v6, vcc_lo
	v_mov_b32_dpp v2, v1 quad_perm:[1,0,3,2] row_mask:0xf bank_mask:0xf
	s_delay_alu instid0(VALU_DEP_1) | instskip(NEXT) | instid1(VALU_DEP_1)
	v_add_nc_u32_e32 v1, v1, v2
	v_mov_b32_dpp v2, v1 quad_perm:[2,3,0,1] row_mask:0xf bank_mask:0xf
	s_delay_alu instid0(VALU_DEP_1) | instskip(NEXT) | instid1(VALU_DEP_1)
	v_add_nc_u32_e32 v1, v1, v2
	v_mov_b32_dpp v2, v1 row_ror:4 row_mask:0xf bank_mask:0xf
	s_delay_alu instid0(VALU_DEP_1) | instskip(NEXT) | instid1(VALU_DEP_1)
	v_add_nc_u32_e32 v1, v1, v2
	v_mov_b32_dpp v2, v1 row_ror:8 row_mask:0xf bank_mask:0xf
	s_delay_alu instid0(VALU_DEP_1)
	v_add_nc_u32_e32 v1, v1, v2
	ds_swizzle_b32 v2, v1 offset:swizzle(BROADCAST,32,15)
	s_waitcnt lgkmcnt(0)
	v_add_nc_u32_e32 v1, v1, v2
	v_mbcnt_lo_u32_b32 v2, -1, 0
	ds_bpermute_b32 v1, v3, v1 offset:124
	v_cmpx_eq_u32_e32 0, v2
	s_cbranch_execz .LBB592_7
; %bb.6:
	v_lshrrev_b32_e32 v3, 3, v0
	s_delay_alu instid0(VALU_DEP_1)
	v_and_b32_e32 v3, 12, v3
	s_waitcnt lgkmcnt(0)
	ds_store_b32 v3, v1
.LBB592_7:
	s_or_b32 exec_lo, exec_lo, s2
	s_delay_alu instid0(SALU_CYCLE_1)
	s_mov_b32 s2, exec_lo
	s_waitcnt lgkmcnt(0)
	s_barrier
	buffer_gl0_inv
	v_cmpx_gt_u32_e32 32, v0
	s_cbranch_execz .LBB592_9
; %bb.8:
	v_and_b32_e32 v1, 3, v2
	s_delay_alu instid0(VALU_DEP_1) | instskip(SKIP_4) | instid1(VALU_DEP_2)
	v_lshlrev_b32_e32 v3, 2, v1
	v_cmp_ne_u32_e32 vcc_lo, 3, v1
	ds_load_b32 v3, v3
	v_add_co_ci_u32_e32 v4, vcc_lo, 0, v2, vcc_lo
	v_cmp_gt_u32_e32 vcc_lo, 2, v1
	v_lshlrev_b32_e32 v4, 2, v4
	v_cndmask_b32_e64 v1, 0, 1, vcc_lo
	s_delay_alu instid0(VALU_DEP_1) | instskip(NEXT) | instid1(VALU_DEP_1)
	v_lshlrev_b32_e32 v1, 1, v1
	v_add_lshl_u32 v1, v1, v2, 2
	s_waitcnt lgkmcnt(0)
	ds_bpermute_b32 v4, v4, v3
	s_waitcnt lgkmcnt(0)
	v_add_nc_u32_e32 v3, v4, v3
	ds_bpermute_b32 v1, v1, v3
	s_waitcnt lgkmcnt(0)
	v_add_nc_u32_e32 v1, v1, v3
.LBB592_9:
	s_or_b32 exec_lo, exec_lo, s2
	s_load_b64 s[92:93], s[0:1], 0x8
.LBB592_10:
	v_cmp_eq_u32_e64 s2, 0, v0
	s_and_b32 vcc_lo, exec_lo, vcc_hi
	s_cbranch_vccnz .LBB592_24
.LBB592_11:
	s_branch .LBB592_512
.LBB592_12:
	s_mov_b32 s2, 0
                                        ; implicit-def: $vgpr1
	s_cbranch_execz .LBB592_623
	s_branch .LBB592_513
.LBB592_13:
	s_mov_b32 s2, 0
                                        ; implicit-def: $vgpr1
	s_cbranch_execz .LBB592_512
; %bb.14:
	s_cmp_gt_i32 s104, 31
	s_cbranch_scc0 .LBB592_31
; %bb.15:
	s_cmp_eq_u32 s104, 32
	s_cbranch_scc0 .LBB592_32
; %bb.16:
	s_mov_b32 s95, 0
	s_lshl_b32 s46, s94, 12
	s_mov_b32 s47, s95
	s_lshr_b64 s[4:5], s[96:97], 12
	s_lshl_b64 s[2:3], s[46:47], 3
	s_waitcnt lgkmcnt(0)
	s_add_u32 s44, s92, s2
	s_addc_u32 s45, s93, s3
	s_cmp_lg_u64 s[4:5], s[94:95]
	s_cbranch_scc0 .LBB592_296
; %bb.17:
	v_lshlrev_b32_e32 v7, 3, v0
	s_delay_alu instid0(VALU_DEP_1) | instskip(NEXT) | instid1(VALU_DEP_1)
	v_add_co_u32 v57, s2, s44, v7
	v_add_co_ci_u32_e64 v58, null, s45, 0, s2
	s_clause 0x3
	global_load_b64 v[1:2], v7, s[44:45]
	global_load_b64 v[3:4], v7, s[44:45] offset:1024
	global_load_b64 v[5:6], v7, s[44:45] offset:2048
	;; [unrolled: 1-line block ×3, first 2 shown]
	v_add_co_u32 v9, vcc_lo, 0x1000, v57
	v_add_co_ci_u32_e32 v10, vcc_lo, 0, v58, vcc_lo
	v_add_co_u32 v11, vcc_lo, v57, 0x2000
	v_add_co_ci_u32_e32 v12, vcc_lo, 0, v58, vcc_lo
	;; [unrolled: 2-line block ×4, first 2 shown]
	s_clause 0x7
	global_load_b64 v[15:16], v[11:12], off offset:-4096
	global_load_b64 v[11:12], v[11:12], off
	global_load_b64 v[17:18], v[9:10], off offset:1024
	global_load_b64 v[19:20], v[9:10], off offset:2048
	global_load_b64 v[9:10], v[9:10], off offset:3072
	global_load_b64 v[21:22], v[13:14], off offset:1024
	global_load_b64 v[23:24], v[13:14], off offset:2048
	global_load_b64 v[13:14], v[13:14], off offset:3072
	v_add_co_u32 v27, vcc_lo, 0x3000, v57
	v_add_co_ci_u32_e32 v28, vcc_lo, 0, v58, vcc_lo
	global_load_b64 v[29:30], v[25:26], off offset:-4096
	v_add_co_u32 v31, vcc_lo, 0x4000, v57
	v_add_co_ci_u32_e32 v32, vcc_lo, 0, v58, vcc_lo
	v_add_co_u32 v41, vcc_lo, v57, 0x6000
	s_clause 0x5
	global_load_b64 v[33:34], v[27:28], off offset:1024
	global_load_b64 v[35:36], v[27:28], off offset:2048
	global_load_b64 v[25:26], v[25:26], off
	global_load_b64 v[27:28], v[27:28], off offset:3072
	global_load_b64 v[37:38], v[31:32], off offset:1024
	;; [unrolled: 1-line block ×3, first 2 shown]
	v_add_co_ci_u32_e32 v42, vcc_lo, 0, v58, vcc_lo
	v_add_co_u32 v43, vcc_lo, 0x5000, v57
	v_add_co_ci_u32_e32 v44, vcc_lo, 0, v58, vcc_lo
	s_clause 0x5
	global_load_b64 v[31:32], v[31:32], off offset:3072
	global_load_b64 v[45:46], v[41:42], off offset:-4096
	global_load_b64 v[47:48], v[43:44], off offset:1024
	global_load_b64 v[49:50], v[43:44], off offset:2048
	;; [unrolled: 1-line block ×3, first 2 shown]
	global_load_b64 v[41:42], v[41:42], off
	v_add_co_u32 v51, vcc_lo, 0x6000, v57
	v_add_co_ci_u32_e32 v52, vcc_lo, 0, v58, vcc_lo
	s_clause 0x1
	global_load_b64 v[53:54], v[51:52], off offset:1024
	global_load_b64 v[55:56], v[51:52], off offset:2048
	v_add_co_u32 v57, vcc_lo, 0x7000, v57
	v_add_co_ci_u32_e32 v58, vcc_lo, 0, v58, vcc_lo
	s_clause 0x4
	global_load_b64 v[51:52], v[51:52], off offset:3072
	global_load_b64 v[59:60], v[57:58], off
	global_load_b64 v[61:62], v[57:58], off offset:1024
	global_load_b64 v[63:64], v[57:58], off offset:2048
	;; [unrolled: 1-line block ×3, first 2 shown]
	s_waitcnt vmcnt(31)
	v_cmp_neq_f32_e32 vcc_lo, 0, v1
	v_cmp_neq_f32_e64 s2, 0, v2
	s_waitcnt vmcnt(29)
	v_cmp_neq_f32_e64 s5, 0, v5
	v_cmp_neq_f32_e64 s6, 0, v6
	;; [unrolled: 1-line block ×4, first 2 shown]
	s_or_b32 s2, vcc_lo, s2
	s_waitcnt vmcnt(28)
	v_cmp_neq_f32_e64 s7, 0, v7
	v_cndmask_b32_e64 v1, 0, 1, s2
	s_or_b32 s2, s5, s6
	v_cmp_neq_f32_e64 s8, 0, v8
	v_cndmask_b32_e64 v2, 0, 1, s2
	s_or_b32 s3, s3, s4
	s_waitcnt vmcnt(27)
	v_cmp_neq_f32_e32 vcc_lo, 0, v15
	v_cmp_neq_f32_e64 s2, 0, v16
	s_waitcnt vmcnt(26)
	v_cmp_neq_f32_e64 s13, 0, v11
	s_waitcnt vmcnt(24)
	v_cmp_neq_f32_e64 s9, 0, v19
	v_cmp_neq_f32_e64 s10, 0, v20
	;; [unrolled: 1-line block ×3, first 2 shown]
	s_or_b32 s2, vcc_lo, s2
	s_waitcnt vmcnt(21)
	v_cmp_neq_f32_e64 s17, 0, v23
	v_cmp_neq_f32_e64 s18, 0, v24
	v_cndmask_b32_e64 v3, 0, 1, s2
	s_or_b32 s2, s9, s10
	v_add_co_ci_u32_e64 v1, s3, 0, v1, s3
	s_waitcnt vmcnt(19)
	v_cmp_neq_f32_e64 s21, 0, v29
	v_cmp_neq_f32_e64 s22, 0, v30
	v_cndmask_b32_e64 v4, 0, 1, s2
	s_or_b32 s2, s13, s14
	s_waitcnt vmcnt(17)
	v_cmp_neq_f32_e64 s25, 0, v35
	v_cmp_neq_f32_e64 s26, 0, v36
	v_cndmask_b32_e64 v5, 0, 1, s2
	s_or_b32 s2, s17, s18
	;; [unrolled: 5-line block ×4, first 2 shown]
	s_waitcnt vmcnt(11)
	v_cmp_neq_f32_e64 s38, 0, v45
	v_cmp_neq_f32_e64 s39, 0, v46
	;; [unrolled: 1-line block ×4, first 2 shown]
	v_cndmask_b32_e64 v8, 0, 1, s2
	s_or_b32 s2, s29, s30
	s_or_b32 vcc_lo, s7, s8
	s_waitcnt vmcnt(9)
	v_cmp_neq_f32_e64 s42, 0, v49
	v_cmp_neq_f32_e64 s43, 0, v50
	;; [unrolled: 1-line block ×3, first 2 shown]
	v_cndmask_b32_e64 v9, 0, 1, s2
	s_or_b32 s2, s34, s35
	v_add_co_ci_u32_e32 v1, vcc_lo, v1, v2, vcc_lo
	v_cmp_neq_f32_e64 s12, 0, v10
	v_cndmask_b32_e64 v10, 0, 1, s2
	s_or_b32 s2, s38, s39
	s_or_b32 s3, s5, s6
	v_cndmask_b32_e64 v11, 0, 1, s2
	s_or_b32 s2, s42, s43
	v_add_co_ci_u32_e64 v1, s3, v1, v3, s3
	v_cndmask_b32_e64 v12, 0, 1, s2
	s_waitcnt vmcnt(7)
	v_cmp_neq_f32_e64 s2, 0, v41
	v_cmp_neq_f32_e64 s3, 0, v42
	;; [unrolled: 1-line block ×4, first 2 shown]
	s_or_b32 s5, s11, s12
	v_cmp_neq_f32_e64 s19, 0, v13
	v_add_co_ci_u32_e64 v1, s5, v1, v4, s5
	s_or_b32 s2, s2, s3
	v_cmp_neq_f32_e64 s20, 0, v14
	v_cndmask_b32_e64 v2, 0, 1, s2
	s_or_b32 s2, s15, s16
	v_cmp_neq_f32_e64 s23, 0, v33
	v_add_co_ci_u32_e64 v1, s2, v1, v5, s2
	v_cmp_neq_f32_e64 s24, 0, v34
	s_or_b32 s5, s19, s20
	s_waitcnt vmcnt(5)
	v_cmp_neq_f32_e64 s3, 0, v55
	v_add_co_ci_u32_e64 v1, s5, v1, v6, s5
	v_cmp_neq_f32_e64 s5, 0, v56
	v_cmp_neq_f32_e64 s27, 0, v27
	;; [unrolled: 1-line block ×3, first 2 shown]
	s_or_b32 s7, s23, s24
	v_cmp_neq_f32_e64 s31, 0, v37
	v_add_co_ci_u32_e64 v1, s7, v1, v7, s7
	s_or_b32 s3, s3, s5
	v_cmp_neq_f32_e64 s33, 0, v38
	v_cndmask_b32_e64 v3, 0, 1, s3
	s_or_b32 s3, s27, s28
	v_cmp_neq_f32_e64 s36, 0, v31
	v_add_co_ci_u32_e64 v1, s3, v1, v8, s3
	v_cmp_neq_f32_e64 s37, 0, v32
	s_or_b32 s7, s31, s33
	s_waitcnt vmcnt(3)
	v_cmp_neq_f32_e64 s5, 0, v59
	v_add_co_ci_u32_e64 v1, s7, v1, v9, s7
	v_cmp_neq_f32_e64 s7, 0, v60
	v_cmp_neq_f32_e64 s40, 0, v47
	;; [unrolled: 1-line block ×3, first 2 shown]
	s_or_b32 s9, s36, s37
	v_cmp_neq_f32_e32 vcc_lo, 0, v43
	v_add_co_ci_u32_e64 v1, s9, v1, v10, s9
	s_or_b32 s5, s5, s7
	v_cmp_neq_f32_e64 s4, 0, v44
	v_cndmask_b32_e64 v4, 0, 1, s5
	s_or_b32 s5, s40, s41
	v_cmp_neq_f32_e64 s2, 0, v53
	v_add_co_ci_u32_e64 v1, s5, v1, v11, s5
	v_cmp_neq_f32_e64 s6, 0, v54
	s_or_b32 vcc_lo, vcc_lo, s4
	v_cmp_neq_f32_e64 s3, 0, v51
	s_delay_alu instid0(VALU_DEP_3)
	v_add_co_ci_u32_e32 v1, vcc_lo, v1, v12, vcc_lo
	v_cmp_neq_f32_e64 s8, 0, v52
	s_waitcnt vmcnt(1)
	v_cmp_neq_f32_e64 s7, 0, v63
	v_cmp_neq_f32_e32 vcc_lo, 0, v64
	s_or_b32 s2, s2, s6
	v_cmp_neq_f32_e64 s5, 0, v61
	v_add_co_ci_u32_e64 v1, s2, v1, v2, s2
	v_cmp_neq_f32_e64 s4, 0, v62
	s_or_b32 s2, s7, vcc_lo
	s_or_b32 vcc_lo, s3, s8
	v_cndmask_b32_e64 v2, 0, 1, s2
	v_add_co_ci_u32_e32 v1, vcc_lo, v1, v3, vcc_lo
	s_waitcnt vmcnt(0)
	v_cmp_neq_f32_e32 vcc_lo, 0, v57
	v_cmp_neq_f32_e64 s2, 0, v58
	s_or_b32 s3, s5, s4
	v_mov_b32_e32 v3, 0
	v_add_co_ci_u32_e64 v1, s3, v1, v4, s3
	s_delay_alu instid0(VALU_DEP_3) | instskip(SKIP_1) | instid1(VALU_DEP_1)
	s_or_b32 vcc_lo, vcc_lo, s2
	s_mov_b32 s2, exec_lo
	v_add_co_ci_u32_e32 v1, vcc_lo, v1, v2, vcc_lo
	s_delay_alu instid0(VALU_DEP_1) | instskip(NEXT) | instid1(VALU_DEP_1)
	v_mov_b32_dpp v2, v1 quad_perm:[1,0,3,2] row_mask:0xf bank_mask:0xf
	v_add_nc_u32_e32 v1, v1, v2
	s_delay_alu instid0(VALU_DEP_1) | instskip(NEXT) | instid1(VALU_DEP_1)
	v_mov_b32_dpp v2, v1 quad_perm:[2,3,0,1] row_mask:0xf bank_mask:0xf
	v_add_nc_u32_e32 v1, v1, v2
	s_delay_alu instid0(VALU_DEP_1) | instskip(NEXT) | instid1(VALU_DEP_1)
	v_mov_b32_dpp v2, v1 row_ror:4 row_mask:0xf bank_mask:0xf
	v_add_nc_u32_e32 v1, v1, v2
	s_delay_alu instid0(VALU_DEP_1) | instskip(NEXT) | instid1(VALU_DEP_1)
	v_mov_b32_dpp v2, v1 row_ror:8 row_mask:0xf bank_mask:0xf
	v_add_nc_u32_e32 v1, v1, v2
	ds_swizzle_b32 v2, v1 offset:swizzle(BROADCAST,32,15)
	s_waitcnt lgkmcnt(0)
	v_add_nc_u32_e32 v1, v1, v2
	v_mbcnt_lo_u32_b32 v2, -1, 0
	ds_bpermute_b32 v1, v3, v1 offset:124
	v_cmpx_eq_u32_e32 0, v2
	s_cbranch_execz .LBB592_19
; %bb.18:
	v_lshrrev_b32_e32 v3, 3, v0
	s_delay_alu instid0(VALU_DEP_1)
	v_and_b32_e32 v3, 12, v3
	s_waitcnt lgkmcnt(0)
	ds_store_b32 v3, v1 offset:64
.LBB592_19:
	s_or_b32 exec_lo, exec_lo, s2
	s_delay_alu instid0(SALU_CYCLE_1)
	s_mov_b32 s2, exec_lo
	s_waitcnt lgkmcnt(0)
	s_barrier
	buffer_gl0_inv
	v_cmpx_gt_u32_e32 32, v0
	s_cbranch_execz .LBB592_21
; %bb.20:
	v_and_b32_e32 v1, 3, v2
	s_delay_alu instid0(VALU_DEP_1) | instskip(SKIP_4) | instid1(VALU_DEP_2)
	v_lshlrev_b32_e32 v3, 2, v1
	v_cmp_ne_u32_e32 vcc_lo, 3, v1
	ds_load_b32 v3, v3 offset:64
	v_add_co_ci_u32_e32 v4, vcc_lo, 0, v2, vcc_lo
	v_cmp_gt_u32_e32 vcc_lo, 2, v1
	v_lshlrev_b32_e32 v4, 2, v4
	v_cndmask_b32_e64 v1, 0, 1, vcc_lo
	s_delay_alu instid0(VALU_DEP_1) | instskip(NEXT) | instid1(VALU_DEP_1)
	v_lshlrev_b32_e32 v1, 1, v1
	v_add_lshl_u32 v1, v1, v2, 2
	s_waitcnt lgkmcnt(0)
	ds_bpermute_b32 v4, v4, v3
	s_waitcnt lgkmcnt(0)
	v_add_nc_u32_e32 v3, v4, v3
	ds_bpermute_b32 v1, v1, v3
	s_waitcnt lgkmcnt(0)
	v_add_nc_u32_e32 v1, v1, v3
.LBB592_21:
	s_or_b32 exec_lo, exec_lo, s2
	s_mov_b32 s2, 0
	s_branch .LBB592_297
.LBB592_22:
	s_mov_b32 vcc_hi, -1
.LBB592_23:
	s_mov_b32 s2, 0
                                        ; implicit-def: $vgpr1
	s_and_b32 vcc_lo, exec_lo, vcc_hi
	s_cbranch_vccz .LBB592_11
.LBB592_24:
	s_cmp_eq_u32 s104, 64
	s_cbranch_scc0 .LBB592_33
; %bb.25:
	s_mov_b32 s95, 0
	s_lshl_b32 s90, s94, 13
	s_mov_b32 s91, s95
	s_lshr_b64 s[4:5], s[96:97], 13
	s_lshl_b64 s[2:3], s[90:91], 3
	s_waitcnt lgkmcnt(0)
	s_add_u32 s88, s92, s2
	s_addc_u32 s89, s93, s3
	s_cmp_lg_u64 s[4:5], s[94:95]
	s_cbranch_scc0 .LBB592_376
; %bb.26:
	v_lshlrev_b32_e32 v9, 3, v0
	s_delay_alu instid0(VALU_DEP_1) | instskip(NEXT) | instid1(VALU_DEP_1)
	v_add_co_u32 v121, s2, s88, v9
	v_add_co_ci_u32_e64 v122, null, s89, 0, s2
	s_clause 0x3
	global_load_b64 v[3:4], v9, s[88:89]
	global_load_b64 v[5:6], v9, s[88:89] offset:1024
	global_load_b64 v[7:8], v9, s[88:89] offset:2048
	;; [unrolled: 1-line block ×3, first 2 shown]
	v_add_co_u32 v1, vcc_lo, v121, 0x2000
	v_add_co_ci_u32_e32 v2, vcc_lo, 0, v122, vcc_lo
	v_add_co_u32 v11, vcc_lo, 0x1000, v121
	v_add_co_ci_u32_e32 v12, vcc_lo, 0, v122, vcc_lo
	;; [unrolled: 2-line block ×4, first 2 shown]
	v_add_co_u32 v25, vcc_lo, v121, 0x4000
	s_clause 0x5
	global_load_b64 v[15:16], v[1:2], off offset:-4096
	global_load_b64 v[1:2], v[1:2], off
	global_load_b64 v[17:18], v[11:12], off offset:1024
	global_load_b64 v[19:20], v[11:12], off offset:2048
	;; [unrolled: 1-line block ×4, first 2 shown]
	v_add_co_ci_u32_e32 v26, vcc_lo, 0, v122, vcc_lo
	v_add_co_u32 v35, vcc_lo, 0x4000, v121
	v_add_co_ci_u32_e32 v36, vcc_lo, 0, v122, vcc_lo
	v_add_co_u32 v37, vcc_lo, 0x5000, v121
	s_clause 0x6
	global_load_b64 v[27:28], v[13:14], off offset:2048
	global_load_b64 v[13:14], v[13:14], off offset:3072
	;; [unrolled: 1-line block ×5, first 2 shown]
	global_load_b64 v[33:34], v[25:26], off offset:-4096
	global_load_b64 v[25:26], v[25:26], off
	v_add_co_ci_u32_e32 v38, vcc_lo, 0, v122, vcc_lo
	v_add_co_u32 v39, vcc_lo, v121, 0x6000
	v_add_co_ci_u32_e32 v40, vcc_lo, 0, v122, vcc_lo
	v_add_co_u32 v41, vcc_lo, 0x6000, v121
	v_add_co_ci_u32_e32 v42, vcc_lo, 0, v122, vcc_lo
	s_clause 0x3
	global_load_b64 v[45:46], v[35:36], off offset:1024
	global_load_b64 v[47:48], v[35:36], off offset:2048
	;; [unrolled: 1-line block ×3, first 2 shown]
	global_load_b64 v[49:50], v[39:40], off offset:-4096
	v_add_co_u32 v43, vcc_lo, 0x7000, v121
	v_add_co_ci_u32_e32 v44, vcc_lo, 0, v122, vcc_lo
	v_add_co_u32 v51, vcc_lo, v121, 0x8000
	s_clause 0x3
	global_load_b64 v[53:54], v[37:38], off offset:1024
	global_load_b64 v[55:56], v[37:38], off offset:2048
	;; [unrolled: 1-line block ×3, first 2 shown]
	global_load_b64 v[39:40], v[39:40], off
	v_add_co_ci_u32_e32 v52, vcc_lo, 0, v122, vcc_lo
	v_add_co_u32 v57, vcc_lo, 0x8000, v121
	v_add_co_ci_u32_e32 v58, vcc_lo, 0, v122, vcc_lo
	s_clause 0x6
	global_load_b64 v[59:60], v[41:42], off offset:1024
	global_load_b64 v[61:62], v[51:52], off offset:-4096
	global_load_b64 v[63:64], v[41:42], off offset:2048
	global_load_b64 v[41:42], v[41:42], off offset:3072
	;; [unrolled: 1-line block ×5, first 2 shown]
	v_add_co_u32 v69, vcc_lo, v121, 0xa000
	v_add_co_ci_u32_e32 v70, vcc_lo, 0, v122, vcc_lo
	global_load_b64 v[51:52], v[51:52], off
	v_add_co_u32 v71, vcc_lo, 0x9000, v121
	v_add_co_ci_u32_e32 v72, vcc_lo, 0, v122, vcc_lo
	s_clause 0x3
	global_load_b64 v[73:74], v[57:58], off offset:1024
	global_load_b64 v[75:76], v[57:58], off offset:2048
	;; [unrolled: 1-line block ×3, first 2 shown]
	global_load_b64 v[77:78], v[69:70], off offset:-4096
	v_add_co_u32 v79, vcc_lo, 0xa000, v121
	v_add_co_ci_u32_e32 v80, vcc_lo, 0, v122, vcc_lo
	v_add_co_u32 v87, vcc_lo, v121, 0xc000
	s_clause 0x4
	global_load_b64 v[81:82], v[71:72], off offset:1024
	global_load_b64 v[83:84], v[71:72], off offset:2048
	global_load_b64 v[69:70], v[69:70], off
	global_load_b64 v[71:72], v[71:72], off offset:3072
	global_load_b64 v[85:86], v[79:80], off offset:1024
	v_add_co_ci_u32_e32 v88, vcc_lo, 0, v122, vcc_lo
	s_clause 0x2
	global_load_b64 v[89:90], v[79:80], off offset:2048
	global_load_b64 v[79:80], v[79:80], off offset:3072
	global_load_b64 v[91:92], v[87:88], off offset:-4096
	v_add_co_u32 v93, vcc_lo, 0xb000, v121
	v_add_co_ci_u32_e32 v94, vcc_lo, 0, v122, vcc_lo
	s_clause 0x3
	global_load_b64 v[95:96], v[93:94], off offset:1024
	global_load_b64 v[97:98], v[93:94], off offset:2048
	;; [unrolled: 1-line block ×3, first 2 shown]
	global_load_b64 v[87:88], v[87:88], off
	v_add_co_u32 v99, vcc_lo, 0xc000, v121
	v_add_co_ci_u32_e32 v100, vcc_lo, 0, v122, vcc_lo
	s_clause 0x1
	global_load_b64 v[101:102], v[99:100], off offset:1024
	global_load_b64 v[103:104], v[99:100], off offset:2048
	v_add_co_u32 v105, vcc_lo, v121, 0xe000
	v_add_co_ci_u32_e32 v106, vcc_lo, 0, v122, vcc_lo
	s_clause 0x1
	global_load_b64 v[99:100], v[99:100], off offset:3072
	global_load_b64 v[107:108], v[105:106], off offset:-4096
	v_add_co_u32 v109, vcc_lo, 0xd000, v121
	v_add_co_ci_u32_e32 v110, vcc_lo, 0, v122, vcc_lo
	s_clause 0x3
	global_load_b64 v[111:112], v[109:110], off offset:1024
	global_load_b64 v[113:114], v[109:110], off offset:2048
	;; [unrolled: 1-line block ×3, first 2 shown]
	global_load_b64 v[105:106], v[105:106], off
	v_add_co_u32 v115, vcc_lo, 0xe000, v121
	v_add_co_ci_u32_e32 v116, vcc_lo, 0, v122, vcc_lo
	v_add_co_u32 v121, vcc_lo, 0xf000, v121
	v_add_co_ci_u32_e32 v122, vcc_lo, 0, v122, vcc_lo
	s_clause 0x6
	global_load_b64 v[117:118], v[115:116], off offset:1024
	global_load_b64 v[119:120], v[115:116], off offset:2048
	global_load_b64 v[115:116], v[115:116], off offset:3072
	global_load_b64 v[123:124], v[121:122], off
	global_load_b64 v[125:126], v[121:122], off offset:1024
	global_load_b64 v[127:128], v[121:122], off offset:2048
	;; [unrolled: 1-line block ×3, first 2 shown]
	s_waitcnt vmcnt(62)
	v_cmp_neq_f32_e32 vcc_lo, 0, v3
	v_cmp_neq_f32_e64 s2, 0, v4
	s_waitcnt vmcnt(61)
	v_cmp_neq_f32_e64 s5, 0, v7
	v_cmp_neq_f32_e64 s6, 0, v8
	;; [unrolled: 1-line block ×4, first 2 shown]
	s_or_b32 s2, vcc_lo, s2
	s_waitcnt vmcnt(60)
	v_cmp_neq_f32_e64 s7, 0, v9
	v_cndmask_b32_e64 v3, 0, 1, s2
	s_or_b32 s2, s5, s6
	s_or_b32 s3, s3, s4
	v_cndmask_b32_e64 v4, 0, 1, s2
	v_cmp_neq_f32_e64 s8, 0, v10
	s_waitcnt vmcnt(59)
	v_cmp_neq_f32_e32 vcc_lo, 0, v15
	v_cmp_neq_f32_e64 s2, 0, v16
	s_waitcnt vmcnt(58)
	v_cmp_neq_f32_e64 s13, 0, v1
	s_waitcnt vmcnt(56)
	v_cmp_neq_f32_e64 s9, 0, v19
	v_cmp_neq_f32_e64 s10, 0, v20
	;; [unrolled: 1-line block ×3, first 2 shown]
	s_or_b32 s2, vcc_lo, s2
	v_add_co_ci_u32_e64 v1, s3, 0, v3, s3
	s_waitcnt vmcnt(53)
	v_cmp_neq_f32_e64 s17, 0, v27
	v_cmp_neq_f32_e64 s18, 0, v28
	v_cndmask_b32_e64 v2, 0, 1, s2
	s_or_b32 s2, s9, s10
	s_waitcnt vmcnt(48)
	v_cmp_neq_f32_e64 s21, 0, v33
	v_cmp_neq_f32_e64 s22, 0, v34
	v_cndmask_b32_e64 v3, 0, 1, s2
	s_or_b32 s2, s13, s14
	v_cmp_neq_f32_e64 s25, 0, v31
	v_cmp_neq_f32_e64 s26, 0, v32
	v_cndmask_b32_e64 v5, 0, 1, s2
	s_or_b32 s2, s17, s18
	s_waitcnt vmcnt(47)
	v_cmp_neq_f32_e64 s29, 0, v25
	v_cmp_neq_f32_e64 s30, 0, v26
	v_cndmask_b32_e64 v6, 0, 1, s2
	s_or_b32 s2, s21, s22
	s_waitcnt vmcnt(45)
	;; [unrolled: 5-line block ×6, first 2 shown]
	v_cmp_neq_f32_e64 s50, 0, v63
	v_cmp_neq_f32_e64 s51, 0, v64
	;; [unrolled: 1-line block ×3, first 2 shown]
	v_cndmask_b32_e64 v11, 0, 1, s2
	s_or_b32 s2, s42, s43
	v_cmp_neq_f32_e64 s54, 0, v61
	v_cmp_neq_f32_e64 s55, 0, v62
	v_cmp_neq_f32_e64 s12, 0, v12
	v_cndmask_b32_e64 v12, 0, 1, s2
	s_or_b32 s2, s46, s47
	s_waitcnt vmcnt(33)
	v_cmp_neq_f32_e64 s58, 0, v67
	v_cmp_neq_f32_e64 s59, 0, v68
	v_cmp_neq_f32_e64 s19, 0, v13
	v_cndmask_b32_e64 v13, 0, 1, s2
	s_or_b32 s2, s50, s51
	s_waitcnt vmcnt(31)
	;; [unrolled: 6-line block ×3, first 2 shown]
	v_cmp_neq_f32_e64 s66, 0, v75
	v_cmp_neq_f32_e64 s67, 0, v76
	v_cndmask_b32_e64 v15, 0, 1, s2
	s_or_b32 s2, s58, s59
	s_waitcnt vmcnt(27)
	v_cmp_neq_f32_e64 s70, 0, v77
	v_cmp_neq_f32_e64 s71, 0, v78
	v_cndmask_b32_e64 v16, 0, 1, s2
	s_or_b32 s2, s62, s63
	v_cmp_neq_f32_e64 s5, 0, v17
	v_cmp_neq_f32_e64 s6, 0, v18
	s_waitcnt vmcnt(25)
	v_cmp_neq_f32_e64 s74, 0, v83
	v_cmp_neq_f32_e64 s75, 0, v84
	s_or_b32 vcc_lo, s7, s8
	v_cndmask_b32_e64 v17, 0, 1, s2
	s_or_b32 s2, s66, s67
	s_waitcnt vmcnt(24)
	v_cmp_neq_f32_e64 s78, 0, v69
	v_cmp_neq_f32_e64 s79, 0, v70
	v_add_co_ci_u32_e32 v1, vcc_lo, v1, v4, vcc_lo
	v_cndmask_b32_e64 v18, 0, 1, s2
	s_or_b32 s2, s70, s71
	s_waitcnt vmcnt(21)
	v_cmp_neq_f32_e64 s82, 0, v89
	v_cmp_neq_f32_e64 s83, 0, v90
	v_cndmask_b32_e64 v19, 0, 1, s2
	s_or_b32 s2, s74, s75
	s_or_b32 vcc_lo, s5, s6
	s_waitcnt vmcnt(19)
	v_cmp_neq_f32_e64 s86, 0, v91
	v_cmp_neq_f32_e64 s87, 0, v92
	v_cndmask_b32_e64 v20, 0, 1, s2
	s_or_b32 s2, s78, s79
	v_add_co_ci_u32_e32 v1, vcc_lo, v1, v2, vcc_lo
	v_cmp_neq_f32_e64 s15, 0, v21
	v_cndmask_b32_e64 v21, 0, 1, s2
	s_or_b32 s2, s82, s83
	v_cmp_neq_f32_e64 s16, 0, v22
	s_or_b32 s3, s11, s12
	v_cndmask_b32_e64 v22, 0, 1, s2
	s_or_b32 s2, s86, s87
	v_add_co_ci_u32_e64 v1, s3, v1, v3, s3
	v_cndmask_b32_e64 v4, 0, 1, s2
	s_waitcnt vmcnt(17)
	v_cmp_neq_f32_e64 s2, 0, v97
	v_cmp_neq_f32_e64 s3, 0, v98
	s_or_b32 s5, s15, s16
	v_cmp_neq_f32_e64 s23, 0, v29
	v_add_co_ci_u32_e64 v1, s5, v1, v5, s5
	s_delay_alu instid0(VALU_DEP_3)
	s_or_b32 s2, s2, s3
	v_cmp_neq_f32_e64 s24, 0, v30
	v_cndmask_b32_e64 v2, 0, 1, s2
	s_or_b32 s2, s19, s20
	v_cmp_neq_f32_e64 s27, 0, v23
	v_add_co_ci_u32_e64 v1, s2, v1, v6, s2
	v_cmp_neq_f32_e64 s28, 0, v24
	s_or_b32 s5, s23, s24
	s_waitcnt vmcnt(15)
	v_cmp_neq_f32_e64 s3, 0, v87
	v_add_co_ci_u32_e64 v1, s5, v1, v7, s5
	v_cmp_neq_f32_e64 s5, 0, v88
	v_cmp_neq_f32_e64 s31, 0, v45
	v_cmp_neq_f32_e64 s33, 0, v46
	s_or_b32 s7, s27, s28
	v_cmp_neq_f32_e64 s36, 0, v35
	v_add_co_ci_u32_e64 v1, s7, v1, v8, s7
	s_or_b32 s3, s3, s5
	v_cmp_neq_f32_e64 s37, 0, v36
	v_cndmask_b32_e64 v3, 0, 1, s3
	s_or_b32 s3, s31, s33
	v_cmp_neq_f32_e64 s40, 0, v53
	v_add_co_ci_u32_e64 v1, s3, v1, v9, s3
	v_cmp_neq_f32_e64 s41, 0, v54
	s_or_b32 s7, s36, s37
	s_waitcnt vmcnt(13)
	v_cmp_neq_f32_e64 s5, 0, v103
	v_add_co_ci_u32_e64 v1, s7, v1, v10, s7
	v_cmp_neq_f32_e64 s7, 0, v104
	v_cmp_neq_f32_e64 s44, 0, v37
	v_cmp_neq_f32_e64 s45, 0, v38
	s_or_b32 s9, s40, s41
	v_cmp_neq_f32_e64 s48, 0, v59
	v_add_co_ci_u32_e64 v1, s9, v1, v11, s9
	;; [unrolled: 17-line block ×5, first 2 shown]
	s_or_b32 s11, s11, s13
	v_cmp_neq_f32_e64 s85, 0, v80
	v_cndmask_b32_e64 v8, 0, 1, s11
	s_or_b32 s11, s80, s81
	v_cmp_neq_f32_e32 vcc_lo, 0, v95
	v_add_co_ci_u32_e64 v1, s11, v1, v21, s11
	v_cmp_neq_f32_e64 s4, 0, v96
	s_or_b32 s15, s84, s85
	v_cmp_neq_f32_e64 s2, 0, v93
	s_delay_alu instid0(VALU_DEP_3) | instskip(SKIP_3) | instid1(VALU_DEP_3)
	v_add_co_ci_u32_e64 v1, s15, v1, v22, s15
	v_cmp_neq_f32_e64 s6, 0, v94
	s_or_b32 vcc_lo, vcc_lo, s4
	v_cmp_neq_f32_e64 s3, 0, v101
	v_add_co_ci_u32_e32 v1, vcc_lo, v1, v4, vcc_lo
	v_cmp_neq_f32_e64 s8, 0, v102
	s_or_b32 vcc_lo, s2, s6
	v_cmp_neq_f32_e64 s5, 0, v99
	s_delay_alu instid0(VALU_DEP_3)
	v_add_co_ci_u32_e32 v1, vcc_lo, v1, v2, vcc_lo
	v_cmp_neq_f32_e64 s10, 0, v100
	s_or_b32 s3, s3, s8
	s_waitcnt vmcnt(3)
	v_cmp_neq_f32_e64 s2, 0, v123
	v_add_co_ci_u32_e64 v1, s3, v1, v3, s3
	v_cmp_neq_f32_e64 s3, 0, v124
	v_cmp_neq_f32_e64 s7, 0, v111
	;; [unrolled: 1-line block ×3, first 2 shown]
	s_or_b32 s5, s5, s10
	v_cmp_neq_f32_e64 s9, 0, v109
	v_add_co_ci_u32_e64 v1, s5, v1, v5, s5
	s_or_b32 s2, s2, s3
	v_cmp_neq_f32_e64 s14, 0, v110
	v_cndmask_b32_e64 v2, 0, 1, s2
	s_or_b32 s2, s7, s12
	v_cmp_neq_f32_e64 s13, 0, v119
	v_add_co_ci_u32_e64 v1, s2, v1, v6, s2
	v_cmp_neq_f32_e64 s15, 0, v120
	v_cmp_neq_f32_e64 s11, 0, v117
	;; [unrolled: 1-line block ×3, first 2 shown]
	s_or_b32 s5, s9, s14
	v_cmp_neq_f32_e32 vcc_lo, 0, v115
	v_add_co_ci_u32_e64 v1, s5, v1, v7, s5
	s_or_b32 s4, s13, s15
	s_or_b32 s7, s11, s16
	v_cndmask_b32_e64 v4, 0, 1, s4
	v_cmp_neq_f32_e64 s4, 0, v116
	v_add_co_ci_u32_e64 v1, s7, v1, v8, s7
	s_waitcnt vmcnt(1)
	v_cmp_neq_f32_e64 s3, 0, v127
	v_cmp_neq_f32_e64 s5, 0, v128
	;; [unrolled: 1-line block ×4, first 2 shown]
	s_or_b32 vcc_lo, vcc_lo, s4
	v_add_co_ci_u32_e32 v1, vcc_lo, v1, v4, vcc_lo
	s_or_b32 s3, s3, s5
	s_waitcnt vmcnt(0)
	v_cmp_neq_f32_e32 vcc_lo, 0, v121
	v_cndmask_b32_e64 v3, 0, 1, s3
	v_cmp_neq_f32_e64 s3, 0, v122
	s_or_b32 s2, s2, s6
	s_delay_alu instid0(SALU_CYCLE_1) | instskip(NEXT) | instid1(VALU_DEP_2)
	v_add_co_ci_u32_e64 v1, s2, v1, v2, s2
	s_or_b32 vcc_lo, vcc_lo, s3
	s_mov_b32 s2, exec_lo
	s_delay_alu instid0(VALU_DEP_1) | instskip(SKIP_1) | instid1(VALU_DEP_2)
	v_add_co_ci_u32_e32 v1, vcc_lo, v1, v3, vcc_lo
	v_mov_b32_e32 v3, 0
	v_mov_b32_dpp v2, v1 quad_perm:[1,0,3,2] row_mask:0xf bank_mask:0xf
	s_delay_alu instid0(VALU_DEP_1) | instskip(NEXT) | instid1(VALU_DEP_1)
	v_add_nc_u32_e32 v1, v1, v2
	v_mov_b32_dpp v2, v1 quad_perm:[2,3,0,1] row_mask:0xf bank_mask:0xf
	s_delay_alu instid0(VALU_DEP_1) | instskip(NEXT) | instid1(VALU_DEP_1)
	v_add_nc_u32_e32 v1, v1, v2
	v_mov_b32_dpp v2, v1 row_ror:4 row_mask:0xf bank_mask:0xf
	s_delay_alu instid0(VALU_DEP_1) | instskip(NEXT) | instid1(VALU_DEP_1)
	v_add_nc_u32_e32 v1, v1, v2
	v_mov_b32_dpp v2, v1 row_ror:8 row_mask:0xf bank_mask:0xf
	s_delay_alu instid0(VALU_DEP_1)
	v_add_nc_u32_e32 v1, v1, v2
	ds_swizzle_b32 v2, v1 offset:swizzle(BROADCAST,32,15)
	s_waitcnt lgkmcnt(0)
	v_add_nc_u32_e32 v1, v1, v2
	v_mbcnt_lo_u32_b32 v2, -1, 0
	ds_bpermute_b32 v1, v3, v1 offset:124
	v_cmpx_eq_u32_e32 0, v2
	s_cbranch_execz .LBB592_28
; %bb.27:
	v_lshrrev_b32_e32 v3, 3, v0
	s_delay_alu instid0(VALU_DEP_1)
	v_and_b32_e32 v3, 12, v3
	s_waitcnt lgkmcnt(0)
	ds_store_b32 v3, v1 offset:96
.LBB592_28:
	s_or_b32 exec_lo, exec_lo, s2
	s_delay_alu instid0(SALU_CYCLE_1)
	s_mov_b32 s2, exec_lo
	s_waitcnt lgkmcnt(0)
	s_barrier
	buffer_gl0_inv
	v_cmpx_gt_u32_e32 32, v0
	s_cbranch_execz .LBB592_30
; %bb.29:
	v_and_b32_e32 v1, 3, v2
	s_delay_alu instid0(VALU_DEP_1) | instskip(SKIP_4) | instid1(VALU_DEP_2)
	v_lshlrev_b32_e32 v3, 2, v1
	v_cmp_ne_u32_e32 vcc_lo, 3, v1
	ds_load_b32 v3, v3 offset:96
	v_add_co_ci_u32_e32 v4, vcc_lo, 0, v2, vcc_lo
	v_cmp_gt_u32_e32 vcc_lo, 2, v1
	v_lshlrev_b32_e32 v4, 2, v4
	v_cndmask_b32_e64 v1, 0, 1, vcc_lo
	s_delay_alu instid0(VALU_DEP_1) | instskip(NEXT) | instid1(VALU_DEP_1)
	v_lshlrev_b32_e32 v1, 1, v1
	v_add_lshl_u32 v1, v1, v2, 2
	s_waitcnt lgkmcnt(0)
	ds_bpermute_b32 v4, v4, v3
	s_waitcnt lgkmcnt(0)
	v_add_nc_u32_e32 v3, v4, v3
	ds_bpermute_b32 v1, v1, v3
	s_waitcnt lgkmcnt(0)
	v_add_nc_u32_e32 v1, v1, v3
.LBB592_30:
	s_or_b32 exec_lo, exec_lo, s2
	s_mov_b32 s2, 0
	s_branch .LBB592_377
.LBB592_31:
                                        ; implicit-def: $vgpr1
	s_cbranch_execz .LBB592_512
	s_branch .LBB592_368
.LBB592_32:
                                        ; implicit-def: $vgpr1
	s_branch .LBB592_512
.LBB592_33:
                                        ; implicit-def: $vgpr1
	s_branch .LBB592_512
.LBB592_34:
                                        ; implicit-def: $vgpr1
	s_cbranch_execz .LBB592_10
; %bb.35:
	s_sub_i32 s3, s96, s100
	s_mov_b32 s4, exec_lo
                                        ; implicit-def: $vgpr1
	v_cmpx_gt_u32_e64 s3, v0
	s_cbranch_execz .LBB592_37
; %bb.36:
	v_lshlrev_b32_e32 v1, 3, v0
	global_load_b64 v[1:2], v1, s[102:103]
	s_waitcnt vmcnt(0)
	v_cmp_neq_f32_e32 vcc_lo, 0, v1
	v_cmp_neq_f32_e64 s2, 0, v2
	s_delay_alu instid0(VALU_DEP_1) | instskip(NEXT) | instid1(SALU_CYCLE_1)
	s_or_b32 s2, vcc_lo, s2
	v_cndmask_b32_e64 v1, 0, 1, s2
.LBB592_37:
	s_or_b32 exec_lo, exec_lo, s4
	v_or_b32_e32 v3, 0x80, v0
	v_mov_b32_e32 v2, 0
	s_delay_alu instid0(VALU_DEP_2)
	v_cmp_gt_u32_e32 vcc_lo, s3, v3
	v_mov_b32_e32 v3, 0
	s_and_saveexec_b32 s4, vcc_lo
	s_cbranch_execz .LBB592_39
; %bb.38:
	v_lshlrev_b32_e32 v3, 3, v0
	global_load_b64 v[3:4], v3, s[102:103] offset:1024
	s_waitcnt vmcnt(0)
	v_cmp_neq_f32_e32 vcc_lo, 0, v3
	v_cmp_neq_f32_e64 s2, 0, v4
	s_delay_alu instid0(VALU_DEP_1) | instskip(NEXT) | instid1(SALU_CYCLE_1)
	s_or_b32 s2, vcc_lo, s2
	v_cndmask_b32_e64 v3, 0, 1, s2
.LBB592_39:
	s_or_b32 exec_lo, exec_lo, s4
	v_or_b32_e32 v4, 0x100, v0
	s_mov_b32 s4, exec_lo
	s_delay_alu instid0(VALU_DEP_1)
	v_cmpx_gt_u32_e64 s3, v4
	s_cbranch_execz .LBB592_41
; %bb.40:
	v_lshlrev_b32_e32 v2, 3, v0
	global_load_b64 v[4:5], v2, s[102:103] offset:2048
	s_waitcnt vmcnt(0)
	v_cmp_neq_f32_e32 vcc_lo, 0, v4
	v_cmp_neq_f32_e64 s2, 0, v5
	s_delay_alu instid0(VALU_DEP_1) | instskip(NEXT) | instid1(SALU_CYCLE_1)
	s_or_b32 s2, vcc_lo, s2
	v_cndmask_b32_e64 v2, 0, 1, s2
.LBB592_41:
	s_or_b32 exec_lo, exec_lo, s4
	v_or_b32_e32 v5, 0x180, v0
	v_mov_b32_e32 v4, 0
	s_delay_alu instid0(VALU_DEP_2)
	v_cmp_gt_u32_e32 vcc_lo, s3, v5
	v_mov_b32_e32 v5, 0
	s_and_saveexec_b32 s4, vcc_lo
	s_cbranch_execz .LBB592_43
; %bb.42:
	v_lshlrev_b32_e32 v5, 3, v0
	global_load_b64 v[5:6], v5, s[102:103] offset:3072
	s_waitcnt vmcnt(0)
	v_cmp_neq_f32_e32 vcc_lo, 0, v5
	v_cmp_neq_f32_e64 s2, 0, v6
	s_delay_alu instid0(VALU_DEP_1) | instskip(NEXT) | instid1(SALU_CYCLE_1)
	s_or_b32 s2, vcc_lo, s2
	v_cndmask_b32_e64 v5, 0, 1, s2
.LBB592_43:
	s_or_b32 exec_lo, exec_lo, s4
	v_or_b32_e32 v6, 0x200, v0
	s_mov_b32 s4, exec_lo
	s_delay_alu instid0(VALU_DEP_1)
	v_cmpx_gt_u32_e64 s3, v6
	s_cbranch_execz .LBB592_45
; %bb.44:
	v_lshlrev_b32_e32 v4, 3, v6
	global_load_b64 v[6:7], v4, s[102:103]
	s_waitcnt vmcnt(0)
	v_cmp_neq_f32_e32 vcc_lo, 0, v6
	v_cmp_neq_f32_e64 s2, 0, v7
	s_delay_alu instid0(VALU_DEP_1) | instskip(NEXT) | instid1(SALU_CYCLE_1)
	s_or_b32 s2, vcc_lo, s2
	v_cndmask_b32_e64 v4, 0, 1, s2
.LBB592_45:
	s_or_b32 exec_lo, exec_lo, s4
	v_or_b32_e32 v8, 0x280, v0
	v_dual_mov_b32 v6, 0 :: v_dual_mov_b32 v7, 0
	s_mov_b32 s4, exec_lo
	s_delay_alu instid0(VALU_DEP_2)
	v_cmpx_gt_u32_e64 s3, v8
	s_cbranch_execz .LBB592_47
; %bb.46:
	v_lshlrev_b32_e32 v7, 3, v8
	global_load_b64 v[7:8], v7, s[102:103]
	s_waitcnt vmcnt(0)
	v_cmp_neq_f32_e32 vcc_lo, 0, v7
	v_cmp_neq_f32_e64 s2, 0, v8
	s_delay_alu instid0(VALU_DEP_1) | instskip(NEXT) | instid1(SALU_CYCLE_1)
	s_or_b32 s2, vcc_lo, s2
	v_cndmask_b32_e64 v7, 0, 1, s2
.LBB592_47:
	s_or_b32 exec_lo, exec_lo, s4
	v_or_b32_e32 v8, 0x300, v0
	s_mov_b32 s4, exec_lo
	s_delay_alu instid0(VALU_DEP_1)
	v_cmpx_gt_u32_e64 s3, v8
	s_cbranch_execz .LBB592_49
; %bb.48:
	v_lshlrev_b32_e32 v6, 3, v8
	global_load_b64 v[8:9], v6, s[102:103]
	s_waitcnt vmcnt(0)
	v_cmp_neq_f32_e32 vcc_lo, 0, v8
	v_cmp_neq_f32_e64 s2, 0, v9
	s_delay_alu instid0(VALU_DEP_1) | instskip(NEXT) | instid1(SALU_CYCLE_1)
	s_or_b32 s2, vcc_lo, s2
	v_cndmask_b32_e64 v6, 0, 1, s2
.LBB592_49:
	s_or_b32 exec_lo, exec_lo, s4
	v_or_b32_e32 v10, 0x380, v0
	v_dual_mov_b32 v8, 0 :: v_dual_mov_b32 v9, 0
	s_mov_b32 s4, exec_lo
	s_delay_alu instid0(VALU_DEP_2)
	v_cmpx_gt_u32_e64 s3, v10
	s_cbranch_execz .LBB592_51
; %bb.50:
	v_lshlrev_b32_e32 v9, 3, v10
	global_load_b64 v[9:10], v9, s[102:103]
	s_waitcnt vmcnt(0)
	v_cmp_neq_f32_e32 vcc_lo, 0, v9
	v_cmp_neq_f32_e64 s2, 0, v10
	s_delay_alu instid0(VALU_DEP_1) | instskip(NEXT) | instid1(SALU_CYCLE_1)
	s_or_b32 s2, vcc_lo, s2
	v_cndmask_b32_e64 v9, 0, 1, s2
.LBB592_51:
	;; [unrolled: 33-line block ×61, first 2 shown]
	s_or_b32 exec_lo, exec_lo, s4
	v_or_b32_e32 v128, 0x3f00, v0
	s_mov_b32 s4, exec_lo
	s_delay_alu instid0(VALU_DEP_1)
	v_cmpx_gt_u32_e64 s3, v128
	s_cbranch_execz .LBB592_289
; %bb.288:
	v_lshlrev_b32_e32 v126, 3, v128
	global_load_b64 v[128:129], v126, s[102:103]
	s_waitcnt vmcnt(0)
	v_cmp_neq_f32_e32 vcc_lo, 0, v128
	v_cmp_neq_f32_e64 s2, 0, v129
	s_delay_alu instid0(VALU_DEP_1) | instskip(NEXT) | instid1(SALU_CYCLE_1)
	s_or_b32 s2, vcc_lo, s2
	v_cndmask_b32_e64 v126, 0, 1, s2
.LBB592_289:
	s_or_b32 exec_lo, exec_lo, s4
	v_or_b32_e32 v129, 0x3f80, v0
	v_mov_b32_e32 v128, 0
	s_mov_b32 s4, exec_lo
	s_delay_alu instid0(VALU_DEP_2)
	v_cmpx_gt_u32_e64 s3, v129
	s_cbranch_execz .LBB592_291
; %bb.290:
	v_lshlrev_b32_e32 v128, 3, v129
	global_load_b64 v[128:129], v128, s[102:103]
	s_waitcnt vmcnt(0)
	v_cmp_neq_f32_e32 vcc_lo, 0, v128
	v_cmp_neq_f32_e64 s2, 0, v129
	s_delay_alu instid0(VALU_DEP_1) | instskip(NEXT) | instid1(SALU_CYCLE_1)
	s_or_b32 s2, vcc_lo, s2
	v_cndmask_b32_e64 v128, 0, 1, s2
.LBB592_291:
	s_or_b32 exec_lo, exec_lo, s4
	v_add_nc_u32_e32 v1, v3, v1
	s_min_u32 s2, s3, 0x80
	s_mov_b32 s3, exec_lo
	s_delay_alu instid0(VALU_DEP_1) | instskip(SKIP_1) | instid1(VALU_DEP_2)
	v_add3_u32 v1, v1, v2, v5
	v_mbcnt_lo_u32_b32 v2, -1, 0
	v_add3_u32 v1, v1, v4, v7
	s_delay_alu instid0(VALU_DEP_2) | instskip(NEXT) | instid1(VALU_DEP_2)
	v_cmp_ne_u32_e32 vcc_lo, 31, v2
	v_add3_u32 v1, v1, v6, v9
	v_add_co_ci_u32_e32 v3, vcc_lo, 0, v2, vcc_lo
	v_cmp_gt_u32_e32 vcc_lo, 30, v2
	v_add_nc_u32_e32 v6, 1, v2
	s_delay_alu instid0(VALU_DEP_4) | instskip(NEXT) | instid1(VALU_DEP_4)
	v_add3_u32 v1, v1, v8, v11
	v_lshlrev_b32_e32 v3, 2, v3
	v_cndmask_b32_e64 v5, 0, 1, vcc_lo
	s_delay_alu instid0(VALU_DEP_3) | instskip(NEXT) | instid1(VALU_DEP_2)
	v_add3_u32 v1, v1, v10, v13
	v_lshlrev_b32_e32 v5, 1, v5
	s_delay_alu instid0(VALU_DEP_2) | instskip(NEXT) | instid1(VALU_DEP_2)
	v_add3_u32 v1, v1, v12, v15
	v_add_lshl_u32 v5, v5, v2, 2
	s_delay_alu instid0(VALU_DEP_2) | instskip(NEXT) | instid1(VALU_DEP_1)
	v_add3_u32 v1, v1, v14, v17
	v_add3_u32 v1, v1, v16, v19
	s_delay_alu instid0(VALU_DEP_1) | instskip(NEXT) | instid1(VALU_DEP_1)
	v_add3_u32 v1, v1, v18, v21
	v_add3_u32 v1, v1, v20, v23
	s_delay_alu instid0(VALU_DEP_1) | instskip(NEXT) | instid1(VALU_DEP_1)
	v_add3_u32 v1, v1, v22, v25
	v_add3_u32 v1, v1, v24, v27
	s_delay_alu instid0(VALU_DEP_1) | instskip(NEXT) | instid1(VALU_DEP_1)
	v_add3_u32 v1, v1, v26, v29
	v_add3_u32 v1, v1, v28, v31
	s_delay_alu instid0(VALU_DEP_1) | instskip(NEXT) | instid1(VALU_DEP_1)
	v_add3_u32 v1, v1, v30, v33
	v_add3_u32 v1, v1, v32, v35
	s_delay_alu instid0(VALU_DEP_1) | instskip(NEXT) | instid1(VALU_DEP_1)
	v_add3_u32 v1, v1, v34, v37
	v_add3_u32 v1, v1, v36, v39
	s_delay_alu instid0(VALU_DEP_1) | instskip(NEXT) | instid1(VALU_DEP_1)
	v_add3_u32 v1, v1, v38, v41
	v_add3_u32 v1, v1, v40, v43
	s_delay_alu instid0(VALU_DEP_1) | instskip(NEXT) | instid1(VALU_DEP_1)
	v_add3_u32 v1, v1, v42, v45
	v_add3_u32 v1, v1, v44, v47
	s_delay_alu instid0(VALU_DEP_1) | instskip(NEXT) | instid1(VALU_DEP_1)
	v_add3_u32 v1, v1, v46, v49
	v_add3_u32 v1, v1, v48, v51
	s_delay_alu instid0(VALU_DEP_1) | instskip(NEXT) | instid1(VALU_DEP_1)
	v_add3_u32 v1, v1, v50, v53
	v_add3_u32 v1, v1, v52, v55
	s_delay_alu instid0(VALU_DEP_1) | instskip(NEXT) | instid1(VALU_DEP_1)
	v_add3_u32 v1, v1, v54, v57
	v_add3_u32 v1, v1, v56, v59
	s_delay_alu instid0(VALU_DEP_1) | instskip(NEXT) | instid1(VALU_DEP_1)
	v_add3_u32 v1, v1, v58, v61
	v_add3_u32 v1, v1, v60, v63
	s_delay_alu instid0(VALU_DEP_1) | instskip(NEXT) | instid1(VALU_DEP_1)
	v_add3_u32 v1, v1, v62, v65
	v_add3_u32 v1, v1, v64, v67
	s_delay_alu instid0(VALU_DEP_1) | instskip(NEXT) | instid1(VALU_DEP_1)
	v_add3_u32 v1, v1, v66, v69
	v_add3_u32 v1, v1, v68, v71
	s_delay_alu instid0(VALU_DEP_1) | instskip(NEXT) | instid1(VALU_DEP_1)
	v_add3_u32 v1, v1, v70, v73
	v_add3_u32 v1, v1, v72, v75
	s_delay_alu instid0(VALU_DEP_1) | instskip(NEXT) | instid1(VALU_DEP_1)
	v_add3_u32 v1, v1, v74, v77
	v_add3_u32 v1, v1, v76, v79
	s_delay_alu instid0(VALU_DEP_1) | instskip(NEXT) | instid1(VALU_DEP_1)
	v_add3_u32 v1, v1, v78, v81
	v_add3_u32 v1, v1, v80, v83
	s_delay_alu instid0(VALU_DEP_1) | instskip(NEXT) | instid1(VALU_DEP_1)
	v_add3_u32 v1, v1, v82, v85
	v_add3_u32 v1, v1, v84, v87
	s_delay_alu instid0(VALU_DEP_1) | instskip(NEXT) | instid1(VALU_DEP_1)
	v_add3_u32 v1, v1, v86, v89
	v_add3_u32 v1, v1, v88, v91
	s_delay_alu instid0(VALU_DEP_1) | instskip(NEXT) | instid1(VALU_DEP_1)
	v_add3_u32 v1, v1, v90, v93
	v_add3_u32 v1, v1, v92, v95
	s_delay_alu instid0(VALU_DEP_1) | instskip(NEXT) | instid1(VALU_DEP_1)
	v_add3_u32 v1, v1, v94, v97
	v_add3_u32 v1, v1, v96, v99
	s_delay_alu instid0(VALU_DEP_1) | instskip(NEXT) | instid1(VALU_DEP_1)
	v_add3_u32 v1, v1, v98, v101
	v_add3_u32 v1, v1, v100, v103
	s_delay_alu instid0(VALU_DEP_1) | instskip(NEXT) | instid1(VALU_DEP_1)
	v_add3_u32 v1, v1, v102, v105
	v_add3_u32 v1, v1, v104, v107
	s_delay_alu instid0(VALU_DEP_1) | instskip(NEXT) | instid1(VALU_DEP_1)
	v_add3_u32 v1, v1, v106, v109
	v_add3_u32 v1, v1, v108, v111
	s_delay_alu instid0(VALU_DEP_1) | instskip(NEXT) | instid1(VALU_DEP_1)
	v_add3_u32 v1, v1, v110, v113
	v_add3_u32 v1, v1, v112, v115
	s_delay_alu instid0(VALU_DEP_1) | instskip(NEXT) | instid1(VALU_DEP_1)
	v_add3_u32 v1, v1, v114, v117
	v_add3_u32 v1, v1, v116, v119
	s_delay_alu instid0(VALU_DEP_1) | instskip(NEXT) | instid1(VALU_DEP_1)
	v_add3_u32 v1, v1, v118, v121
	v_add3_u32 v1, v1, v120, v123
	s_delay_alu instid0(VALU_DEP_1) | instskip(NEXT) | instid1(VALU_DEP_1)
	v_add3_u32 v1, v1, v122, v125
	v_add3_u32 v1, v1, v124, v127
	s_delay_alu instid0(VALU_DEP_1) | instskip(SKIP_2) | instid1(VALU_DEP_1)
	v_add3_u32 v1, v1, v126, v128
	ds_bpermute_b32 v3, v3, v1
	v_and_b32_e32 v4, 0x60, v0
	v_sub_nc_u32_e64 v4, s2, v4 clamp
	s_delay_alu instid0(VALU_DEP_1) | instskip(SKIP_3) | instid1(VALU_DEP_2)
	v_cmp_lt_u32_e32 vcc_lo, v6, v4
	s_waitcnt lgkmcnt(0)
	v_dual_cndmask_b32 v3, 0, v3 :: v_dual_add_nc_u32 v6, 2, v2
	v_cmp_gt_u32_e32 vcc_lo, 28, v2
	v_add_nc_u32_e32 v1, v3, v1
	ds_bpermute_b32 v3, v5, v1
	v_cndmask_b32_e64 v5, 0, 1, vcc_lo
	v_cmp_lt_u32_e32 vcc_lo, v6, v4
	v_add_nc_u32_e32 v6, 4, v2
	s_delay_alu instid0(VALU_DEP_3) | instskip(NEXT) | instid1(VALU_DEP_1)
	v_lshlrev_b32_e32 v5, 2, v5
	v_add_lshl_u32 v5, v5, v2, 2
	s_waitcnt lgkmcnt(0)
	v_cndmask_b32_e32 v3, 0, v3, vcc_lo
	v_cmp_gt_u32_e32 vcc_lo, 24, v2
	s_delay_alu instid0(VALU_DEP_2) | instskip(SKIP_4) | instid1(VALU_DEP_3)
	v_add_nc_u32_e32 v1, v1, v3
	ds_bpermute_b32 v3, v5, v1
	v_cndmask_b32_e64 v5, 0, 1, vcc_lo
	v_cmp_lt_u32_e32 vcc_lo, v6, v4
	v_add_nc_u32_e32 v6, 8, v2
	v_lshlrev_b32_e32 v5, 3, v5
	s_delay_alu instid0(VALU_DEP_1) | instskip(SKIP_3) | instid1(VALU_DEP_2)
	v_add_lshl_u32 v5, v5, v2, 2
	s_waitcnt lgkmcnt(0)
	v_cndmask_b32_e32 v3, 0, v3, vcc_lo
	v_cmp_gt_u32_e32 vcc_lo, 16, v2
	v_add_nc_u32_e32 v1, v1, v3
	ds_bpermute_b32 v3, v5, v1
	v_cndmask_b32_e64 v5, 0, 1, vcc_lo
	v_cmp_lt_u32_e32 vcc_lo, v6, v4
	s_delay_alu instid0(VALU_DEP_2) | instskip(NEXT) | instid1(VALU_DEP_1)
	v_lshlrev_b32_e32 v5, 4, v5
	v_add_lshl_u32 v5, v5, v2, 2
	s_waitcnt lgkmcnt(0)
	v_cndmask_b32_e32 v3, 0, v3, vcc_lo
	s_delay_alu instid0(VALU_DEP_1) | instskip(SKIP_2) | instid1(VALU_DEP_1)
	v_add_nc_u32_e32 v1, v1, v3
	ds_bpermute_b32 v3, v5, v1
	v_add_nc_u32_e32 v5, 16, v2
	v_cmp_lt_u32_e32 vcc_lo, v5, v4
	s_waitcnt lgkmcnt(0)
	v_cndmask_b32_e32 v3, 0, v3, vcc_lo
	s_delay_alu instid0(VALU_DEP_1)
	v_add_nc_u32_e32 v1, v1, v3
	v_cmpx_eq_u32_e32 0, v2
	s_cbranch_execz .LBB592_293
; %bb.292:
	v_lshrrev_b32_e32 v3, 3, v0
	s_delay_alu instid0(VALU_DEP_1)
	v_and_b32_e32 v3, 12, v3
	ds_store_b32 v3, v1 offset:128
.LBB592_293:
	s_or_b32 exec_lo, exec_lo, s3
	s_delay_alu instid0(SALU_CYCLE_1)
	s_mov_b32 s3, exec_lo
	s_waitcnt lgkmcnt(0)
	s_barrier
	buffer_gl0_inv
	v_cmpx_gt_u32_e32 4, v0
	s_cbranch_execz .LBB592_295
; %bb.294:
	v_and_b32_e32 v3, 3, v2
	s_add_i32 s2, s2, 31
	s_delay_alu instid0(SALU_CYCLE_1) | instskip(NEXT) | instid1(VALU_DEP_1)
	s_lshr_b32 s2, s2, 5
	v_cmp_ne_u32_e32 vcc_lo, 3, v3
	v_add_nc_u32_e32 v5, 1, v3
	v_add_co_ci_u32_e32 v4, vcc_lo, 0, v2, vcc_lo
	v_cmp_gt_u32_e32 vcc_lo, 2, v3
	v_add_nc_u32_e32 v3, 2, v3
	s_delay_alu instid0(VALU_DEP_3) | instskip(SKIP_3) | instid1(VALU_DEP_3)
	v_lshlrev_b32_e32 v4, 2, v4
	v_cndmask_b32_e64 v6, 0, 1, vcc_lo
	v_cmp_gt_u32_e32 vcc_lo, s2, v5
	v_lshlrev_b32_e32 v1, 2, v2
	v_lshlrev_b32_e32 v5, 1, v6
	ds_load_b32 v1, v1 offset:128
	v_add_lshl_u32 v2, v5, v2, 2
	s_waitcnt lgkmcnt(0)
	ds_bpermute_b32 v4, v4, v1
	s_waitcnt lgkmcnt(0)
	v_cndmask_b32_e32 v4, 0, v4, vcc_lo
	v_cmp_gt_u32_e32 vcc_lo, s2, v3
	s_delay_alu instid0(VALU_DEP_2) | instskip(SKIP_3) | instid1(VALU_DEP_1)
	v_add_nc_u32_e32 v1, v4, v1
	ds_bpermute_b32 v2, v2, v1
	s_waitcnt lgkmcnt(0)
	v_cndmask_b32_e32 v2, 0, v2, vcc_lo
	v_add_nc_u32_e32 v1, v1, v2
.LBB592_295:
	s_or_b32 exec_lo, exec_lo, s3
	v_cmp_eq_u32_e64 s2, 0, v0
	s_and_b32 vcc_lo, exec_lo, vcc_hi
	s_cbranch_vccnz .LBB592_24
	s_branch .LBB592_11
.LBB592_296:
	s_mov_b32 s2, -1
                                        ; implicit-def: $vgpr1
.LBB592_297:
	s_delay_alu instid0(SALU_CYCLE_1)
	s_and_b32 vcc_lo, exec_lo, s2
	s_cbranch_vccz .LBB592_367
; %bb.298:
	s_sub_i32 s3, s96, s46
	s_mov_b32 s4, exec_lo
                                        ; implicit-def: $vgpr1
	v_cmpx_gt_u32_e64 s3, v0
	s_cbranch_execz .LBB592_300
; %bb.299:
	v_lshlrev_b32_e32 v1, 3, v0
	global_load_b64 v[1:2], v1, s[44:45]
	s_waitcnt vmcnt(0)
	v_cmp_neq_f32_e32 vcc_lo, 0, v1
	v_cmp_neq_f32_e64 s2, 0, v2
	s_delay_alu instid0(VALU_DEP_1) | instskip(NEXT) | instid1(SALU_CYCLE_1)
	s_or_b32 s2, vcc_lo, s2
	v_cndmask_b32_e64 v1, 0, 1, s2
.LBB592_300:
	s_or_b32 exec_lo, exec_lo, s4
	v_or_b32_e32 v3, 0x80, v0
	v_mov_b32_e32 v2, 0
	s_delay_alu instid0(VALU_DEP_2)
	v_cmp_gt_u32_e32 vcc_lo, s3, v3
	v_mov_b32_e32 v3, 0
	s_and_saveexec_b32 s4, vcc_lo
	s_cbranch_execz .LBB592_302
; %bb.301:
	v_lshlrev_b32_e32 v3, 3, v0
	global_load_b64 v[3:4], v3, s[44:45] offset:1024
	s_waitcnt vmcnt(0)
	v_cmp_neq_f32_e32 vcc_lo, 0, v3
	v_cmp_neq_f32_e64 s2, 0, v4
	s_delay_alu instid0(VALU_DEP_1) | instskip(NEXT) | instid1(SALU_CYCLE_1)
	s_or_b32 s2, vcc_lo, s2
	v_cndmask_b32_e64 v3, 0, 1, s2
.LBB592_302:
	s_or_b32 exec_lo, exec_lo, s4
	v_or_b32_e32 v4, 0x100, v0
	s_mov_b32 s4, exec_lo
	s_delay_alu instid0(VALU_DEP_1)
	v_cmpx_gt_u32_e64 s3, v4
	s_cbranch_execz .LBB592_304
; %bb.303:
	v_lshlrev_b32_e32 v2, 3, v0
	global_load_b64 v[4:5], v2, s[44:45] offset:2048
	s_waitcnt vmcnt(0)
	v_cmp_neq_f32_e32 vcc_lo, 0, v4
	v_cmp_neq_f32_e64 s2, 0, v5
	s_delay_alu instid0(VALU_DEP_1) | instskip(NEXT) | instid1(SALU_CYCLE_1)
	s_or_b32 s2, vcc_lo, s2
	v_cndmask_b32_e64 v2, 0, 1, s2
.LBB592_304:
	s_or_b32 exec_lo, exec_lo, s4
	v_or_b32_e32 v5, 0x180, v0
	v_mov_b32_e32 v4, 0
	s_delay_alu instid0(VALU_DEP_2)
	v_cmp_gt_u32_e32 vcc_lo, s3, v5
	v_mov_b32_e32 v5, 0
	s_and_saveexec_b32 s4, vcc_lo
	s_cbranch_execz .LBB592_306
; %bb.305:
	v_lshlrev_b32_e32 v5, 3, v0
	global_load_b64 v[5:6], v5, s[44:45] offset:3072
	s_waitcnt vmcnt(0)
	v_cmp_neq_f32_e32 vcc_lo, 0, v5
	v_cmp_neq_f32_e64 s2, 0, v6
	s_delay_alu instid0(VALU_DEP_1) | instskip(NEXT) | instid1(SALU_CYCLE_1)
	s_or_b32 s2, vcc_lo, s2
	v_cndmask_b32_e64 v5, 0, 1, s2
.LBB592_306:
	s_or_b32 exec_lo, exec_lo, s4
	v_or_b32_e32 v6, 0x200, v0
	s_mov_b32 s4, exec_lo
	s_delay_alu instid0(VALU_DEP_1)
	v_cmpx_gt_u32_e64 s3, v6
	s_cbranch_execz .LBB592_308
; %bb.307:
	v_lshlrev_b32_e32 v4, 3, v6
	global_load_b64 v[6:7], v4, s[44:45]
	s_waitcnt vmcnt(0)
	v_cmp_neq_f32_e32 vcc_lo, 0, v6
	v_cmp_neq_f32_e64 s2, 0, v7
	s_delay_alu instid0(VALU_DEP_1) | instskip(NEXT) | instid1(SALU_CYCLE_1)
	s_or_b32 s2, vcc_lo, s2
	v_cndmask_b32_e64 v4, 0, 1, s2
.LBB592_308:
	s_or_b32 exec_lo, exec_lo, s4
	v_or_b32_e32 v8, 0x280, v0
	v_dual_mov_b32 v6, 0 :: v_dual_mov_b32 v7, 0
	s_mov_b32 s4, exec_lo
	s_delay_alu instid0(VALU_DEP_2)
	v_cmpx_gt_u32_e64 s3, v8
	s_cbranch_execz .LBB592_310
; %bb.309:
	v_lshlrev_b32_e32 v7, 3, v8
	global_load_b64 v[7:8], v7, s[44:45]
	s_waitcnt vmcnt(0)
	v_cmp_neq_f32_e32 vcc_lo, 0, v7
	v_cmp_neq_f32_e64 s2, 0, v8
	s_delay_alu instid0(VALU_DEP_1) | instskip(NEXT) | instid1(SALU_CYCLE_1)
	s_or_b32 s2, vcc_lo, s2
	v_cndmask_b32_e64 v7, 0, 1, s2
.LBB592_310:
	s_or_b32 exec_lo, exec_lo, s4
	v_or_b32_e32 v8, 0x300, v0
	s_mov_b32 s4, exec_lo
	s_delay_alu instid0(VALU_DEP_1)
	v_cmpx_gt_u32_e64 s3, v8
	s_cbranch_execz .LBB592_312
; %bb.311:
	v_lshlrev_b32_e32 v6, 3, v8
	global_load_b64 v[8:9], v6, s[44:45]
	s_waitcnt vmcnt(0)
	v_cmp_neq_f32_e32 vcc_lo, 0, v8
	v_cmp_neq_f32_e64 s2, 0, v9
	s_delay_alu instid0(VALU_DEP_1) | instskip(NEXT) | instid1(SALU_CYCLE_1)
	s_or_b32 s2, vcc_lo, s2
	v_cndmask_b32_e64 v6, 0, 1, s2
.LBB592_312:
	s_or_b32 exec_lo, exec_lo, s4
	v_or_b32_e32 v10, 0x380, v0
	v_dual_mov_b32 v8, 0 :: v_dual_mov_b32 v9, 0
	s_mov_b32 s4, exec_lo
	s_delay_alu instid0(VALU_DEP_2)
	v_cmpx_gt_u32_e64 s3, v10
	s_cbranch_execz .LBB592_314
; %bb.313:
	v_lshlrev_b32_e32 v9, 3, v10
	global_load_b64 v[9:10], v9, s[44:45]
	s_waitcnt vmcnt(0)
	v_cmp_neq_f32_e32 vcc_lo, 0, v9
	v_cmp_neq_f32_e64 s2, 0, v10
	s_delay_alu instid0(VALU_DEP_1) | instskip(NEXT) | instid1(SALU_CYCLE_1)
	s_or_b32 s2, vcc_lo, s2
	v_cndmask_b32_e64 v9, 0, 1, s2
.LBB592_314:
	;; [unrolled: 33-line block ×13, first 2 shown]
	s_or_b32 exec_lo, exec_lo, s4
	v_or_b32_e32 v32, 0xf00, v0
	s_mov_b32 s4, exec_lo
	s_delay_alu instid0(VALU_DEP_1)
	v_cmpx_gt_u32_e64 s3, v32
	s_cbranch_execz .LBB592_360
; %bb.359:
	v_lshlrev_b32_e32 v30, 3, v32
	global_load_b64 v[32:33], v30, s[44:45]
	s_waitcnt vmcnt(0)
	v_cmp_neq_f32_e32 vcc_lo, 0, v32
	v_cmp_neq_f32_e64 s2, 0, v33
	s_delay_alu instid0(VALU_DEP_1) | instskip(NEXT) | instid1(SALU_CYCLE_1)
	s_or_b32 s2, vcc_lo, s2
	v_cndmask_b32_e64 v30, 0, 1, s2
.LBB592_360:
	s_or_b32 exec_lo, exec_lo, s4
	v_or_b32_e32 v33, 0xf80, v0
	v_mov_b32_e32 v32, 0
	s_mov_b32 s4, exec_lo
	s_delay_alu instid0(VALU_DEP_2)
	v_cmpx_gt_u32_e64 s3, v33
	s_cbranch_execz .LBB592_362
; %bb.361:
	v_lshlrev_b32_e32 v32, 3, v33
	global_load_b64 v[32:33], v32, s[44:45]
	s_waitcnt vmcnt(0)
	v_cmp_neq_f32_e32 vcc_lo, 0, v32
	v_cmp_neq_f32_e64 s2, 0, v33
	s_delay_alu instid0(VALU_DEP_1) | instskip(NEXT) | instid1(SALU_CYCLE_1)
	s_or_b32 s2, vcc_lo, s2
	v_cndmask_b32_e64 v32, 0, 1, s2
.LBB592_362:
	s_or_b32 exec_lo, exec_lo, s4
	v_add_nc_u32_e32 v1, v3, v1
	s_min_u32 s2, s3, 0x80
	s_mov_b32 s3, exec_lo
	s_delay_alu instid0(VALU_DEP_1) | instskip(SKIP_1) | instid1(VALU_DEP_2)
	v_add3_u32 v1, v1, v2, v5
	v_mbcnt_lo_u32_b32 v2, -1, 0
	v_add3_u32 v1, v1, v4, v7
	s_delay_alu instid0(VALU_DEP_2) | instskip(NEXT) | instid1(VALU_DEP_2)
	v_cmp_ne_u32_e32 vcc_lo, 31, v2
	v_add3_u32 v1, v1, v6, v9
	v_add_co_ci_u32_e32 v3, vcc_lo, 0, v2, vcc_lo
	v_cmp_gt_u32_e32 vcc_lo, 30, v2
	v_add_nc_u32_e32 v6, 1, v2
	s_delay_alu instid0(VALU_DEP_4) | instskip(NEXT) | instid1(VALU_DEP_4)
	v_add3_u32 v1, v1, v8, v11
	v_lshlrev_b32_e32 v3, 2, v3
	v_cndmask_b32_e64 v5, 0, 1, vcc_lo
	s_delay_alu instid0(VALU_DEP_3) | instskip(NEXT) | instid1(VALU_DEP_2)
	v_add3_u32 v1, v1, v10, v13
	v_lshlrev_b32_e32 v5, 1, v5
	s_delay_alu instid0(VALU_DEP_2) | instskip(NEXT) | instid1(VALU_DEP_2)
	v_add3_u32 v1, v1, v12, v15
	v_add_lshl_u32 v5, v5, v2, 2
	s_delay_alu instid0(VALU_DEP_2) | instskip(NEXT) | instid1(VALU_DEP_1)
	v_add3_u32 v1, v1, v14, v17
	v_add3_u32 v1, v1, v16, v19
	s_delay_alu instid0(VALU_DEP_1) | instskip(NEXT) | instid1(VALU_DEP_1)
	v_add3_u32 v1, v1, v18, v21
	v_add3_u32 v1, v1, v20, v23
	s_delay_alu instid0(VALU_DEP_1) | instskip(NEXT) | instid1(VALU_DEP_1)
	;; [unrolled: 3-line block ×3, first 2 shown]
	v_add3_u32 v1, v1, v26, v29
	v_add3_u32 v1, v1, v28, v31
	s_delay_alu instid0(VALU_DEP_1) | instskip(SKIP_2) | instid1(VALU_DEP_1)
	v_add3_u32 v1, v1, v30, v32
	ds_bpermute_b32 v3, v3, v1
	v_and_b32_e32 v4, 0x60, v0
	v_sub_nc_u32_e64 v4, s2, v4 clamp
	s_delay_alu instid0(VALU_DEP_1) | instskip(SKIP_3) | instid1(VALU_DEP_2)
	v_cmp_lt_u32_e32 vcc_lo, v6, v4
	s_waitcnt lgkmcnt(0)
	v_dual_cndmask_b32 v3, 0, v3 :: v_dual_add_nc_u32 v6, 2, v2
	v_cmp_gt_u32_e32 vcc_lo, 28, v2
	v_add_nc_u32_e32 v1, v3, v1
	ds_bpermute_b32 v3, v5, v1
	v_cndmask_b32_e64 v5, 0, 1, vcc_lo
	v_cmp_lt_u32_e32 vcc_lo, v6, v4
	v_add_nc_u32_e32 v6, 4, v2
	s_delay_alu instid0(VALU_DEP_3) | instskip(NEXT) | instid1(VALU_DEP_1)
	v_lshlrev_b32_e32 v5, 2, v5
	v_add_lshl_u32 v5, v5, v2, 2
	s_waitcnt lgkmcnt(0)
	v_cndmask_b32_e32 v3, 0, v3, vcc_lo
	v_cmp_gt_u32_e32 vcc_lo, 24, v2
	s_delay_alu instid0(VALU_DEP_2) | instskip(SKIP_4) | instid1(VALU_DEP_3)
	v_add_nc_u32_e32 v1, v1, v3
	ds_bpermute_b32 v3, v5, v1
	v_cndmask_b32_e64 v5, 0, 1, vcc_lo
	v_cmp_lt_u32_e32 vcc_lo, v6, v4
	v_add_nc_u32_e32 v6, 8, v2
	v_lshlrev_b32_e32 v5, 3, v5
	s_delay_alu instid0(VALU_DEP_1) | instskip(SKIP_3) | instid1(VALU_DEP_2)
	v_add_lshl_u32 v5, v5, v2, 2
	s_waitcnt lgkmcnt(0)
	v_cndmask_b32_e32 v3, 0, v3, vcc_lo
	v_cmp_gt_u32_e32 vcc_lo, 16, v2
	v_add_nc_u32_e32 v1, v1, v3
	ds_bpermute_b32 v3, v5, v1
	v_cndmask_b32_e64 v5, 0, 1, vcc_lo
	v_cmp_lt_u32_e32 vcc_lo, v6, v4
	s_delay_alu instid0(VALU_DEP_2) | instskip(NEXT) | instid1(VALU_DEP_1)
	v_lshlrev_b32_e32 v5, 4, v5
	v_add_lshl_u32 v5, v5, v2, 2
	s_waitcnt lgkmcnt(0)
	v_cndmask_b32_e32 v3, 0, v3, vcc_lo
	s_delay_alu instid0(VALU_DEP_1) | instskip(SKIP_2) | instid1(VALU_DEP_1)
	v_add_nc_u32_e32 v1, v1, v3
	ds_bpermute_b32 v3, v5, v1
	v_add_nc_u32_e32 v5, 16, v2
	v_cmp_lt_u32_e32 vcc_lo, v5, v4
	s_waitcnt lgkmcnt(0)
	v_cndmask_b32_e32 v3, 0, v3, vcc_lo
	s_delay_alu instid0(VALU_DEP_1)
	v_add_nc_u32_e32 v1, v1, v3
	v_cmpx_eq_u32_e32 0, v2
	s_cbranch_execz .LBB592_364
; %bb.363:
	v_lshrrev_b32_e32 v3, 3, v0
	s_delay_alu instid0(VALU_DEP_1)
	v_and_b32_e32 v3, 12, v3
	ds_store_b32 v3, v1 offset:128
.LBB592_364:
	s_or_b32 exec_lo, exec_lo, s3
	s_delay_alu instid0(SALU_CYCLE_1)
	s_mov_b32 s3, exec_lo
	s_waitcnt lgkmcnt(0)
	s_barrier
	buffer_gl0_inv
	v_cmpx_gt_u32_e32 4, v0
	s_cbranch_execz .LBB592_366
; %bb.365:
	v_and_b32_e32 v3, 3, v2
	s_add_i32 s2, s2, 31
	s_delay_alu instid0(SALU_CYCLE_1) | instskip(NEXT) | instid1(VALU_DEP_1)
	s_lshr_b32 s2, s2, 5
	v_cmp_ne_u32_e32 vcc_lo, 3, v3
	v_add_nc_u32_e32 v5, 1, v3
	v_add_co_ci_u32_e32 v4, vcc_lo, 0, v2, vcc_lo
	v_cmp_gt_u32_e32 vcc_lo, 2, v3
	v_add_nc_u32_e32 v3, 2, v3
	s_delay_alu instid0(VALU_DEP_3) | instskip(SKIP_3) | instid1(VALU_DEP_3)
	v_lshlrev_b32_e32 v4, 2, v4
	v_cndmask_b32_e64 v6, 0, 1, vcc_lo
	v_cmp_gt_u32_e32 vcc_lo, s2, v5
	v_lshlrev_b32_e32 v1, 2, v2
	v_lshlrev_b32_e32 v5, 1, v6
	ds_load_b32 v1, v1 offset:128
	v_add_lshl_u32 v2, v5, v2, 2
	s_waitcnt lgkmcnt(0)
	ds_bpermute_b32 v4, v4, v1
	s_waitcnt lgkmcnt(0)
	v_cndmask_b32_e32 v4, 0, v4, vcc_lo
	v_cmp_gt_u32_e32 vcc_lo, s2, v3
	s_delay_alu instid0(VALU_DEP_2) | instskip(SKIP_3) | instid1(VALU_DEP_1)
	v_add_nc_u32_e32 v1, v4, v1
	ds_bpermute_b32 v2, v2, v1
	s_waitcnt lgkmcnt(0)
	v_cndmask_b32_e32 v2, 0, v2, vcc_lo
	v_add_nc_u32_e32 v1, v1, v2
.LBB592_366:
	s_or_b32 exec_lo, exec_lo, s3
.LBB592_367:
	v_cmp_eq_u32_e64 s2, 0, v0
	s_branch .LBB592_512
.LBB592_368:
	s_cmp_eq_u32 s104, 16
	s_cbranch_scc0 .LBB592_375
; %bb.369:
	s_mov_b32 s95, 0
	s_lshl_b32 s26, s94, 11
	s_mov_b32 s27, s95
	s_lshr_b64 s[4:5], s[96:97], 11
	s_lshl_b64 s[2:3], s[26:27], 3
	s_waitcnt lgkmcnt(0)
	s_add_u32 s24, s92, s2
	s_addc_u32 s25, s93, s3
	s_cmp_lg_u64 s[4:5], s[94:95]
	s_cbranch_scc0 .LBB592_533
; %bb.370:
	v_lshlrev_b32_e32 v7, 3, v0
	s_delay_alu instid0(VALU_DEP_1) | instskip(NEXT) | instid1(VALU_DEP_1)
	v_add_co_u32 v23, s2, s24, v7
	v_add_co_ci_u32_e64 v24, null, s25, 0, s2
	s_clause 0x3
	global_load_b64 v[1:2], v7, s[24:25]
	global_load_b64 v[3:4], v7, s[24:25] offset:1024
	global_load_b64 v[5:6], v7, s[24:25] offset:2048
	;; [unrolled: 1-line block ×3, first 2 shown]
	v_add_co_u32 v9, vcc_lo, v23, 0x2000
	v_add_co_ci_u32_e32 v10, vcc_lo, 0, v24, vcc_lo
	v_add_co_u32 v11, vcc_lo, 0x1000, v23
	v_add_co_ci_u32_e32 v12, vcc_lo, 0, v24, vcc_lo
	global_load_b64 v[13:14], v[9:10], off offset:-4096
	v_add_co_u32 v15, vcc_lo, 0x2000, v23
	v_add_co_ci_u32_e32 v16, vcc_lo, 0, v24, vcc_lo
	s_clause 0x4
	global_load_b64 v[17:18], v[11:12], off offset:1024
	global_load_b64 v[19:20], v[11:12], off offset:2048
	global_load_b64 v[9:10], v[9:10], off
	global_load_b64 v[11:12], v[11:12], off offset:3072
	global_load_b64 v[21:22], v[15:16], off offset:1024
	v_add_co_u32 v23, vcc_lo, 0x3000, v23
	v_add_co_ci_u32_e32 v24, vcc_lo, 0, v24, vcc_lo
	s_clause 0x5
	global_load_b64 v[25:26], v[15:16], off offset:2048
	global_load_b64 v[15:16], v[15:16], off offset:3072
	global_load_b64 v[27:28], v[23:24], off
	global_load_b64 v[29:30], v[23:24], off offset:1024
	global_load_b64 v[31:32], v[23:24], off offset:2048
	;; [unrolled: 1-line block ×3, first 2 shown]
	s_waitcnt vmcnt(15)
	v_cmp_neq_f32_e32 vcc_lo, 0, v1
	v_cmp_neq_f32_e64 s2, 0, v2
	s_waitcnt vmcnt(13)
	v_cmp_neq_f32_e64 s5, 0, v5
	v_cmp_neq_f32_e64 s6, 0, v6
	;; [unrolled: 1-line block ×4, first 2 shown]
	s_or_b32 s2, vcc_lo, s2
	s_waitcnt vmcnt(12)
	v_cmp_neq_f32_e64 s7, 0, v7
	v_cndmask_b32_e64 v1, 0, 1, s2
	s_or_b32 s2, s5, s6
	v_cmp_neq_f32_e64 s8, 0, v8
	v_cndmask_b32_e64 v2, 0, 1, s2
	s_waitcnt vmcnt(11)
	v_cmp_neq_f32_e32 vcc_lo, 0, v13
	v_cmp_neq_f32_e64 s2, 0, v14
	s_or_b32 s3, s3, s4
	s_waitcnt vmcnt(10)
	v_cmp_neq_f32_e64 s5, 0, v17
	v_add_co_ci_u32_e64 v1, s3, 0, v1, s3
	v_cmp_neq_f32_e64 s6, 0, v18
	s_waitcnt vmcnt(9)
	v_cmp_neq_f32_e64 s9, 0, v19
	v_cmp_neq_f32_e64 s10, 0, v20
	s_or_b32 s2, vcc_lo, s2
	s_or_b32 vcc_lo, s7, s8
	s_waitcnt vmcnt(8)
	v_cmp_neq_f32_e64 s13, 0, v9
	v_cmp_neq_f32_e64 s14, 0, v10
	v_cndmask_b32_e64 v3, 0, 1, s2
	v_add_co_ci_u32_e32 v1, vcc_lo, v1, v2, vcc_lo
	s_waitcnt vmcnt(5)
	v_cmp_neq_f32_e64 s17, 0, v25
	v_cmp_neq_f32_e64 s18, 0, v26
	;; [unrolled: 1-line block ×4, first 2 shown]
	s_or_b32 s2, s9, s10
	s_or_b32 vcc_lo, s5, s6
	s_waitcnt vmcnt(3)
	v_cmp_neq_f32_e64 s21, 0, v27
	v_cmp_neq_f32_e64 s22, 0, v28
	v_cndmask_b32_e64 v4, 0, 1, s2
	s_or_b32 s2, s13, s14
	v_add_co_ci_u32_e32 v1, vcc_lo, v1, v3, vcc_lo
	v_cndmask_b32_e64 v5, 0, 1, s2
	s_or_b32 s2, s17, s18
	v_cmp_neq_f32_e64 s15, 0, v21
	v_cmp_neq_f32_e64 s16, 0, v22
	s_or_b32 s3, s11, s12
	v_cndmask_b32_e64 v6, 0, 1, s2
	s_or_b32 s2, s21, s22
	v_add_co_ci_u32_e64 v1, s3, v1, v4, s3
	v_cndmask_b32_e64 v2, 0, 1, s2
	s_waitcnt vmcnt(1)
	v_cmp_neq_f32_e64 s2, 0, v31
	v_cmp_neq_f32_e64 s3, 0, v32
	;; [unrolled: 1-line block ×4, first 2 shown]
	s_or_b32 s5, s15, s16
	v_cmp_neq_f32_e32 vcc_lo, 0, v29
	v_add_co_ci_u32_e64 v1, s5, v1, v5, s5
	s_or_b32 s2, s2, s3
	v_cmp_neq_f32_e64 s4, 0, v30
	v_cndmask_b32_e64 v3, 0, 1, s2
	s_or_b32 s2, s19, s20
	s_waitcnt vmcnt(0)
	v_cmp_neq_f32_e64 s3, 0, v24
	v_add_co_ci_u32_e64 v1, s2, v1, v6, s2
	v_cmp_neq_f32_e64 s2, 0, v23
	s_or_b32 vcc_lo, vcc_lo, s4
	s_delay_alu instid0(VALU_DEP_2) | instskip(NEXT) | instid1(VALU_DEP_2)
	v_add_co_ci_u32_e32 v1, vcc_lo, v1, v2, vcc_lo
	s_or_b32 vcc_lo, s2, s3
	s_mov_b32 s2, exec_lo
	s_delay_alu instid0(VALU_DEP_1) | instskip(SKIP_1) | instid1(VALU_DEP_2)
	v_add_co_ci_u32_e32 v1, vcc_lo, v1, v3, vcc_lo
	v_mov_b32_e32 v3, 0
	v_mov_b32_dpp v2, v1 quad_perm:[1,0,3,2] row_mask:0xf bank_mask:0xf
	s_delay_alu instid0(VALU_DEP_1) | instskip(NEXT) | instid1(VALU_DEP_1)
	v_add_nc_u32_e32 v1, v1, v2
	v_mov_b32_dpp v2, v1 quad_perm:[2,3,0,1] row_mask:0xf bank_mask:0xf
	s_delay_alu instid0(VALU_DEP_1) | instskip(NEXT) | instid1(VALU_DEP_1)
	v_add_nc_u32_e32 v1, v1, v2
	v_mov_b32_dpp v2, v1 row_ror:4 row_mask:0xf bank_mask:0xf
	s_delay_alu instid0(VALU_DEP_1) | instskip(NEXT) | instid1(VALU_DEP_1)
	v_add_nc_u32_e32 v1, v1, v2
	v_mov_b32_dpp v2, v1 row_ror:8 row_mask:0xf bank_mask:0xf
	s_delay_alu instid0(VALU_DEP_1)
	v_add_nc_u32_e32 v1, v1, v2
	ds_swizzle_b32 v2, v1 offset:swizzle(BROADCAST,32,15)
	s_waitcnt lgkmcnt(0)
	v_add_nc_u32_e32 v1, v1, v2
	v_mbcnt_lo_u32_b32 v2, -1, 0
	ds_bpermute_b32 v1, v3, v1 offset:124
	v_cmpx_eq_u32_e32 0, v2
	s_cbranch_execz .LBB592_372
; %bb.371:
	v_lshrrev_b32_e32 v3, 3, v0
	s_delay_alu instid0(VALU_DEP_1)
	v_and_b32_e32 v3, 12, v3
	s_waitcnt lgkmcnt(0)
	ds_store_b32 v3, v1 offset:16
.LBB592_372:
	s_or_b32 exec_lo, exec_lo, s2
	s_delay_alu instid0(SALU_CYCLE_1)
	s_mov_b32 s2, exec_lo
	s_waitcnt lgkmcnt(0)
	s_barrier
	buffer_gl0_inv
	v_cmpx_gt_u32_e32 32, v0
	s_cbranch_execz .LBB592_374
; %bb.373:
	v_and_b32_e32 v1, 3, v2
	s_delay_alu instid0(VALU_DEP_1) | instskip(SKIP_4) | instid1(VALU_DEP_2)
	v_lshlrev_b32_e32 v3, 2, v1
	v_cmp_ne_u32_e32 vcc_lo, 3, v1
	ds_load_b32 v3, v3 offset:16
	v_add_co_ci_u32_e32 v4, vcc_lo, 0, v2, vcc_lo
	v_cmp_gt_u32_e32 vcc_lo, 2, v1
	v_lshlrev_b32_e32 v4, 2, v4
	v_cndmask_b32_e64 v1, 0, 1, vcc_lo
	s_delay_alu instid0(VALU_DEP_1) | instskip(NEXT) | instid1(VALU_DEP_1)
	v_lshlrev_b32_e32 v1, 1, v1
	v_add_lshl_u32 v1, v1, v2, 2
	s_waitcnt lgkmcnt(0)
	ds_bpermute_b32 v4, v4, v3
	s_waitcnt lgkmcnt(0)
	v_add_nc_u32_e32 v3, v4, v3
	ds_bpermute_b32 v1, v1, v3
	s_waitcnt lgkmcnt(0)
	v_add_nc_u32_e32 v1, v1, v3
.LBB592_374:
	s_or_b32 exec_lo, exec_lo, s2
	s_mov_b32 s2, 0
	s_branch .LBB592_534
.LBB592_375:
                                        ; implicit-def: $vgpr1
	s_branch .LBB592_623
.LBB592_376:
	s_mov_b32 s2, -1
                                        ; implicit-def: $vgpr1
.LBB592_377:
	s_delay_alu instid0(SALU_CYCLE_1)
	s_and_b32 vcc_lo, exec_lo, s2
	s_cbranch_vccz .LBB592_511
; %bb.378:
	s_sub_i32 s3, s96, s90
	s_mov_b32 s4, exec_lo
                                        ; implicit-def: $vgpr1
	v_cmpx_gt_u32_e64 s3, v0
	s_cbranch_execz .LBB592_380
; %bb.379:
	v_lshlrev_b32_e32 v1, 3, v0
	global_load_b64 v[1:2], v1, s[88:89]
	s_waitcnt vmcnt(0)
	v_cmp_neq_f32_e32 vcc_lo, 0, v1
	v_cmp_neq_f32_e64 s2, 0, v2
	s_delay_alu instid0(VALU_DEP_1) | instskip(NEXT) | instid1(SALU_CYCLE_1)
	s_or_b32 s2, vcc_lo, s2
	v_cndmask_b32_e64 v1, 0, 1, s2
.LBB592_380:
	s_or_b32 exec_lo, exec_lo, s4
	v_or_b32_e32 v3, 0x80, v0
	v_mov_b32_e32 v2, 0
	s_delay_alu instid0(VALU_DEP_2)
	v_cmp_gt_u32_e32 vcc_lo, s3, v3
	v_mov_b32_e32 v3, 0
	s_and_saveexec_b32 s4, vcc_lo
	s_cbranch_execz .LBB592_382
; %bb.381:
	v_lshlrev_b32_e32 v3, 3, v0
	global_load_b64 v[3:4], v3, s[88:89] offset:1024
	s_waitcnt vmcnt(0)
	v_cmp_neq_f32_e32 vcc_lo, 0, v3
	v_cmp_neq_f32_e64 s2, 0, v4
	s_delay_alu instid0(VALU_DEP_1) | instskip(NEXT) | instid1(SALU_CYCLE_1)
	s_or_b32 s2, vcc_lo, s2
	v_cndmask_b32_e64 v3, 0, 1, s2
.LBB592_382:
	s_or_b32 exec_lo, exec_lo, s4
	v_or_b32_e32 v4, 0x100, v0
	s_mov_b32 s4, exec_lo
	s_delay_alu instid0(VALU_DEP_1)
	v_cmpx_gt_u32_e64 s3, v4
	s_cbranch_execz .LBB592_384
; %bb.383:
	v_lshlrev_b32_e32 v2, 3, v0
	global_load_b64 v[4:5], v2, s[88:89] offset:2048
	s_waitcnt vmcnt(0)
	v_cmp_neq_f32_e32 vcc_lo, 0, v4
	v_cmp_neq_f32_e64 s2, 0, v5
	s_delay_alu instid0(VALU_DEP_1) | instskip(NEXT) | instid1(SALU_CYCLE_1)
	s_or_b32 s2, vcc_lo, s2
	v_cndmask_b32_e64 v2, 0, 1, s2
.LBB592_384:
	s_or_b32 exec_lo, exec_lo, s4
	v_or_b32_e32 v5, 0x180, v0
	v_mov_b32_e32 v4, 0
	s_delay_alu instid0(VALU_DEP_2)
	v_cmp_gt_u32_e32 vcc_lo, s3, v5
	v_mov_b32_e32 v5, 0
	s_and_saveexec_b32 s4, vcc_lo
	s_cbranch_execz .LBB592_386
; %bb.385:
	v_lshlrev_b32_e32 v5, 3, v0
	global_load_b64 v[5:6], v5, s[88:89] offset:3072
	s_waitcnt vmcnt(0)
	v_cmp_neq_f32_e32 vcc_lo, 0, v5
	v_cmp_neq_f32_e64 s2, 0, v6
	s_delay_alu instid0(VALU_DEP_1) | instskip(NEXT) | instid1(SALU_CYCLE_1)
	s_or_b32 s2, vcc_lo, s2
	v_cndmask_b32_e64 v5, 0, 1, s2
.LBB592_386:
	s_or_b32 exec_lo, exec_lo, s4
	v_or_b32_e32 v6, 0x200, v0
	s_mov_b32 s4, exec_lo
	s_delay_alu instid0(VALU_DEP_1)
	v_cmpx_gt_u32_e64 s3, v6
	s_cbranch_execz .LBB592_388
; %bb.387:
	v_lshlrev_b32_e32 v4, 3, v6
	global_load_b64 v[6:7], v4, s[88:89]
	s_waitcnt vmcnt(0)
	v_cmp_neq_f32_e32 vcc_lo, 0, v6
	v_cmp_neq_f32_e64 s2, 0, v7
	s_delay_alu instid0(VALU_DEP_1) | instskip(NEXT) | instid1(SALU_CYCLE_1)
	s_or_b32 s2, vcc_lo, s2
	v_cndmask_b32_e64 v4, 0, 1, s2
.LBB592_388:
	s_or_b32 exec_lo, exec_lo, s4
	v_or_b32_e32 v8, 0x280, v0
	v_dual_mov_b32 v6, 0 :: v_dual_mov_b32 v7, 0
	s_mov_b32 s4, exec_lo
	s_delay_alu instid0(VALU_DEP_2)
	v_cmpx_gt_u32_e64 s3, v8
	s_cbranch_execz .LBB592_390
; %bb.389:
	v_lshlrev_b32_e32 v7, 3, v8
	global_load_b64 v[7:8], v7, s[88:89]
	s_waitcnt vmcnt(0)
	v_cmp_neq_f32_e32 vcc_lo, 0, v7
	v_cmp_neq_f32_e64 s2, 0, v8
	s_delay_alu instid0(VALU_DEP_1) | instskip(NEXT) | instid1(SALU_CYCLE_1)
	s_or_b32 s2, vcc_lo, s2
	v_cndmask_b32_e64 v7, 0, 1, s2
.LBB592_390:
	s_or_b32 exec_lo, exec_lo, s4
	v_or_b32_e32 v8, 0x300, v0
	s_mov_b32 s4, exec_lo
	s_delay_alu instid0(VALU_DEP_1)
	v_cmpx_gt_u32_e64 s3, v8
	s_cbranch_execz .LBB592_392
; %bb.391:
	v_lshlrev_b32_e32 v6, 3, v8
	global_load_b64 v[8:9], v6, s[88:89]
	s_waitcnt vmcnt(0)
	v_cmp_neq_f32_e32 vcc_lo, 0, v8
	v_cmp_neq_f32_e64 s2, 0, v9
	s_delay_alu instid0(VALU_DEP_1) | instskip(NEXT) | instid1(SALU_CYCLE_1)
	s_or_b32 s2, vcc_lo, s2
	v_cndmask_b32_e64 v6, 0, 1, s2
.LBB592_392:
	s_or_b32 exec_lo, exec_lo, s4
	v_or_b32_e32 v10, 0x380, v0
	v_dual_mov_b32 v8, 0 :: v_dual_mov_b32 v9, 0
	s_mov_b32 s4, exec_lo
	s_delay_alu instid0(VALU_DEP_2)
	v_cmpx_gt_u32_e64 s3, v10
	s_cbranch_execz .LBB592_394
; %bb.393:
	v_lshlrev_b32_e32 v9, 3, v10
	global_load_b64 v[9:10], v9, s[88:89]
	s_waitcnt vmcnt(0)
	v_cmp_neq_f32_e32 vcc_lo, 0, v9
	v_cmp_neq_f32_e64 s2, 0, v10
	s_delay_alu instid0(VALU_DEP_1) | instskip(NEXT) | instid1(SALU_CYCLE_1)
	s_or_b32 s2, vcc_lo, s2
	v_cndmask_b32_e64 v9, 0, 1, s2
.LBB592_394:
	;; [unrolled: 33-line block ×29, first 2 shown]
	s_or_b32 exec_lo, exec_lo, s4
	v_or_b32_e32 v64, 0x1f00, v0
	s_mov_b32 s4, exec_lo
	s_delay_alu instid0(VALU_DEP_1)
	v_cmpx_gt_u32_e64 s3, v64
	s_cbranch_execz .LBB592_504
; %bb.503:
	v_lshlrev_b32_e32 v62, 3, v64
	global_load_b64 v[64:65], v62, s[88:89]
	s_waitcnt vmcnt(0)
	v_cmp_neq_f32_e32 vcc_lo, 0, v64
	v_cmp_neq_f32_e64 s2, 0, v65
	s_delay_alu instid0(VALU_DEP_1) | instskip(NEXT) | instid1(SALU_CYCLE_1)
	s_or_b32 s2, vcc_lo, s2
	v_cndmask_b32_e64 v62, 0, 1, s2
.LBB592_504:
	s_or_b32 exec_lo, exec_lo, s4
	v_or_b32_e32 v65, 0x1f80, v0
	v_mov_b32_e32 v64, 0
	s_mov_b32 s4, exec_lo
	s_delay_alu instid0(VALU_DEP_2)
	v_cmpx_gt_u32_e64 s3, v65
	s_cbranch_execz .LBB592_506
; %bb.505:
	v_lshlrev_b32_e32 v64, 3, v65
	global_load_b64 v[64:65], v64, s[88:89]
	s_waitcnt vmcnt(0)
	v_cmp_neq_f32_e32 vcc_lo, 0, v64
	v_cmp_neq_f32_e64 s2, 0, v65
	s_delay_alu instid0(VALU_DEP_1) | instskip(NEXT) | instid1(SALU_CYCLE_1)
	s_or_b32 s2, vcc_lo, s2
	v_cndmask_b32_e64 v64, 0, 1, s2
.LBB592_506:
	s_or_b32 exec_lo, exec_lo, s4
	v_add_nc_u32_e32 v1, v3, v1
	s_min_u32 s2, s3, 0x80
	s_mov_b32 s3, exec_lo
	s_delay_alu instid0(VALU_DEP_1) | instskip(SKIP_1) | instid1(VALU_DEP_2)
	v_add3_u32 v1, v1, v2, v5
	v_mbcnt_lo_u32_b32 v2, -1, 0
	v_add3_u32 v1, v1, v4, v7
	s_delay_alu instid0(VALU_DEP_2) | instskip(NEXT) | instid1(VALU_DEP_2)
	v_cmp_ne_u32_e32 vcc_lo, 31, v2
	v_add3_u32 v1, v1, v6, v9
	v_add_co_ci_u32_e32 v3, vcc_lo, 0, v2, vcc_lo
	v_cmp_gt_u32_e32 vcc_lo, 30, v2
	v_add_nc_u32_e32 v6, 1, v2
	s_delay_alu instid0(VALU_DEP_4) | instskip(NEXT) | instid1(VALU_DEP_4)
	v_add3_u32 v1, v1, v8, v11
	v_lshlrev_b32_e32 v3, 2, v3
	v_cndmask_b32_e64 v5, 0, 1, vcc_lo
	s_delay_alu instid0(VALU_DEP_3) | instskip(NEXT) | instid1(VALU_DEP_2)
	v_add3_u32 v1, v1, v10, v13
	v_lshlrev_b32_e32 v5, 1, v5
	s_delay_alu instid0(VALU_DEP_2) | instskip(NEXT) | instid1(VALU_DEP_2)
	v_add3_u32 v1, v1, v12, v15
	v_add_lshl_u32 v5, v5, v2, 2
	s_delay_alu instid0(VALU_DEP_2) | instskip(NEXT) | instid1(VALU_DEP_1)
	v_add3_u32 v1, v1, v14, v17
	v_add3_u32 v1, v1, v16, v19
	s_delay_alu instid0(VALU_DEP_1) | instskip(NEXT) | instid1(VALU_DEP_1)
	v_add3_u32 v1, v1, v18, v21
	v_add3_u32 v1, v1, v20, v23
	s_delay_alu instid0(VALU_DEP_1) | instskip(NEXT) | instid1(VALU_DEP_1)
	;; [unrolled: 3-line block ×11, first 2 shown]
	v_add3_u32 v1, v1, v58, v61
	v_add3_u32 v1, v1, v60, v63
	s_delay_alu instid0(VALU_DEP_1) | instskip(SKIP_2) | instid1(VALU_DEP_1)
	v_add3_u32 v1, v1, v62, v64
	ds_bpermute_b32 v3, v3, v1
	v_and_b32_e32 v4, 0x60, v0
	v_sub_nc_u32_e64 v4, s2, v4 clamp
	s_delay_alu instid0(VALU_DEP_1) | instskip(SKIP_3) | instid1(VALU_DEP_2)
	v_cmp_lt_u32_e32 vcc_lo, v6, v4
	s_waitcnt lgkmcnt(0)
	v_dual_cndmask_b32 v3, 0, v3 :: v_dual_add_nc_u32 v6, 2, v2
	v_cmp_gt_u32_e32 vcc_lo, 28, v2
	v_add_nc_u32_e32 v1, v3, v1
	ds_bpermute_b32 v3, v5, v1
	v_cndmask_b32_e64 v5, 0, 1, vcc_lo
	v_cmp_lt_u32_e32 vcc_lo, v6, v4
	v_add_nc_u32_e32 v6, 4, v2
	s_delay_alu instid0(VALU_DEP_3) | instskip(NEXT) | instid1(VALU_DEP_1)
	v_lshlrev_b32_e32 v5, 2, v5
	v_add_lshl_u32 v5, v5, v2, 2
	s_waitcnt lgkmcnt(0)
	v_cndmask_b32_e32 v3, 0, v3, vcc_lo
	v_cmp_gt_u32_e32 vcc_lo, 24, v2
	s_delay_alu instid0(VALU_DEP_2) | instskip(SKIP_4) | instid1(VALU_DEP_3)
	v_add_nc_u32_e32 v1, v1, v3
	ds_bpermute_b32 v3, v5, v1
	v_cndmask_b32_e64 v5, 0, 1, vcc_lo
	v_cmp_lt_u32_e32 vcc_lo, v6, v4
	v_add_nc_u32_e32 v6, 8, v2
	v_lshlrev_b32_e32 v5, 3, v5
	s_delay_alu instid0(VALU_DEP_1) | instskip(SKIP_3) | instid1(VALU_DEP_2)
	v_add_lshl_u32 v5, v5, v2, 2
	s_waitcnt lgkmcnt(0)
	v_cndmask_b32_e32 v3, 0, v3, vcc_lo
	v_cmp_gt_u32_e32 vcc_lo, 16, v2
	v_add_nc_u32_e32 v1, v1, v3
	ds_bpermute_b32 v3, v5, v1
	v_cndmask_b32_e64 v5, 0, 1, vcc_lo
	v_cmp_lt_u32_e32 vcc_lo, v6, v4
	s_delay_alu instid0(VALU_DEP_2) | instskip(NEXT) | instid1(VALU_DEP_1)
	v_lshlrev_b32_e32 v5, 4, v5
	v_add_lshl_u32 v5, v5, v2, 2
	s_waitcnt lgkmcnt(0)
	v_cndmask_b32_e32 v3, 0, v3, vcc_lo
	s_delay_alu instid0(VALU_DEP_1) | instskip(SKIP_2) | instid1(VALU_DEP_1)
	v_add_nc_u32_e32 v1, v1, v3
	ds_bpermute_b32 v3, v5, v1
	v_add_nc_u32_e32 v5, 16, v2
	v_cmp_lt_u32_e32 vcc_lo, v5, v4
	s_waitcnt lgkmcnt(0)
	v_cndmask_b32_e32 v3, 0, v3, vcc_lo
	s_delay_alu instid0(VALU_DEP_1)
	v_add_nc_u32_e32 v1, v1, v3
	v_cmpx_eq_u32_e32 0, v2
	s_cbranch_execz .LBB592_508
; %bb.507:
	v_lshrrev_b32_e32 v3, 3, v0
	s_delay_alu instid0(VALU_DEP_1)
	v_and_b32_e32 v3, 12, v3
	ds_store_b32 v3, v1 offset:128
.LBB592_508:
	s_or_b32 exec_lo, exec_lo, s3
	s_delay_alu instid0(SALU_CYCLE_1)
	s_mov_b32 s3, exec_lo
	s_waitcnt lgkmcnt(0)
	s_barrier
	buffer_gl0_inv
	v_cmpx_gt_u32_e32 4, v0
	s_cbranch_execz .LBB592_510
; %bb.509:
	v_and_b32_e32 v3, 3, v2
	s_add_i32 s2, s2, 31
	s_delay_alu instid0(SALU_CYCLE_1) | instskip(NEXT) | instid1(VALU_DEP_1)
	s_lshr_b32 s2, s2, 5
	v_cmp_ne_u32_e32 vcc_lo, 3, v3
	v_add_nc_u32_e32 v5, 1, v3
	v_add_co_ci_u32_e32 v4, vcc_lo, 0, v2, vcc_lo
	v_cmp_gt_u32_e32 vcc_lo, 2, v3
	v_add_nc_u32_e32 v3, 2, v3
	s_delay_alu instid0(VALU_DEP_3) | instskip(SKIP_3) | instid1(VALU_DEP_3)
	v_lshlrev_b32_e32 v4, 2, v4
	v_cndmask_b32_e64 v6, 0, 1, vcc_lo
	v_cmp_gt_u32_e32 vcc_lo, s2, v5
	v_lshlrev_b32_e32 v1, 2, v2
	v_lshlrev_b32_e32 v5, 1, v6
	ds_load_b32 v1, v1 offset:128
	v_add_lshl_u32 v2, v5, v2, 2
	s_waitcnt lgkmcnt(0)
	ds_bpermute_b32 v4, v4, v1
	s_waitcnt lgkmcnt(0)
	v_cndmask_b32_e32 v4, 0, v4, vcc_lo
	v_cmp_gt_u32_e32 vcc_lo, s2, v3
	s_delay_alu instid0(VALU_DEP_2) | instskip(SKIP_3) | instid1(VALU_DEP_1)
	v_add_nc_u32_e32 v1, v4, v1
	ds_bpermute_b32 v2, v2, v1
	s_waitcnt lgkmcnt(0)
	v_cndmask_b32_e32 v2, 0, v2, vcc_lo
	v_add_nc_u32_e32 v1, v1, v2
.LBB592_510:
	s_or_b32 exec_lo, exec_lo, s3
.LBB592_511:
	v_cmp_eq_u32_e64 s2, 0, v0
.LBB592_512:
	s_branch .LBB592_623
.LBB592_513:
	s_cmp_gt_i32 s104, 3
	s_cbranch_scc0 .LBB592_522
; %bb.514:
	s_cmp_gt_i32 s104, 7
	s_cbranch_scc0 .LBB592_523
; %bb.515:
	s_cmp_eq_u32 s104, 8
	s_cbranch_scc0 .LBB592_531
; %bb.516:
	s_mov_b32 s95, 0
	s_lshl_b32 s14, s94, 10
	s_mov_b32 s15, s95
	s_lshr_b64 s[4:5], s[96:97], 10
	s_lshl_b64 s[2:3], s[14:15], 3
	s_waitcnt lgkmcnt(0)
	s_add_u32 s12, s92, s2
	s_addc_u32 s13, s93, s3
	s_cmp_lg_u64 s[4:5], s[94:95]
	s_cbranch_scc0 .LBB592_573
; %bb.517:
	v_lshlrev_b32_e32 v7, 3, v0
	s_delay_alu instid0(VALU_DEP_1) | instskip(NEXT) | instid1(VALU_DEP_1)
	v_add_co_u32 v9, s2, s12, v7
	v_add_co_ci_u32_e64 v10, null, s13, 0, s2
	s_clause 0x3
	global_load_b64 v[1:2], v7, s[12:13]
	global_load_b64 v[3:4], v7, s[12:13] offset:1024
	global_load_b64 v[5:6], v7, s[12:13] offset:2048
	;; [unrolled: 1-line block ×3, first 2 shown]
	v_add_co_u32 v9, vcc_lo, 0x1000, v9
	v_add_co_ci_u32_e32 v10, vcc_lo, 0, v10, vcc_lo
	s_clause 0x3
	global_load_b64 v[11:12], v[9:10], off
	global_load_b64 v[13:14], v[9:10], off offset:1024
	global_load_b64 v[15:16], v[9:10], off offset:2048
	;; [unrolled: 1-line block ×3, first 2 shown]
	s_waitcnt vmcnt(7)
	v_cmp_neq_f32_e32 vcc_lo, 0, v1
	v_cmp_neq_f32_e64 s2, 0, v2
	s_waitcnt vmcnt(5)
	v_cmp_neq_f32_e64 s5, 0, v5
	v_cmp_neq_f32_e64 s6, 0, v6
	;; [unrolled: 1-line block ×4, first 2 shown]
	s_or_b32 s2, vcc_lo, s2
	s_waitcnt vmcnt(4)
	v_cmp_neq_f32_e64 s7, 0, v7
	v_cndmask_b32_e64 v1, 0, 1, s2
	s_or_b32 s2, s5, s6
	v_cmp_neq_f32_e64 s8, 0, v8
	v_cndmask_b32_e64 v2, 0, 1, s2
	s_waitcnt vmcnt(3)
	v_cmp_neq_f32_e32 vcc_lo, 0, v11
	v_cmp_neq_f32_e64 s2, 0, v12
	s_or_b32 s3, s3, s4
	s_waitcnt vmcnt(1)
	v_cmp_neq_f32_e64 s9, 0, v15
	v_add_co_ci_u32_e64 v1, s3, 0, v1, s3
	v_cmp_neq_f32_e64 s10, 0, v16
	v_cmp_neq_f32_e64 s5, 0, v13
	;; [unrolled: 1-line block ×3, first 2 shown]
	s_or_b32 s2, vcc_lo, s2
	s_or_b32 vcc_lo, s7, s8
	v_cndmask_b32_e64 v3, 0, 1, s2
	v_add_co_ci_u32_e32 v1, vcc_lo, v1, v2, vcc_lo
	s_or_b32 s2, s9, s10
	s_waitcnt vmcnt(0)
	v_cmp_neq_f32_e32 vcc_lo, 0, v9
	v_cndmask_b32_e64 v4, 0, 1, s2
	v_cmp_neq_f32_e64 s2, 0, v10
	s_or_b32 s3, s5, s6
	s_delay_alu instid0(SALU_CYCLE_1) | instskip(NEXT) | instid1(VALU_DEP_2)
	v_add_co_ci_u32_e64 v1, s3, v1, v3, s3
	s_or_b32 vcc_lo, vcc_lo, s2
	v_mov_b32_e32 v3, 0
	s_mov_b32 s2, exec_lo
	s_delay_alu instid0(VALU_DEP_2) | instskip(NEXT) | instid1(VALU_DEP_1)
	v_add_co_ci_u32_e32 v1, vcc_lo, v1, v4, vcc_lo
	v_mov_b32_dpp v2, v1 quad_perm:[1,0,3,2] row_mask:0xf bank_mask:0xf
	s_delay_alu instid0(VALU_DEP_1) | instskip(NEXT) | instid1(VALU_DEP_1)
	v_add_nc_u32_e32 v1, v1, v2
	v_mov_b32_dpp v2, v1 quad_perm:[2,3,0,1] row_mask:0xf bank_mask:0xf
	s_delay_alu instid0(VALU_DEP_1) | instskip(NEXT) | instid1(VALU_DEP_1)
	v_add_nc_u32_e32 v1, v1, v2
	v_mov_b32_dpp v2, v1 row_ror:4 row_mask:0xf bank_mask:0xf
	s_delay_alu instid0(VALU_DEP_1) | instskip(NEXT) | instid1(VALU_DEP_1)
	v_add_nc_u32_e32 v1, v1, v2
	v_mov_b32_dpp v2, v1 row_ror:8 row_mask:0xf bank_mask:0xf
	s_delay_alu instid0(VALU_DEP_1)
	v_add_nc_u32_e32 v1, v1, v2
	ds_swizzle_b32 v2, v1 offset:swizzle(BROADCAST,32,15)
	s_waitcnt lgkmcnt(0)
	v_add_nc_u32_e32 v1, v1, v2
	v_mbcnt_lo_u32_b32 v2, -1, 0
	ds_bpermute_b32 v1, v3, v1 offset:124
	v_cmpx_eq_u32_e32 0, v2
	s_cbranch_execz .LBB592_519
; %bb.518:
	v_lshrrev_b32_e32 v3, 3, v0
	s_delay_alu instid0(VALU_DEP_1)
	v_and_b32_e32 v3, 12, v3
	s_waitcnt lgkmcnt(0)
	ds_store_b32 v3, v1 offset:112
.LBB592_519:
	s_or_b32 exec_lo, exec_lo, s2
	s_delay_alu instid0(SALU_CYCLE_1)
	s_mov_b32 s2, exec_lo
	s_waitcnt lgkmcnt(0)
	s_barrier
	buffer_gl0_inv
	v_cmpx_gt_u32_e32 32, v0
	s_cbranch_execz .LBB592_521
; %bb.520:
	v_lshl_or_b32 v1, v2, 2, 0x70
	v_and_b32_e32 v3, 3, v2
	ds_load_b32 v1, v1
	v_cmp_ne_u32_e32 vcc_lo, 3, v3
	v_add_co_ci_u32_e32 v4, vcc_lo, 0, v2, vcc_lo
	v_cmp_gt_u32_e32 vcc_lo, 2, v3
	s_delay_alu instid0(VALU_DEP_2) | instskip(SKIP_1) | instid1(VALU_DEP_1)
	v_lshlrev_b32_e32 v4, 2, v4
	v_cndmask_b32_e64 v3, 0, 1, vcc_lo
	v_lshlrev_b32_e32 v3, 1, v3
	s_waitcnt lgkmcnt(0)
	ds_bpermute_b32 v4, v4, v1
	v_add_lshl_u32 v2, v3, v2, 2
	s_waitcnt lgkmcnt(0)
	v_add_nc_u32_e32 v1, v4, v1
	ds_bpermute_b32 v2, v2, v1
	s_waitcnt lgkmcnt(0)
	v_add_nc_u32_e32 v1, v2, v1
.LBB592_521:
	s_or_b32 exec_lo, exec_lo, s2
	s_mov_b32 s2, 0
	s_branch .LBB592_574
.LBB592_522:
                                        ; implicit-def: $vgpr1
	s_cbranch_execnz .LBB592_614
	s_branch .LBB592_623
.LBB592_523:
                                        ; implicit-def: $vgpr1
	s_cbranch_execz .LBB592_597
; %bb.524:
	s_cmp_eq_u32 s104, 4
	s_cbranch_scc0 .LBB592_532
; %bb.525:
	s_mov_b32 s95, 0
	s_lshl_b32 s12, s94, 9
	s_mov_b32 s13, s95
	s_lshr_b64 s[4:5], s[96:97], 9
	s_lshl_b64 s[2:3], s[12:13], 3
	s_waitcnt lgkmcnt(0)
	s_add_u32 s10, s92, s2
	s_addc_u32 s11, s93, s3
	s_cmp_lg_u64 s[4:5], s[94:95]
	s_cbranch_scc0 .LBB592_598
; %bb.526:
	v_lshlrev_b32_e32 v7, 3, v0
	s_clause 0x3
	global_load_b64 v[1:2], v7, s[10:11]
	global_load_b64 v[3:4], v7, s[10:11] offset:1024
	global_load_b64 v[5:6], v7, s[10:11] offset:2048
	;; [unrolled: 1-line block ×3, first 2 shown]
	s_waitcnt vmcnt(3)
	v_cmp_neq_f32_e32 vcc_lo, 0, v1
	v_cmp_neq_f32_e64 s2, 0, v2
	s_waitcnt vmcnt(2)
	v_cmp_neq_f32_e64 s3, 0, v3
	v_cmp_neq_f32_e64 s4, 0, v4
	s_waitcnt vmcnt(1)
	v_cmp_neq_f32_e64 s5, 0, v5
	v_cmp_neq_f32_e64 s6, 0, v6
	s_or_b32 s2, vcc_lo, s2
	s_waitcnt vmcnt(0)
	v_cmp_neq_f32_e64 s7, 0, v7
	v_cndmask_b32_e64 v1, 0, 1, s2
	v_cmp_neq_f32_e64 s8, 0, v8
	s_or_b32 s2, s5, s6
	s_or_b32 vcc_lo, s3, s4
	v_cndmask_b32_e64 v2, 0, 1, s2
	v_add_co_ci_u32_e32 v1, vcc_lo, 0, v1, vcc_lo
	s_or_b32 vcc_lo, s7, s8
	s_mov_b32 s2, exec_lo
	s_delay_alu instid0(VALU_DEP_1) | instskip(NEXT) | instid1(VALU_DEP_1)
	v_add_co_ci_u32_e32 v1, vcc_lo, v1, v2, vcc_lo
	v_mov_b32_dpp v2, v1 quad_perm:[1,0,3,2] row_mask:0xf bank_mask:0xf
	s_delay_alu instid0(VALU_DEP_1) | instskip(NEXT) | instid1(VALU_DEP_1)
	v_add_nc_u32_e32 v1, v1, v2
	v_mov_b32_dpp v2, v1 quad_perm:[2,3,0,1] row_mask:0xf bank_mask:0xf
	s_delay_alu instid0(VALU_DEP_1) | instskip(NEXT) | instid1(VALU_DEP_1)
	v_add_nc_u32_e32 v1, v1, v2
	v_mov_b32_dpp v2, v1 row_ror:4 row_mask:0xf bank_mask:0xf
	s_delay_alu instid0(VALU_DEP_1) | instskip(NEXT) | instid1(VALU_DEP_1)
	v_add_nc_u32_e32 v1, v1, v2
	v_mov_b32_dpp v2, v1 row_ror:8 row_mask:0xf bank_mask:0xf
	s_delay_alu instid0(VALU_DEP_1)
	v_add_nc_u32_e32 v1, v1, v2
	ds_swizzle_b32 v2, v1 offset:swizzle(BROADCAST,32,15)
	s_waitcnt lgkmcnt(0)
	v_dual_mov_b32 v2, 0 :: v_dual_add_nc_u32 v1, v1, v2
	ds_bpermute_b32 v1, v2, v1 offset:124
	v_mbcnt_lo_u32_b32 v2, -1, 0
	s_delay_alu instid0(VALU_DEP_1)
	v_cmpx_eq_u32_e32 0, v2
	s_cbranch_execz .LBB592_528
; %bb.527:
	v_lshrrev_b32_e32 v3, 3, v0
	s_delay_alu instid0(VALU_DEP_1)
	v_and_b32_e32 v3, 12, v3
	s_waitcnt lgkmcnt(0)
	ds_store_b32 v3, v1 offset:80
.LBB592_528:
	s_or_b32 exec_lo, exec_lo, s2
	s_delay_alu instid0(SALU_CYCLE_1)
	s_mov_b32 s2, exec_lo
	s_waitcnt lgkmcnt(0)
	s_barrier
	buffer_gl0_inv
	v_cmpx_gt_u32_e32 32, v0
	s_cbranch_execz .LBB592_530
; %bb.529:
	v_and_b32_e32 v1, 3, v2
	s_delay_alu instid0(VALU_DEP_1) | instskip(SKIP_4) | instid1(VALU_DEP_2)
	v_lshlrev_b32_e32 v3, 2, v1
	v_cmp_ne_u32_e32 vcc_lo, 3, v1
	ds_load_b32 v3, v3 offset:80
	v_add_co_ci_u32_e32 v4, vcc_lo, 0, v2, vcc_lo
	v_cmp_gt_u32_e32 vcc_lo, 2, v1
	v_lshlrev_b32_e32 v4, 2, v4
	v_cndmask_b32_e64 v1, 0, 1, vcc_lo
	s_delay_alu instid0(VALU_DEP_1) | instskip(NEXT) | instid1(VALU_DEP_1)
	v_lshlrev_b32_e32 v1, 1, v1
	v_add_lshl_u32 v1, v1, v2, 2
	s_waitcnt lgkmcnt(0)
	ds_bpermute_b32 v4, v4, v3
	s_waitcnt lgkmcnt(0)
	v_add_nc_u32_e32 v3, v4, v3
	ds_bpermute_b32 v1, v1, v3
	s_waitcnt lgkmcnt(0)
	v_add_nc_u32_e32 v1, v1, v3
.LBB592_530:
	s_or_b32 exec_lo, exec_lo, s2
	s_mov_b32 s2, 0
	s_branch .LBB592_599
.LBB592_531:
                                        ; implicit-def: $vgpr1
	s_branch .LBB592_597
.LBB592_532:
                                        ; implicit-def: $vgpr1
	s_branch .LBB592_623
.LBB592_533:
	s_mov_b32 s2, -1
                                        ; implicit-def: $vgpr1
.LBB592_534:
	s_delay_alu instid0(SALU_CYCLE_1)
	s_and_b32 vcc_lo, exec_lo, s2
	s_cbranch_vccz .LBB592_572
; %bb.535:
	s_sub_i32 s18, s96, s26
	s_mov_b32 s3, exec_lo
                                        ; implicit-def: $vgpr1_vgpr2_vgpr3_vgpr4_vgpr5_vgpr6_vgpr7_vgpr8_vgpr9_vgpr10_vgpr11_vgpr12_vgpr13_vgpr14_vgpr15_vgpr16
	v_cmpx_gt_u32_e64 s18, v0
	s_cbranch_execz .LBB592_537
; %bb.536:
	v_lshlrev_b32_e32 v1, 3, v0
	global_load_b64 v[1:2], v1, s[24:25]
	s_waitcnt vmcnt(0)
	v_cmp_neq_f32_e32 vcc_lo, 0, v1
	v_cmp_neq_f32_e64 s2, 0, v2
	s_delay_alu instid0(VALU_DEP_1) | instskip(NEXT) | instid1(SALU_CYCLE_1)
	s_or_b32 s2, vcc_lo, s2
	v_cndmask_b32_e64 v1, 0, 1, s2
.LBB592_537:
	s_or_b32 exec_lo, exec_lo, s3
	v_or_b32_e32 v17, 0x80, v0
	s_delay_alu instid0(VALU_DEP_1)
	v_cmp_gt_u32_e32 vcc_lo, s18, v17
	s_and_saveexec_b32 s4, vcc_lo
	s_cbranch_execz .LBB592_539
; %bb.538:
	v_lshlrev_b32_e32 v2, 3, v0
	global_load_b64 v[17:18], v2, s[24:25] offset:1024
	s_waitcnt vmcnt(0)
	v_cmp_neq_f32_e64 s2, 0, v17
	v_cmp_neq_f32_e64 s3, 0, v18
	s_delay_alu instid0(VALU_DEP_1) | instskip(NEXT) | instid1(SALU_CYCLE_1)
	s_or_b32 s2, s2, s3
	v_cndmask_b32_e64 v2, 0, 1, s2
.LBB592_539:
	s_or_b32 exec_lo, exec_lo, s4
	v_or_b32_e32 v17, 0x100, v0
	s_delay_alu instid0(VALU_DEP_1) | instskip(NEXT) | instid1(VALU_DEP_1)
	v_cmp_gt_u32_e64 s2, s18, v17
	s_and_saveexec_b32 s5, s2
	s_cbranch_execz .LBB592_541
; %bb.540:
	v_lshlrev_b32_e32 v3, 3, v0
	global_load_b64 v[17:18], v3, s[24:25] offset:2048
	s_waitcnt vmcnt(0)
	v_cmp_neq_f32_e64 s3, 0, v17
	v_cmp_neq_f32_e64 s4, 0, v18
	s_delay_alu instid0(VALU_DEP_1) | instskip(NEXT) | instid1(SALU_CYCLE_1)
	s_or_b32 s3, s3, s4
	v_cndmask_b32_e64 v3, 0, 1, s3
.LBB592_541:
	s_or_b32 exec_lo, exec_lo, s5
	v_or_b32_e32 v17, 0x180, v0
	s_delay_alu instid0(VALU_DEP_1) | instskip(NEXT) | instid1(VALU_DEP_1)
	v_cmp_gt_u32_e64 s3, s18, v17
	s_and_saveexec_b32 s6, s3
	;; [unrolled: 16-line block ×3, first 2 shown]
	s_cbranch_execz .LBB592_545
; %bb.544:
	v_lshlrev_b32_e32 v5, 3, v17
	global_load_b64 v[17:18], v5, s[24:25]
	s_waitcnt vmcnt(0)
	v_cmp_neq_f32_e64 s5, 0, v17
	v_cmp_neq_f32_e64 s6, 0, v18
	s_delay_alu instid0(VALU_DEP_1) | instskip(NEXT) | instid1(SALU_CYCLE_1)
	s_or_b32 s5, s5, s6
	v_cndmask_b32_e64 v5, 0, 1, s5
.LBB592_545:
	s_or_b32 exec_lo, exec_lo, s7
	v_or_b32_e32 v17, 0x280, v0
	s_delay_alu instid0(VALU_DEP_1) | instskip(NEXT) | instid1(VALU_DEP_1)
	v_cmp_gt_u32_e64 s5, s18, v17
	s_and_saveexec_b32 s8, s5
	s_cbranch_execz .LBB592_547
; %bb.546:
	v_lshlrev_b32_e32 v6, 3, v17
	global_load_b64 v[17:18], v6, s[24:25]
	s_waitcnt vmcnt(0)
	v_cmp_neq_f32_e64 s6, 0, v17
	v_cmp_neq_f32_e64 s7, 0, v18
	s_delay_alu instid0(VALU_DEP_1) | instskip(NEXT) | instid1(SALU_CYCLE_1)
	s_or_b32 s6, s6, s7
	v_cndmask_b32_e64 v6, 0, 1, s6
.LBB592_547:
	s_or_b32 exec_lo, exec_lo, s8
	v_or_b32_e32 v17, 0x300, v0
	s_delay_alu instid0(VALU_DEP_1) | instskip(NEXT) | instid1(VALU_DEP_1)
	v_cmp_gt_u32_e64 s6, s18, v17
	s_and_saveexec_b32 s9, s6
	;; [unrolled: 16-line block ×11, first 2 shown]
	s_cbranch_execz .LBB592_567
; %bb.566:
	v_lshlrev_b32_e32 v16, 3, v17
	global_load_b64 v[16:17], v16, s[24:25]
	s_waitcnt vmcnt(0)
	v_cmp_neq_f32_e64 s16, 0, v16
	v_cmp_neq_f32_e64 s17, 0, v17
	s_delay_alu instid0(VALU_DEP_1) | instskip(NEXT) | instid1(SALU_CYCLE_1)
	s_or_b32 s16, s16, s17
	v_cndmask_b32_e64 v16, 0, 1, s16
.LBB592_567:
	s_or_b32 exec_lo, exec_lo, s19
	v_cndmask_b32_e32 v2, 0, v2, vcc_lo
	v_cndmask_b32_e64 v3, 0, v3, s2
	v_cndmask_b32_e64 v4, 0, v4, s3
	s_min_u32 s2, s18, 0x80
	s_mov_b32 s3, exec_lo
	v_add_nc_u32_e32 v1, v2, v1
	v_cndmask_b32_e64 v2, 0, v5, s4
	v_cndmask_b32_e64 v5, 0, v6, s5
	;; [unrolled: 1-line block ×3, first 2 shown]
	s_delay_alu instid0(VALU_DEP_4) | instskip(SKIP_3) | instid1(VALU_DEP_4)
	v_add3_u32 v1, v1, v3, v4
	v_cndmask_b32_e64 v3, 0, v7, s6
	v_cndmask_b32_e64 v4, 0, v8, s7
	v_cndmask_b32_e64 v7, 0, v15, s14
	v_add3_u32 v1, v1, v2, v5
	v_cndmask_b32_e64 v2, 0, v9, s8
	v_cndmask_b32_e64 v5, 0, v10, s9
	s_delay_alu instid0(VALU_DEP_3) | instskip(SKIP_2) | instid1(VALU_DEP_3)
	v_add3_u32 v1, v1, v3, v4
	v_cndmask_b32_e64 v3, 0, v11, s10
	v_cndmask_b32_e64 v4, 0, v12, s11
	v_add3_u32 v1, v1, v2, v5
	v_mbcnt_lo_u32_b32 v2, -1, 0
	v_cndmask_b32_e64 v5, 0, v13, s12
	s_delay_alu instid0(VALU_DEP_3) | instskip(NEXT) | instid1(VALU_DEP_3)
	v_add3_u32 v1, v1, v3, v4
	v_cmp_ne_u32_e32 vcc_lo, 31, v2
	v_cndmask_b32_e64 v3, 0, v16, s15
	s_delay_alu instid0(VALU_DEP_3) | instskip(SKIP_3) | instid1(VALU_DEP_4)
	v_add3_u32 v1, v1, v5, v6
	v_add_co_ci_u32_e32 v4, vcc_lo, 0, v2, vcc_lo
	v_cmp_gt_u32_e32 vcc_lo, 30, v2
	v_add_nc_u32_e32 v6, 1, v2
	v_add3_u32 v1, v1, v7, v3
	s_delay_alu instid0(VALU_DEP_4) | instskip(SKIP_4) | instid1(VALU_DEP_2)
	v_lshlrev_b32_e32 v4, 2, v4
	v_cndmask_b32_e64 v5, 0, 1, vcc_lo
	ds_bpermute_b32 v3, v4, v1
	v_and_b32_e32 v4, 0x60, v0
	v_lshlrev_b32_e32 v5, 1, v5
	v_sub_nc_u32_e64 v4, s2, v4 clamp
	s_delay_alu instid0(VALU_DEP_2) | instskip(NEXT) | instid1(VALU_DEP_2)
	v_add_lshl_u32 v5, v5, v2, 2
	v_cmp_lt_u32_e32 vcc_lo, v6, v4
	s_waitcnt lgkmcnt(0)
	v_dual_cndmask_b32 v3, 0, v3 :: v_dual_add_nc_u32 v6, 2, v2
	v_cmp_gt_u32_e32 vcc_lo, 28, v2
	s_delay_alu instid0(VALU_DEP_2) | instskip(SKIP_4) | instid1(VALU_DEP_3)
	v_add_nc_u32_e32 v1, v1, v3
	ds_bpermute_b32 v3, v5, v1
	v_cndmask_b32_e64 v5, 0, 1, vcc_lo
	v_cmp_lt_u32_e32 vcc_lo, v6, v4
	v_add_nc_u32_e32 v6, 4, v2
	v_lshlrev_b32_e32 v5, 2, v5
	s_delay_alu instid0(VALU_DEP_1) | instskip(SKIP_3) | instid1(VALU_DEP_2)
	v_add_lshl_u32 v5, v5, v2, 2
	s_waitcnt lgkmcnt(0)
	v_cndmask_b32_e32 v3, 0, v3, vcc_lo
	v_cmp_gt_u32_e32 vcc_lo, 24, v2
	v_add_nc_u32_e32 v1, v1, v3
	ds_bpermute_b32 v3, v5, v1
	v_cndmask_b32_e64 v5, 0, 1, vcc_lo
	v_cmp_lt_u32_e32 vcc_lo, v6, v4
	v_add_nc_u32_e32 v6, 8, v2
	s_delay_alu instid0(VALU_DEP_3) | instskip(NEXT) | instid1(VALU_DEP_1)
	v_lshlrev_b32_e32 v5, 3, v5
	v_add_lshl_u32 v5, v5, v2, 2
	s_waitcnt lgkmcnt(0)
	v_cndmask_b32_e32 v3, 0, v3, vcc_lo
	v_cmp_gt_u32_e32 vcc_lo, 16, v2
	s_delay_alu instid0(VALU_DEP_2) | instskip(SKIP_3) | instid1(VALU_DEP_2)
	v_add_nc_u32_e32 v1, v1, v3
	ds_bpermute_b32 v3, v5, v1
	v_cndmask_b32_e64 v5, 0, 1, vcc_lo
	v_cmp_lt_u32_e32 vcc_lo, v6, v4
	v_lshlrev_b32_e32 v5, 4, v5
	s_delay_alu instid0(VALU_DEP_1) | instskip(SKIP_2) | instid1(VALU_DEP_1)
	v_add_lshl_u32 v5, v5, v2, 2
	s_waitcnt lgkmcnt(0)
	v_cndmask_b32_e32 v3, 0, v3, vcc_lo
	v_add_nc_u32_e32 v1, v1, v3
	ds_bpermute_b32 v3, v5, v1
	v_add_nc_u32_e32 v5, 16, v2
	s_delay_alu instid0(VALU_DEP_1) | instskip(SKIP_2) | instid1(VALU_DEP_1)
	v_cmp_lt_u32_e32 vcc_lo, v5, v4
	s_waitcnt lgkmcnt(0)
	v_cndmask_b32_e32 v3, 0, v3, vcc_lo
	v_add_nc_u32_e32 v1, v1, v3
	v_cmpx_eq_u32_e32 0, v2
	s_cbranch_execz .LBB592_569
; %bb.568:
	v_lshrrev_b32_e32 v3, 3, v0
	s_delay_alu instid0(VALU_DEP_1)
	v_and_b32_e32 v3, 12, v3
	ds_store_b32 v3, v1 offset:128
.LBB592_569:
	s_or_b32 exec_lo, exec_lo, s3
	s_delay_alu instid0(SALU_CYCLE_1)
	s_mov_b32 s3, exec_lo
	s_waitcnt lgkmcnt(0)
	s_barrier
	buffer_gl0_inv
	v_cmpx_gt_u32_e32 4, v0
	s_cbranch_execz .LBB592_571
; %bb.570:
	v_and_b32_e32 v3, 3, v2
	s_add_i32 s2, s2, 31
	s_delay_alu instid0(SALU_CYCLE_1) | instskip(NEXT) | instid1(VALU_DEP_1)
	s_lshr_b32 s2, s2, 5
	v_cmp_ne_u32_e32 vcc_lo, 3, v3
	v_add_nc_u32_e32 v5, 1, v3
	v_add_co_ci_u32_e32 v4, vcc_lo, 0, v2, vcc_lo
	v_cmp_gt_u32_e32 vcc_lo, 2, v3
	v_add_nc_u32_e32 v3, 2, v3
	s_delay_alu instid0(VALU_DEP_3) | instskip(SKIP_3) | instid1(VALU_DEP_3)
	v_lshlrev_b32_e32 v4, 2, v4
	v_cndmask_b32_e64 v6, 0, 1, vcc_lo
	v_cmp_gt_u32_e32 vcc_lo, s2, v5
	v_lshlrev_b32_e32 v1, 2, v2
	v_lshlrev_b32_e32 v5, 1, v6
	ds_load_b32 v1, v1 offset:128
	v_add_lshl_u32 v2, v5, v2, 2
	s_waitcnt lgkmcnt(0)
	ds_bpermute_b32 v4, v4, v1
	s_waitcnt lgkmcnt(0)
	v_cndmask_b32_e32 v4, 0, v4, vcc_lo
	v_cmp_gt_u32_e32 vcc_lo, s2, v3
	s_delay_alu instid0(VALU_DEP_2) | instskip(SKIP_3) | instid1(VALU_DEP_1)
	v_add_nc_u32_e32 v1, v4, v1
	ds_bpermute_b32 v2, v2, v1
	s_waitcnt lgkmcnt(0)
	v_cndmask_b32_e32 v2, 0, v2, vcc_lo
	v_add_nc_u32_e32 v1, v1, v2
.LBB592_571:
	s_or_b32 exec_lo, exec_lo, s3
.LBB592_572:
	v_cmp_eq_u32_e64 s2, 0, v0
	s_branch .LBB592_623
.LBB592_573:
	s_mov_b32 s2, -1
                                        ; implicit-def: $vgpr1
.LBB592_574:
	s_delay_alu instid0(SALU_CYCLE_1)
	s_and_b32 vcc_lo, exec_lo, s2
	s_cbranch_vccz .LBB592_596
; %bb.575:
	s_sub_i32 s10, s96, s14
	s_mov_b32 s3, exec_lo
                                        ; implicit-def: $vgpr1_vgpr2_vgpr3_vgpr4_vgpr5_vgpr6_vgpr7_vgpr8
	v_cmpx_gt_u32_e64 s10, v0
	s_cbranch_execz .LBB592_577
; %bb.576:
	v_lshlrev_b32_e32 v1, 3, v0
	global_load_b64 v[1:2], v1, s[12:13]
	s_waitcnt vmcnt(0)
	v_cmp_neq_f32_e32 vcc_lo, 0, v1
	v_cmp_neq_f32_e64 s2, 0, v2
	s_delay_alu instid0(VALU_DEP_1) | instskip(NEXT) | instid1(SALU_CYCLE_1)
	s_or_b32 s2, vcc_lo, s2
	v_cndmask_b32_e64 v1, 0, 1, s2
.LBB592_577:
	s_or_b32 exec_lo, exec_lo, s3
	v_or_b32_e32 v9, 0x80, v0
	s_delay_alu instid0(VALU_DEP_1)
	v_cmp_gt_u32_e32 vcc_lo, s10, v9
	s_and_saveexec_b32 s4, vcc_lo
	s_cbranch_execz .LBB592_579
; %bb.578:
	v_lshlrev_b32_e32 v2, 3, v0
	global_load_b64 v[9:10], v2, s[12:13] offset:1024
	s_waitcnt vmcnt(0)
	v_cmp_neq_f32_e64 s2, 0, v9
	v_cmp_neq_f32_e64 s3, 0, v10
	s_delay_alu instid0(VALU_DEP_1) | instskip(NEXT) | instid1(SALU_CYCLE_1)
	s_or_b32 s2, s2, s3
	v_cndmask_b32_e64 v2, 0, 1, s2
.LBB592_579:
	s_or_b32 exec_lo, exec_lo, s4
	v_or_b32_e32 v9, 0x100, v0
	s_delay_alu instid0(VALU_DEP_1) | instskip(NEXT) | instid1(VALU_DEP_1)
	v_cmp_gt_u32_e64 s2, s10, v9
	s_and_saveexec_b32 s5, s2
	s_cbranch_execz .LBB592_581
; %bb.580:
	v_lshlrev_b32_e32 v3, 3, v0
	global_load_b64 v[9:10], v3, s[12:13] offset:2048
	s_waitcnt vmcnt(0)
	v_cmp_neq_f32_e64 s3, 0, v9
	v_cmp_neq_f32_e64 s4, 0, v10
	s_delay_alu instid0(VALU_DEP_1) | instskip(NEXT) | instid1(SALU_CYCLE_1)
	s_or_b32 s3, s3, s4
	v_cndmask_b32_e64 v3, 0, 1, s3
.LBB592_581:
	s_or_b32 exec_lo, exec_lo, s5
	v_or_b32_e32 v9, 0x180, v0
	s_delay_alu instid0(VALU_DEP_1) | instskip(NEXT) | instid1(VALU_DEP_1)
	v_cmp_gt_u32_e64 s3, s10, v9
	s_and_saveexec_b32 s6, s3
	;; [unrolled: 16-line block ×3, first 2 shown]
	s_cbranch_execz .LBB592_585
; %bb.584:
	v_lshlrev_b32_e32 v5, 3, v9
	global_load_b64 v[9:10], v5, s[12:13]
	s_waitcnt vmcnt(0)
	v_cmp_neq_f32_e64 s5, 0, v9
	v_cmp_neq_f32_e64 s6, 0, v10
	s_delay_alu instid0(VALU_DEP_1) | instskip(NEXT) | instid1(SALU_CYCLE_1)
	s_or_b32 s5, s5, s6
	v_cndmask_b32_e64 v5, 0, 1, s5
.LBB592_585:
	s_or_b32 exec_lo, exec_lo, s7
	v_or_b32_e32 v9, 0x280, v0
	s_delay_alu instid0(VALU_DEP_1) | instskip(NEXT) | instid1(VALU_DEP_1)
	v_cmp_gt_u32_e64 s5, s10, v9
	s_and_saveexec_b32 s8, s5
	s_cbranch_execz .LBB592_587
; %bb.586:
	v_lshlrev_b32_e32 v6, 3, v9
	global_load_b64 v[9:10], v6, s[12:13]
	s_waitcnt vmcnt(0)
	v_cmp_neq_f32_e64 s6, 0, v9
	v_cmp_neq_f32_e64 s7, 0, v10
	s_delay_alu instid0(VALU_DEP_1) | instskip(NEXT) | instid1(SALU_CYCLE_1)
	s_or_b32 s6, s6, s7
	v_cndmask_b32_e64 v6, 0, 1, s6
.LBB592_587:
	s_or_b32 exec_lo, exec_lo, s8
	v_or_b32_e32 v9, 0x300, v0
	s_delay_alu instid0(VALU_DEP_1) | instskip(NEXT) | instid1(VALU_DEP_1)
	v_cmp_gt_u32_e64 s6, s10, v9
	s_and_saveexec_b32 s9, s6
	;; [unrolled: 16-line block ×3, first 2 shown]
	s_cbranch_execz .LBB592_591
; %bb.590:
	v_lshlrev_b32_e32 v8, 3, v9
	global_load_b64 v[8:9], v8, s[12:13]
	s_waitcnt vmcnt(0)
	v_cmp_neq_f32_e64 s8, 0, v8
	v_cmp_neq_f32_e64 s9, 0, v9
	s_delay_alu instid0(VALU_DEP_1) | instskip(NEXT) | instid1(SALU_CYCLE_1)
	s_or_b32 s8, s8, s9
	v_cndmask_b32_e64 v8, 0, 1, s8
.LBB592_591:
	s_or_b32 exec_lo, exec_lo, s11
	v_cndmask_b32_e32 v2, 0, v2, vcc_lo
	v_cndmask_b32_e64 v3, 0, v3, s2
	v_cndmask_b32_e64 v4, 0, v4, s3
	;; [unrolled: 1-line block ×4, first 2 shown]
	v_add_nc_u32_e32 v1, v2, v1
	v_mbcnt_lo_u32_b32 v2, -1, 0
	v_cndmask_b32_e64 v7, 0, v7, s6
	s_min_u32 s2, s10, 0x80
	s_mov_b32 s3, exec_lo
	v_add3_u32 v1, v1, v3, v4
	v_cmp_ne_u32_e32 vcc_lo, 31, v2
	v_cndmask_b32_e64 v3, 0, v8, s7
	s_delay_alu instid0(VALU_DEP_3) | instskip(SKIP_3) | instid1(VALU_DEP_4)
	v_add3_u32 v1, v1, v5, v6
	v_add_co_ci_u32_e32 v4, vcc_lo, 0, v2, vcc_lo
	v_cmp_gt_u32_e32 vcc_lo, 30, v2
	v_add_nc_u32_e32 v6, 1, v2
	v_add3_u32 v1, v1, v7, v3
	s_delay_alu instid0(VALU_DEP_4) | instskip(SKIP_4) | instid1(VALU_DEP_2)
	v_lshlrev_b32_e32 v4, 2, v4
	v_cndmask_b32_e64 v5, 0, 1, vcc_lo
	ds_bpermute_b32 v3, v4, v1
	v_and_b32_e32 v4, 0x60, v0
	v_lshlrev_b32_e32 v5, 1, v5
	v_sub_nc_u32_e64 v4, s2, v4 clamp
	s_delay_alu instid0(VALU_DEP_2) | instskip(NEXT) | instid1(VALU_DEP_2)
	v_add_lshl_u32 v5, v5, v2, 2
	v_cmp_lt_u32_e32 vcc_lo, v6, v4
	s_waitcnt lgkmcnt(0)
	v_dual_cndmask_b32 v3, 0, v3 :: v_dual_add_nc_u32 v6, 2, v2
	v_cmp_gt_u32_e32 vcc_lo, 28, v2
	s_delay_alu instid0(VALU_DEP_2) | instskip(SKIP_4) | instid1(VALU_DEP_3)
	v_add_nc_u32_e32 v1, v1, v3
	ds_bpermute_b32 v3, v5, v1
	v_cndmask_b32_e64 v5, 0, 1, vcc_lo
	v_cmp_lt_u32_e32 vcc_lo, v6, v4
	v_add_nc_u32_e32 v6, 4, v2
	v_lshlrev_b32_e32 v5, 2, v5
	s_delay_alu instid0(VALU_DEP_1) | instskip(SKIP_3) | instid1(VALU_DEP_2)
	v_add_lshl_u32 v5, v5, v2, 2
	s_waitcnt lgkmcnt(0)
	v_cndmask_b32_e32 v3, 0, v3, vcc_lo
	v_cmp_gt_u32_e32 vcc_lo, 24, v2
	v_add_nc_u32_e32 v1, v1, v3
	ds_bpermute_b32 v3, v5, v1
	v_cndmask_b32_e64 v5, 0, 1, vcc_lo
	v_cmp_lt_u32_e32 vcc_lo, v6, v4
	v_add_nc_u32_e32 v6, 8, v2
	s_delay_alu instid0(VALU_DEP_3) | instskip(NEXT) | instid1(VALU_DEP_1)
	v_lshlrev_b32_e32 v5, 3, v5
	v_add_lshl_u32 v5, v5, v2, 2
	s_waitcnt lgkmcnt(0)
	v_cndmask_b32_e32 v3, 0, v3, vcc_lo
	v_cmp_gt_u32_e32 vcc_lo, 16, v2
	s_delay_alu instid0(VALU_DEP_2) | instskip(SKIP_3) | instid1(VALU_DEP_2)
	v_add_nc_u32_e32 v1, v1, v3
	ds_bpermute_b32 v3, v5, v1
	v_cndmask_b32_e64 v5, 0, 1, vcc_lo
	v_cmp_lt_u32_e32 vcc_lo, v6, v4
	v_lshlrev_b32_e32 v5, 4, v5
	s_delay_alu instid0(VALU_DEP_1) | instskip(SKIP_2) | instid1(VALU_DEP_1)
	v_add_lshl_u32 v5, v5, v2, 2
	s_waitcnt lgkmcnt(0)
	v_cndmask_b32_e32 v3, 0, v3, vcc_lo
	v_add_nc_u32_e32 v1, v1, v3
	ds_bpermute_b32 v3, v5, v1
	v_add_nc_u32_e32 v5, 16, v2
	s_delay_alu instid0(VALU_DEP_1) | instskip(SKIP_2) | instid1(VALU_DEP_1)
	v_cmp_lt_u32_e32 vcc_lo, v5, v4
	s_waitcnt lgkmcnt(0)
	v_cndmask_b32_e32 v3, 0, v3, vcc_lo
	v_add_nc_u32_e32 v1, v1, v3
	v_cmpx_eq_u32_e32 0, v2
	s_cbranch_execz .LBB592_593
; %bb.592:
	v_lshrrev_b32_e32 v3, 3, v0
	s_delay_alu instid0(VALU_DEP_1)
	v_and_b32_e32 v3, 12, v3
	ds_store_b32 v3, v1 offset:128
.LBB592_593:
	s_or_b32 exec_lo, exec_lo, s3
	s_delay_alu instid0(SALU_CYCLE_1)
	s_mov_b32 s3, exec_lo
	s_waitcnt lgkmcnt(0)
	s_barrier
	buffer_gl0_inv
	v_cmpx_gt_u32_e32 4, v0
	s_cbranch_execz .LBB592_595
; %bb.594:
	v_and_b32_e32 v3, 3, v2
	s_add_i32 s2, s2, 31
	s_delay_alu instid0(SALU_CYCLE_1) | instskip(NEXT) | instid1(VALU_DEP_1)
	s_lshr_b32 s2, s2, 5
	v_cmp_ne_u32_e32 vcc_lo, 3, v3
	v_add_nc_u32_e32 v5, 1, v3
	v_add_co_ci_u32_e32 v4, vcc_lo, 0, v2, vcc_lo
	v_cmp_gt_u32_e32 vcc_lo, 2, v3
	v_add_nc_u32_e32 v3, 2, v3
	s_delay_alu instid0(VALU_DEP_3) | instskip(SKIP_3) | instid1(VALU_DEP_3)
	v_lshlrev_b32_e32 v4, 2, v4
	v_cndmask_b32_e64 v6, 0, 1, vcc_lo
	v_cmp_gt_u32_e32 vcc_lo, s2, v5
	v_lshlrev_b32_e32 v1, 2, v2
	v_lshlrev_b32_e32 v5, 1, v6
	ds_load_b32 v1, v1 offset:128
	v_add_lshl_u32 v2, v5, v2, 2
	s_waitcnt lgkmcnt(0)
	ds_bpermute_b32 v4, v4, v1
	s_waitcnt lgkmcnt(0)
	v_cndmask_b32_e32 v4, 0, v4, vcc_lo
	v_cmp_gt_u32_e32 vcc_lo, s2, v3
	s_delay_alu instid0(VALU_DEP_2) | instskip(SKIP_3) | instid1(VALU_DEP_1)
	v_add_nc_u32_e32 v1, v4, v1
	ds_bpermute_b32 v2, v2, v1
	s_waitcnt lgkmcnt(0)
	v_cndmask_b32_e32 v2, 0, v2, vcc_lo
	v_add_nc_u32_e32 v1, v1, v2
.LBB592_595:
	s_or_b32 exec_lo, exec_lo, s3
.LBB592_596:
	v_cmp_eq_u32_e64 s2, 0, v0
.LBB592_597:
	s_branch .LBB592_623
.LBB592_598:
	s_mov_b32 s2, -1
                                        ; implicit-def: $vgpr1
.LBB592_599:
	s_delay_alu instid0(SALU_CYCLE_1)
	s_and_b32 vcc_lo, exec_lo, s2
	s_cbranch_vccz .LBB592_613
; %bb.600:
	s_sub_i32 s6, s96, s12
	s_mov_b32 s3, exec_lo
                                        ; implicit-def: $vgpr1_vgpr2_vgpr3_vgpr4
	v_cmpx_gt_u32_e64 s6, v0
	s_cbranch_execz .LBB592_602
; %bb.601:
	v_lshlrev_b32_e32 v1, 3, v0
	global_load_b64 v[1:2], v1, s[10:11]
	s_waitcnt vmcnt(0)
	v_cmp_neq_f32_e32 vcc_lo, 0, v1
	v_cmp_neq_f32_e64 s2, 0, v2
	s_delay_alu instid0(VALU_DEP_1) | instskip(NEXT) | instid1(SALU_CYCLE_1)
	s_or_b32 s2, vcc_lo, s2
	v_cndmask_b32_e64 v1, 0, 1, s2
.LBB592_602:
	s_or_b32 exec_lo, exec_lo, s3
	v_or_b32_e32 v5, 0x80, v0
	s_delay_alu instid0(VALU_DEP_1)
	v_cmp_gt_u32_e32 vcc_lo, s6, v5
	s_and_saveexec_b32 s4, vcc_lo
	s_cbranch_execz .LBB592_604
; %bb.603:
	v_lshlrev_b32_e32 v2, 3, v0
	global_load_b64 v[5:6], v2, s[10:11] offset:1024
	s_waitcnt vmcnt(0)
	v_cmp_neq_f32_e64 s2, 0, v5
	v_cmp_neq_f32_e64 s3, 0, v6
	s_delay_alu instid0(VALU_DEP_1) | instskip(NEXT) | instid1(SALU_CYCLE_1)
	s_or_b32 s2, s2, s3
	v_cndmask_b32_e64 v2, 0, 1, s2
.LBB592_604:
	s_or_b32 exec_lo, exec_lo, s4
	v_or_b32_e32 v5, 0x100, v0
	s_delay_alu instid0(VALU_DEP_1) | instskip(NEXT) | instid1(VALU_DEP_1)
	v_cmp_gt_u32_e64 s2, s6, v5
	s_and_saveexec_b32 s5, s2
	s_cbranch_execz .LBB592_606
; %bb.605:
	v_lshlrev_b32_e32 v3, 3, v0
	global_load_b64 v[5:6], v3, s[10:11] offset:2048
	s_waitcnt vmcnt(0)
	v_cmp_neq_f32_e64 s3, 0, v5
	v_cmp_neq_f32_e64 s4, 0, v6
	s_delay_alu instid0(VALU_DEP_1) | instskip(NEXT) | instid1(SALU_CYCLE_1)
	s_or_b32 s3, s3, s4
	v_cndmask_b32_e64 v3, 0, 1, s3
.LBB592_606:
	s_or_b32 exec_lo, exec_lo, s5
	v_or_b32_e32 v5, 0x180, v0
	s_delay_alu instid0(VALU_DEP_1) | instskip(NEXT) | instid1(VALU_DEP_1)
	v_cmp_gt_u32_e64 s3, s6, v5
	s_and_saveexec_b32 s7, s3
	s_cbranch_execz .LBB592_608
; %bb.607:
	v_lshlrev_b32_e32 v4, 3, v0
	global_load_b64 v[4:5], v4, s[10:11] offset:3072
	s_waitcnt vmcnt(0)
	v_cmp_neq_f32_e64 s4, 0, v4
	v_cmp_neq_f32_e64 s5, 0, v5
	s_delay_alu instid0(VALU_DEP_1) | instskip(NEXT) | instid1(SALU_CYCLE_1)
	s_or_b32 s4, s4, s5
	v_cndmask_b32_e64 v4, 0, 1, s4
.LBB592_608:
	s_or_b32 exec_lo, exec_lo, s7
	v_cndmask_b32_e32 v5, 0, v2, vcc_lo
	v_mbcnt_lo_u32_b32 v2, -1, 0
	v_cndmask_b32_e64 v3, 0, v3, s2
	v_cndmask_b32_e64 v4, 0, v4, s3
	s_min_u32 s2, s6, 0x80
	v_add_nc_u32_e32 v1, v5, v1
	v_cmp_ne_u32_e32 vcc_lo, 31, v2
	s_mov_b32 s3, exec_lo
	s_delay_alu instid0(VALU_DEP_2) | instskip(SKIP_3) | instid1(VALU_DEP_3)
	v_add3_u32 v1, v1, v3, v4
	v_and_b32_e32 v4, 0x60, v0
	v_add_co_ci_u32_e32 v5, vcc_lo, 0, v2, vcc_lo
	v_cmp_gt_u32_e32 vcc_lo, 30, v2
	v_sub_nc_u32_e64 v4, s2, v4 clamp
	s_delay_alu instid0(VALU_DEP_3) | instskip(SKIP_4) | instid1(VALU_DEP_2)
	v_lshlrev_b32_e32 v3, 2, v5
	v_cndmask_b32_e64 v5, 0, 1, vcc_lo
	ds_bpermute_b32 v3, v3, v1
	v_add_nc_u32_e32 v6, 1, v2
	v_lshlrev_b32_e32 v5, 1, v5
	v_cmp_lt_u32_e32 vcc_lo, v6, v4
	s_delay_alu instid0(VALU_DEP_2) | instskip(SKIP_3) | instid1(VALU_DEP_2)
	v_add_lshl_u32 v5, v5, v2, 2
	s_waitcnt lgkmcnt(0)
	v_cndmask_b32_e32 v3, 0, v3, vcc_lo
	v_cmp_gt_u32_e32 vcc_lo, 28, v2
	v_add_nc_u32_e32 v1, v3, v1
	ds_bpermute_b32 v3, v5, v1
	v_add_nc_u32_e32 v6, 2, v2
	v_cndmask_b32_e64 v5, 0, 1, vcc_lo
	s_delay_alu instid0(VALU_DEP_2) | instskip(NEXT) | instid1(VALU_DEP_2)
	v_cmp_lt_u32_e32 vcc_lo, v6, v4
	v_lshlrev_b32_e32 v5, 2, v5
	s_delay_alu instid0(VALU_DEP_1) | instskip(SKIP_3) | instid1(VALU_DEP_2)
	v_add_lshl_u32 v5, v5, v2, 2
	s_waitcnt lgkmcnt(0)
	v_cndmask_b32_e32 v3, 0, v3, vcc_lo
	v_cmp_gt_u32_e32 vcc_lo, 24, v2
	v_add_nc_u32_e32 v1, v1, v3
	ds_bpermute_b32 v3, v5, v1
	v_add_nc_u32_e32 v6, 4, v2
	v_cndmask_b32_e64 v5, 0, 1, vcc_lo
	s_delay_alu instid0(VALU_DEP_2) | instskip(NEXT) | instid1(VALU_DEP_2)
	v_cmp_lt_u32_e32 vcc_lo, v6, v4
	v_lshlrev_b32_e32 v5, 3, v5
	s_delay_alu instid0(VALU_DEP_1) | instskip(SKIP_3) | instid1(VALU_DEP_2)
	v_add_lshl_u32 v5, v5, v2, 2
	s_waitcnt lgkmcnt(0)
	v_cndmask_b32_e32 v3, 0, v3, vcc_lo
	v_cmp_gt_u32_e32 vcc_lo, 16, v2
	v_add_nc_u32_e32 v1, v1, v3
	ds_bpermute_b32 v3, v5, v1
	v_add_nc_u32_e32 v6, 8, v2
	v_cndmask_b32_e64 v5, 0, 1, vcc_lo
	s_delay_alu instid0(VALU_DEP_2) | instskip(NEXT) | instid1(VALU_DEP_2)
	v_cmp_lt_u32_e32 vcc_lo, v6, v4
	v_lshlrev_b32_e32 v5, 4, v5
	s_delay_alu instid0(VALU_DEP_1) | instskip(SKIP_2) | instid1(VALU_DEP_1)
	v_add_lshl_u32 v5, v5, v2, 2
	s_waitcnt lgkmcnt(0)
	v_cndmask_b32_e32 v3, 0, v3, vcc_lo
	v_add_nc_u32_e32 v1, v1, v3
	ds_bpermute_b32 v3, v5, v1
	v_add_nc_u32_e32 v5, 16, v2
	s_delay_alu instid0(VALU_DEP_1) | instskip(SKIP_2) | instid1(VALU_DEP_1)
	v_cmp_lt_u32_e32 vcc_lo, v5, v4
	s_waitcnt lgkmcnt(0)
	v_cndmask_b32_e32 v3, 0, v3, vcc_lo
	v_add_nc_u32_e32 v1, v1, v3
	v_cmpx_eq_u32_e32 0, v2
	s_cbranch_execz .LBB592_610
; %bb.609:
	v_lshrrev_b32_e32 v3, 3, v0
	s_delay_alu instid0(VALU_DEP_1)
	v_and_b32_e32 v3, 12, v3
	ds_store_b32 v3, v1 offset:128
.LBB592_610:
	s_or_b32 exec_lo, exec_lo, s3
	s_delay_alu instid0(SALU_CYCLE_1)
	s_mov_b32 s3, exec_lo
	s_waitcnt lgkmcnt(0)
	s_barrier
	buffer_gl0_inv
	v_cmpx_gt_u32_e32 4, v0
	s_cbranch_execz .LBB592_612
; %bb.611:
	v_and_b32_e32 v3, 3, v2
	s_add_i32 s2, s2, 31
	s_delay_alu instid0(SALU_CYCLE_1) | instskip(NEXT) | instid1(VALU_DEP_1)
	s_lshr_b32 s2, s2, 5
	v_cmp_ne_u32_e32 vcc_lo, 3, v3
	v_add_nc_u32_e32 v5, 1, v3
	v_add_co_ci_u32_e32 v4, vcc_lo, 0, v2, vcc_lo
	v_cmp_gt_u32_e32 vcc_lo, 2, v3
	v_add_nc_u32_e32 v3, 2, v3
	s_delay_alu instid0(VALU_DEP_3) | instskip(SKIP_3) | instid1(VALU_DEP_3)
	v_lshlrev_b32_e32 v4, 2, v4
	v_cndmask_b32_e64 v6, 0, 1, vcc_lo
	v_cmp_gt_u32_e32 vcc_lo, s2, v5
	v_lshlrev_b32_e32 v1, 2, v2
	v_lshlrev_b32_e32 v5, 1, v6
	ds_load_b32 v1, v1 offset:128
	v_add_lshl_u32 v2, v5, v2, 2
	s_waitcnt lgkmcnt(0)
	ds_bpermute_b32 v4, v4, v1
	s_waitcnt lgkmcnt(0)
	v_cndmask_b32_e32 v4, 0, v4, vcc_lo
	v_cmp_gt_u32_e32 vcc_lo, s2, v3
	s_delay_alu instid0(VALU_DEP_2) | instskip(SKIP_3) | instid1(VALU_DEP_1)
	v_add_nc_u32_e32 v1, v4, v1
	ds_bpermute_b32 v2, v2, v1
	s_waitcnt lgkmcnt(0)
	v_cndmask_b32_e32 v2, 0, v2, vcc_lo
	v_add_nc_u32_e32 v1, v1, v2
.LBB592_612:
	s_or_b32 exec_lo, exec_lo, s3
.LBB592_613:
	v_cmp_eq_u32_e64 s2, 0, v0
	s_branch .LBB592_623
.LBB592_614:
	s_cmp_gt_i32 s104, 1
	s_cbranch_scc0 .LBB592_622
; %bb.615:
	s_cmp_eq_u32 s104, 2
	s_cbranch_scc0 .LBB592_626
; %bb.616:
	s_mov_b32 s95, 0
	s_lshl_b32 s8, s94, 8
	s_mov_b32 s9, s95
	s_lshr_b64 s[4:5], s[96:97], 8
	s_lshl_b64 s[2:3], s[8:9], 3
	s_waitcnt lgkmcnt(0)
	s_add_u32 s6, s92, s2
	s_addc_u32 s7, s93, s3
	s_cmp_lg_u64 s[4:5], s[94:95]
	s_cbranch_scc0 .LBB592_627
; %bb.617:
	v_lshlrev_b32_e32 v3, 3, v0
	s_clause 0x1
	global_load_b64 v[1:2], v3, s[6:7]
	global_load_b64 v[3:4], v3, s[6:7] offset:1024
	s_waitcnt vmcnt(1)
	v_cmp_neq_f32_e32 vcc_lo, 0, v1
	v_cmp_neq_f32_e64 s2, 0, v2
	s_waitcnt vmcnt(0)
	v_cmp_neq_f32_e64 s3, 0, v3
	v_cmp_neq_f32_e64 s4, 0, v4
	s_delay_alu instid0(VALU_DEP_3) | instskip(NEXT) | instid1(SALU_CYCLE_1)
	s_or_b32 s2, vcc_lo, s2
	v_cndmask_b32_e64 v1, 0, 1, s2
	s_delay_alu instid0(VALU_DEP_2)
	s_or_b32 vcc_lo, s3, s4
	s_delay_alu instid0(VALU_DEP_1) | instid1(SALU_CYCLE_1)
	v_add_co_ci_u32_e64 v2, s2, 0, v1, vcc_lo
	s_mov_b32 s2, exec_lo
	s_delay_alu instid0(VALU_DEP_1) | instskip(NEXT) | instid1(VALU_DEP_1)
	v_mov_b32_dpp v2, v2 quad_perm:[1,0,3,2] row_mask:0xf bank_mask:0xf
	v_add_co_ci_u32_e32 v1, vcc_lo, v2, v1, vcc_lo
	s_delay_alu instid0(VALU_DEP_1) | instskip(NEXT) | instid1(VALU_DEP_1)
	v_mov_b32_dpp v2, v1 quad_perm:[2,3,0,1] row_mask:0xf bank_mask:0xf
	v_add_nc_u32_e32 v1, v1, v2
	s_delay_alu instid0(VALU_DEP_1) | instskip(NEXT) | instid1(VALU_DEP_1)
	v_mov_b32_dpp v2, v1 row_ror:4 row_mask:0xf bank_mask:0xf
	v_add_nc_u32_e32 v1, v1, v2
	s_delay_alu instid0(VALU_DEP_1) | instskip(NEXT) | instid1(VALU_DEP_1)
	v_mov_b32_dpp v2, v1 row_ror:8 row_mask:0xf bank_mask:0xf
	v_add_nc_u32_e32 v1, v1, v2
	ds_swizzle_b32 v2, v1 offset:swizzle(BROADCAST,32,15)
	s_waitcnt lgkmcnt(0)
	v_dual_mov_b32 v2, 0 :: v_dual_add_nc_u32 v1, v1, v2
	ds_bpermute_b32 v1, v2, v1 offset:124
	v_mbcnt_lo_u32_b32 v2, -1, 0
	s_delay_alu instid0(VALU_DEP_1)
	v_cmpx_eq_u32_e32 0, v2
	s_cbranch_execz .LBB592_619
; %bb.618:
	v_lshrrev_b32_e32 v3, 3, v0
	s_delay_alu instid0(VALU_DEP_1)
	v_and_b32_e32 v3, 12, v3
	s_waitcnt lgkmcnt(0)
	ds_store_b32 v3, v1 offset:48
.LBB592_619:
	s_or_b32 exec_lo, exec_lo, s2
	s_delay_alu instid0(SALU_CYCLE_1)
	s_mov_b32 s2, exec_lo
	s_waitcnt lgkmcnt(0)
	s_barrier
	buffer_gl0_inv
	v_cmpx_gt_u32_e32 32, v0
	s_cbranch_execz .LBB592_621
; %bb.620:
	v_and_b32_e32 v1, 3, v2
	s_delay_alu instid0(VALU_DEP_1) | instskip(SKIP_4) | instid1(VALU_DEP_2)
	v_lshlrev_b32_e32 v3, 2, v1
	v_cmp_ne_u32_e32 vcc_lo, 3, v1
	ds_load_b32 v3, v3 offset:48
	v_add_co_ci_u32_e32 v4, vcc_lo, 0, v2, vcc_lo
	v_cmp_gt_u32_e32 vcc_lo, 2, v1
	v_lshlrev_b32_e32 v4, 2, v4
	v_cndmask_b32_e64 v1, 0, 1, vcc_lo
	s_delay_alu instid0(VALU_DEP_1) | instskip(NEXT) | instid1(VALU_DEP_1)
	v_lshlrev_b32_e32 v1, 1, v1
	v_add_lshl_u32 v1, v1, v2, 2
	s_waitcnt lgkmcnt(0)
	ds_bpermute_b32 v4, v4, v3
	s_waitcnt lgkmcnt(0)
	v_add_nc_u32_e32 v3, v4, v3
	ds_bpermute_b32 v1, v1, v3
	s_waitcnt lgkmcnt(0)
	v_add_nc_u32_e32 v1, v1, v3
.LBB592_621:
	s_or_b32 exec_lo, exec_lo, s2
	s_mov_b32 s2, 0
	s_branch .LBB592_628
.LBB592_622:
                                        ; implicit-def: $vgpr1
	s_cbranch_execnz .LBB592_639
.LBB592_623:
	s_delay_alu instid0(VALU_DEP_1)
	s_and_saveexec_b32 s3, s2
	s_cbranch_execz .LBB592_625
.LBB592_624:
	s_load_b32 s2, s[0:1], 0x28
	s_cmp_lg_u64 s[96:97], 0
	s_cselect_b32 vcc_lo, -1, 0
	s_lshl_b64 s[0:1], s[94:95], 2
	v_dual_cndmask_b32 v0, 0, v1 :: v_dual_mov_b32 v1, 0
	s_add_u32 s0, s98, s0
	s_addc_u32 s1, s99, s1
	s_waitcnt lgkmcnt(0)
	s_delay_alu instid0(VALU_DEP_1)
	v_add_nc_u32_e32 v0, s2, v0
	global_store_b32 v1, v0, s[0:1]
.LBB592_625:
	s_nop 0
	s_sendmsg sendmsg(MSG_DEALLOC_VGPRS)
	s_endpgm
.LBB592_626:
                                        ; implicit-def: $vgpr1
	s_branch .LBB592_623
.LBB592_627:
	s_mov_b32 s2, -1
                                        ; implicit-def: $vgpr1
.LBB592_628:
	s_delay_alu instid0(SALU_CYCLE_1)
	s_and_b32 vcc_lo, exec_lo, s2
	s_cbranch_vccz .LBB592_638
; %bb.629:
	s_sub_i32 s4, s96, s8
	s_mov_b32 s3, exec_lo
                                        ; implicit-def: $vgpr1_vgpr2
	v_cmpx_gt_u32_e64 s4, v0
	s_cbranch_execz .LBB592_631
; %bb.630:
	v_lshlrev_b32_e32 v1, 3, v0
	global_load_b64 v[1:2], v1, s[6:7]
	s_waitcnt vmcnt(0)
	v_cmp_neq_f32_e32 vcc_lo, 0, v1
	v_cmp_neq_f32_e64 s2, 0, v2
	s_delay_alu instid0(VALU_DEP_1) | instskip(NEXT) | instid1(SALU_CYCLE_1)
	s_or_b32 s2, vcc_lo, s2
	v_cndmask_b32_e64 v1, 0, 1, s2
.LBB592_631:
	s_or_b32 exec_lo, exec_lo, s3
	v_or_b32_e32 v3, 0x80, v0
	s_delay_alu instid0(VALU_DEP_1)
	v_cmp_gt_u32_e32 vcc_lo, s4, v3
	s_and_saveexec_b32 s5, vcc_lo
	s_cbranch_execz .LBB592_633
; %bb.632:
	v_lshlrev_b32_e32 v2, 3, v0
	global_load_b64 v[2:3], v2, s[6:7] offset:1024
	s_waitcnt vmcnt(0)
	v_cmp_neq_f32_e64 s2, 0, v2
	v_cmp_neq_f32_e64 s3, 0, v3
	s_delay_alu instid0(VALU_DEP_1) | instskip(NEXT) | instid1(SALU_CYCLE_1)
	s_or_b32 s2, s2, s3
	v_cndmask_b32_e64 v2, 0, 1, s2
.LBB592_633:
	s_or_b32 exec_lo, exec_lo, s5
	v_mbcnt_lo_u32_b32 v3, -1, 0
	s_delay_alu instid0(VALU_DEP_2) | instskip(SKIP_2) | instid1(VALU_DEP_2)
	v_cndmask_b32_e32 v2, 0, v2, vcc_lo
	s_min_u32 s2, s4, 0x80
	s_mov_b32 s3, exec_lo
	v_cmp_ne_u32_e32 vcc_lo, 31, v3
	v_add_nc_u32_e32 v6, 1, v3
	v_add_co_ci_u32_e32 v4, vcc_lo, 0, v3, vcc_lo
	v_cmp_gt_u32_e32 vcc_lo, 30, v3
	v_cndmask_b32_e64 v5, 0, 1, vcc_lo
	s_delay_alu instid0(VALU_DEP_1) | instskip(SKIP_3) | instid1(VALU_DEP_4)
	v_lshlrev_b32_e32 v5, 1, v5
	v_add_nc_u32_e32 v1, v2, v1
	v_lshlrev_b32_e32 v2, 2, v4
	v_and_b32_e32 v4, 0x60, v0
	v_add_lshl_u32 v5, v5, v3, 2
	ds_bpermute_b32 v2, v2, v1
	v_sub_nc_u32_e64 v4, s2, v4 clamp
	s_delay_alu instid0(VALU_DEP_1) | instskip(SKIP_4) | instid1(VALU_DEP_2)
	v_cmp_lt_u32_e32 vcc_lo, v6, v4
	v_add_nc_u32_e32 v6, 2, v3
	s_waitcnt lgkmcnt(0)
	v_cndmask_b32_e32 v2, 0, v2, vcc_lo
	v_cmp_gt_u32_e32 vcc_lo, 28, v3
	v_add_nc_u32_e32 v1, v2, v1
	ds_bpermute_b32 v2, v5, v1
	v_cndmask_b32_e64 v5, 0, 1, vcc_lo
	v_cmp_lt_u32_e32 vcc_lo, v6, v4
	v_add_nc_u32_e32 v6, 4, v3
	s_delay_alu instid0(VALU_DEP_3) | instskip(NEXT) | instid1(VALU_DEP_1)
	v_lshlrev_b32_e32 v5, 2, v5
	v_add_lshl_u32 v5, v5, v3, 2
	s_waitcnt lgkmcnt(0)
	v_cndmask_b32_e32 v2, 0, v2, vcc_lo
	v_cmp_gt_u32_e32 vcc_lo, 24, v3
	s_delay_alu instid0(VALU_DEP_2) | instskip(SKIP_4) | instid1(VALU_DEP_3)
	v_add_nc_u32_e32 v1, v1, v2
	ds_bpermute_b32 v2, v5, v1
	v_cndmask_b32_e64 v5, 0, 1, vcc_lo
	v_cmp_lt_u32_e32 vcc_lo, v6, v4
	v_add_nc_u32_e32 v6, 8, v3
	v_lshlrev_b32_e32 v5, 3, v5
	s_delay_alu instid0(VALU_DEP_1) | instskip(SKIP_3) | instid1(VALU_DEP_2)
	v_add_lshl_u32 v5, v5, v3, 2
	s_waitcnt lgkmcnt(0)
	v_cndmask_b32_e32 v2, 0, v2, vcc_lo
	v_cmp_gt_u32_e32 vcc_lo, 16, v3
	v_add_nc_u32_e32 v1, v1, v2
	ds_bpermute_b32 v2, v5, v1
	v_cndmask_b32_e64 v5, 0, 1, vcc_lo
	v_cmp_lt_u32_e32 vcc_lo, v6, v4
	s_delay_alu instid0(VALU_DEP_2) | instskip(NEXT) | instid1(VALU_DEP_1)
	v_lshlrev_b32_e32 v5, 4, v5
	v_add_lshl_u32 v5, v5, v3, 2
	s_waitcnt lgkmcnt(0)
	v_cndmask_b32_e32 v2, 0, v2, vcc_lo
	s_delay_alu instid0(VALU_DEP_1) | instskip(SKIP_2) | instid1(VALU_DEP_1)
	v_add_nc_u32_e32 v1, v1, v2
	ds_bpermute_b32 v2, v5, v1
	v_add_nc_u32_e32 v5, 16, v3
	v_cmp_lt_u32_e32 vcc_lo, v5, v4
	s_waitcnt lgkmcnt(0)
	v_cndmask_b32_e32 v2, 0, v2, vcc_lo
	s_delay_alu instid0(VALU_DEP_1)
	v_add_nc_u32_e32 v1, v1, v2
	v_cmpx_eq_u32_e32 0, v3
	s_cbranch_execz .LBB592_635
; %bb.634:
	v_lshrrev_b32_e32 v2, 3, v0
	s_delay_alu instid0(VALU_DEP_1)
	v_and_b32_e32 v2, 12, v2
	ds_store_b32 v2, v1 offset:128
.LBB592_635:
	s_or_b32 exec_lo, exec_lo, s3
	s_delay_alu instid0(SALU_CYCLE_1)
	s_mov_b32 s3, exec_lo
	s_waitcnt lgkmcnt(0)
	s_barrier
	buffer_gl0_inv
	v_cmpx_gt_u32_e32 4, v0
	s_cbranch_execz .LBB592_637
; %bb.636:
	v_and_b32_e32 v2, 3, v3
	s_add_i32 s2, s2, 31
	s_delay_alu instid0(SALU_CYCLE_1) | instskip(NEXT) | instid1(VALU_DEP_1)
	s_lshr_b32 s2, s2, 5
	v_cmp_ne_u32_e32 vcc_lo, 3, v2
	v_add_nc_u32_e32 v5, 1, v2
	v_add_co_ci_u32_e32 v4, vcc_lo, 0, v3, vcc_lo
	v_cmp_gt_u32_e32 vcc_lo, 2, v2
	v_add_nc_u32_e32 v2, 2, v2
	s_delay_alu instid0(VALU_DEP_3) | instskip(SKIP_3) | instid1(VALU_DEP_3)
	v_lshlrev_b32_e32 v4, 2, v4
	v_cndmask_b32_e64 v6, 0, 1, vcc_lo
	v_cmp_gt_u32_e32 vcc_lo, s2, v5
	v_lshlrev_b32_e32 v1, 2, v3
	v_lshlrev_b32_e32 v5, 1, v6
	ds_load_b32 v1, v1 offset:128
	v_add_lshl_u32 v3, v5, v3, 2
	s_waitcnt lgkmcnt(0)
	ds_bpermute_b32 v4, v4, v1
	s_waitcnt lgkmcnt(0)
	v_cndmask_b32_e32 v4, 0, v4, vcc_lo
	v_cmp_gt_u32_e32 vcc_lo, s2, v2
	s_delay_alu instid0(VALU_DEP_2) | instskip(SKIP_3) | instid1(VALU_DEP_1)
	v_add_nc_u32_e32 v1, v4, v1
	ds_bpermute_b32 v3, v3, v1
	s_waitcnt lgkmcnt(0)
	v_cndmask_b32_e32 v2, 0, v3, vcc_lo
	v_add_nc_u32_e32 v1, v1, v2
.LBB592_637:
	s_or_b32 exec_lo, exec_lo, s3
.LBB592_638:
	v_cmp_eq_u32_e64 s2, 0, v0
	s_branch .LBB592_623
.LBB592_639:
	s_cmp_eq_u32 s104, 1
	s_cbranch_scc0 .LBB592_647
; %bb.640:
	s_mov_b32 s5, 0
	v_mbcnt_lo_u32_b32 v2, -1, 0
	s_lshr_b64 s[2:3], s[96:97], 7
	s_mov_b32 s95, s5
	s_lshl_b32 s4, s94, 7
	s_cmp_lg_u64 s[2:3], s[94:95]
	s_cbranch_scc0 .LBB592_648
; %bb.641:
	s_lshl_b64 s[2:3], s[4:5], 3
	v_lshlrev_b32_e32 v1, 3, v0
	s_waitcnt lgkmcnt(0)
	s_add_u32 s2, s92, s2
	s_addc_u32 s3, s93, s3
	global_load_b64 v[3:4], v1, s[2:3]
	s_waitcnt vmcnt(0)
	v_cmp_neq_f32_e32 vcc_lo, 0, v3
	v_cmp_neq_f32_e64 s2, 0, v4
	s_delay_alu instid0(VALU_DEP_1) | instskip(NEXT) | instid1(SALU_CYCLE_1)
	s_or_b32 vcc_lo, vcc_lo, s2
	v_cndmask_b32_e64 v1, 0, 1, vcc_lo
	s_delay_alu instid0(VALU_DEP_1) | instskip(NEXT) | instid1(VALU_DEP_1)
	v_mov_b32_dpp v1, v1 quad_perm:[1,0,3,2] row_mask:0xf bank_mask:0xf
	v_add_co_ci_u32_e64 v3, s2, 0, v1, vcc_lo
	s_mov_b32 s2, exec_lo
	s_delay_alu instid0(VALU_DEP_1) | instskip(NEXT) | instid1(VALU_DEP_1)
	v_mov_b32_dpp v3, v3 quad_perm:[2,3,0,1] row_mask:0xf bank_mask:0xf
	v_add_co_ci_u32_e32 v1, vcc_lo, v3, v1, vcc_lo
	s_delay_alu instid0(VALU_DEP_1) | instskip(NEXT) | instid1(VALU_DEP_1)
	v_mov_b32_dpp v3, v1 row_ror:4 row_mask:0xf bank_mask:0xf
	v_add_nc_u32_e32 v1, v1, v3
	s_delay_alu instid0(VALU_DEP_1) | instskip(NEXT) | instid1(VALU_DEP_1)
	v_mov_b32_dpp v3, v1 row_ror:8 row_mask:0xf bank_mask:0xf
	v_add_nc_u32_e32 v1, v1, v3
	ds_swizzle_b32 v3, v1 offset:swizzle(BROADCAST,32,15)
	s_waitcnt lgkmcnt(0)
	v_add_nc_u32_e32 v1, v1, v3
	v_mov_b32_e32 v3, 0
	ds_bpermute_b32 v1, v3, v1 offset:124
	v_cmpx_eq_u32_e32 0, v2
	s_cbranch_execz .LBB592_643
; %bb.642:
	v_lshrrev_b32_e32 v3, 3, v0
	s_delay_alu instid0(VALU_DEP_1)
	v_and_b32_e32 v3, 12, v3
	s_waitcnt lgkmcnt(0)
	ds_store_b32 v3, v1 offset:32
.LBB592_643:
	s_or_b32 exec_lo, exec_lo, s2
	s_delay_alu instid0(SALU_CYCLE_1)
	s_mov_b32 s2, exec_lo
	s_waitcnt lgkmcnt(0)
	s_barrier
	buffer_gl0_inv
	v_cmpx_gt_u32_e32 32, v0
	s_cbranch_execz .LBB592_645
; %bb.644:
	v_and_b32_e32 v1, 3, v2
	s_delay_alu instid0(VALU_DEP_1) | instskip(SKIP_4) | instid1(VALU_DEP_2)
	v_lshlrev_b32_e32 v3, 2, v1
	v_cmp_ne_u32_e32 vcc_lo, 3, v1
	ds_load_b32 v3, v3 offset:32
	v_add_co_ci_u32_e32 v4, vcc_lo, 0, v2, vcc_lo
	v_cmp_gt_u32_e32 vcc_lo, 2, v1
	v_lshlrev_b32_e32 v4, 2, v4
	v_cndmask_b32_e64 v1, 0, 1, vcc_lo
	s_delay_alu instid0(VALU_DEP_1) | instskip(NEXT) | instid1(VALU_DEP_1)
	v_lshlrev_b32_e32 v1, 1, v1
	v_add_lshl_u32 v1, v1, v2, 2
	s_waitcnt lgkmcnt(0)
	ds_bpermute_b32 v4, v4, v3
	s_waitcnt lgkmcnt(0)
	v_add_nc_u32_e32 v3, v4, v3
	ds_bpermute_b32 v1, v1, v3
	s_waitcnt lgkmcnt(0)
	v_add_nc_u32_e32 v1, v1, v3
.LBB592_645:
	s_or_b32 exec_lo, exec_lo, s2
.LBB592_646:
	v_cmp_eq_u32_e64 s2, 0, v0
	s_delay_alu instid0(VALU_DEP_1)
	s_and_saveexec_b32 s3, s2
	s_cbranch_execnz .LBB592_624
	s_branch .LBB592_625
.LBB592_647:
                                        ; implicit-def: $sgpr94_sgpr95
                                        ; implicit-def: $vgpr1
	s_and_saveexec_b32 s3, s2
	s_cbranch_execz .LBB592_625
	s_branch .LBB592_624
.LBB592_648:
                                        ; implicit-def: $vgpr1
	s_cbranch_execz .LBB592_646
; %bb.649:
	s_sub_i32 s3, s96, s4
	s_mov_b32 s6, exec_lo
                                        ; implicit-def: $vgpr1
	v_cmpx_gt_u32_e64 s3, v0
	s_cbranch_execz .LBB592_651
; %bb.650:
	s_lshl_b64 s[4:5], s[4:5], 3
	v_lshlrev_b32_e32 v1, 3, v0
	s_waitcnt lgkmcnt(0)
	s_add_u32 s4, s92, s4
	s_addc_u32 s5, s93, s5
	global_load_b64 v[3:4], v1, s[4:5]
	s_waitcnt vmcnt(0)
	v_cmp_neq_f32_e32 vcc_lo, 0, v3
	v_cmp_neq_f32_e64 s2, 0, v4
	s_delay_alu instid0(VALU_DEP_1) | instskip(NEXT) | instid1(SALU_CYCLE_1)
	s_or_b32 s2, vcc_lo, s2
	v_cndmask_b32_e64 v1, 0, 1, s2
.LBB592_651:
	s_or_b32 exec_lo, exec_lo, s6
	v_cmp_ne_u32_e32 vcc_lo, 31, v2
	s_min_u32 s2, s3, 0x80
	v_add_nc_u32_e32 v5, 1, v2
	s_mov_b32 s3, exec_lo
	v_add_co_ci_u32_e32 v3, vcc_lo, 0, v2, vcc_lo
	v_cmp_gt_u32_e32 vcc_lo, 30, v2
	s_delay_alu instid0(VALU_DEP_2) | instskip(SKIP_4) | instid1(VALU_DEP_2)
	v_lshlrev_b32_e32 v3, 2, v3
	v_cndmask_b32_e64 v6, 0, 1, vcc_lo
	ds_bpermute_b32 v3, v3, v1
	v_and_b32_e32 v4, 0x60, v0
	v_lshlrev_b32_e32 v6, 1, v6
	v_sub_nc_u32_e64 v4, s2, v4 clamp
	s_delay_alu instid0(VALU_DEP_1) | instskip(NEXT) | instid1(VALU_DEP_3)
	v_cmp_lt_u32_e32 vcc_lo, v5, v4
	v_add_lshl_u32 v5, v6, v2, 2
	s_waitcnt lgkmcnt(0)
	v_dual_cndmask_b32 v3, 0, v3 :: v_dual_add_nc_u32 v6, 2, v2
	v_cmp_gt_u32_e32 vcc_lo, 28, v2
	s_delay_alu instid0(VALU_DEP_2) | instskip(SKIP_4) | instid1(VALU_DEP_3)
	v_add_nc_u32_e32 v1, v3, v1
	ds_bpermute_b32 v3, v5, v1
	v_cndmask_b32_e64 v5, 0, 1, vcc_lo
	v_cmp_lt_u32_e32 vcc_lo, v6, v4
	v_add_nc_u32_e32 v6, 4, v2
	v_lshlrev_b32_e32 v5, 2, v5
	s_delay_alu instid0(VALU_DEP_1) | instskip(SKIP_3) | instid1(VALU_DEP_2)
	v_add_lshl_u32 v5, v5, v2, 2
	s_waitcnt lgkmcnt(0)
	v_cndmask_b32_e32 v3, 0, v3, vcc_lo
	v_cmp_gt_u32_e32 vcc_lo, 24, v2
	v_add_nc_u32_e32 v1, v1, v3
	ds_bpermute_b32 v3, v5, v1
	v_cndmask_b32_e64 v5, 0, 1, vcc_lo
	v_cmp_lt_u32_e32 vcc_lo, v6, v4
	v_add_nc_u32_e32 v6, 8, v2
	s_delay_alu instid0(VALU_DEP_3) | instskip(NEXT) | instid1(VALU_DEP_1)
	v_lshlrev_b32_e32 v5, 3, v5
	v_add_lshl_u32 v5, v5, v2, 2
	s_waitcnt lgkmcnt(0)
	v_cndmask_b32_e32 v3, 0, v3, vcc_lo
	v_cmp_gt_u32_e32 vcc_lo, 16, v2
	s_delay_alu instid0(VALU_DEP_2) | instskip(SKIP_3) | instid1(VALU_DEP_2)
	v_add_nc_u32_e32 v1, v1, v3
	ds_bpermute_b32 v3, v5, v1
	v_cndmask_b32_e64 v5, 0, 1, vcc_lo
	v_cmp_lt_u32_e32 vcc_lo, v6, v4
	v_lshlrev_b32_e32 v5, 4, v5
	s_delay_alu instid0(VALU_DEP_1) | instskip(SKIP_2) | instid1(VALU_DEP_1)
	v_add_lshl_u32 v5, v5, v2, 2
	s_waitcnt lgkmcnt(0)
	v_cndmask_b32_e32 v3, 0, v3, vcc_lo
	v_add_nc_u32_e32 v1, v1, v3
	ds_bpermute_b32 v3, v5, v1
	v_add_nc_u32_e32 v5, 16, v2
	s_delay_alu instid0(VALU_DEP_1) | instskip(SKIP_2) | instid1(VALU_DEP_1)
	v_cmp_lt_u32_e32 vcc_lo, v5, v4
	s_waitcnt lgkmcnt(0)
	v_cndmask_b32_e32 v3, 0, v3, vcc_lo
	v_add_nc_u32_e32 v1, v1, v3
	v_cmpx_eq_u32_e32 0, v2
	s_cbranch_execz .LBB592_653
; %bb.652:
	v_lshrrev_b32_e32 v3, 3, v0
	s_delay_alu instid0(VALU_DEP_1)
	v_and_b32_e32 v3, 12, v3
	ds_store_b32 v3, v1 offset:128
.LBB592_653:
	s_or_b32 exec_lo, exec_lo, s3
	s_delay_alu instid0(SALU_CYCLE_1)
	s_mov_b32 s3, exec_lo
	s_waitcnt lgkmcnt(0)
	s_barrier
	buffer_gl0_inv
	v_cmpx_gt_u32_e32 4, v0
	s_cbranch_execz .LBB592_655
; %bb.654:
	v_and_b32_e32 v3, 3, v2
	s_add_i32 s2, s2, 31
	s_delay_alu instid0(SALU_CYCLE_1) | instskip(NEXT) | instid1(VALU_DEP_1)
	s_lshr_b32 s2, s2, 5
	v_cmp_ne_u32_e32 vcc_lo, 3, v3
	v_add_nc_u32_e32 v5, 1, v3
	v_add_co_ci_u32_e32 v4, vcc_lo, 0, v2, vcc_lo
	v_cmp_gt_u32_e32 vcc_lo, 2, v3
	v_add_nc_u32_e32 v3, 2, v3
	s_delay_alu instid0(VALU_DEP_3) | instskip(SKIP_3) | instid1(VALU_DEP_3)
	v_lshlrev_b32_e32 v4, 2, v4
	v_cndmask_b32_e64 v6, 0, 1, vcc_lo
	v_cmp_gt_u32_e32 vcc_lo, s2, v5
	v_lshlrev_b32_e32 v1, 2, v2
	v_lshlrev_b32_e32 v5, 1, v6
	ds_load_b32 v1, v1 offset:128
	v_add_lshl_u32 v2, v5, v2, 2
	s_waitcnt lgkmcnt(0)
	ds_bpermute_b32 v4, v4, v1
	s_waitcnt lgkmcnt(0)
	v_cndmask_b32_e32 v4, 0, v4, vcc_lo
	v_cmp_gt_u32_e32 vcc_lo, s2, v3
	s_delay_alu instid0(VALU_DEP_2) | instskip(SKIP_3) | instid1(VALU_DEP_1)
	v_add_nc_u32_e32 v1, v4, v1
	ds_bpermute_b32 v2, v2, v1
	s_waitcnt lgkmcnt(0)
	v_cndmask_b32_e32 v2, 0, v2, vcc_lo
	v_add_nc_u32_e32 v1, v1, v2
.LBB592_655:
	s_or_b32 exec_lo, exec_lo, s3
	v_cmp_eq_u32_e64 s2, 0, v0
	s_delay_alu instid0(VALU_DEP_1)
	s_and_saveexec_b32 s3, s2
	s_cbranch_execnz .LBB592_624
	s_branch .LBB592_625
	.section	.rodata,"a",@progbits
	.p2align	6, 0x0
	.amdhsa_kernel _ZN7rocprim17ROCPRIM_400000_NS6detail17trampoline_kernelINS0_14default_configENS1_22reduce_config_selectorIbEEZNS1_11reduce_implILb1ES3_N6hipcub16HIPCUB_304000_NS22TransformInputIteratorIbN2at6native12_GLOBAL__N_19NonZeroOpIN3c107complexIfEEEEPKSG_lEEPiiNS8_6detail34convert_binary_result_type_wrapperINS8_3SumESK_iEEEE10hipError_tPvRmT1_T2_T3_mT4_P12ihipStream_tbEUlT_E1_NS1_11comp_targetILNS1_3genE9ELNS1_11target_archE1100ELNS1_3gpuE3ELNS1_3repE0EEENS1_30default_config_static_selectorELNS0_4arch9wavefront6targetE0EEEvST_
		.amdhsa_group_segment_fixed_size 144
		.amdhsa_private_segment_fixed_size 0
		.amdhsa_kernarg_size 48
		.amdhsa_user_sgpr_count 15
		.amdhsa_user_sgpr_dispatch_ptr 0
		.amdhsa_user_sgpr_queue_ptr 0
		.amdhsa_user_sgpr_kernarg_segment_ptr 1
		.amdhsa_user_sgpr_dispatch_id 0
		.amdhsa_user_sgpr_private_segment_size 0
		.amdhsa_wavefront_size32 1
		.amdhsa_uses_dynamic_stack 0
		.amdhsa_enable_private_segment 0
		.amdhsa_system_sgpr_workgroup_id_x 1
		.amdhsa_system_sgpr_workgroup_id_y 0
		.amdhsa_system_sgpr_workgroup_id_z 0
		.amdhsa_system_sgpr_workgroup_info 0
		.amdhsa_system_vgpr_workitem_id 0
		.amdhsa_next_free_vgpr 156
		.amdhsa_next_free_sgpr 105
		.amdhsa_reserve_vcc 1
		.amdhsa_float_round_mode_32 0
		.amdhsa_float_round_mode_16_64 0
		.amdhsa_float_denorm_mode_32 3
		.amdhsa_float_denorm_mode_16_64 3
		.amdhsa_dx10_clamp 1
		.amdhsa_ieee_mode 1
		.amdhsa_fp16_overflow 0
		.amdhsa_workgroup_processor_mode 1
		.amdhsa_memory_ordered 1
		.amdhsa_forward_progress 0
		.amdhsa_shared_vgpr_count 0
		.amdhsa_exception_fp_ieee_invalid_op 0
		.amdhsa_exception_fp_denorm_src 0
		.amdhsa_exception_fp_ieee_div_zero 0
		.amdhsa_exception_fp_ieee_overflow 0
		.amdhsa_exception_fp_ieee_underflow 0
		.amdhsa_exception_fp_ieee_inexact 0
		.amdhsa_exception_int_div_zero 0
	.end_amdhsa_kernel
	.section	.text._ZN7rocprim17ROCPRIM_400000_NS6detail17trampoline_kernelINS0_14default_configENS1_22reduce_config_selectorIbEEZNS1_11reduce_implILb1ES3_N6hipcub16HIPCUB_304000_NS22TransformInputIteratorIbN2at6native12_GLOBAL__N_19NonZeroOpIN3c107complexIfEEEEPKSG_lEEPiiNS8_6detail34convert_binary_result_type_wrapperINS8_3SumESK_iEEEE10hipError_tPvRmT1_T2_T3_mT4_P12ihipStream_tbEUlT_E1_NS1_11comp_targetILNS1_3genE9ELNS1_11target_archE1100ELNS1_3gpuE3ELNS1_3repE0EEENS1_30default_config_static_selectorELNS0_4arch9wavefront6targetE0EEEvST_,"axG",@progbits,_ZN7rocprim17ROCPRIM_400000_NS6detail17trampoline_kernelINS0_14default_configENS1_22reduce_config_selectorIbEEZNS1_11reduce_implILb1ES3_N6hipcub16HIPCUB_304000_NS22TransformInputIteratorIbN2at6native12_GLOBAL__N_19NonZeroOpIN3c107complexIfEEEEPKSG_lEEPiiNS8_6detail34convert_binary_result_type_wrapperINS8_3SumESK_iEEEE10hipError_tPvRmT1_T2_T3_mT4_P12ihipStream_tbEUlT_E1_NS1_11comp_targetILNS1_3genE9ELNS1_11target_archE1100ELNS1_3gpuE3ELNS1_3repE0EEENS1_30default_config_static_selectorELNS0_4arch9wavefront6targetE0EEEvST_,comdat
.Lfunc_end592:
	.size	_ZN7rocprim17ROCPRIM_400000_NS6detail17trampoline_kernelINS0_14default_configENS1_22reduce_config_selectorIbEEZNS1_11reduce_implILb1ES3_N6hipcub16HIPCUB_304000_NS22TransformInputIteratorIbN2at6native12_GLOBAL__N_19NonZeroOpIN3c107complexIfEEEEPKSG_lEEPiiNS8_6detail34convert_binary_result_type_wrapperINS8_3SumESK_iEEEE10hipError_tPvRmT1_T2_T3_mT4_P12ihipStream_tbEUlT_E1_NS1_11comp_targetILNS1_3genE9ELNS1_11target_archE1100ELNS1_3gpuE3ELNS1_3repE0EEENS1_30default_config_static_selectorELNS0_4arch9wavefront6targetE0EEEvST_, .Lfunc_end592-_ZN7rocprim17ROCPRIM_400000_NS6detail17trampoline_kernelINS0_14default_configENS1_22reduce_config_selectorIbEEZNS1_11reduce_implILb1ES3_N6hipcub16HIPCUB_304000_NS22TransformInputIteratorIbN2at6native12_GLOBAL__N_19NonZeroOpIN3c107complexIfEEEEPKSG_lEEPiiNS8_6detail34convert_binary_result_type_wrapperINS8_3SumESK_iEEEE10hipError_tPvRmT1_T2_T3_mT4_P12ihipStream_tbEUlT_E1_NS1_11comp_targetILNS1_3genE9ELNS1_11target_archE1100ELNS1_3gpuE3ELNS1_3repE0EEENS1_30default_config_static_selectorELNS0_4arch9wavefront6targetE0EEEvST_
                                        ; -- End function
	.section	.AMDGPU.csdata,"",@progbits
; Kernel info:
; codeLenInByte = 40584
; NumSgprs: 107
; NumVgprs: 156
; ScratchSize: 0
; MemoryBound: 0
; FloatMode: 240
; IeeeMode: 1
; LDSByteSize: 144 bytes/workgroup (compile time only)
; SGPRBlocks: 13
; VGPRBlocks: 19
; NumSGPRsForWavesPerEU: 107
; NumVGPRsForWavesPerEU: 156
; Occupancy: 9
; WaveLimiterHint : 1
; COMPUTE_PGM_RSRC2:SCRATCH_EN: 0
; COMPUTE_PGM_RSRC2:USER_SGPR: 15
; COMPUTE_PGM_RSRC2:TRAP_HANDLER: 0
; COMPUTE_PGM_RSRC2:TGID_X_EN: 1
; COMPUTE_PGM_RSRC2:TGID_Y_EN: 0
; COMPUTE_PGM_RSRC2:TGID_Z_EN: 0
; COMPUTE_PGM_RSRC2:TIDIG_COMP_CNT: 0
	.section	.text._ZN7rocprim17ROCPRIM_400000_NS6detail17trampoline_kernelINS0_14default_configENS1_22reduce_config_selectorIbEEZNS1_11reduce_implILb1ES3_N6hipcub16HIPCUB_304000_NS22TransformInputIteratorIbN2at6native12_GLOBAL__N_19NonZeroOpIN3c107complexIfEEEEPKSG_lEEPiiNS8_6detail34convert_binary_result_type_wrapperINS8_3SumESK_iEEEE10hipError_tPvRmT1_T2_T3_mT4_P12ihipStream_tbEUlT_E1_NS1_11comp_targetILNS1_3genE8ELNS1_11target_archE1030ELNS1_3gpuE2ELNS1_3repE0EEENS1_30default_config_static_selectorELNS0_4arch9wavefront6targetE0EEEvST_,"axG",@progbits,_ZN7rocprim17ROCPRIM_400000_NS6detail17trampoline_kernelINS0_14default_configENS1_22reduce_config_selectorIbEEZNS1_11reduce_implILb1ES3_N6hipcub16HIPCUB_304000_NS22TransformInputIteratorIbN2at6native12_GLOBAL__N_19NonZeroOpIN3c107complexIfEEEEPKSG_lEEPiiNS8_6detail34convert_binary_result_type_wrapperINS8_3SumESK_iEEEE10hipError_tPvRmT1_T2_T3_mT4_P12ihipStream_tbEUlT_E1_NS1_11comp_targetILNS1_3genE8ELNS1_11target_archE1030ELNS1_3gpuE2ELNS1_3repE0EEENS1_30default_config_static_selectorELNS0_4arch9wavefront6targetE0EEEvST_,comdat
	.globl	_ZN7rocprim17ROCPRIM_400000_NS6detail17trampoline_kernelINS0_14default_configENS1_22reduce_config_selectorIbEEZNS1_11reduce_implILb1ES3_N6hipcub16HIPCUB_304000_NS22TransformInputIteratorIbN2at6native12_GLOBAL__N_19NonZeroOpIN3c107complexIfEEEEPKSG_lEEPiiNS8_6detail34convert_binary_result_type_wrapperINS8_3SumESK_iEEEE10hipError_tPvRmT1_T2_T3_mT4_P12ihipStream_tbEUlT_E1_NS1_11comp_targetILNS1_3genE8ELNS1_11target_archE1030ELNS1_3gpuE2ELNS1_3repE0EEENS1_30default_config_static_selectorELNS0_4arch9wavefront6targetE0EEEvST_ ; -- Begin function _ZN7rocprim17ROCPRIM_400000_NS6detail17trampoline_kernelINS0_14default_configENS1_22reduce_config_selectorIbEEZNS1_11reduce_implILb1ES3_N6hipcub16HIPCUB_304000_NS22TransformInputIteratorIbN2at6native12_GLOBAL__N_19NonZeroOpIN3c107complexIfEEEEPKSG_lEEPiiNS8_6detail34convert_binary_result_type_wrapperINS8_3SumESK_iEEEE10hipError_tPvRmT1_T2_T3_mT4_P12ihipStream_tbEUlT_E1_NS1_11comp_targetILNS1_3genE8ELNS1_11target_archE1030ELNS1_3gpuE2ELNS1_3repE0EEENS1_30default_config_static_selectorELNS0_4arch9wavefront6targetE0EEEvST_
	.p2align	8
	.type	_ZN7rocprim17ROCPRIM_400000_NS6detail17trampoline_kernelINS0_14default_configENS1_22reduce_config_selectorIbEEZNS1_11reduce_implILb1ES3_N6hipcub16HIPCUB_304000_NS22TransformInputIteratorIbN2at6native12_GLOBAL__N_19NonZeroOpIN3c107complexIfEEEEPKSG_lEEPiiNS8_6detail34convert_binary_result_type_wrapperINS8_3SumESK_iEEEE10hipError_tPvRmT1_T2_T3_mT4_P12ihipStream_tbEUlT_E1_NS1_11comp_targetILNS1_3genE8ELNS1_11target_archE1030ELNS1_3gpuE2ELNS1_3repE0EEENS1_30default_config_static_selectorELNS0_4arch9wavefront6targetE0EEEvST_,@function
_ZN7rocprim17ROCPRIM_400000_NS6detail17trampoline_kernelINS0_14default_configENS1_22reduce_config_selectorIbEEZNS1_11reduce_implILb1ES3_N6hipcub16HIPCUB_304000_NS22TransformInputIteratorIbN2at6native12_GLOBAL__N_19NonZeroOpIN3c107complexIfEEEEPKSG_lEEPiiNS8_6detail34convert_binary_result_type_wrapperINS8_3SumESK_iEEEE10hipError_tPvRmT1_T2_T3_mT4_P12ihipStream_tbEUlT_E1_NS1_11comp_targetILNS1_3genE8ELNS1_11target_archE1030ELNS1_3gpuE2ELNS1_3repE0EEENS1_30default_config_static_selectorELNS0_4arch9wavefront6targetE0EEEvST_: ; @_ZN7rocprim17ROCPRIM_400000_NS6detail17trampoline_kernelINS0_14default_configENS1_22reduce_config_selectorIbEEZNS1_11reduce_implILb1ES3_N6hipcub16HIPCUB_304000_NS22TransformInputIteratorIbN2at6native12_GLOBAL__N_19NonZeroOpIN3c107complexIfEEEEPKSG_lEEPiiNS8_6detail34convert_binary_result_type_wrapperINS8_3SumESK_iEEEE10hipError_tPvRmT1_T2_T3_mT4_P12ihipStream_tbEUlT_E1_NS1_11comp_targetILNS1_3genE8ELNS1_11target_archE1030ELNS1_3gpuE2ELNS1_3repE0EEENS1_30default_config_static_selectorELNS0_4arch9wavefront6targetE0EEEvST_
; %bb.0:
	.section	.rodata,"a",@progbits
	.p2align	6, 0x0
	.amdhsa_kernel _ZN7rocprim17ROCPRIM_400000_NS6detail17trampoline_kernelINS0_14default_configENS1_22reduce_config_selectorIbEEZNS1_11reduce_implILb1ES3_N6hipcub16HIPCUB_304000_NS22TransformInputIteratorIbN2at6native12_GLOBAL__N_19NonZeroOpIN3c107complexIfEEEEPKSG_lEEPiiNS8_6detail34convert_binary_result_type_wrapperINS8_3SumESK_iEEEE10hipError_tPvRmT1_T2_T3_mT4_P12ihipStream_tbEUlT_E1_NS1_11comp_targetILNS1_3genE8ELNS1_11target_archE1030ELNS1_3gpuE2ELNS1_3repE0EEENS1_30default_config_static_selectorELNS0_4arch9wavefront6targetE0EEEvST_
		.amdhsa_group_segment_fixed_size 0
		.amdhsa_private_segment_fixed_size 0
		.amdhsa_kernarg_size 48
		.amdhsa_user_sgpr_count 15
		.amdhsa_user_sgpr_dispatch_ptr 0
		.amdhsa_user_sgpr_queue_ptr 0
		.amdhsa_user_sgpr_kernarg_segment_ptr 1
		.amdhsa_user_sgpr_dispatch_id 0
		.amdhsa_user_sgpr_private_segment_size 0
		.amdhsa_wavefront_size32 1
		.amdhsa_uses_dynamic_stack 0
		.amdhsa_enable_private_segment 0
		.amdhsa_system_sgpr_workgroup_id_x 1
		.amdhsa_system_sgpr_workgroup_id_y 0
		.amdhsa_system_sgpr_workgroup_id_z 0
		.amdhsa_system_sgpr_workgroup_info 0
		.amdhsa_system_vgpr_workitem_id 0
		.amdhsa_next_free_vgpr 1
		.amdhsa_next_free_sgpr 1
		.amdhsa_reserve_vcc 0
		.amdhsa_float_round_mode_32 0
		.amdhsa_float_round_mode_16_64 0
		.amdhsa_float_denorm_mode_32 3
		.amdhsa_float_denorm_mode_16_64 3
		.amdhsa_dx10_clamp 1
		.amdhsa_ieee_mode 1
		.amdhsa_fp16_overflow 0
		.amdhsa_workgroup_processor_mode 1
		.amdhsa_memory_ordered 1
		.amdhsa_forward_progress 0
		.amdhsa_shared_vgpr_count 0
		.amdhsa_exception_fp_ieee_invalid_op 0
		.amdhsa_exception_fp_denorm_src 0
		.amdhsa_exception_fp_ieee_div_zero 0
		.amdhsa_exception_fp_ieee_overflow 0
		.amdhsa_exception_fp_ieee_underflow 0
		.amdhsa_exception_fp_ieee_inexact 0
		.amdhsa_exception_int_div_zero 0
	.end_amdhsa_kernel
	.section	.text._ZN7rocprim17ROCPRIM_400000_NS6detail17trampoline_kernelINS0_14default_configENS1_22reduce_config_selectorIbEEZNS1_11reduce_implILb1ES3_N6hipcub16HIPCUB_304000_NS22TransformInputIteratorIbN2at6native12_GLOBAL__N_19NonZeroOpIN3c107complexIfEEEEPKSG_lEEPiiNS8_6detail34convert_binary_result_type_wrapperINS8_3SumESK_iEEEE10hipError_tPvRmT1_T2_T3_mT4_P12ihipStream_tbEUlT_E1_NS1_11comp_targetILNS1_3genE8ELNS1_11target_archE1030ELNS1_3gpuE2ELNS1_3repE0EEENS1_30default_config_static_selectorELNS0_4arch9wavefront6targetE0EEEvST_,"axG",@progbits,_ZN7rocprim17ROCPRIM_400000_NS6detail17trampoline_kernelINS0_14default_configENS1_22reduce_config_selectorIbEEZNS1_11reduce_implILb1ES3_N6hipcub16HIPCUB_304000_NS22TransformInputIteratorIbN2at6native12_GLOBAL__N_19NonZeroOpIN3c107complexIfEEEEPKSG_lEEPiiNS8_6detail34convert_binary_result_type_wrapperINS8_3SumESK_iEEEE10hipError_tPvRmT1_T2_T3_mT4_P12ihipStream_tbEUlT_E1_NS1_11comp_targetILNS1_3genE8ELNS1_11target_archE1030ELNS1_3gpuE2ELNS1_3repE0EEENS1_30default_config_static_selectorELNS0_4arch9wavefront6targetE0EEEvST_,comdat
.Lfunc_end593:
	.size	_ZN7rocprim17ROCPRIM_400000_NS6detail17trampoline_kernelINS0_14default_configENS1_22reduce_config_selectorIbEEZNS1_11reduce_implILb1ES3_N6hipcub16HIPCUB_304000_NS22TransformInputIteratorIbN2at6native12_GLOBAL__N_19NonZeroOpIN3c107complexIfEEEEPKSG_lEEPiiNS8_6detail34convert_binary_result_type_wrapperINS8_3SumESK_iEEEE10hipError_tPvRmT1_T2_T3_mT4_P12ihipStream_tbEUlT_E1_NS1_11comp_targetILNS1_3genE8ELNS1_11target_archE1030ELNS1_3gpuE2ELNS1_3repE0EEENS1_30default_config_static_selectorELNS0_4arch9wavefront6targetE0EEEvST_, .Lfunc_end593-_ZN7rocprim17ROCPRIM_400000_NS6detail17trampoline_kernelINS0_14default_configENS1_22reduce_config_selectorIbEEZNS1_11reduce_implILb1ES3_N6hipcub16HIPCUB_304000_NS22TransformInputIteratorIbN2at6native12_GLOBAL__N_19NonZeroOpIN3c107complexIfEEEEPKSG_lEEPiiNS8_6detail34convert_binary_result_type_wrapperINS8_3SumESK_iEEEE10hipError_tPvRmT1_T2_T3_mT4_P12ihipStream_tbEUlT_E1_NS1_11comp_targetILNS1_3genE8ELNS1_11target_archE1030ELNS1_3gpuE2ELNS1_3repE0EEENS1_30default_config_static_selectorELNS0_4arch9wavefront6targetE0EEEvST_
                                        ; -- End function
	.section	.AMDGPU.csdata,"",@progbits
; Kernel info:
; codeLenInByte = 0
; NumSgprs: 0
; NumVgprs: 0
; ScratchSize: 0
; MemoryBound: 0
; FloatMode: 240
; IeeeMode: 1
; LDSByteSize: 0 bytes/workgroup (compile time only)
; SGPRBlocks: 0
; VGPRBlocks: 0
; NumSGPRsForWavesPerEU: 1
; NumVGPRsForWavesPerEU: 1
; Occupancy: 16
; WaveLimiterHint : 0
; COMPUTE_PGM_RSRC2:SCRATCH_EN: 0
; COMPUTE_PGM_RSRC2:USER_SGPR: 15
; COMPUTE_PGM_RSRC2:TRAP_HANDLER: 0
; COMPUTE_PGM_RSRC2:TGID_X_EN: 1
; COMPUTE_PGM_RSRC2:TGID_Y_EN: 0
; COMPUTE_PGM_RSRC2:TGID_Z_EN: 0
; COMPUTE_PGM_RSRC2:TIDIG_COMP_CNT: 0
	.section	.text._ZN7rocprim17ROCPRIM_400000_NS6detail17trampoline_kernelINS0_14default_configENS1_25partition_config_selectorILNS1_17partition_subalgoE5ElNS0_10empty_typeEbEEZZNS1_14partition_implILS5_5ELb0ES3_mN6hipcub16HIPCUB_304000_NS21CountingInputIteratorIllEEPS6_NSA_22TransformInputIteratorIbN2at6native12_GLOBAL__N_19NonZeroOpIN3c107complexIfEEEEPKSL_lEENS0_5tupleIJPlS6_EEENSQ_IJSD_SD_EEES6_PiJS6_EEE10hipError_tPvRmT3_T4_T5_T6_T7_T9_mT8_P12ihipStream_tbDpT10_ENKUlT_T0_E_clISt17integral_constantIbLb0EES1E_EEDaS19_S1A_EUlS19_E_NS1_11comp_targetILNS1_3genE0ELNS1_11target_archE4294967295ELNS1_3gpuE0ELNS1_3repE0EEENS1_30default_config_static_selectorELNS0_4arch9wavefront6targetE0EEEvT1_,"axG",@progbits,_ZN7rocprim17ROCPRIM_400000_NS6detail17trampoline_kernelINS0_14default_configENS1_25partition_config_selectorILNS1_17partition_subalgoE5ElNS0_10empty_typeEbEEZZNS1_14partition_implILS5_5ELb0ES3_mN6hipcub16HIPCUB_304000_NS21CountingInputIteratorIllEEPS6_NSA_22TransformInputIteratorIbN2at6native12_GLOBAL__N_19NonZeroOpIN3c107complexIfEEEEPKSL_lEENS0_5tupleIJPlS6_EEENSQ_IJSD_SD_EEES6_PiJS6_EEE10hipError_tPvRmT3_T4_T5_T6_T7_T9_mT8_P12ihipStream_tbDpT10_ENKUlT_T0_E_clISt17integral_constantIbLb0EES1E_EEDaS19_S1A_EUlS19_E_NS1_11comp_targetILNS1_3genE0ELNS1_11target_archE4294967295ELNS1_3gpuE0ELNS1_3repE0EEENS1_30default_config_static_selectorELNS0_4arch9wavefront6targetE0EEEvT1_,comdat
	.globl	_ZN7rocprim17ROCPRIM_400000_NS6detail17trampoline_kernelINS0_14default_configENS1_25partition_config_selectorILNS1_17partition_subalgoE5ElNS0_10empty_typeEbEEZZNS1_14partition_implILS5_5ELb0ES3_mN6hipcub16HIPCUB_304000_NS21CountingInputIteratorIllEEPS6_NSA_22TransformInputIteratorIbN2at6native12_GLOBAL__N_19NonZeroOpIN3c107complexIfEEEEPKSL_lEENS0_5tupleIJPlS6_EEENSQ_IJSD_SD_EEES6_PiJS6_EEE10hipError_tPvRmT3_T4_T5_T6_T7_T9_mT8_P12ihipStream_tbDpT10_ENKUlT_T0_E_clISt17integral_constantIbLb0EES1E_EEDaS19_S1A_EUlS19_E_NS1_11comp_targetILNS1_3genE0ELNS1_11target_archE4294967295ELNS1_3gpuE0ELNS1_3repE0EEENS1_30default_config_static_selectorELNS0_4arch9wavefront6targetE0EEEvT1_ ; -- Begin function _ZN7rocprim17ROCPRIM_400000_NS6detail17trampoline_kernelINS0_14default_configENS1_25partition_config_selectorILNS1_17partition_subalgoE5ElNS0_10empty_typeEbEEZZNS1_14partition_implILS5_5ELb0ES3_mN6hipcub16HIPCUB_304000_NS21CountingInputIteratorIllEEPS6_NSA_22TransformInputIteratorIbN2at6native12_GLOBAL__N_19NonZeroOpIN3c107complexIfEEEEPKSL_lEENS0_5tupleIJPlS6_EEENSQ_IJSD_SD_EEES6_PiJS6_EEE10hipError_tPvRmT3_T4_T5_T6_T7_T9_mT8_P12ihipStream_tbDpT10_ENKUlT_T0_E_clISt17integral_constantIbLb0EES1E_EEDaS19_S1A_EUlS19_E_NS1_11comp_targetILNS1_3genE0ELNS1_11target_archE4294967295ELNS1_3gpuE0ELNS1_3repE0EEENS1_30default_config_static_selectorELNS0_4arch9wavefront6targetE0EEEvT1_
	.p2align	8
	.type	_ZN7rocprim17ROCPRIM_400000_NS6detail17trampoline_kernelINS0_14default_configENS1_25partition_config_selectorILNS1_17partition_subalgoE5ElNS0_10empty_typeEbEEZZNS1_14partition_implILS5_5ELb0ES3_mN6hipcub16HIPCUB_304000_NS21CountingInputIteratorIllEEPS6_NSA_22TransformInputIteratorIbN2at6native12_GLOBAL__N_19NonZeroOpIN3c107complexIfEEEEPKSL_lEENS0_5tupleIJPlS6_EEENSQ_IJSD_SD_EEES6_PiJS6_EEE10hipError_tPvRmT3_T4_T5_T6_T7_T9_mT8_P12ihipStream_tbDpT10_ENKUlT_T0_E_clISt17integral_constantIbLb0EES1E_EEDaS19_S1A_EUlS19_E_NS1_11comp_targetILNS1_3genE0ELNS1_11target_archE4294967295ELNS1_3gpuE0ELNS1_3repE0EEENS1_30default_config_static_selectorELNS0_4arch9wavefront6targetE0EEEvT1_,@function
_ZN7rocprim17ROCPRIM_400000_NS6detail17trampoline_kernelINS0_14default_configENS1_25partition_config_selectorILNS1_17partition_subalgoE5ElNS0_10empty_typeEbEEZZNS1_14partition_implILS5_5ELb0ES3_mN6hipcub16HIPCUB_304000_NS21CountingInputIteratorIllEEPS6_NSA_22TransformInputIteratorIbN2at6native12_GLOBAL__N_19NonZeroOpIN3c107complexIfEEEEPKSL_lEENS0_5tupleIJPlS6_EEENSQ_IJSD_SD_EEES6_PiJS6_EEE10hipError_tPvRmT3_T4_T5_T6_T7_T9_mT8_P12ihipStream_tbDpT10_ENKUlT_T0_E_clISt17integral_constantIbLb0EES1E_EEDaS19_S1A_EUlS19_E_NS1_11comp_targetILNS1_3genE0ELNS1_11target_archE4294967295ELNS1_3gpuE0ELNS1_3repE0EEENS1_30default_config_static_selectorELNS0_4arch9wavefront6targetE0EEEvT1_: ; @_ZN7rocprim17ROCPRIM_400000_NS6detail17trampoline_kernelINS0_14default_configENS1_25partition_config_selectorILNS1_17partition_subalgoE5ElNS0_10empty_typeEbEEZZNS1_14partition_implILS5_5ELb0ES3_mN6hipcub16HIPCUB_304000_NS21CountingInputIteratorIllEEPS6_NSA_22TransformInputIteratorIbN2at6native12_GLOBAL__N_19NonZeroOpIN3c107complexIfEEEEPKSL_lEENS0_5tupleIJPlS6_EEENSQ_IJSD_SD_EEES6_PiJS6_EEE10hipError_tPvRmT3_T4_T5_T6_T7_T9_mT8_P12ihipStream_tbDpT10_ENKUlT_T0_E_clISt17integral_constantIbLb0EES1E_EEDaS19_S1A_EUlS19_E_NS1_11comp_targetILNS1_3genE0ELNS1_11target_archE4294967295ELNS1_3gpuE0ELNS1_3repE0EEENS1_30default_config_static_selectorELNS0_4arch9wavefront6targetE0EEEvT1_
; %bb.0:
	.section	.rodata,"a",@progbits
	.p2align	6, 0x0
	.amdhsa_kernel _ZN7rocprim17ROCPRIM_400000_NS6detail17trampoline_kernelINS0_14default_configENS1_25partition_config_selectorILNS1_17partition_subalgoE5ElNS0_10empty_typeEbEEZZNS1_14partition_implILS5_5ELb0ES3_mN6hipcub16HIPCUB_304000_NS21CountingInputIteratorIllEEPS6_NSA_22TransformInputIteratorIbN2at6native12_GLOBAL__N_19NonZeroOpIN3c107complexIfEEEEPKSL_lEENS0_5tupleIJPlS6_EEENSQ_IJSD_SD_EEES6_PiJS6_EEE10hipError_tPvRmT3_T4_T5_T6_T7_T9_mT8_P12ihipStream_tbDpT10_ENKUlT_T0_E_clISt17integral_constantIbLb0EES1E_EEDaS19_S1A_EUlS19_E_NS1_11comp_targetILNS1_3genE0ELNS1_11target_archE4294967295ELNS1_3gpuE0ELNS1_3repE0EEENS1_30default_config_static_selectorELNS0_4arch9wavefront6targetE0EEEvT1_
		.amdhsa_group_segment_fixed_size 0
		.amdhsa_private_segment_fixed_size 0
		.amdhsa_kernarg_size 120
		.amdhsa_user_sgpr_count 15
		.amdhsa_user_sgpr_dispatch_ptr 0
		.amdhsa_user_sgpr_queue_ptr 0
		.amdhsa_user_sgpr_kernarg_segment_ptr 1
		.amdhsa_user_sgpr_dispatch_id 0
		.amdhsa_user_sgpr_private_segment_size 0
		.amdhsa_wavefront_size32 1
		.amdhsa_uses_dynamic_stack 0
		.amdhsa_enable_private_segment 0
		.amdhsa_system_sgpr_workgroup_id_x 1
		.amdhsa_system_sgpr_workgroup_id_y 0
		.amdhsa_system_sgpr_workgroup_id_z 0
		.amdhsa_system_sgpr_workgroup_info 0
		.amdhsa_system_vgpr_workitem_id 0
		.amdhsa_next_free_vgpr 1
		.amdhsa_next_free_sgpr 1
		.amdhsa_reserve_vcc 0
		.amdhsa_float_round_mode_32 0
		.amdhsa_float_round_mode_16_64 0
		.amdhsa_float_denorm_mode_32 3
		.amdhsa_float_denorm_mode_16_64 3
		.amdhsa_dx10_clamp 1
		.amdhsa_ieee_mode 1
		.amdhsa_fp16_overflow 0
		.amdhsa_workgroup_processor_mode 1
		.amdhsa_memory_ordered 1
		.amdhsa_forward_progress 0
		.amdhsa_shared_vgpr_count 0
		.amdhsa_exception_fp_ieee_invalid_op 0
		.amdhsa_exception_fp_denorm_src 0
		.amdhsa_exception_fp_ieee_div_zero 0
		.amdhsa_exception_fp_ieee_overflow 0
		.amdhsa_exception_fp_ieee_underflow 0
		.amdhsa_exception_fp_ieee_inexact 0
		.amdhsa_exception_int_div_zero 0
	.end_amdhsa_kernel
	.section	.text._ZN7rocprim17ROCPRIM_400000_NS6detail17trampoline_kernelINS0_14default_configENS1_25partition_config_selectorILNS1_17partition_subalgoE5ElNS0_10empty_typeEbEEZZNS1_14partition_implILS5_5ELb0ES3_mN6hipcub16HIPCUB_304000_NS21CountingInputIteratorIllEEPS6_NSA_22TransformInputIteratorIbN2at6native12_GLOBAL__N_19NonZeroOpIN3c107complexIfEEEEPKSL_lEENS0_5tupleIJPlS6_EEENSQ_IJSD_SD_EEES6_PiJS6_EEE10hipError_tPvRmT3_T4_T5_T6_T7_T9_mT8_P12ihipStream_tbDpT10_ENKUlT_T0_E_clISt17integral_constantIbLb0EES1E_EEDaS19_S1A_EUlS19_E_NS1_11comp_targetILNS1_3genE0ELNS1_11target_archE4294967295ELNS1_3gpuE0ELNS1_3repE0EEENS1_30default_config_static_selectorELNS0_4arch9wavefront6targetE0EEEvT1_,"axG",@progbits,_ZN7rocprim17ROCPRIM_400000_NS6detail17trampoline_kernelINS0_14default_configENS1_25partition_config_selectorILNS1_17partition_subalgoE5ElNS0_10empty_typeEbEEZZNS1_14partition_implILS5_5ELb0ES3_mN6hipcub16HIPCUB_304000_NS21CountingInputIteratorIllEEPS6_NSA_22TransformInputIteratorIbN2at6native12_GLOBAL__N_19NonZeroOpIN3c107complexIfEEEEPKSL_lEENS0_5tupleIJPlS6_EEENSQ_IJSD_SD_EEES6_PiJS6_EEE10hipError_tPvRmT3_T4_T5_T6_T7_T9_mT8_P12ihipStream_tbDpT10_ENKUlT_T0_E_clISt17integral_constantIbLb0EES1E_EEDaS19_S1A_EUlS19_E_NS1_11comp_targetILNS1_3genE0ELNS1_11target_archE4294967295ELNS1_3gpuE0ELNS1_3repE0EEENS1_30default_config_static_selectorELNS0_4arch9wavefront6targetE0EEEvT1_,comdat
.Lfunc_end594:
	.size	_ZN7rocprim17ROCPRIM_400000_NS6detail17trampoline_kernelINS0_14default_configENS1_25partition_config_selectorILNS1_17partition_subalgoE5ElNS0_10empty_typeEbEEZZNS1_14partition_implILS5_5ELb0ES3_mN6hipcub16HIPCUB_304000_NS21CountingInputIteratorIllEEPS6_NSA_22TransformInputIteratorIbN2at6native12_GLOBAL__N_19NonZeroOpIN3c107complexIfEEEEPKSL_lEENS0_5tupleIJPlS6_EEENSQ_IJSD_SD_EEES6_PiJS6_EEE10hipError_tPvRmT3_T4_T5_T6_T7_T9_mT8_P12ihipStream_tbDpT10_ENKUlT_T0_E_clISt17integral_constantIbLb0EES1E_EEDaS19_S1A_EUlS19_E_NS1_11comp_targetILNS1_3genE0ELNS1_11target_archE4294967295ELNS1_3gpuE0ELNS1_3repE0EEENS1_30default_config_static_selectorELNS0_4arch9wavefront6targetE0EEEvT1_, .Lfunc_end594-_ZN7rocprim17ROCPRIM_400000_NS6detail17trampoline_kernelINS0_14default_configENS1_25partition_config_selectorILNS1_17partition_subalgoE5ElNS0_10empty_typeEbEEZZNS1_14partition_implILS5_5ELb0ES3_mN6hipcub16HIPCUB_304000_NS21CountingInputIteratorIllEEPS6_NSA_22TransformInputIteratorIbN2at6native12_GLOBAL__N_19NonZeroOpIN3c107complexIfEEEEPKSL_lEENS0_5tupleIJPlS6_EEENSQ_IJSD_SD_EEES6_PiJS6_EEE10hipError_tPvRmT3_T4_T5_T6_T7_T9_mT8_P12ihipStream_tbDpT10_ENKUlT_T0_E_clISt17integral_constantIbLb0EES1E_EEDaS19_S1A_EUlS19_E_NS1_11comp_targetILNS1_3genE0ELNS1_11target_archE4294967295ELNS1_3gpuE0ELNS1_3repE0EEENS1_30default_config_static_selectorELNS0_4arch9wavefront6targetE0EEEvT1_
                                        ; -- End function
	.section	.AMDGPU.csdata,"",@progbits
; Kernel info:
; codeLenInByte = 0
; NumSgprs: 0
; NumVgprs: 0
; ScratchSize: 0
; MemoryBound: 0
; FloatMode: 240
; IeeeMode: 1
; LDSByteSize: 0 bytes/workgroup (compile time only)
; SGPRBlocks: 0
; VGPRBlocks: 0
; NumSGPRsForWavesPerEU: 1
; NumVGPRsForWavesPerEU: 1
; Occupancy: 16
; WaveLimiterHint : 0
; COMPUTE_PGM_RSRC2:SCRATCH_EN: 0
; COMPUTE_PGM_RSRC2:USER_SGPR: 15
; COMPUTE_PGM_RSRC2:TRAP_HANDLER: 0
; COMPUTE_PGM_RSRC2:TGID_X_EN: 1
; COMPUTE_PGM_RSRC2:TGID_Y_EN: 0
; COMPUTE_PGM_RSRC2:TGID_Z_EN: 0
; COMPUTE_PGM_RSRC2:TIDIG_COMP_CNT: 0
	.section	.text._ZN7rocprim17ROCPRIM_400000_NS6detail17trampoline_kernelINS0_14default_configENS1_25partition_config_selectorILNS1_17partition_subalgoE5ElNS0_10empty_typeEbEEZZNS1_14partition_implILS5_5ELb0ES3_mN6hipcub16HIPCUB_304000_NS21CountingInputIteratorIllEEPS6_NSA_22TransformInputIteratorIbN2at6native12_GLOBAL__N_19NonZeroOpIN3c107complexIfEEEEPKSL_lEENS0_5tupleIJPlS6_EEENSQ_IJSD_SD_EEES6_PiJS6_EEE10hipError_tPvRmT3_T4_T5_T6_T7_T9_mT8_P12ihipStream_tbDpT10_ENKUlT_T0_E_clISt17integral_constantIbLb0EES1E_EEDaS19_S1A_EUlS19_E_NS1_11comp_targetILNS1_3genE5ELNS1_11target_archE942ELNS1_3gpuE9ELNS1_3repE0EEENS1_30default_config_static_selectorELNS0_4arch9wavefront6targetE0EEEvT1_,"axG",@progbits,_ZN7rocprim17ROCPRIM_400000_NS6detail17trampoline_kernelINS0_14default_configENS1_25partition_config_selectorILNS1_17partition_subalgoE5ElNS0_10empty_typeEbEEZZNS1_14partition_implILS5_5ELb0ES3_mN6hipcub16HIPCUB_304000_NS21CountingInputIteratorIllEEPS6_NSA_22TransformInputIteratorIbN2at6native12_GLOBAL__N_19NonZeroOpIN3c107complexIfEEEEPKSL_lEENS0_5tupleIJPlS6_EEENSQ_IJSD_SD_EEES6_PiJS6_EEE10hipError_tPvRmT3_T4_T5_T6_T7_T9_mT8_P12ihipStream_tbDpT10_ENKUlT_T0_E_clISt17integral_constantIbLb0EES1E_EEDaS19_S1A_EUlS19_E_NS1_11comp_targetILNS1_3genE5ELNS1_11target_archE942ELNS1_3gpuE9ELNS1_3repE0EEENS1_30default_config_static_selectorELNS0_4arch9wavefront6targetE0EEEvT1_,comdat
	.globl	_ZN7rocprim17ROCPRIM_400000_NS6detail17trampoline_kernelINS0_14default_configENS1_25partition_config_selectorILNS1_17partition_subalgoE5ElNS0_10empty_typeEbEEZZNS1_14partition_implILS5_5ELb0ES3_mN6hipcub16HIPCUB_304000_NS21CountingInputIteratorIllEEPS6_NSA_22TransformInputIteratorIbN2at6native12_GLOBAL__N_19NonZeroOpIN3c107complexIfEEEEPKSL_lEENS0_5tupleIJPlS6_EEENSQ_IJSD_SD_EEES6_PiJS6_EEE10hipError_tPvRmT3_T4_T5_T6_T7_T9_mT8_P12ihipStream_tbDpT10_ENKUlT_T0_E_clISt17integral_constantIbLb0EES1E_EEDaS19_S1A_EUlS19_E_NS1_11comp_targetILNS1_3genE5ELNS1_11target_archE942ELNS1_3gpuE9ELNS1_3repE0EEENS1_30default_config_static_selectorELNS0_4arch9wavefront6targetE0EEEvT1_ ; -- Begin function _ZN7rocprim17ROCPRIM_400000_NS6detail17trampoline_kernelINS0_14default_configENS1_25partition_config_selectorILNS1_17partition_subalgoE5ElNS0_10empty_typeEbEEZZNS1_14partition_implILS5_5ELb0ES3_mN6hipcub16HIPCUB_304000_NS21CountingInputIteratorIllEEPS6_NSA_22TransformInputIteratorIbN2at6native12_GLOBAL__N_19NonZeroOpIN3c107complexIfEEEEPKSL_lEENS0_5tupleIJPlS6_EEENSQ_IJSD_SD_EEES6_PiJS6_EEE10hipError_tPvRmT3_T4_T5_T6_T7_T9_mT8_P12ihipStream_tbDpT10_ENKUlT_T0_E_clISt17integral_constantIbLb0EES1E_EEDaS19_S1A_EUlS19_E_NS1_11comp_targetILNS1_3genE5ELNS1_11target_archE942ELNS1_3gpuE9ELNS1_3repE0EEENS1_30default_config_static_selectorELNS0_4arch9wavefront6targetE0EEEvT1_
	.p2align	8
	.type	_ZN7rocprim17ROCPRIM_400000_NS6detail17trampoline_kernelINS0_14default_configENS1_25partition_config_selectorILNS1_17partition_subalgoE5ElNS0_10empty_typeEbEEZZNS1_14partition_implILS5_5ELb0ES3_mN6hipcub16HIPCUB_304000_NS21CountingInputIteratorIllEEPS6_NSA_22TransformInputIteratorIbN2at6native12_GLOBAL__N_19NonZeroOpIN3c107complexIfEEEEPKSL_lEENS0_5tupleIJPlS6_EEENSQ_IJSD_SD_EEES6_PiJS6_EEE10hipError_tPvRmT3_T4_T5_T6_T7_T9_mT8_P12ihipStream_tbDpT10_ENKUlT_T0_E_clISt17integral_constantIbLb0EES1E_EEDaS19_S1A_EUlS19_E_NS1_11comp_targetILNS1_3genE5ELNS1_11target_archE942ELNS1_3gpuE9ELNS1_3repE0EEENS1_30default_config_static_selectorELNS0_4arch9wavefront6targetE0EEEvT1_,@function
_ZN7rocprim17ROCPRIM_400000_NS6detail17trampoline_kernelINS0_14default_configENS1_25partition_config_selectorILNS1_17partition_subalgoE5ElNS0_10empty_typeEbEEZZNS1_14partition_implILS5_5ELb0ES3_mN6hipcub16HIPCUB_304000_NS21CountingInputIteratorIllEEPS6_NSA_22TransformInputIteratorIbN2at6native12_GLOBAL__N_19NonZeroOpIN3c107complexIfEEEEPKSL_lEENS0_5tupleIJPlS6_EEENSQ_IJSD_SD_EEES6_PiJS6_EEE10hipError_tPvRmT3_T4_T5_T6_T7_T9_mT8_P12ihipStream_tbDpT10_ENKUlT_T0_E_clISt17integral_constantIbLb0EES1E_EEDaS19_S1A_EUlS19_E_NS1_11comp_targetILNS1_3genE5ELNS1_11target_archE942ELNS1_3gpuE9ELNS1_3repE0EEENS1_30default_config_static_selectorELNS0_4arch9wavefront6targetE0EEEvT1_: ; @_ZN7rocprim17ROCPRIM_400000_NS6detail17trampoline_kernelINS0_14default_configENS1_25partition_config_selectorILNS1_17partition_subalgoE5ElNS0_10empty_typeEbEEZZNS1_14partition_implILS5_5ELb0ES3_mN6hipcub16HIPCUB_304000_NS21CountingInputIteratorIllEEPS6_NSA_22TransformInputIteratorIbN2at6native12_GLOBAL__N_19NonZeroOpIN3c107complexIfEEEEPKSL_lEENS0_5tupleIJPlS6_EEENSQ_IJSD_SD_EEES6_PiJS6_EEE10hipError_tPvRmT3_T4_T5_T6_T7_T9_mT8_P12ihipStream_tbDpT10_ENKUlT_T0_E_clISt17integral_constantIbLb0EES1E_EEDaS19_S1A_EUlS19_E_NS1_11comp_targetILNS1_3genE5ELNS1_11target_archE942ELNS1_3gpuE9ELNS1_3repE0EEENS1_30default_config_static_selectorELNS0_4arch9wavefront6targetE0EEEvT1_
; %bb.0:
	.section	.rodata,"a",@progbits
	.p2align	6, 0x0
	.amdhsa_kernel _ZN7rocprim17ROCPRIM_400000_NS6detail17trampoline_kernelINS0_14default_configENS1_25partition_config_selectorILNS1_17partition_subalgoE5ElNS0_10empty_typeEbEEZZNS1_14partition_implILS5_5ELb0ES3_mN6hipcub16HIPCUB_304000_NS21CountingInputIteratorIllEEPS6_NSA_22TransformInputIteratorIbN2at6native12_GLOBAL__N_19NonZeroOpIN3c107complexIfEEEEPKSL_lEENS0_5tupleIJPlS6_EEENSQ_IJSD_SD_EEES6_PiJS6_EEE10hipError_tPvRmT3_T4_T5_T6_T7_T9_mT8_P12ihipStream_tbDpT10_ENKUlT_T0_E_clISt17integral_constantIbLb0EES1E_EEDaS19_S1A_EUlS19_E_NS1_11comp_targetILNS1_3genE5ELNS1_11target_archE942ELNS1_3gpuE9ELNS1_3repE0EEENS1_30default_config_static_selectorELNS0_4arch9wavefront6targetE0EEEvT1_
		.amdhsa_group_segment_fixed_size 0
		.amdhsa_private_segment_fixed_size 0
		.amdhsa_kernarg_size 120
		.amdhsa_user_sgpr_count 15
		.amdhsa_user_sgpr_dispatch_ptr 0
		.amdhsa_user_sgpr_queue_ptr 0
		.amdhsa_user_sgpr_kernarg_segment_ptr 1
		.amdhsa_user_sgpr_dispatch_id 0
		.amdhsa_user_sgpr_private_segment_size 0
		.amdhsa_wavefront_size32 1
		.amdhsa_uses_dynamic_stack 0
		.amdhsa_enable_private_segment 0
		.amdhsa_system_sgpr_workgroup_id_x 1
		.amdhsa_system_sgpr_workgroup_id_y 0
		.amdhsa_system_sgpr_workgroup_id_z 0
		.amdhsa_system_sgpr_workgroup_info 0
		.amdhsa_system_vgpr_workitem_id 0
		.amdhsa_next_free_vgpr 1
		.amdhsa_next_free_sgpr 1
		.amdhsa_reserve_vcc 0
		.amdhsa_float_round_mode_32 0
		.amdhsa_float_round_mode_16_64 0
		.amdhsa_float_denorm_mode_32 3
		.amdhsa_float_denorm_mode_16_64 3
		.amdhsa_dx10_clamp 1
		.amdhsa_ieee_mode 1
		.amdhsa_fp16_overflow 0
		.amdhsa_workgroup_processor_mode 1
		.amdhsa_memory_ordered 1
		.amdhsa_forward_progress 0
		.amdhsa_shared_vgpr_count 0
		.amdhsa_exception_fp_ieee_invalid_op 0
		.amdhsa_exception_fp_denorm_src 0
		.amdhsa_exception_fp_ieee_div_zero 0
		.amdhsa_exception_fp_ieee_overflow 0
		.amdhsa_exception_fp_ieee_underflow 0
		.amdhsa_exception_fp_ieee_inexact 0
		.amdhsa_exception_int_div_zero 0
	.end_amdhsa_kernel
	.section	.text._ZN7rocprim17ROCPRIM_400000_NS6detail17trampoline_kernelINS0_14default_configENS1_25partition_config_selectorILNS1_17partition_subalgoE5ElNS0_10empty_typeEbEEZZNS1_14partition_implILS5_5ELb0ES3_mN6hipcub16HIPCUB_304000_NS21CountingInputIteratorIllEEPS6_NSA_22TransformInputIteratorIbN2at6native12_GLOBAL__N_19NonZeroOpIN3c107complexIfEEEEPKSL_lEENS0_5tupleIJPlS6_EEENSQ_IJSD_SD_EEES6_PiJS6_EEE10hipError_tPvRmT3_T4_T5_T6_T7_T9_mT8_P12ihipStream_tbDpT10_ENKUlT_T0_E_clISt17integral_constantIbLb0EES1E_EEDaS19_S1A_EUlS19_E_NS1_11comp_targetILNS1_3genE5ELNS1_11target_archE942ELNS1_3gpuE9ELNS1_3repE0EEENS1_30default_config_static_selectorELNS0_4arch9wavefront6targetE0EEEvT1_,"axG",@progbits,_ZN7rocprim17ROCPRIM_400000_NS6detail17trampoline_kernelINS0_14default_configENS1_25partition_config_selectorILNS1_17partition_subalgoE5ElNS0_10empty_typeEbEEZZNS1_14partition_implILS5_5ELb0ES3_mN6hipcub16HIPCUB_304000_NS21CountingInputIteratorIllEEPS6_NSA_22TransformInputIteratorIbN2at6native12_GLOBAL__N_19NonZeroOpIN3c107complexIfEEEEPKSL_lEENS0_5tupleIJPlS6_EEENSQ_IJSD_SD_EEES6_PiJS6_EEE10hipError_tPvRmT3_T4_T5_T6_T7_T9_mT8_P12ihipStream_tbDpT10_ENKUlT_T0_E_clISt17integral_constantIbLb0EES1E_EEDaS19_S1A_EUlS19_E_NS1_11comp_targetILNS1_3genE5ELNS1_11target_archE942ELNS1_3gpuE9ELNS1_3repE0EEENS1_30default_config_static_selectorELNS0_4arch9wavefront6targetE0EEEvT1_,comdat
.Lfunc_end595:
	.size	_ZN7rocprim17ROCPRIM_400000_NS6detail17trampoline_kernelINS0_14default_configENS1_25partition_config_selectorILNS1_17partition_subalgoE5ElNS0_10empty_typeEbEEZZNS1_14partition_implILS5_5ELb0ES3_mN6hipcub16HIPCUB_304000_NS21CountingInputIteratorIllEEPS6_NSA_22TransformInputIteratorIbN2at6native12_GLOBAL__N_19NonZeroOpIN3c107complexIfEEEEPKSL_lEENS0_5tupleIJPlS6_EEENSQ_IJSD_SD_EEES6_PiJS6_EEE10hipError_tPvRmT3_T4_T5_T6_T7_T9_mT8_P12ihipStream_tbDpT10_ENKUlT_T0_E_clISt17integral_constantIbLb0EES1E_EEDaS19_S1A_EUlS19_E_NS1_11comp_targetILNS1_3genE5ELNS1_11target_archE942ELNS1_3gpuE9ELNS1_3repE0EEENS1_30default_config_static_selectorELNS0_4arch9wavefront6targetE0EEEvT1_, .Lfunc_end595-_ZN7rocprim17ROCPRIM_400000_NS6detail17trampoline_kernelINS0_14default_configENS1_25partition_config_selectorILNS1_17partition_subalgoE5ElNS0_10empty_typeEbEEZZNS1_14partition_implILS5_5ELb0ES3_mN6hipcub16HIPCUB_304000_NS21CountingInputIteratorIllEEPS6_NSA_22TransformInputIteratorIbN2at6native12_GLOBAL__N_19NonZeroOpIN3c107complexIfEEEEPKSL_lEENS0_5tupleIJPlS6_EEENSQ_IJSD_SD_EEES6_PiJS6_EEE10hipError_tPvRmT3_T4_T5_T6_T7_T9_mT8_P12ihipStream_tbDpT10_ENKUlT_T0_E_clISt17integral_constantIbLb0EES1E_EEDaS19_S1A_EUlS19_E_NS1_11comp_targetILNS1_3genE5ELNS1_11target_archE942ELNS1_3gpuE9ELNS1_3repE0EEENS1_30default_config_static_selectorELNS0_4arch9wavefront6targetE0EEEvT1_
                                        ; -- End function
	.section	.AMDGPU.csdata,"",@progbits
; Kernel info:
; codeLenInByte = 0
; NumSgprs: 0
; NumVgprs: 0
; ScratchSize: 0
; MemoryBound: 0
; FloatMode: 240
; IeeeMode: 1
; LDSByteSize: 0 bytes/workgroup (compile time only)
; SGPRBlocks: 0
; VGPRBlocks: 0
; NumSGPRsForWavesPerEU: 1
; NumVGPRsForWavesPerEU: 1
; Occupancy: 16
; WaveLimiterHint : 0
; COMPUTE_PGM_RSRC2:SCRATCH_EN: 0
; COMPUTE_PGM_RSRC2:USER_SGPR: 15
; COMPUTE_PGM_RSRC2:TRAP_HANDLER: 0
; COMPUTE_PGM_RSRC2:TGID_X_EN: 1
; COMPUTE_PGM_RSRC2:TGID_Y_EN: 0
; COMPUTE_PGM_RSRC2:TGID_Z_EN: 0
; COMPUTE_PGM_RSRC2:TIDIG_COMP_CNT: 0
	.section	.text._ZN7rocprim17ROCPRIM_400000_NS6detail17trampoline_kernelINS0_14default_configENS1_25partition_config_selectorILNS1_17partition_subalgoE5ElNS0_10empty_typeEbEEZZNS1_14partition_implILS5_5ELb0ES3_mN6hipcub16HIPCUB_304000_NS21CountingInputIteratorIllEEPS6_NSA_22TransformInputIteratorIbN2at6native12_GLOBAL__N_19NonZeroOpIN3c107complexIfEEEEPKSL_lEENS0_5tupleIJPlS6_EEENSQ_IJSD_SD_EEES6_PiJS6_EEE10hipError_tPvRmT3_T4_T5_T6_T7_T9_mT8_P12ihipStream_tbDpT10_ENKUlT_T0_E_clISt17integral_constantIbLb0EES1E_EEDaS19_S1A_EUlS19_E_NS1_11comp_targetILNS1_3genE4ELNS1_11target_archE910ELNS1_3gpuE8ELNS1_3repE0EEENS1_30default_config_static_selectorELNS0_4arch9wavefront6targetE0EEEvT1_,"axG",@progbits,_ZN7rocprim17ROCPRIM_400000_NS6detail17trampoline_kernelINS0_14default_configENS1_25partition_config_selectorILNS1_17partition_subalgoE5ElNS0_10empty_typeEbEEZZNS1_14partition_implILS5_5ELb0ES3_mN6hipcub16HIPCUB_304000_NS21CountingInputIteratorIllEEPS6_NSA_22TransformInputIteratorIbN2at6native12_GLOBAL__N_19NonZeroOpIN3c107complexIfEEEEPKSL_lEENS0_5tupleIJPlS6_EEENSQ_IJSD_SD_EEES6_PiJS6_EEE10hipError_tPvRmT3_T4_T5_T6_T7_T9_mT8_P12ihipStream_tbDpT10_ENKUlT_T0_E_clISt17integral_constantIbLb0EES1E_EEDaS19_S1A_EUlS19_E_NS1_11comp_targetILNS1_3genE4ELNS1_11target_archE910ELNS1_3gpuE8ELNS1_3repE0EEENS1_30default_config_static_selectorELNS0_4arch9wavefront6targetE0EEEvT1_,comdat
	.globl	_ZN7rocprim17ROCPRIM_400000_NS6detail17trampoline_kernelINS0_14default_configENS1_25partition_config_selectorILNS1_17partition_subalgoE5ElNS0_10empty_typeEbEEZZNS1_14partition_implILS5_5ELb0ES3_mN6hipcub16HIPCUB_304000_NS21CountingInputIteratorIllEEPS6_NSA_22TransformInputIteratorIbN2at6native12_GLOBAL__N_19NonZeroOpIN3c107complexIfEEEEPKSL_lEENS0_5tupleIJPlS6_EEENSQ_IJSD_SD_EEES6_PiJS6_EEE10hipError_tPvRmT3_T4_T5_T6_T7_T9_mT8_P12ihipStream_tbDpT10_ENKUlT_T0_E_clISt17integral_constantIbLb0EES1E_EEDaS19_S1A_EUlS19_E_NS1_11comp_targetILNS1_3genE4ELNS1_11target_archE910ELNS1_3gpuE8ELNS1_3repE0EEENS1_30default_config_static_selectorELNS0_4arch9wavefront6targetE0EEEvT1_ ; -- Begin function _ZN7rocprim17ROCPRIM_400000_NS6detail17trampoline_kernelINS0_14default_configENS1_25partition_config_selectorILNS1_17partition_subalgoE5ElNS0_10empty_typeEbEEZZNS1_14partition_implILS5_5ELb0ES3_mN6hipcub16HIPCUB_304000_NS21CountingInputIteratorIllEEPS6_NSA_22TransformInputIteratorIbN2at6native12_GLOBAL__N_19NonZeroOpIN3c107complexIfEEEEPKSL_lEENS0_5tupleIJPlS6_EEENSQ_IJSD_SD_EEES6_PiJS6_EEE10hipError_tPvRmT3_T4_T5_T6_T7_T9_mT8_P12ihipStream_tbDpT10_ENKUlT_T0_E_clISt17integral_constantIbLb0EES1E_EEDaS19_S1A_EUlS19_E_NS1_11comp_targetILNS1_3genE4ELNS1_11target_archE910ELNS1_3gpuE8ELNS1_3repE0EEENS1_30default_config_static_selectorELNS0_4arch9wavefront6targetE0EEEvT1_
	.p2align	8
	.type	_ZN7rocprim17ROCPRIM_400000_NS6detail17trampoline_kernelINS0_14default_configENS1_25partition_config_selectorILNS1_17partition_subalgoE5ElNS0_10empty_typeEbEEZZNS1_14partition_implILS5_5ELb0ES3_mN6hipcub16HIPCUB_304000_NS21CountingInputIteratorIllEEPS6_NSA_22TransformInputIteratorIbN2at6native12_GLOBAL__N_19NonZeroOpIN3c107complexIfEEEEPKSL_lEENS0_5tupleIJPlS6_EEENSQ_IJSD_SD_EEES6_PiJS6_EEE10hipError_tPvRmT3_T4_T5_T6_T7_T9_mT8_P12ihipStream_tbDpT10_ENKUlT_T0_E_clISt17integral_constantIbLb0EES1E_EEDaS19_S1A_EUlS19_E_NS1_11comp_targetILNS1_3genE4ELNS1_11target_archE910ELNS1_3gpuE8ELNS1_3repE0EEENS1_30default_config_static_selectorELNS0_4arch9wavefront6targetE0EEEvT1_,@function
_ZN7rocprim17ROCPRIM_400000_NS6detail17trampoline_kernelINS0_14default_configENS1_25partition_config_selectorILNS1_17partition_subalgoE5ElNS0_10empty_typeEbEEZZNS1_14partition_implILS5_5ELb0ES3_mN6hipcub16HIPCUB_304000_NS21CountingInputIteratorIllEEPS6_NSA_22TransformInputIteratorIbN2at6native12_GLOBAL__N_19NonZeroOpIN3c107complexIfEEEEPKSL_lEENS0_5tupleIJPlS6_EEENSQ_IJSD_SD_EEES6_PiJS6_EEE10hipError_tPvRmT3_T4_T5_T6_T7_T9_mT8_P12ihipStream_tbDpT10_ENKUlT_T0_E_clISt17integral_constantIbLb0EES1E_EEDaS19_S1A_EUlS19_E_NS1_11comp_targetILNS1_3genE4ELNS1_11target_archE910ELNS1_3gpuE8ELNS1_3repE0EEENS1_30default_config_static_selectorELNS0_4arch9wavefront6targetE0EEEvT1_: ; @_ZN7rocprim17ROCPRIM_400000_NS6detail17trampoline_kernelINS0_14default_configENS1_25partition_config_selectorILNS1_17partition_subalgoE5ElNS0_10empty_typeEbEEZZNS1_14partition_implILS5_5ELb0ES3_mN6hipcub16HIPCUB_304000_NS21CountingInputIteratorIllEEPS6_NSA_22TransformInputIteratorIbN2at6native12_GLOBAL__N_19NonZeroOpIN3c107complexIfEEEEPKSL_lEENS0_5tupleIJPlS6_EEENSQ_IJSD_SD_EEES6_PiJS6_EEE10hipError_tPvRmT3_T4_T5_T6_T7_T9_mT8_P12ihipStream_tbDpT10_ENKUlT_T0_E_clISt17integral_constantIbLb0EES1E_EEDaS19_S1A_EUlS19_E_NS1_11comp_targetILNS1_3genE4ELNS1_11target_archE910ELNS1_3gpuE8ELNS1_3repE0EEENS1_30default_config_static_selectorELNS0_4arch9wavefront6targetE0EEEvT1_
; %bb.0:
	.section	.rodata,"a",@progbits
	.p2align	6, 0x0
	.amdhsa_kernel _ZN7rocprim17ROCPRIM_400000_NS6detail17trampoline_kernelINS0_14default_configENS1_25partition_config_selectorILNS1_17partition_subalgoE5ElNS0_10empty_typeEbEEZZNS1_14partition_implILS5_5ELb0ES3_mN6hipcub16HIPCUB_304000_NS21CountingInputIteratorIllEEPS6_NSA_22TransformInputIteratorIbN2at6native12_GLOBAL__N_19NonZeroOpIN3c107complexIfEEEEPKSL_lEENS0_5tupleIJPlS6_EEENSQ_IJSD_SD_EEES6_PiJS6_EEE10hipError_tPvRmT3_T4_T5_T6_T7_T9_mT8_P12ihipStream_tbDpT10_ENKUlT_T0_E_clISt17integral_constantIbLb0EES1E_EEDaS19_S1A_EUlS19_E_NS1_11comp_targetILNS1_3genE4ELNS1_11target_archE910ELNS1_3gpuE8ELNS1_3repE0EEENS1_30default_config_static_selectorELNS0_4arch9wavefront6targetE0EEEvT1_
		.amdhsa_group_segment_fixed_size 0
		.amdhsa_private_segment_fixed_size 0
		.amdhsa_kernarg_size 120
		.amdhsa_user_sgpr_count 15
		.amdhsa_user_sgpr_dispatch_ptr 0
		.amdhsa_user_sgpr_queue_ptr 0
		.amdhsa_user_sgpr_kernarg_segment_ptr 1
		.amdhsa_user_sgpr_dispatch_id 0
		.amdhsa_user_sgpr_private_segment_size 0
		.amdhsa_wavefront_size32 1
		.amdhsa_uses_dynamic_stack 0
		.amdhsa_enable_private_segment 0
		.amdhsa_system_sgpr_workgroup_id_x 1
		.amdhsa_system_sgpr_workgroup_id_y 0
		.amdhsa_system_sgpr_workgroup_id_z 0
		.amdhsa_system_sgpr_workgroup_info 0
		.amdhsa_system_vgpr_workitem_id 0
		.amdhsa_next_free_vgpr 1
		.amdhsa_next_free_sgpr 1
		.amdhsa_reserve_vcc 0
		.amdhsa_float_round_mode_32 0
		.amdhsa_float_round_mode_16_64 0
		.amdhsa_float_denorm_mode_32 3
		.amdhsa_float_denorm_mode_16_64 3
		.amdhsa_dx10_clamp 1
		.amdhsa_ieee_mode 1
		.amdhsa_fp16_overflow 0
		.amdhsa_workgroup_processor_mode 1
		.amdhsa_memory_ordered 1
		.amdhsa_forward_progress 0
		.amdhsa_shared_vgpr_count 0
		.amdhsa_exception_fp_ieee_invalid_op 0
		.amdhsa_exception_fp_denorm_src 0
		.amdhsa_exception_fp_ieee_div_zero 0
		.amdhsa_exception_fp_ieee_overflow 0
		.amdhsa_exception_fp_ieee_underflow 0
		.amdhsa_exception_fp_ieee_inexact 0
		.amdhsa_exception_int_div_zero 0
	.end_amdhsa_kernel
	.section	.text._ZN7rocprim17ROCPRIM_400000_NS6detail17trampoline_kernelINS0_14default_configENS1_25partition_config_selectorILNS1_17partition_subalgoE5ElNS0_10empty_typeEbEEZZNS1_14partition_implILS5_5ELb0ES3_mN6hipcub16HIPCUB_304000_NS21CountingInputIteratorIllEEPS6_NSA_22TransformInputIteratorIbN2at6native12_GLOBAL__N_19NonZeroOpIN3c107complexIfEEEEPKSL_lEENS0_5tupleIJPlS6_EEENSQ_IJSD_SD_EEES6_PiJS6_EEE10hipError_tPvRmT3_T4_T5_T6_T7_T9_mT8_P12ihipStream_tbDpT10_ENKUlT_T0_E_clISt17integral_constantIbLb0EES1E_EEDaS19_S1A_EUlS19_E_NS1_11comp_targetILNS1_3genE4ELNS1_11target_archE910ELNS1_3gpuE8ELNS1_3repE0EEENS1_30default_config_static_selectorELNS0_4arch9wavefront6targetE0EEEvT1_,"axG",@progbits,_ZN7rocprim17ROCPRIM_400000_NS6detail17trampoline_kernelINS0_14default_configENS1_25partition_config_selectorILNS1_17partition_subalgoE5ElNS0_10empty_typeEbEEZZNS1_14partition_implILS5_5ELb0ES3_mN6hipcub16HIPCUB_304000_NS21CountingInputIteratorIllEEPS6_NSA_22TransformInputIteratorIbN2at6native12_GLOBAL__N_19NonZeroOpIN3c107complexIfEEEEPKSL_lEENS0_5tupleIJPlS6_EEENSQ_IJSD_SD_EEES6_PiJS6_EEE10hipError_tPvRmT3_T4_T5_T6_T7_T9_mT8_P12ihipStream_tbDpT10_ENKUlT_T0_E_clISt17integral_constantIbLb0EES1E_EEDaS19_S1A_EUlS19_E_NS1_11comp_targetILNS1_3genE4ELNS1_11target_archE910ELNS1_3gpuE8ELNS1_3repE0EEENS1_30default_config_static_selectorELNS0_4arch9wavefront6targetE0EEEvT1_,comdat
.Lfunc_end596:
	.size	_ZN7rocprim17ROCPRIM_400000_NS6detail17trampoline_kernelINS0_14default_configENS1_25partition_config_selectorILNS1_17partition_subalgoE5ElNS0_10empty_typeEbEEZZNS1_14partition_implILS5_5ELb0ES3_mN6hipcub16HIPCUB_304000_NS21CountingInputIteratorIllEEPS6_NSA_22TransformInputIteratorIbN2at6native12_GLOBAL__N_19NonZeroOpIN3c107complexIfEEEEPKSL_lEENS0_5tupleIJPlS6_EEENSQ_IJSD_SD_EEES6_PiJS6_EEE10hipError_tPvRmT3_T4_T5_T6_T7_T9_mT8_P12ihipStream_tbDpT10_ENKUlT_T0_E_clISt17integral_constantIbLb0EES1E_EEDaS19_S1A_EUlS19_E_NS1_11comp_targetILNS1_3genE4ELNS1_11target_archE910ELNS1_3gpuE8ELNS1_3repE0EEENS1_30default_config_static_selectorELNS0_4arch9wavefront6targetE0EEEvT1_, .Lfunc_end596-_ZN7rocprim17ROCPRIM_400000_NS6detail17trampoline_kernelINS0_14default_configENS1_25partition_config_selectorILNS1_17partition_subalgoE5ElNS0_10empty_typeEbEEZZNS1_14partition_implILS5_5ELb0ES3_mN6hipcub16HIPCUB_304000_NS21CountingInputIteratorIllEEPS6_NSA_22TransformInputIteratorIbN2at6native12_GLOBAL__N_19NonZeroOpIN3c107complexIfEEEEPKSL_lEENS0_5tupleIJPlS6_EEENSQ_IJSD_SD_EEES6_PiJS6_EEE10hipError_tPvRmT3_T4_T5_T6_T7_T9_mT8_P12ihipStream_tbDpT10_ENKUlT_T0_E_clISt17integral_constantIbLb0EES1E_EEDaS19_S1A_EUlS19_E_NS1_11comp_targetILNS1_3genE4ELNS1_11target_archE910ELNS1_3gpuE8ELNS1_3repE0EEENS1_30default_config_static_selectorELNS0_4arch9wavefront6targetE0EEEvT1_
                                        ; -- End function
	.section	.AMDGPU.csdata,"",@progbits
; Kernel info:
; codeLenInByte = 0
; NumSgprs: 0
; NumVgprs: 0
; ScratchSize: 0
; MemoryBound: 0
; FloatMode: 240
; IeeeMode: 1
; LDSByteSize: 0 bytes/workgroup (compile time only)
; SGPRBlocks: 0
; VGPRBlocks: 0
; NumSGPRsForWavesPerEU: 1
; NumVGPRsForWavesPerEU: 1
; Occupancy: 15
; WaveLimiterHint : 0
; COMPUTE_PGM_RSRC2:SCRATCH_EN: 0
; COMPUTE_PGM_RSRC2:USER_SGPR: 15
; COMPUTE_PGM_RSRC2:TRAP_HANDLER: 0
; COMPUTE_PGM_RSRC2:TGID_X_EN: 1
; COMPUTE_PGM_RSRC2:TGID_Y_EN: 0
; COMPUTE_PGM_RSRC2:TGID_Z_EN: 0
; COMPUTE_PGM_RSRC2:TIDIG_COMP_CNT: 0
	.section	.text._ZN7rocprim17ROCPRIM_400000_NS6detail17trampoline_kernelINS0_14default_configENS1_25partition_config_selectorILNS1_17partition_subalgoE5ElNS0_10empty_typeEbEEZZNS1_14partition_implILS5_5ELb0ES3_mN6hipcub16HIPCUB_304000_NS21CountingInputIteratorIllEEPS6_NSA_22TransformInputIteratorIbN2at6native12_GLOBAL__N_19NonZeroOpIN3c107complexIfEEEEPKSL_lEENS0_5tupleIJPlS6_EEENSQ_IJSD_SD_EEES6_PiJS6_EEE10hipError_tPvRmT3_T4_T5_T6_T7_T9_mT8_P12ihipStream_tbDpT10_ENKUlT_T0_E_clISt17integral_constantIbLb0EES1E_EEDaS19_S1A_EUlS19_E_NS1_11comp_targetILNS1_3genE3ELNS1_11target_archE908ELNS1_3gpuE7ELNS1_3repE0EEENS1_30default_config_static_selectorELNS0_4arch9wavefront6targetE0EEEvT1_,"axG",@progbits,_ZN7rocprim17ROCPRIM_400000_NS6detail17trampoline_kernelINS0_14default_configENS1_25partition_config_selectorILNS1_17partition_subalgoE5ElNS0_10empty_typeEbEEZZNS1_14partition_implILS5_5ELb0ES3_mN6hipcub16HIPCUB_304000_NS21CountingInputIteratorIllEEPS6_NSA_22TransformInputIteratorIbN2at6native12_GLOBAL__N_19NonZeroOpIN3c107complexIfEEEEPKSL_lEENS0_5tupleIJPlS6_EEENSQ_IJSD_SD_EEES6_PiJS6_EEE10hipError_tPvRmT3_T4_T5_T6_T7_T9_mT8_P12ihipStream_tbDpT10_ENKUlT_T0_E_clISt17integral_constantIbLb0EES1E_EEDaS19_S1A_EUlS19_E_NS1_11comp_targetILNS1_3genE3ELNS1_11target_archE908ELNS1_3gpuE7ELNS1_3repE0EEENS1_30default_config_static_selectorELNS0_4arch9wavefront6targetE0EEEvT1_,comdat
	.globl	_ZN7rocprim17ROCPRIM_400000_NS6detail17trampoline_kernelINS0_14default_configENS1_25partition_config_selectorILNS1_17partition_subalgoE5ElNS0_10empty_typeEbEEZZNS1_14partition_implILS5_5ELb0ES3_mN6hipcub16HIPCUB_304000_NS21CountingInputIteratorIllEEPS6_NSA_22TransformInputIteratorIbN2at6native12_GLOBAL__N_19NonZeroOpIN3c107complexIfEEEEPKSL_lEENS0_5tupleIJPlS6_EEENSQ_IJSD_SD_EEES6_PiJS6_EEE10hipError_tPvRmT3_T4_T5_T6_T7_T9_mT8_P12ihipStream_tbDpT10_ENKUlT_T0_E_clISt17integral_constantIbLb0EES1E_EEDaS19_S1A_EUlS19_E_NS1_11comp_targetILNS1_3genE3ELNS1_11target_archE908ELNS1_3gpuE7ELNS1_3repE0EEENS1_30default_config_static_selectorELNS0_4arch9wavefront6targetE0EEEvT1_ ; -- Begin function _ZN7rocprim17ROCPRIM_400000_NS6detail17trampoline_kernelINS0_14default_configENS1_25partition_config_selectorILNS1_17partition_subalgoE5ElNS0_10empty_typeEbEEZZNS1_14partition_implILS5_5ELb0ES3_mN6hipcub16HIPCUB_304000_NS21CountingInputIteratorIllEEPS6_NSA_22TransformInputIteratorIbN2at6native12_GLOBAL__N_19NonZeroOpIN3c107complexIfEEEEPKSL_lEENS0_5tupleIJPlS6_EEENSQ_IJSD_SD_EEES6_PiJS6_EEE10hipError_tPvRmT3_T4_T5_T6_T7_T9_mT8_P12ihipStream_tbDpT10_ENKUlT_T0_E_clISt17integral_constantIbLb0EES1E_EEDaS19_S1A_EUlS19_E_NS1_11comp_targetILNS1_3genE3ELNS1_11target_archE908ELNS1_3gpuE7ELNS1_3repE0EEENS1_30default_config_static_selectorELNS0_4arch9wavefront6targetE0EEEvT1_
	.p2align	8
	.type	_ZN7rocprim17ROCPRIM_400000_NS6detail17trampoline_kernelINS0_14default_configENS1_25partition_config_selectorILNS1_17partition_subalgoE5ElNS0_10empty_typeEbEEZZNS1_14partition_implILS5_5ELb0ES3_mN6hipcub16HIPCUB_304000_NS21CountingInputIteratorIllEEPS6_NSA_22TransformInputIteratorIbN2at6native12_GLOBAL__N_19NonZeroOpIN3c107complexIfEEEEPKSL_lEENS0_5tupleIJPlS6_EEENSQ_IJSD_SD_EEES6_PiJS6_EEE10hipError_tPvRmT3_T4_T5_T6_T7_T9_mT8_P12ihipStream_tbDpT10_ENKUlT_T0_E_clISt17integral_constantIbLb0EES1E_EEDaS19_S1A_EUlS19_E_NS1_11comp_targetILNS1_3genE3ELNS1_11target_archE908ELNS1_3gpuE7ELNS1_3repE0EEENS1_30default_config_static_selectorELNS0_4arch9wavefront6targetE0EEEvT1_,@function
_ZN7rocprim17ROCPRIM_400000_NS6detail17trampoline_kernelINS0_14default_configENS1_25partition_config_selectorILNS1_17partition_subalgoE5ElNS0_10empty_typeEbEEZZNS1_14partition_implILS5_5ELb0ES3_mN6hipcub16HIPCUB_304000_NS21CountingInputIteratorIllEEPS6_NSA_22TransformInputIteratorIbN2at6native12_GLOBAL__N_19NonZeroOpIN3c107complexIfEEEEPKSL_lEENS0_5tupleIJPlS6_EEENSQ_IJSD_SD_EEES6_PiJS6_EEE10hipError_tPvRmT3_T4_T5_T6_T7_T9_mT8_P12ihipStream_tbDpT10_ENKUlT_T0_E_clISt17integral_constantIbLb0EES1E_EEDaS19_S1A_EUlS19_E_NS1_11comp_targetILNS1_3genE3ELNS1_11target_archE908ELNS1_3gpuE7ELNS1_3repE0EEENS1_30default_config_static_selectorELNS0_4arch9wavefront6targetE0EEEvT1_: ; @_ZN7rocprim17ROCPRIM_400000_NS6detail17trampoline_kernelINS0_14default_configENS1_25partition_config_selectorILNS1_17partition_subalgoE5ElNS0_10empty_typeEbEEZZNS1_14partition_implILS5_5ELb0ES3_mN6hipcub16HIPCUB_304000_NS21CountingInputIteratorIllEEPS6_NSA_22TransformInputIteratorIbN2at6native12_GLOBAL__N_19NonZeroOpIN3c107complexIfEEEEPKSL_lEENS0_5tupleIJPlS6_EEENSQ_IJSD_SD_EEES6_PiJS6_EEE10hipError_tPvRmT3_T4_T5_T6_T7_T9_mT8_P12ihipStream_tbDpT10_ENKUlT_T0_E_clISt17integral_constantIbLb0EES1E_EEDaS19_S1A_EUlS19_E_NS1_11comp_targetILNS1_3genE3ELNS1_11target_archE908ELNS1_3gpuE7ELNS1_3repE0EEENS1_30default_config_static_selectorELNS0_4arch9wavefront6targetE0EEEvT1_
; %bb.0:
	.section	.rodata,"a",@progbits
	.p2align	6, 0x0
	.amdhsa_kernel _ZN7rocprim17ROCPRIM_400000_NS6detail17trampoline_kernelINS0_14default_configENS1_25partition_config_selectorILNS1_17partition_subalgoE5ElNS0_10empty_typeEbEEZZNS1_14partition_implILS5_5ELb0ES3_mN6hipcub16HIPCUB_304000_NS21CountingInputIteratorIllEEPS6_NSA_22TransformInputIteratorIbN2at6native12_GLOBAL__N_19NonZeroOpIN3c107complexIfEEEEPKSL_lEENS0_5tupleIJPlS6_EEENSQ_IJSD_SD_EEES6_PiJS6_EEE10hipError_tPvRmT3_T4_T5_T6_T7_T9_mT8_P12ihipStream_tbDpT10_ENKUlT_T0_E_clISt17integral_constantIbLb0EES1E_EEDaS19_S1A_EUlS19_E_NS1_11comp_targetILNS1_3genE3ELNS1_11target_archE908ELNS1_3gpuE7ELNS1_3repE0EEENS1_30default_config_static_selectorELNS0_4arch9wavefront6targetE0EEEvT1_
		.amdhsa_group_segment_fixed_size 0
		.amdhsa_private_segment_fixed_size 0
		.amdhsa_kernarg_size 120
		.amdhsa_user_sgpr_count 15
		.amdhsa_user_sgpr_dispatch_ptr 0
		.amdhsa_user_sgpr_queue_ptr 0
		.amdhsa_user_sgpr_kernarg_segment_ptr 1
		.amdhsa_user_sgpr_dispatch_id 0
		.amdhsa_user_sgpr_private_segment_size 0
		.amdhsa_wavefront_size32 1
		.amdhsa_uses_dynamic_stack 0
		.amdhsa_enable_private_segment 0
		.amdhsa_system_sgpr_workgroup_id_x 1
		.amdhsa_system_sgpr_workgroup_id_y 0
		.amdhsa_system_sgpr_workgroup_id_z 0
		.amdhsa_system_sgpr_workgroup_info 0
		.amdhsa_system_vgpr_workitem_id 0
		.amdhsa_next_free_vgpr 1
		.amdhsa_next_free_sgpr 1
		.amdhsa_reserve_vcc 0
		.amdhsa_float_round_mode_32 0
		.amdhsa_float_round_mode_16_64 0
		.amdhsa_float_denorm_mode_32 3
		.amdhsa_float_denorm_mode_16_64 3
		.amdhsa_dx10_clamp 1
		.amdhsa_ieee_mode 1
		.amdhsa_fp16_overflow 0
		.amdhsa_workgroup_processor_mode 1
		.amdhsa_memory_ordered 1
		.amdhsa_forward_progress 0
		.amdhsa_shared_vgpr_count 0
		.amdhsa_exception_fp_ieee_invalid_op 0
		.amdhsa_exception_fp_denorm_src 0
		.amdhsa_exception_fp_ieee_div_zero 0
		.amdhsa_exception_fp_ieee_overflow 0
		.amdhsa_exception_fp_ieee_underflow 0
		.amdhsa_exception_fp_ieee_inexact 0
		.amdhsa_exception_int_div_zero 0
	.end_amdhsa_kernel
	.section	.text._ZN7rocprim17ROCPRIM_400000_NS6detail17trampoline_kernelINS0_14default_configENS1_25partition_config_selectorILNS1_17partition_subalgoE5ElNS0_10empty_typeEbEEZZNS1_14partition_implILS5_5ELb0ES3_mN6hipcub16HIPCUB_304000_NS21CountingInputIteratorIllEEPS6_NSA_22TransformInputIteratorIbN2at6native12_GLOBAL__N_19NonZeroOpIN3c107complexIfEEEEPKSL_lEENS0_5tupleIJPlS6_EEENSQ_IJSD_SD_EEES6_PiJS6_EEE10hipError_tPvRmT3_T4_T5_T6_T7_T9_mT8_P12ihipStream_tbDpT10_ENKUlT_T0_E_clISt17integral_constantIbLb0EES1E_EEDaS19_S1A_EUlS19_E_NS1_11comp_targetILNS1_3genE3ELNS1_11target_archE908ELNS1_3gpuE7ELNS1_3repE0EEENS1_30default_config_static_selectorELNS0_4arch9wavefront6targetE0EEEvT1_,"axG",@progbits,_ZN7rocprim17ROCPRIM_400000_NS6detail17trampoline_kernelINS0_14default_configENS1_25partition_config_selectorILNS1_17partition_subalgoE5ElNS0_10empty_typeEbEEZZNS1_14partition_implILS5_5ELb0ES3_mN6hipcub16HIPCUB_304000_NS21CountingInputIteratorIllEEPS6_NSA_22TransformInputIteratorIbN2at6native12_GLOBAL__N_19NonZeroOpIN3c107complexIfEEEEPKSL_lEENS0_5tupleIJPlS6_EEENSQ_IJSD_SD_EEES6_PiJS6_EEE10hipError_tPvRmT3_T4_T5_T6_T7_T9_mT8_P12ihipStream_tbDpT10_ENKUlT_T0_E_clISt17integral_constantIbLb0EES1E_EEDaS19_S1A_EUlS19_E_NS1_11comp_targetILNS1_3genE3ELNS1_11target_archE908ELNS1_3gpuE7ELNS1_3repE0EEENS1_30default_config_static_selectorELNS0_4arch9wavefront6targetE0EEEvT1_,comdat
.Lfunc_end597:
	.size	_ZN7rocprim17ROCPRIM_400000_NS6detail17trampoline_kernelINS0_14default_configENS1_25partition_config_selectorILNS1_17partition_subalgoE5ElNS0_10empty_typeEbEEZZNS1_14partition_implILS5_5ELb0ES3_mN6hipcub16HIPCUB_304000_NS21CountingInputIteratorIllEEPS6_NSA_22TransformInputIteratorIbN2at6native12_GLOBAL__N_19NonZeroOpIN3c107complexIfEEEEPKSL_lEENS0_5tupleIJPlS6_EEENSQ_IJSD_SD_EEES6_PiJS6_EEE10hipError_tPvRmT3_T4_T5_T6_T7_T9_mT8_P12ihipStream_tbDpT10_ENKUlT_T0_E_clISt17integral_constantIbLb0EES1E_EEDaS19_S1A_EUlS19_E_NS1_11comp_targetILNS1_3genE3ELNS1_11target_archE908ELNS1_3gpuE7ELNS1_3repE0EEENS1_30default_config_static_selectorELNS0_4arch9wavefront6targetE0EEEvT1_, .Lfunc_end597-_ZN7rocprim17ROCPRIM_400000_NS6detail17trampoline_kernelINS0_14default_configENS1_25partition_config_selectorILNS1_17partition_subalgoE5ElNS0_10empty_typeEbEEZZNS1_14partition_implILS5_5ELb0ES3_mN6hipcub16HIPCUB_304000_NS21CountingInputIteratorIllEEPS6_NSA_22TransformInputIteratorIbN2at6native12_GLOBAL__N_19NonZeroOpIN3c107complexIfEEEEPKSL_lEENS0_5tupleIJPlS6_EEENSQ_IJSD_SD_EEES6_PiJS6_EEE10hipError_tPvRmT3_T4_T5_T6_T7_T9_mT8_P12ihipStream_tbDpT10_ENKUlT_T0_E_clISt17integral_constantIbLb0EES1E_EEDaS19_S1A_EUlS19_E_NS1_11comp_targetILNS1_3genE3ELNS1_11target_archE908ELNS1_3gpuE7ELNS1_3repE0EEENS1_30default_config_static_selectorELNS0_4arch9wavefront6targetE0EEEvT1_
                                        ; -- End function
	.section	.AMDGPU.csdata,"",@progbits
; Kernel info:
; codeLenInByte = 0
; NumSgprs: 0
; NumVgprs: 0
; ScratchSize: 0
; MemoryBound: 0
; FloatMode: 240
; IeeeMode: 1
; LDSByteSize: 0 bytes/workgroup (compile time only)
; SGPRBlocks: 0
; VGPRBlocks: 0
; NumSGPRsForWavesPerEU: 1
; NumVGPRsForWavesPerEU: 1
; Occupancy: 16
; WaveLimiterHint : 0
; COMPUTE_PGM_RSRC2:SCRATCH_EN: 0
; COMPUTE_PGM_RSRC2:USER_SGPR: 15
; COMPUTE_PGM_RSRC2:TRAP_HANDLER: 0
; COMPUTE_PGM_RSRC2:TGID_X_EN: 1
; COMPUTE_PGM_RSRC2:TGID_Y_EN: 0
; COMPUTE_PGM_RSRC2:TGID_Z_EN: 0
; COMPUTE_PGM_RSRC2:TIDIG_COMP_CNT: 0
	.section	.text._ZN7rocprim17ROCPRIM_400000_NS6detail17trampoline_kernelINS0_14default_configENS1_25partition_config_selectorILNS1_17partition_subalgoE5ElNS0_10empty_typeEbEEZZNS1_14partition_implILS5_5ELb0ES3_mN6hipcub16HIPCUB_304000_NS21CountingInputIteratorIllEEPS6_NSA_22TransformInputIteratorIbN2at6native12_GLOBAL__N_19NonZeroOpIN3c107complexIfEEEEPKSL_lEENS0_5tupleIJPlS6_EEENSQ_IJSD_SD_EEES6_PiJS6_EEE10hipError_tPvRmT3_T4_T5_T6_T7_T9_mT8_P12ihipStream_tbDpT10_ENKUlT_T0_E_clISt17integral_constantIbLb0EES1E_EEDaS19_S1A_EUlS19_E_NS1_11comp_targetILNS1_3genE2ELNS1_11target_archE906ELNS1_3gpuE6ELNS1_3repE0EEENS1_30default_config_static_selectorELNS0_4arch9wavefront6targetE0EEEvT1_,"axG",@progbits,_ZN7rocprim17ROCPRIM_400000_NS6detail17trampoline_kernelINS0_14default_configENS1_25partition_config_selectorILNS1_17partition_subalgoE5ElNS0_10empty_typeEbEEZZNS1_14partition_implILS5_5ELb0ES3_mN6hipcub16HIPCUB_304000_NS21CountingInputIteratorIllEEPS6_NSA_22TransformInputIteratorIbN2at6native12_GLOBAL__N_19NonZeroOpIN3c107complexIfEEEEPKSL_lEENS0_5tupleIJPlS6_EEENSQ_IJSD_SD_EEES6_PiJS6_EEE10hipError_tPvRmT3_T4_T5_T6_T7_T9_mT8_P12ihipStream_tbDpT10_ENKUlT_T0_E_clISt17integral_constantIbLb0EES1E_EEDaS19_S1A_EUlS19_E_NS1_11comp_targetILNS1_3genE2ELNS1_11target_archE906ELNS1_3gpuE6ELNS1_3repE0EEENS1_30default_config_static_selectorELNS0_4arch9wavefront6targetE0EEEvT1_,comdat
	.globl	_ZN7rocprim17ROCPRIM_400000_NS6detail17trampoline_kernelINS0_14default_configENS1_25partition_config_selectorILNS1_17partition_subalgoE5ElNS0_10empty_typeEbEEZZNS1_14partition_implILS5_5ELb0ES3_mN6hipcub16HIPCUB_304000_NS21CountingInputIteratorIllEEPS6_NSA_22TransformInputIteratorIbN2at6native12_GLOBAL__N_19NonZeroOpIN3c107complexIfEEEEPKSL_lEENS0_5tupleIJPlS6_EEENSQ_IJSD_SD_EEES6_PiJS6_EEE10hipError_tPvRmT3_T4_T5_T6_T7_T9_mT8_P12ihipStream_tbDpT10_ENKUlT_T0_E_clISt17integral_constantIbLb0EES1E_EEDaS19_S1A_EUlS19_E_NS1_11comp_targetILNS1_3genE2ELNS1_11target_archE906ELNS1_3gpuE6ELNS1_3repE0EEENS1_30default_config_static_selectorELNS0_4arch9wavefront6targetE0EEEvT1_ ; -- Begin function _ZN7rocprim17ROCPRIM_400000_NS6detail17trampoline_kernelINS0_14default_configENS1_25partition_config_selectorILNS1_17partition_subalgoE5ElNS0_10empty_typeEbEEZZNS1_14partition_implILS5_5ELb0ES3_mN6hipcub16HIPCUB_304000_NS21CountingInputIteratorIllEEPS6_NSA_22TransformInputIteratorIbN2at6native12_GLOBAL__N_19NonZeroOpIN3c107complexIfEEEEPKSL_lEENS0_5tupleIJPlS6_EEENSQ_IJSD_SD_EEES6_PiJS6_EEE10hipError_tPvRmT3_T4_T5_T6_T7_T9_mT8_P12ihipStream_tbDpT10_ENKUlT_T0_E_clISt17integral_constantIbLb0EES1E_EEDaS19_S1A_EUlS19_E_NS1_11comp_targetILNS1_3genE2ELNS1_11target_archE906ELNS1_3gpuE6ELNS1_3repE0EEENS1_30default_config_static_selectorELNS0_4arch9wavefront6targetE0EEEvT1_
	.p2align	8
	.type	_ZN7rocprim17ROCPRIM_400000_NS6detail17trampoline_kernelINS0_14default_configENS1_25partition_config_selectorILNS1_17partition_subalgoE5ElNS0_10empty_typeEbEEZZNS1_14partition_implILS5_5ELb0ES3_mN6hipcub16HIPCUB_304000_NS21CountingInputIteratorIllEEPS6_NSA_22TransformInputIteratorIbN2at6native12_GLOBAL__N_19NonZeroOpIN3c107complexIfEEEEPKSL_lEENS0_5tupleIJPlS6_EEENSQ_IJSD_SD_EEES6_PiJS6_EEE10hipError_tPvRmT3_T4_T5_T6_T7_T9_mT8_P12ihipStream_tbDpT10_ENKUlT_T0_E_clISt17integral_constantIbLb0EES1E_EEDaS19_S1A_EUlS19_E_NS1_11comp_targetILNS1_3genE2ELNS1_11target_archE906ELNS1_3gpuE6ELNS1_3repE0EEENS1_30default_config_static_selectorELNS0_4arch9wavefront6targetE0EEEvT1_,@function
_ZN7rocprim17ROCPRIM_400000_NS6detail17trampoline_kernelINS0_14default_configENS1_25partition_config_selectorILNS1_17partition_subalgoE5ElNS0_10empty_typeEbEEZZNS1_14partition_implILS5_5ELb0ES3_mN6hipcub16HIPCUB_304000_NS21CountingInputIteratorIllEEPS6_NSA_22TransformInputIteratorIbN2at6native12_GLOBAL__N_19NonZeroOpIN3c107complexIfEEEEPKSL_lEENS0_5tupleIJPlS6_EEENSQ_IJSD_SD_EEES6_PiJS6_EEE10hipError_tPvRmT3_T4_T5_T6_T7_T9_mT8_P12ihipStream_tbDpT10_ENKUlT_T0_E_clISt17integral_constantIbLb0EES1E_EEDaS19_S1A_EUlS19_E_NS1_11comp_targetILNS1_3genE2ELNS1_11target_archE906ELNS1_3gpuE6ELNS1_3repE0EEENS1_30default_config_static_selectorELNS0_4arch9wavefront6targetE0EEEvT1_: ; @_ZN7rocprim17ROCPRIM_400000_NS6detail17trampoline_kernelINS0_14default_configENS1_25partition_config_selectorILNS1_17partition_subalgoE5ElNS0_10empty_typeEbEEZZNS1_14partition_implILS5_5ELb0ES3_mN6hipcub16HIPCUB_304000_NS21CountingInputIteratorIllEEPS6_NSA_22TransformInputIteratorIbN2at6native12_GLOBAL__N_19NonZeroOpIN3c107complexIfEEEEPKSL_lEENS0_5tupleIJPlS6_EEENSQ_IJSD_SD_EEES6_PiJS6_EEE10hipError_tPvRmT3_T4_T5_T6_T7_T9_mT8_P12ihipStream_tbDpT10_ENKUlT_T0_E_clISt17integral_constantIbLb0EES1E_EEDaS19_S1A_EUlS19_E_NS1_11comp_targetILNS1_3genE2ELNS1_11target_archE906ELNS1_3gpuE6ELNS1_3repE0EEENS1_30default_config_static_selectorELNS0_4arch9wavefront6targetE0EEEvT1_
; %bb.0:
	.section	.rodata,"a",@progbits
	.p2align	6, 0x0
	.amdhsa_kernel _ZN7rocprim17ROCPRIM_400000_NS6detail17trampoline_kernelINS0_14default_configENS1_25partition_config_selectorILNS1_17partition_subalgoE5ElNS0_10empty_typeEbEEZZNS1_14partition_implILS5_5ELb0ES3_mN6hipcub16HIPCUB_304000_NS21CountingInputIteratorIllEEPS6_NSA_22TransformInputIteratorIbN2at6native12_GLOBAL__N_19NonZeroOpIN3c107complexIfEEEEPKSL_lEENS0_5tupleIJPlS6_EEENSQ_IJSD_SD_EEES6_PiJS6_EEE10hipError_tPvRmT3_T4_T5_T6_T7_T9_mT8_P12ihipStream_tbDpT10_ENKUlT_T0_E_clISt17integral_constantIbLb0EES1E_EEDaS19_S1A_EUlS19_E_NS1_11comp_targetILNS1_3genE2ELNS1_11target_archE906ELNS1_3gpuE6ELNS1_3repE0EEENS1_30default_config_static_selectorELNS0_4arch9wavefront6targetE0EEEvT1_
		.amdhsa_group_segment_fixed_size 0
		.amdhsa_private_segment_fixed_size 0
		.amdhsa_kernarg_size 120
		.amdhsa_user_sgpr_count 15
		.amdhsa_user_sgpr_dispatch_ptr 0
		.amdhsa_user_sgpr_queue_ptr 0
		.amdhsa_user_sgpr_kernarg_segment_ptr 1
		.amdhsa_user_sgpr_dispatch_id 0
		.amdhsa_user_sgpr_private_segment_size 0
		.amdhsa_wavefront_size32 1
		.amdhsa_uses_dynamic_stack 0
		.amdhsa_enable_private_segment 0
		.amdhsa_system_sgpr_workgroup_id_x 1
		.amdhsa_system_sgpr_workgroup_id_y 0
		.amdhsa_system_sgpr_workgroup_id_z 0
		.amdhsa_system_sgpr_workgroup_info 0
		.amdhsa_system_vgpr_workitem_id 0
		.amdhsa_next_free_vgpr 1
		.amdhsa_next_free_sgpr 1
		.amdhsa_reserve_vcc 0
		.amdhsa_float_round_mode_32 0
		.amdhsa_float_round_mode_16_64 0
		.amdhsa_float_denorm_mode_32 3
		.amdhsa_float_denorm_mode_16_64 3
		.amdhsa_dx10_clamp 1
		.amdhsa_ieee_mode 1
		.amdhsa_fp16_overflow 0
		.amdhsa_workgroup_processor_mode 1
		.amdhsa_memory_ordered 1
		.amdhsa_forward_progress 0
		.amdhsa_shared_vgpr_count 0
		.amdhsa_exception_fp_ieee_invalid_op 0
		.amdhsa_exception_fp_denorm_src 0
		.amdhsa_exception_fp_ieee_div_zero 0
		.amdhsa_exception_fp_ieee_overflow 0
		.amdhsa_exception_fp_ieee_underflow 0
		.amdhsa_exception_fp_ieee_inexact 0
		.amdhsa_exception_int_div_zero 0
	.end_amdhsa_kernel
	.section	.text._ZN7rocprim17ROCPRIM_400000_NS6detail17trampoline_kernelINS0_14default_configENS1_25partition_config_selectorILNS1_17partition_subalgoE5ElNS0_10empty_typeEbEEZZNS1_14partition_implILS5_5ELb0ES3_mN6hipcub16HIPCUB_304000_NS21CountingInputIteratorIllEEPS6_NSA_22TransformInputIteratorIbN2at6native12_GLOBAL__N_19NonZeroOpIN3c107complexIfEEEEPKSL_lEENS0_5tupleIJPlS6_EEENSQ_IJSD_SD_EEES6_PiJS6_EEE10hipError_tPvRmT3_T4_T5_T6_T7_T9_mT8_P12ihipStream_tbDpT10_ENKUlT_T0_E_clISt17integral_constantIbLb0EES1E_EEDaS19_S1A_EUlS19_E_NS1_11comp_targetILNS1_3genE2ELNS1_11target_archE906ELNS1_3gpuE6ELNS1_3repE0EEENS1_30default_config_static_selectorELNS0_4arch9wavefront6targetE0EEEvT1_,"axG",@progbits,_ZN7rocprim17ROCPRIM_400000_NS6detail17trampoline_kernelINS0_14default_configENS1_25partition_config_selectorILNS1_17partition_subalgoE5ElNS0_10empty_typeEbEEZZNS1_14partition_implILS5_5ELb0ES3_mN6hipcub16HIPCUB_304000_NS21CountingInputIteratorIllEEPS6_NSA_22TransformInputIteratorIbN2at6native12_GLOBAL__N_19NonZeroOpIN3c107complexIfEEEEPKSL_lEENS0_5tupleIJPlS6_EEENSQ_IJSD_SD_EEES6_PiJS6_EEE10hipError_tPvRmT3_T4_T5_T6_T7_T9_mT8_P12ihipStream_tbDpT10_ENKUlT_T0_E_clISt17integral_constantIbLb0EES1E_EEDaS19_S1A_EUlS19_E_NS1_11comp_targetILNS1_3genE2ELNS1_11target_archE906ELNS1_3gpuE6ELNS1_3repE0EEENS1_30default_config_static_selectorELNS0_4arch9wavefront6targetE0EEEvT1_,comdat
.Lfunc_end598:
	.size	_ZN7rocprim17ROCPRIM_400000_NS6detail17trampoline_kernelINS0_14default_configENS1_25partition_config_selectorILNS1_17partition_subalgoE5ElNS0_10empty_typeEbEEZZNS1_14partition_implILS5_5ELb0ES3_mN6hipcub16HIPCUB_304000_NS21CountingInputIteratorIllEEPS6_NSA_22TransformInputIteratorIbN2at6native12_GLOBAL__N_19NonZeroOpIN3c107complexIfEEEEPKSL_lEENS0_5tupleIJPlS6_EEENSQ_IJSD_SD_EEES6_PiJS6_EEE10hipError_tPvRmT3_T4_T5_T6_T7_T9_mT8_P12ihipStream_tbDpT10_ENKUlT_T0_E_clISt17integral_constantIbLb0EES1E_EEDaS19_S1A_EUlS19_E_NS1_11comp_targetILNS1_3genE2ELNS1_11target_archE906ELNS1_3gpuE6ELNS1_3repE0EEENS1_30default_config_static_selectorELNS0_4arch9wavefront6targetE0EEEvT1_, .Lfunc_end598-_ZN7rocprim17ROCPRIM_400000_NS6detail17trampoline_kernelINS0_14default_configENS1_25partition_config_selectorILNS1_17partition_subalgoE5ElNS0_10empty_typeEbEEZZNS1_14partition_implILS5_5ELb0ES3_mN6hipcub16HIPCUB_304000_NS21CountingInputIteratorIllEEPS6_NSA_22TransformInputIteratorIbN2at6native12_GLOBAL__N_19NonZeroOpIN3c107complexIfEEEEPKSL_lEENS0_5tupleIJPlS6_EEENSQ_IJSD_SD_EEES6_PiJS6_EEE10hipError_tPvRmT3_T4_T5_T6_T7_T9_mT8_P12ihipStream_tbDpT10_ENKUlT_T0_E_clISt17integral_constantIbLb0EES1E_EEDaS19_S1A_EUlS19_E_NS1_11comp_targetILNS1_3genE2ELNS1_11target_archE906ELNS1_3gpuE6ELNS1_3repE0EEENS1_30default_config_static_selectorELNS0_4arch9wavefront6targetE0EEEvT1_
                                        ; -- End function
	.section	.AMDGPU.csdata,"",@progbits
; Kernel info:
; codeLenInByte = 0
; NumSgprs: 0
; NumVgprs: 0
; ScratchSize: 0
; MemoryBound: 0
; FloatMode: 240
; IeeeMode: 1
; LDSByteSize: 0 bytes/workgroup (compile time only)
; SGPRBlocks: 0
; VGPRBlocks: 0
; NumSGPRsForWavesPerEU: 1
; NumVGPRsForWavesPerEU: 1
; Occupancy: 16
; WaveLimiterHint : 0
; COMPUTE_PGM_RSRC2:SCRATCH_EN: 0
; COMPUTE_PGM_RSRC2:USER_SGPR: 15
; COMPUTE_PGM_RSRC2:TRAP_HANDLER: 0
; COMPUTE_PGM_RSRC2:TGID_X_EN: 1
; COMPUTE_PGM_RSRC2:TGID_Y_EN: 0
; COMPUTE_PGM_RSRC2:TGID_Z_EN: 0
; COMPUTE_PGM_RSRC2:TIDIG_COMP_CNT: 0
	.section	.text._ZN7rocprim17ROCPRIM_400000_NS6detail17trampoline_kernelINS0_14default_configENS1_25partition_config_selectorILNS1_17partition_subalgoE5ElNS0_10empty_typeEbEEZZNS1_14partition_implILS5_5ELb0ES3_mN6hipcub16HIPCUB_304000_NS21CountingInputIteratorIllEEPS6_NSA_22TransformInputIteratorIbN2at6native12_GLOBAL__N_19NonZeroOpIN3c107complexIfEEEEPKSL_lEENS0_5tupleIJPlS6_EEENSQ_IJSD_SD_EEES6_PiJS6_EEE10hipError_tPvRmT3_T4_T5_T6_T7_T9_mT8_P12ihipStream_tbDpT10_ENKUlT_T0_E_clISt17integral_constantIbLb0EES1E_EEDaS19_S1A_EUlS19_E_NS1_11comp_targetILNS1_3genE10ELNS1_11target_archE1200ELNS1_3gpuE4ELNS1_3repE0EEENS1_30default_config_static_selectorELNS0_4arch9wavefront6targetE0EEEvT1_,"axG",@progbits,_ZN7rocprim17ROCPRIM_400000_NS6detail17trampoline_kernelINS0_14default_configENS1_25partition_config_selectorILNS1_17partition_subalgoE5ElNS0_10empty_typeEbEEZZNS1_14partition_implILS5_5ELb0ES3_mN6hipcub16HIPCUB_304000_NS21CountingInputIteratorIllEEPS6_NSA_22TransformInputIteratorIbN2at6native12_GLOBAL__N_19NonZeroOpIN3c107complexIfEEEEPKSL_lEENS0_5tupleIJPlS6_EEENSQ_IJSD_SD_EEES6_PiJS6_EEE10hipError_tPvRmT3_T4_T5_T6_T7_T9_mT8_P12ihipStream_tbDpT10_ENKUlT_T0_E_clISt17integral_constantIbLb0EES1E_EEDaS19_S1A_EUlS19_E_NS1_11comp_targetILNS1_3genE10ELNS1_11target_archE1200ELNS1_3gpuE4ELNS1_3repE0EEENS1_30default_config_static_selectorELNS0_4arch9wavefront6targetE0EEEvT1_,comdat
	.globl	_ZN7rocprim17ROCPRIM_400000_NS6detail17trampoline_kernelINS0_14default_configENS1_25partition_config_selectorILNS1_17partition_subalgoE5ElNS0_10empty_typeEbEEZZNS1_14partition_implILS5_5ELb0ES3_mN6hipcub16HIPCUB_304000_NS21CountingInputIteratorIllEEPS6_NSA_22TransformInputIteratorIbN2at6native12_GLOBAL__N_19NonZeroOpIN3c107complexIfEEEEPKSL_lEENS0_5tupleIJPlS6_EEENSQ_IJSD_SD_EEES6_PiJS6_EEE10hipError_tPvRmT3_T4_T5_T6_T7_T9_mT8_P12ihipStream_tbDpT10_ENKUlT_T0_E_clISt17integral_constantIbLb0EES1E_EEDaS19_S1A_EUlS19_E_NS1_11comp_targetILNS1_3genE10ELNS1_11target_archE1200ELNS1_3gpuE4ELNS1_3repE0EEENS1_30default_config_static_selectorELNS0_4arch9wavefront6targetE0EEEvT1_ ; -- Begin function _ZN7rocprim17ROCPRIM_400000_NS6detail17trampoline_kernelINS0_14default_configENS1_25partition_config_selectorILNS1_17partition_subalgoE5ElNS0_10empty_typeEbEEZZNS1_14partition_implILS5_5ELb0ES3_mN6hipcub16HIPCUB_304000_NS21CountingInputIteratorIllEEPS6_NSA_22TransformInputIteratorIbN2at6native12_GLOBAL__N_19NonZeroOpIN3c107complexIfEEEEPKSL_lEENS0_5tupleIJPlS6_EEENSQ_IJSD_SD_EEES6_PiJS6_EEE10hipError_tPvRmT3_T4_T5_T6_T7_T9_mT8_P12ihipStream_tbDpT10_ENKUlT_T0_E_clISt17integral_constantIbLb0EES1E_EEDaS19_S1A_EUlS19_E_NS1_11comp_targetILNS1_3genE10ELNS1_11target_archE1200ELNS1_3gpuE4ELNS1_3repE0EEENS1_30default_config_static_selectorELNS0_4arch9wavefront6targetE0EEEvT1_
	.p2align	8
	.type	_ZN7rocprim17ROCPRIM_400000_NS6detail17trampoline_kernelINS0_14default_configENS1_25partition_config_selectorILNS1_17partition_subalgoE5ElNS0_10empty_typeEbEEZZNS1_14partition_implILS5_5ELb0ES3_mN6hipcub16HIPCUB_304000_NS21CountingInputIteratorIllEEPS6_NSA_22TransformInputIteratorIbN2at6native12_GLOBAL__N_19NonZeroOpIN3c107complexIfEEEEPKSL_lEENS0_5tupleIJPlS6_EEENSQ_IJSD_SD_EEES6_PiJS6_EEE10hipError_tPvRmT3_T4_T5_T6_T7_T9_mT8_P12ihipStream_tbDpT10_ENKUlT_T0_E_clISt17integral_constantIbLb0EES1E_EEDaS19_S1A_EUlS19_E_NS1_11comp_targetILNS1_3genE10ELNS1_11target_archE1200ELNS1_3gpuE4ELNS1_3repE0EEENS1_30default_config_static_selectorELNS0_4arch9wavefront6targetE0EEEvT1_,@function
_ZN7rocprim17ROCPRIM_400000_NS6detail17trampoline_kernelINS0_14default_configENS1_25partition_config_selectorILNS1_17partition_subalgoE5ElNS0_10empty_typeEbEEZZNS1_14partition_implILS5_5ELb0ES3_mN6hipcub16HIPCUB_304000_NS21CountingInputIteratorIllEEPS6_NSA_22TransformInputIteratorIbN2at6native12_GLOBAL__N_19NonZeroOpIN3c107complexIfEEEEPKSL_lEENS0_5tupleIJPlS6_EEENSQ_IJSD_SD_EEES6_PiJS6_EEE10hipError_tPvRmT3_T4_T5_T6_T7_T9_mT8_P12ihipStream_tbDpT10_ENKUlT_T0_E_clISt17integral_constantIbLb0EES1E_EEDaS19_S1A_EUlS19_E_NS1_11comp_targetILNS1_3genE10ELNS1_11target_archE1200ELNS1_3gpuE4ELNS1_3repE0EEENS1_30default_config_static_selectorELNS0_4arch9wavefront6targetE0EEEvT1_: ; @_ZN7rocprim17ROCPRIM_400000_NS6detail17trampoline_kernelINS0_14default_configENS1_25partition_config_selectorILNS1_17partition_subalgoE5ElNS0_10empty_typeEbEEZZNS1_14partition_implILS5_5ELb0ES3_mN6hipcub16HIPCUB_304000_NS21CountingInputIteratorIllEEPS6_NSA_22TransformInputIteratorIbN2at6native12_GLOBAL__N_19NonZeroOpIN3c107complexIfEEEEPKSL_lEENS0_5tupleIJPlS6_EEENSQ_IJSD_SD_EEES6_PiJS6_EEE10hipError_tPvRmT3_T4_T5_T6_T7_T9_mT8_P12ihipStream_tbDpT10_ENKUlT_T0_E_clISt17integral_constantIbLb0EES1E_EEDaS19_S1A_EUlS19_E_NS1_11comp_targetILNS1_3genE10ELNS1_11target_archE1200ELNS1_3gpuE4ELNS1_3repE0EEENS1_30default_config_static_selectorELNS0_4arch9wavefront6targetE0EEEvT1_
; %bb.0:
	.section	.rodata,"a",@progbits
	.p2align	6, 0x0
	.amdhsa_kernel _ZN7rocprim17ROCPRIM_400000_NS6detail17trampoline_kernelINS0_14default_configENS1_25partition_config_selectorILNS1_17partition_subalgoE5ElNS0_10empty_typeEbEEZZNS1_14partition_implILS5_5ELb0ES3_mN6hipcub16HIPCUB_304000_NS21CountingInputIteratorIllEEPS6_NSA_22TransformInputIteratorIbN2at6native12_GLOBAL__N_19NonZeroOpIN3c107complexIfEEEEPKSL_lEENS0_5tupleIJPlS6_EEENSQ_IJSD_SD_EEES6_PiJS6_EEE10hipError_tPvRmT3_T4_T5_T6_T7_T9_mT8_P12ihipStream_tbDpT10_ENKUlT_T0_E_clISt17integral_constantIbLb0EES1E_EEDaS19_S1A_EUlS19_E_NS1_11comp_targetILNS1_3genE10ELNS1_11target_archE1200ELNS1_3gpuE4ELNS1_3repE0EEENS1_30default_config_static_selectorELNS0_4arch9wavefront6targetE0EEEvT1_
		.amdhsa_group_segment_fixed_size 0
		.amdhsa_private_segment_fixed_size 0
		.amdhsa_kernarg_size 120
		.amdhsa_user_sgpr_count 15
		.amdhsa_user_sgpr_dispatch_ptr 0
		.amdhsa_user_sgpr_queue_ptr 0
		.amdhsa_user_sgpr_kernarg_segment_ptr 1
		.amdhsa_user_sgpr_dispatch_id 0
		.amdhsa_user_sgpr_private_segment_size 0
		.amdhsa_wavefront_size32 1
		.amdhsa_uses_dynamic_stack 0
		.amdhsa_enable_private_segment 0
		.amdhsa_system_sgpr_workgroup_id_x 1
		.amdhsa_system_sgpr_workgroup_id_y 0
		.amdhsa_system_sgpr_workgroup_id_z 0
		.amdhsa_system_sgpr_workgroup_info 0
		.amdhsa_system_vgpr_workitem_id 0
		.amdhsa_next_free_vgpr 1
		.amdhsa_next_free_sgpr 1
		.amdhsa_reserve_vcc 0
		.amdhsa_float_round_mode_32 0
		.amdhsa_float_round_mode_16_64 0
		.amdhsa_float_denorm_mode_32 3
		.amdhsa_float_denorm_mode_16_64 3
		.amdhsa_dx10_clamp 1
		.amdhsa_ieee_mode 1
		.amdhsa_fp16_overflow 0
		.amdhsa_workgroup_processor_mode 1
		.amdhsa_memory_ordered 1
		.amdhsa_forward_progress 0
		.amdhsa_shared_vgpr_count 0
		.amdhsa_exception_fp_ieee_invalid_op 0
		.amdhsa_exception_fp_denorm_src 0
		.amdhsa_exception_fp_ieee_div_zero 0
		.amdhsa_exception_fp_ieee_overflow 0
		.amdhsa_exception_fp_ieee_underflow 0
		.amdhsa_exception_fp_ieee_inexact 0
		.amdhsa_exception_int_div_zero 0
	.end_amdhsa_kernel
	.section	.text._ZN7rocprim17ROCPRIM_400000_NS6detail17trampoline_kernelINS0_14default_configENS1_25partition_config_selectorILNS1_17partition_subalgoE5ElNS0_10empty_typeEbEEZZNS1_14partition_implILS5_5ELb0ES3_mN6hipcub16HIPCUB_304000_NS21CountingInputIteratorIllEEPS6_NSA_22TransformInputIteratorIbN2at6native12_GLOBAL__N_19NonZeroOpIN3c107complexIfEEEEPKSL_lEENS0_5tupleIJPlS6_EEENSQ_IJSD_SD_EEES6_PiJS6_EEE10hipError_tPvRmT3_T4_T5_T6_T7_T9_mT8_P12ihipStream_tbDpT10_ENKUlT_T0_E_clISt17integral_constantIbLb0EES1E_EEDaS19_S1A_EUlS19_E_NS1_11comp_targetILNS1_3genE10ELNS1_11target_archE1200ELNS1_3gpuE4ELNS1_3repE0EEENS1_30default_config_static_selectorELNS0_4arch9wavefront6targetE0EEEvT1_,"axG",@progbits,_ZN7rocprim17ROCPRIM_400000_NS6detail17trampoline_kernelINS0_14default_configENS1_25partition_config_selectorILNS1_17partition_subalgoE5ElNS0_10empty_typeEbEEZZNS1_14partition_implILS5_5ELb0ES3_mN6hipcub16HIPCUB_304000_NS21CountingInputIteratorIllEEPS6_NSA_22TransformInputIteratorIbN2at6native12_GLOBAL__N_19NonZeroOpIN3c107complexIfEEEEPKSL_lEENS0_5tupleIJPlS6_EEENSQ_IJSD_SD_EEES6_PiJS6_EEE10hipError_tPvRmT3_T4_T5_T6_T7_T9_mT8_P12ihipStream_tbDpT10_ENKUlT_T0_E_clISt17integral_constantIbLb0EES1E_EEDaS19_S1A_EUlS19_E_NS1_11comp_targetILNS1_3genE10ELNS1_11target_archE1200ELNS1_3gpuE4ELNS1_3repE0EEENS1_30default_config_static_selectorELNS0_4arch9wavefront6targetE0EEEvT1_,comdat
.Lfunc_end599:
	.size	_ZN7rocprim17ROCPRIM_400000_NS6detail17trampoline_kernelINS0_14default_configENS1_25partition_config_selectorILNS1_17partition_subalgoE5ElNS0_10empty_typeEbEEZZNS1_14partition_implILS5_5ELb0ES3_mN6hipcub16HIPCUB_304000_NS21CountingInputIteratorIllEEPS6_NSA_22TransformInputIteratorIbN2at6native12_GLOBAL__N_19NonZeroOpIN3c107complexIfEEEEPKSL_lEENS0_5tupleIJPlS6_EEENSQ_IJSD_SD_EEES6_PiJS6_EEE10hipError_tPvRmT3_T4_T5_T6_T7_T9_mT8_P12ihipStream_tbDpT10_ENKUlT_T0_E_clISt17integral_constantIbLb0EES1E_EEDaS19_S1A_EUlS19_E_NS1_11comp_targetILNS1_3genE10ELNS1_11target_archE1200ELNS1_3gpuE4ELNS1_3repE0EEENS1_30default_config_static_selectorELNS0_4arch9wavefront6targetE0EEEvT1_, .Lfunc_end599-_ZN7rocprim17ROCPRIM_400000_NS6detail17trampoline_kernelINS0_14default_configENS1_25partition_config_selectorILNS1_17partition_subalgoE5ElNS0_10empty_typeEbEEZZNS1_14partition_implILS5_5ELb0ES3_mN6hipcub16HIPCUB_304000_NS21CountingInputIteratorIllEEPS6_NSA_22TransformInputIteratorIbN2at6native12_GLOBAL__N_19NonZeroOpIN3c107complexIfEEEEPKSL_lEENS0_5tupleIJPlS6_EEENSQ_IJSD_SD_EEES6_PiJS6_EEE10hipError_tPvRmT3_T4_T5_T6_T7_T9_mT8_P12ihipStream_tbDpT10_ENKUlT_T0_E_clISt17integral_constantIbLb0EES1E_EEDaS19_S1A_EUlS19_E_NS1_11comp_targetILNS1_3genE10ELNS1_11target_archE1200ELNS1_3gpuE4ELNS1_3repE0EEENS1_30default_config_static_selectorELNS0_4arch9wavefront6targetE0EEEvT1_
                                        ; -- End function
	.section	.AMDGPU.csdata,"",@progbits
; Kernel info:
; codeLenInByte = 0
; NumSgprs: 0
; NumVgprs: 0
; ScratchSize: 0
; MemoryBound: 0
; FloatMode: 240
; IeeeMode: 1
; LDSByteSize: 0 bytes/workgroup (compile time only)
; SGPRBlocks: 0
; VGPRBlocks: 0
; NumSGPRsForWavesPerEU: 1
; NumVGPRsForWavesPerEU: 1
; Occupancy: 16
; WaveLimiterHint : 0
; COMPUTE_PGM_RSRC2:SCRATCH_EN: 0
; COMPUTE_PGM_RSRC2:USER_SGPR: 15
; COMPUTE_PGM_RSRC2:TRAP_HANDLER: 0
; COMPUTE_PGM_RSRC2:TGID_X_EN: 1
; COMPUTE_PGM_RSRC2:TGID_Y_EN: 0
; COMPUTE_PGM_RSRC2:TGID_Z_EN: 0
; COMPUTE_PGM_RSRC2:TIDIG_COMP_CNT: 0
	.section	.text._ZN7rocprim17ROCPRIM_400000_NS6detail17trampoline_kernelINS0_14default_configENS1_25partition_config_selectorILNS1_17partition_subalgoE5ElNS0_10empty_typeEbEEZZNS1_14partition_implILS5_5ELb0ES3_mN6hipcub16HIPCUB_304000_NS21CountingInputIteratorIllEEPS6_NSA_22TransformInputIteratorIbN2at6native12_GLOBAL__N_19NonZeroOpIN3c107complexIfEEEEPKSL_lEENS0_5tupleIJPlS6_EEENSQ_IJSD_SD_EEES6_PiJS6_EEE10hipError_tPvRmT3_T4_T5_T6_T7_T9_mT8_P12ihipStream_tbDpT10_ENKUlT_T0_E_clISt17integral_constantIbLb0EES1E_EEDaS19_S1A_EUlS19_E_NS1_11comp_targetILNS1_3genE9ELNS1_11target_archE1100ELNS1_3gpuE3ELNS1_3repE0EEENS1_30default_config_static_selectorELNS0_4arch9wavefront6targetE0EEEvT1_,"axG",@progbits,_ZN7rocprim17ROCPRIM_400000_NS6detail17trampoline_kernelINS0_14default_configENS1_25partition_config_selectorILNS1_17partition_subalgoE5ElNS0_10empty_typeEbEEZZNS1_14partition_implILS5_5ELb0ES3_mN6hipcub16HIPCUB_304000_NS21CountingInputIteratorIllEEPS6_NSA_22TransformInputIteratorIbN2at6native12_GLOBAL__N_19NonZeroOpIN3c107complexIfEEEEPKSL_lEENS0_5tupleIJPlS6_EEENSQ_IJSD_SD_EEES6_PiJS6_EEE10hipError_tPvRmT3_T4_T5_T6_T7_T9_mT8_P12ihipStream_tbDpT10_ENKUlT_T0_E_clISt17integral_constantIbLb0EES1E_EEDaS19_S1A_EUlS19_E_NS1_11comp_targetILNS1_3genE9ELNS1_11target_archE1100ELNS1_3gpuE3ELNS1_3repE0EEENS1_30default_config_static_selectorELNS0_4arch9wavefront6targetE0EEEvT1_,comdat
	.globl	_ZN7rocprim17ROCPRIM_400000_NS6detail17trampoline_kernelINS0_14default_configENS1_25partition_config_selectorILNS1_17partition_subalgoE5ElNS0_10empty_typeEbEEZZNS1_14partition_implILS5_5ELb0ES3_mN6hipcub16HIPCUB_304000_NS21CountingInputIteratorIllEEPS6_NSA_22TransformInputIteratorIbN2at6native12_GLOBAL__N_19NonZeroOpIN3c107complexIfEEEEPKSL_lEENS0_5tupleIJPlS6_EEENSQ_IJSD_SD_EEES6_PiJS6_EEE10hipError_tPvRmT3_T4_T5_T6_T7_T9_mT8_P12ihipStream_tbDpT10_ENKUlT_T0_E_clISt17integral_constantIbLb0EES1E_EEDaS19_S1A_EUlS19_E_NS1_11comp_targetILNS1_3genE9ELNS1_11target_archE1100ELNS1_3gpuE3ELNS1_3repE0EEENS1_30default_config_static_selectorELNS0_4arch9wavefront6targetE0EEEvT1_ ; -- Begin function _ZN7rocprim17ROCPRIM_400000_NS6detail17trampoline_kernelINS0_14default_configENS1_25partition_config_selectorILNS1_17partition_subalgoE5ElNS0_10empty_typeEbEEZZNS1_14partition_implILS5_5ELb0ES3_mN6hipcub16HIPCUB_304000_NS21CountingInputIteratorIllEEPS6_NSA_22TransformInputIteratorIbN2at6native12_GLOBAL__N_19NonZeroOpIN3c107complexIfEEEEPKSL_lEENS0_5tupleIJPlS6_EEENSQ_IJSD_SD_EEES6_PiJS6_EEE10hipError_tPvRmT3_T4_T5_T6_T7_T9_mT8_P12ihipStream_tbDpT10_ENKUlT_T0_E_clISt17integral_constantIbLb0EES1E_EEDaS19_S1A_EUlS19_E_NS1_11comp_targetILNS1_3genE9ELNS1_11target_archE1100ELNS1_3gpuE3ELNS1_3repE0EEENS1_30default_config_static_selectorELNS0_4arch9wavefront6targetE0EEEvT1_
	.p2align	8
	.type	_ZN7rocprim17ROCPRIM_400000_NS6detail17trampoline_kernelINS0_14default_configENS1_25partition_config_selectorILNS1_17partition_subalgoE5ElNS0_10empty_typeEbEEZZNS1_14partition_implILS5_5ELb0ES3_mN6hipcub16HIPCUB_304000_NS21CountingInputIteratorIllEEPS6_NSA_22TransformInputIteratorIbN2at6native12_GLOBAL__N_19NonZeroOpIN3c107complexIfEEEEPKSL_lEENS0_5tupleIJPlS6_EEENSQ_IJSD_SD_EEES6_PiJS6_EEE10hipError_tPvRmT3_T4_T5_T6_T7_T9_mT8_P12ihipStream_tbDpT10_ENKUlT_T0_E_clISt17integral_constantIbLb0EES1E_EEDaS19_S1A_EUlS19_E_NS1_11comp_targetILNS1_3genE9ELNS1_11target_archE1100ELNS1_3gpuE3ELNS1_3repE0EEENS1_30default_config_static_selectorELNS0_4arch9wavefront6targetE0EEEvT1_,@function
_ZN7rocprim17ROCPRIM_400000_NS6detail17trampoline_kernelINS0_14default_configENS1_25partition_config_selectorILNS1_17partition_subalgoE5ElNS0_10empty_typeEbEEZZNS1_14partition_implILS5_5ELb0ES3_mN6hipcub16HIPCUB_304000_NS21CountingInputIteratorIllEEPS6_NSA_22TransformInputIteratorIbN2at6native12_GLOBAL__N_19NonZeroOpIN3c107complexIfEEEEPKSL_lEENS0_5tupleIJPlS6_EEENSQ_IJSD_SD_EEES6_PiJS6_EEE10hipError_tPvRmT3_T4_T5_T6_T7_T9_mT8_P12ihipStream_tbDpT10_ENKUlT_T0_E_clISt17integral_constantIbLb0EES1E_EEDaS19_S1A_EUlS19_E_NS1_11comp_targetILNS1_3genE9ELNS1_11target_archE1100ELNS1_3gpuE3ELNS1_3repE0EEENS1_30default_config_static_selectorELNS0_4arch9wavefront6targetE0EEEvT1_: ; @_ZN7rocprim17ROCPRIM_400000_NS6detail17trampoline_kernelINS0_14default_configENS1_25partition_config_selectorILNS1_17partition_subalgoE5ElNS0_10empty_typeEbEEZZNS1_14partition_implILS5_5ELb0ES3_mN6hipcub16HIPCUB_304000_NS21CountingInputIteratorIllEEPS6_NSA_22TransformInputIteratorIbN2at6native12_GLOBAL__N_19NonZeroOpIN3c107complexIfEEEEPKSL_lEENS0_5tupleIJPlS6_EEENSQ_IJSD_SD_EEES6_PiJS6_EEE10hipError_tPvRmT3_T4_T5_T6_T7_T9_mT8_P12ihipStream_tbDpT10_ENKUlT_T0_E_clISt17integral_constantIbLb0EES1E_EEDaS19_S1A_EUlS19_E_NS1_11comp_targetILNS1_3genE9ELNS1_11target_archE1100ELNS1_3gpuE3ELNS1_3repE0EEENS1_30default_config_static_selectorELNS0_4arch9wavefront6targetE0EEEvT1_
; %bb.0:
	s_clause 0x4
	s_load_b128 s[8:11], s[0:1], 0x8
	s_load_b128 s[16:19], s[0:1], 0x48
	s_load_b32 s4, s[0:1], 0x70
	s_load_b64 s[20:21], s[0:1], 0x58
	s_load_b64 s[2:3], s[0:1], 0x20
	s_waitcnt lgkmcnt(0)
	s_add_u32 s6, s10, s8
	s_load_b64 s[12:13], s[18:19], 0x0
	s_mul_i32 s22, s4, 0x300
	s_addc_u32 s7, s11, s9
	s_add_i32 s8, s4, -1
	s_add_u32 s4, s10, s22
	s_addc_u32 s5, s11, 0
	s_cmp_eq_u32 s15, s8
	v_cmp_ge_u64_e64 s4, s[4:5], s[20:21]
	s_cselect_b32 s9, -1, 0
	s_mov_b32 s8, -1
	s_delay_alu instid0(VALU_DEP_1)
	s_and_b32 s5, s9, s4
	s_mul_i32 s4, s15, 0x300
	s_xor_b32 s14, s5, -1
	s_mov_b32 s5, 0
	s_and_b32 vcc_lo, exec_lo, s14
	s_cbranch_vccz .LBB600_2
; %bb.1:
	s_add_u32 s8, s6, s4
	s_addc_u32 s18, s7, 0
	v_add_co_u32 v1, s8, s8, v0
	s_delay_alu instid0(VALU_DEP_1) | instskip(SKIP_1) | instid1(VALU_DEP_3)
	v_add_co_ci_u32_e64 v2, null, s18, 0, s8
	v_lshlrev_b32_e32 v13, 3, v0
	v_add_co_u32 v3, vcc_lo, 0x80, v1
	s_delay_alu instid0(VALU_DEP_3)
	v_add_co_ci_u32_e32 v4, vcc_lo, 0, v2, vcc_lo
	v_add_co_u32 v5, vcc_lo, 0x100, v1
	v_add_co_ci_u32_e32 v6, vcc_lo, 0, v2, vcc_lo
	v_add_co_u32 v7, vcc_lo, 0x180, v1
	;; [unrolled: 2-line block ×4, first 2 shown]
	v_add_co_ci_u32_e32 v12, vcc_lo, 0, v2, vcc_lo
	ds_store_2addr_stride64_b64 v13, v[1:2], v[3:4] offset1:2
	ds_store_2addr_stride64_b64 v13, v[5:6], v[7:8] offset0:4 offset1:6
	ds_store_2addr_stride64_b64 v13, v[9:10], v[11:12] offset0:8 offset1:10
	s_waitcnt lgkmcnt(0)
	s_mov_b32 s8, s5
	s_barrier
.LBB600_2:
	v_or_b32_e32 v17, 0x100, v0
	v_or_b32_e32 v16, 0x180, v0
	;; [unrolled: 1-line block ×4, first 2 shown]
	s_and_not1_b32 vcc_lo, exec_lo, s8
	s_cbranch_vccnz .LBB600_4
; %bb.3:
	v_or_b32_e32 v3, 0x80, v0
	s_add_u32 s6, s6, s4
	s_addc_u32 s7, s7, 0
	v_add_co_u32 v1, s8, s6, v0
	s_delay_alu instid0(VALU_DEP_1) | instskip(SKIP_1) | instid1(VALU_DEP_1)
	v_add_co_ci_u32_e64 v2, null, s7, 0, s8
	v_add_co_u32 v3, s8, s6, v3
	v_add_co_ci_u32_e64 v4, null, s7, 0, s8
	v_add_co_u32 v5, s8, s6, v17
	s_delay_alu instid0(VALU_DEP_1) | instskip(SKIP_1) | instid1(VALU_DEP_1)
	v_add_co_ci_u32_e64 v6, null, s7, 0, s8
	v_add_co_u32 v7, s8, s6, v16
	v_add_co_ci_u32_e64 v8, null, s7, 0, s8
	v_add_co_u32 v9, s8, s6, v14
	v_lshlrev_b32_e32 v15, 3, v0
	v_add_co_u32 v11, s6, s6, v13
	v_add_co_ci_u32_e64 v10, null, s7, 0, s8
	v_add_co_ci_u32_e64 v12, null, s7, 0, s6
	ds_store_2addr_stride64_b64 v15, v[1:2], v[3:4] offset1:2
	ds_store_2addr_stride64_b64 v15, v[5:6], v[7:8] offset0:4 offset1:6
	ds_store_2addr_stride64_b64 v15, v[9:10], v[11:12] offset0:8 offset1:10
	s_waitcnt lgkmcnt(0)
	s_barrier
.LBB600_4:
	v_mul_u32_u24_e32 v1, 6, v0
	s_waitcnt lgkmcnt(0)
	buffer_gl0_inv
	s_lshl_b64 s[6:7], s[10:11], 3
	s_mov_b32 s11, -1
	s_add_u32 s6, s2, s6
	v_lshlrev_b32_e32 v15, 3, v1
	s_addc_u32 s7, s3, s7
	s_lshl_b64 s[2:3], s[4:5], 3
	ds_load_b128 v[9:12], v15
	ds_load_b128 v[5:8], v15 offset:16
	ds_load_b128 v[1:4], v15 offset:32
	s_add_u32 s18, s6, s2
	s_addc_u32 s19, s7, s3
	s_and_b32 vcc_lo, exec_lo, s14
	s_waitcnt lgkmcnt(0)
	s_barrier
	buffer_gl0_inv
	s_cbranch_vccz .LBB600_6
; %bb.5:
	v_lshlrev_b32_e32 v24, 3, v0
	s_mov_b32 s11, 0
	s_clause 0x1
	global_load_b64 v[18:19], v24, s[18:19]
	global_load_b64 v[20:21], v24, s[18:19] offset:1024
	v_add_co_u32 v26, s2, s18, v24
	s_delay_alu instid0(VALU_DEP_1)
	v_add_co_ci_u32_e64 v27, null, s19, 0, s2
	s_clause 0x1
	global_load_b64 v[22:23], v24, s[18:19] offset:2048
	global_load_b64 v[24:25], v24, s[18:19] offset:3072
	v_add_co_u32 v26, vcc_lo, 0x1000, v26
	v_add_co_ci_u32_e32 v27, vcc_lo, 0, v27, vcc_lo
	s_clause 0x1
	global_load_b64 v[28:29], v[26:27], off
	global_load_b64 v[26:27], v[26:27], off offset:1024
	s_waitcnt vmcnt(5)
	v_cmp_neq_f32_e32 vcc_lo, 0, v18
	v_cmp_neq_f32_e64 s2, 0, v19
	s_waitcnt vmcnt(4)
	v_cmp_neq_f32_e64 s3, 0, v20
	v_cmp_neq_f32_e64 s4, 0, v21
	s_waitcnt vmcnt(3)
	v_cmp_neq_f32_e64 s5, 0, v22
	v_cmp_neq_f32_e64 s6, 0, v23
	s_or_b32 s2, vcc_lo, s2
	s_waitcnt vmcnt(2)
	v_cmp_neq_f32_e64 s7, 0, v24
	v_cndmask_b32_e64 v18, 0, 1, s2
	s_or_b32 s2, s3, s4
	v_cmp_neq_f32_e64 s8, 0, v25
	v_cndmask_b32_e64 v19, 0, 1, s2
	s_or_b32 s2, s5, s6
	s_waitcnt vmcnt(1)
	v_cmp_neq_f32_e32 vcc_lo, 0, v28
	v_cndmask_b32_e64 v20, 0, 1, s2
	v_cmp_neq_f32_e64 s2, 0, v29
	s_waitcnt vmcnt(0)
	v_cmp_neq_f32_e64 s3, 0, v26
	v_cmp_neq_f32_e64 s4, 0, v27
	s_or_b32 s5, s7, s8
	s_or_b32 s2, vcc_lo, s2
	v_cndmask_b32_e64 v21, 0, 1, s5
	v_cndmask_b32_e64 v22, 0, 1, s2
	s_or_b32 s2, s3, s4
	s_delay_alu instid0(SALU_CYCLE_1)
	v_cndmask_b32_e64 v23, 0, 1, s2
	ds_store_b8 v0, v18
	ds_store_b8 v0, v19 offset:128
	ds_store_b8 v0, v20 offset:256
	;; [unrolled: 1-line block ×5, first 2 shown]
	s_waitcnt lgkmcnt(0)
	s_barrier
.LBB600_6:
	s_load_b64 s[4:5], s[0:1], 0x68
	s_and_not1_b32 vcc_lo, exec_lo, s11
	s_cbranch_vccnz .LBB600_20
; %bb.7:
	s_add_i32 s22, s22, s10
	v_dual_mov_b32 v18, 0 :: v_dual_mov_b32 v19, 0
	s_sub_i32 s3, s20, s22
	s_mov_b32 s6, exec_lo
	s_addk_i32 s3, 0x300
	s_delay_alu instid0(SALU_CYCLE_1)
	v_cmpx_gt_u32_e64 s3, v0
	s_cbranch_execz .LBB600_9
; %bb.8:
	v_lshlrev_b32_e32 v19, 3, v0
	global_load_b64 v[19:20], v19, s[18:19]
	s_waitcnt vmcnt(0)
	v_cmp_neq_f32_e32 vcc_lo, 0, v19
	v_cmp_neq_f32_e64 s2, 0, v20
	s_delay_alu instid0(VALU_DEP_1) | instskip(NEXT) | instid1(SALU_CYCLE_1)
	s_or_b32 s2, vcc_lo, s2
	v_cndmask_b32_e64 v19, 0, 1, s2
.LBB600_9:
	s_or_b32 exec_lo, exec_lo, s6
	v_or_b32_e32 v20, 0x80, v0
	s_mov_b32 s6, exec_lo
	s_delay_alu instid0(VALU_DEP_1)
	v_cmpx_gt_u32_e64 s3, v20
	s_cbranch_execz .LBB600_11
; %bb.10:
	v_lshlrev_b32_e32 v18, 3, v0
	global_load_b64 v[20:21], v18, s[18:19] offset:1024
	s_waitcnt vmcnt(0)
	v_cmp_neq_f32_e32 vcc_lo, 0, v20
	v_cmp_neq_f32_e64 s2, 0, v21
	s_delay_alu instid0(VALU_DEP_1) | instskip(NEXT) | instid1(SALU_CYCLE_1)
	s_or_b32 s2, vcc_lo, s2
	v_cndmask_b32_e64 v18, 0, 1, s2
.LBB600_11:
	s_or_b32 exec_lo, exec_lo, s6
	v_cmp_gt_u32_e32 vcc_lo, s3, v17
	v_dual_mov_b32 v17, 0 :: v_dual_mov_b32 v20, 0
	s_and_saveexec_b32 s6, vcc_lo
	s_cbranch_execz .LBB600_13
; %bb.12:
	v_lshlrev_b32_e32 v20, 3, v0
	global_load_b64 v[20:21], v20, s[18:19] offset:2048
	s_waitcnt vmcnt(0)
	v_cmp_neq_f32_e32 vcc_lo, 0, v20
	v_cmp_neq_f32_e64 s2, 0, v21
	s_delay_alu instid0(VALU_DEP_1) | instskip(NEXT) | instid1(SALU_CYCLE_1)
	s_or_b32 s2, vcc_lo, s2
	v_cndmask_b32_e64 v20, 0, 1, s2
.LBB600_13:
	s_or_b32 exec_lo, exec_lo, s6
	s_delay_alu instid0(SALU_CYCLE_1)
	s_mov_b32 s6, exec_lo
	v_cmpx_gt_u32_e64 s3, v16
	s_cbranch_execz .LBB600_15
; %bb.14:
	v_lshlrev_b32_e32 v16, 3, v0
	global_load_b64 v[16:17], v16, s[18:19] offset:3072
	s_waitcnt vmcnt(0)
	v_cmp_neq_f32_e32 vcc_lo, 0, v16
	v_cmp_neq_f32_e64 s2, 0, v17
	s_delay_alu instid0(VALU_DEP_1) | instskip(NEXT) | instid1(SALU_CYCLE_1)
	s_or_b32 s2, vcc_lo, s2
	v_cndmask_b32_e64 v17, 0, 1, s2
.LBB600_15:
	s_or_b32 exec_lo, exec_lo, s6
	v_dual_mov_b32 v16, 0 :: v_dual_mov_b32 v21, 0
	s_mov_b32 s6, exec_lo
	v_cmpx_gt_u32_e64 s3, v14
	s_cbranch_execz .LBB600_17
; %bb.16:
	v_lshlrev_b32_e32 v14, 3, v14
	global_load_b64 v[21:22], v14, s[18:19]
	s_waitcnt vmcnt(0)
	v_cmp_neq_f32_e32 vcc_lo, 0, v21
	v_cmp_neq_f32_e64 s2, 0, v22
	s_delay_alu instid0(VALU_DEP_1) | instskip(NEXT) | instid1(SALU_CYCLE_1)
	s_or_b32 s2, vcc_lo, s2
	v_cndmask_b32_e64 v21, 0, 1, s2
.LBB600_17:
	s_or_b32 exec_lo, exec_lo, s6
	v_cmp_gt_u32_e32 vcc_lo, s3, v13
	s_and_saveexec_b32 s3, vcc_lo
	s_cbranch_execz .LBB600_19
; %bb.18:
	v_lshlrev_b32_e32 v13, 3, v13
	global_load_b64 v[13:14], v13, s[18:19]
	s_waitcnt vmcnt(0)
	v_cmp_neq_f32_e32 vcc_lo, 0, v13
	v_cmp_neq_f32_e64 s2, 0, v14
	s_delay_alu instid0(VALU_DEP_1) | instskip(NEXT) | instid1(SALU_CYCLE_1)
	s_or_b32 s2, vcc_lo, s2
	v_cndmask_b32_e64 v16, 0, 1, s2
.LBB600_19:
	s_or_b32 exec_lo, exec_lo, s3
	ds_store_b8 v0, v19
	ds_store_b8 v0, v18 offset:128
	ds_store_b8 v0, v20 offset:256
	;; [unrolled: 1-line block ×5, first 2 shown]
	s_waitcnt lgkmcnt(0)
	s_barrier
.LBB600_20:
	v_mad_i32_i24 v43, 0xffffffd6, v0, v15
	s_waitcnt lgkmcnt(0)
	buffer_gl0_inv
	v_mbcnt_lo_u32_b32 v42, -1, 0
	s_cmp_lg_u32 s15, 0
	s_mov_b32 s3, -1
	ds_load_u16 v36, v43
	ds_load_u16 v33, v43 offset:2
	ds_load_u16 v31, v43 offset:4
	v_mov_b32_e32 v14, 0
	v_and_b32_e32 v44, 15, v42
	s_waitcnt lgkmcnt(0)
	s_barrier
	buffer_gl0_inv
	v_and_b32_e32 v41, 0xff, v36
	v_lshrrev_b16 v34, 8, v36
	v_lshrrev_b16 v35, 8, v33
	v_and_b32_e32 v39, 0xff, v33
	v_lshrrev_b16 v32, 8, v31
	v_and_b32_e32 v37, 0xff, v31
	v_and_b32_e32 v40, 0xffff, v34
	;; [unrolled: 1-line block ×3, first 2 shown]
	s_delay_alu instid0(VALU_DEP_4) | instskip(NEXT) | instid1(VALU_DEP_3)
	v_and_b32_e32 v16, 0xffff, v32
	v_add_co_u32 v13, s2, v40, v41
	s_delay_alu instid0(VALU_DEP_1) | instskip(SKIP_1) | instid1(VALU_DEP_3)
	v_add_co_ci_u32_e64 v15, null, 0, 0, s2
	v_cmp_ne_u32_e64 s2, 0, v44
	v_add_co_u32 v13, vcc_lo, v13, v39
	s_delay_alu instid0(VALU_DEP_3) | instskip(NEXT) | instid1(VALU_DEP_2)
	v_add_co_ci_u32_e32 v15, vcc_lo, 0, v15, vcc_lo
	v_add_co_u32 v13, vcc_lo, v13, v38
	s_delay_alu instid0(VALU_DEP_2) | instskip(NEXT) | instid1(VALU_DEP_2)
	v_add_co_ci_u32_e32 v15, vcc_lo, 0, v15, vcc_lo
	v_add_co_u32 v13, vcc_lo, v13, v37
	s_delay_alu instid0(VALU_DEP_2) | instskip(NEXT) | instid1(VALU_DEP_2)
	v_add_co_ci_u32_e32 v15, vcc_lo, 0, v15, vcc_lo
	v_add_co_u32 v21, vcc_lo, v13, v16
	s_delay_alu instid0(VALU_DEP_2)
	v_add_co_ci_u32_e32 v22, vcc_lo, 0, v15, vcc_lo
	s_cbranch_scc0 .LBB600_84
; %bb.21:
	s_delay_alu instid0(VALU_DEP_2)
	v_mov_b32_e32 v15, v21
	v_mov_b32_dpp v13, v21 row_shr:1 row_mask:0xf bank_mask:0xf
	v_mov_b32_dpp v18, v14 row_shr:1 row_mask:0xf bank_mask:0xf
	v_dual_mov_b32 v17, v21 :: v_dual_mov_b32 v16, v22
	s_and_saveexec_b32 s3, s2
; %bb.22:
	s_delay_alu instid0(VALU_DEP_3) | instskip(SKIP_1) | instid1(VALU_DEP_2)
	v_add_co_u32 v17, vcc_lo, v21, v13
	v_add_co_ci_u32_e32 v14, vcc_lo, 0, v22, vcc_lo
	v_add_co_u32 v13, vcc_lo, 0, v17
	s_delay_alu instid0(VALU_DEP_2) | instskip(NEXT) | instid1(VALU_DEP_1)
	v_add_co_ci_u32_e32 v14, vcc_lo, v18, v14, vcc_lo
	v_dual_mov_b32 v16, v14 :: v_dual_mov_b32 v15, v13
; %bb.23:
	s_or_b32 exec_lo, exec_lo, s3
	v_mov_b32_dpp v13, v17 row_shr:2 row_mask:0xf bank_mask:0xf
	v_mov_b32_dpp v18, v14 row_shr:2 row_mask:0xf bank_mask:0xf
	s_mov_b32 s3, exec_lo
	v_cmpx_lt_u32_e32 1, v44
; %bb.24:
	s_delay_alu instid0(VALU_DEP_3) | instskip(SKIP_1) | instid1(VALU_DEP_2)
	v_add_co_u32 v17, vcc_lo, v15, v13
	v_add_co_ci_u32_e32 v14, vcc_lo, 0, v16, vcc_lo
	v_add_co_u32 v13, vcc_lo, 0, v17
	s_delay_alu instid0(VALU_DEP_2) | instskip(NEXT) | instid1(VALU_DEP_1)
	v_add_co_ci_u32_e32 v14, vcc_lo, v18, v14, vcc_lo
	v_dual_mov_b32 v16, v14 :: v_dual_mov_b32 v15, v13
; %bb.25:
	s_or_b32 exec_lo, exec_lo, s3
	v_mov_b32_dpp v13, v17 row_shr:4 row_mask:0xf bank_mask:0xf
	v_mov_b32_dpp v18, v14 row_shr:4 row_mask:0xf bank_mask:0xf
	s_mov_b32 s3, exec_lo
	v_cmpx_lt_u32_e32 3, v44
	;; [unrolled: 14-line block ×3, first 2 shown]
; %bb.28:
	s_delay_alu instid0(VALU_DEP_3) | instskip(SKIP_1) | instid1(VALU_DEP_2)
	v_add_co_u32 v17, vcc_lo, v15, v18
	v_add_co_ci_u32_e32 v14, vcc_lo, 0, v16, vcc_lo
	v_add_co_u32 v15, vcc_lo, 0, v17
	s_delay_alu instid0(VALU_DEP_2) | instskip(NEXT) | instid1(VALU_DEP_1)
	v_add_co_ci_u32_e32 v16, vcc_lo, v13, v14, vcc_lo
	v_mov_b32_e32 v14, v16
; %bb.29:
	s_or_b32 exec_lo, exec_lo, s3
	ds_swizzle_b32 v13, v17 offset:swizzle(BROADCAST,32,15)
	ds_swizzle_b32 v18, v14 offset:swizzle(BROADCAST,32,15)
	v_and_b32_e32 v19, 16, v42
	s_mov_b32 s3, exec_lo
	s_delay_alu instid0(VALU_DEP_1)
	v_cmpx_ne_u32_e32 0, v19
	s_cbranch_execz .LBB600_31
; %bb.30:
	s_waitcnt lgkmcnt(1)
	v_add_co_u32 v17, vcc_lo, v15, v13
	v_add_co_ci_u32_e32 v14, vcc_lo, 0, v16, vcc_lo
	s_delay_alu instid0(VALU_DEP_2) | instskip(SKIP_1) | instid1(VALU_DEP_2)
	v_add_co_u32 v13, vcc_lo, 0, v17
	s_waitcnt lgkmcnt(0)
	v_add_co_ci_u32_e32 v14, vcc_lo, v18, v14, vcc_lo
	s_delay_alu instid0(VALU_DEP_1)
	v_dual_mov_b32 v16, v14 :: v_dual_mov_b32 v15, v13
.LBB600_31:
	s_or_b32 exec_lo, exec_lo, s3
	s_waitcnt lgkmcnt(0)
	v_or_b32_e32 v18, 31, v0
	v_lshrrev_b32_e32 v13, 5, v0
	s_mov_b32 s3, exec_lo
	s_delay_alu instid0(VALU_DEP_2)
	v_cmpx_eq_u32_e64 v18, v0
	s_cbranch_execz .LBB600_33
; %bb.32:
	s_delay_alu instid0(VALU_DEP_2)
	v_lshlrev_b32_e32 v18, 3, v13
	ds_store_b64 v18, v[15:16]
.LBB600_33:
	s_or_b32 exec_lo, exec_lo, s3
	s_delay_alu instid0(SALU_CYCLE_1)
	s_mov_b32 s3, exec_lo
	s_waitcnt lgkmcnt(0)
	s_barrier
	buffer_gl0_inv
	v_cmpx_gt_u32_e32 4, v0
	s_cbranch_execz .LBB600_39
; %bb.34:
	v_lshlrev_b32_e32 v18, 3, v0
	s_mov_b32 s6, exec_lo
	ds_load_b64 v[15:16], v18
	s_waitcnt lgkmcnt(0)
	v_dual_mov_b32 v20, v15 :: v_dual_and_b32 v19, 3, v42
	v_mov_b32_dpp v24, v15 row_shr:1 row_mask:0xf bank_mask:0xf
	v_mov_b32_dpp v23, v16 row_shr:1 row_mask:0xf bank_mask:0xf
	s_delay_alu instid0(VALU_DEP_3)
	v_cmpx_ne_u32_e32 0, v19
; %bb.35:
	s_delay_alu instid0(VALU_DEP_3) | instskip(SKIP_1) | instid1(VALU_DEP_2)
	v_add_co_u32 v20, vcc_lo, v15, v24
	v_add_co_ci_u32_e32 v16, vcc_lo, 0, v16, vcc_lo
	v_add_co_u32 v15, vcc_lo, 0, v20
	s_delay_alu instid0(VALU_DEP_2)
	v_add_co_ci_u32_e32 v16, vcc_lo, v23, v16, vcc_lo
; %bb.36:
	s_or_b32 exec_lo, exec_lo, s6
	v_mov_b32_dpp v23, v20 row_shr:2 row_mask:0xf bank_mask:0xf
	s_delay_alu instid0(VALU_DEP_2)
	v_mov_b32_dpp v20, v16 row_shr:2 row_mask:0xf bank_mask:0xf
	s_mov_b32 s6, exec_lo
	v_cmpx_lt_u32_e32 1, v19
; %bb.37:
	s_delay_alu instid0(VALU_DEP_3) | instskip(SKIP_1) | instid1(VALU_DEP_2)
	v_add_co_u32 v15, vcc_lo, v15, v23
	v_add_co_ci_u32_e32 v16, vcc_lo, 0, v16, vcc_lo
	v_add_co_u32 v15, vcc_lo, v15, 0
	s_delay_alu instid0(VALU_DEP_2)
	v_add_co_ci_u32_e32 v16, vcc_lo, v16, v20, vcc_lo
; %bb.38:
	s_or_b32 exec_lo, exec_lo, s6
	ds_store_b64 v18, v[15:16]
.LBB600_39:
	s_or_b32 exec_lo, exec_lo, s3
	v_cmp_gt_u32_e32 vcc_lo, 32, v0
	s_mov_b32 s6, exec_lo
	s_waitcnt lgkmcnt(0)
	s_barrier
	buffer_gl0_inv
                                        ; implicit-def: $vgpr23_vgpr24
	v_cmpx_lt_u32_e32 31, v0
	s_cbranch_execz .LBB600_41
; %bb.40:
	v_lshl_add_u32 v13, v13, 3, -8
	ds_load_b64 v[23:24], v13
	s_waitcnt lgkmcnt(0)
	v_add_co_u32 v17, s3, v17, v23
	s_delay_alu instid0(VALU_DEP_1)
	v_add_co_ci_u32_e64 v14, s3, v14, v24, s3
.LBB600_41:
	s_or_b32 exec_lo, exec_lo, s6
	v_add_nc_u32_e32 v13, -1, v42
	s_delay_alu instid0(VALU_DEP_1) | instskip(NEXT) | instid1(VALU_DEP_1)
	v_cmp_gt_i32_e64 s3, 0, v13
	v_cndmask_b32_e64 v13, v13, v42, s3
	v_cmp_eq_u32_e64 s3, 0, v42
	s_delay_alu instid0(VALU_DEP_2)
	v_lshlrev_b32_e32 v13, 2, v13
	ds_bpermute_b32 v29, v13, v17
	ds_bpermute_b32 v30, v13, v14
	s_and_saveexec_b32 s6, vcc_lo
	s_cbranch_execz .LBB600_79
; %bb.42:
	v_mov_b32_e32 v16, 0
	ds_load_b64 v[13:14], v16 offset:24
	s_and_saveexec_b32 s7, s3
	s_cbranch_execz .LBB600_44
; %bb.43:
	s_add_i32 s10, s15, 32
	s_mov_b32 s11, 0
	s_delay_alu instid0(SALU_CYCLE_1) | instskip(NEXT) | instid1(SALU_CYCLE_1)
	s_lshl_b64 s[10:11], s[10:11], 4
	s_add_u32 s10, s4, s10
	s_addc_u32 s11, s5, s11
	s_delay_alu instid0(SALU_CYCLE_1)
	v_dual_mov_b32 v15, 1 :: v_dual_mov_b32 v18, s11
	v_mov_b32_e32 v17, s10
	s_waitcnt lgkmcnt(0)
	;;#ASMSTART
	global_store_dwordx4 v[17:18], v[13:16] off	
s_waitcnt vmcnt(0)
	;;#ASMEND
.LBB600_44:
	s_or_b32 exec_lo, exec_lo, s7
	v_xad_u32 v25, v42, -1, s15
	s_mov_b32 s8, 0
	s_mov_b32 s7, exec_lo
	s_delay_alu instid0(VALU_DEP_1) | instskip(NEXT) | instid1(VALU_DEP_1)
	v_add_nc_u32_e32 v15, 32, v25
	v_lshlrev_b64 v[15:16], 4, v[15:16]
	s_delay_alu instid0(VALU_DEP_1) | instskip(NEXT) | instid1(VALU_DEP_2)
	v_add_co_u32 v15, vcc_lo, s4, v15
	v_add_co_ci_u32_e32 v16, vcc_lo, s5, v16, vcc_lo
	;;#ASMSTART
	global_load_dwordx4 v[17:20], v[15:16] off glc	
s_waitcnt vmcnt(0)
	;;#ASMEND
	v_and_b32_e32 v20, 0xff, v18
	v_and_b32_e32 v26, 0xff00, v18
	v_or3_b32 v17, v17, 0, 0
	v_and_b32_e32 v27, 0xff000000, v18
	v_and_b32_e32 v18, 0xff0000, v18
	s_delay_alu instid0(VALU_DEP_4) | instskip(SKIP_2) | instid1(VALU_DEP_3)
	v_or3_b32 v20, 0, v20, v26
	v_and_b32_e32 v26, 0xff, v19
	v_or3_b32 v17, v17, 0, 0
	v_or3_b32 v18, v20, v18, v27
	s_delay_alu instid0(VALU_DEP_3)
	v_cmpx_eq_u16_e32 0, v26
	s_cbranch_execz .LBB600_47
.LBB600_45:                             ; =>This Inner Loop Header: Depth=1
	;;#ASMSTART
	global_load_dwordx4 v[17:20], v[15:16] off glc	
s_waitcnt vmcnt(0)
	;;#ASMEND
	v_and_b32_e32 v20, 0xff, v19
	s_delay_alu instid0(VALU_DEP_1) | instskip(SKIP_1) | instid1(SALU_CYCLE_1)
	v_cmp_ne_u16_e32 vcc_lo, 0, v20
	s_or_b32 s8, vcc_lo, s8
	s_and_not1_b32 exec_lo, exec_lo, s8
	s_cbranch_execnz .LBB600_45
; %bb.46:
	s_or_b32 exec_lo, exec_lo, s8
.LBB600_47:
	s_delay_alu instid0(SALU_CYCLE_1)
	s_or_b32 exec_lo, exec_lo, s7
	v_cmp_ne_u32_e32 vcc_lo, 31, v42
	v_and_b32_e32 v16, 0xff, v19
	v_lshlrev_b32_e64 v46, v42, -1
	s_mov_b32 s7, exec_lo
	v_add_co_ci_u32_e32 v15, vcc_lo, 0, v42, vcc_lo
	s_delay_alu instid0(VALU_DEP_3) | instskip(NEXT) | instid1(VALU_DEP_2)
	v_cmp_eq_u16_e32 vcc_lo, 2, v16
	v_dual_mov_b32 v16, v17 :: v_dual_lshlrev_b32 v45, 2, v15
	v_and_or_b32 v15, vcc_lo, v46, 0x80000000
	ds_bpermute_b32 v26, v45, v17
	ds_bpermute_b32 v20, v45, v18
	v_ctz_i32_b32_e32 v15, v15
	s_delay_alu instid0(VALU_DEP_1)
	v_cmpx_lt_u32_e64 v42, v15
	s_cbranch_execz .LBB600_49
; %bb.48:
	s_waitcnt lgkmcnt(1)
	v_add_co_u32 v16, vcc_lo, v17, v26
	v_add_co_ci_u32_e32 v18, vcc_lo, 0, v18, vcc_lo
	s_delay_alu instid0(VALU_DEP_2) | instskip(SKIP_1) | instid1(VALU_DEP_2)
	v_add_co_u32 v17, vcc_lo, 0, v16
	s_waitcnt lgkmcnt(0)
	v_add_co_ci_u32_e32 v18, vcc_lo, v20, v18, vcc_lo
.LBB600_49:
	s_or_b32 exec_lo, exec_lo, s7
	v_cmp_gt_u32_e32 vcc_lo, 30, v42
	v_add_nc_u32_e32 v48, 2, v42
	s_mov_b32 s7, exec_lo
	s_waitcnt lgkmcnt(0)
	v_cndmask_b32_e64 v20, 0, 1, vcc_lo
	s_delay_alu instid0(VALU_DEP_1) | instskip(NEXT) | instid1(VALU_DEP_1)
	v_lshlrev_b32_e32 v20, 1, v20
	v_add_lshl_u32 v47, v20, v42, 2
	ds_bpermute_b32 v26, v47, v16
	ds_bpermute_b32 v20, v47, v18
	v_cmpx_le_u32_e64 v48, v15
	s_cbranch_execz .LBB600_51
; %bb.50:
	s_waitcnt lgkmcnt(1)
	v_add_co_u32 v16, vcc_lo, v17, v26
	v_add_co_ci_u32_e32 v18, vcc_lo, 0, v18, vcc_lo
	s_delay_alu instid0(VALU_DEP_2) | instskip(SKIP_1) | instid1(VALU_DEP_2)
	v_add_co_u32 v17, vcc_lo, 0, v16
	s_waitcnt lgkmcnt(0)
	v_add_co_ci_u32_e32 v18, vcc_lo, v20, v18, vcc_lo
.LBB600_51:
	s_or_b32 exec_lo, exec_lo, s7
	v_cmp_gt_u32_e32 vcc_lo, 28, v42
	v_add_nc_u32_e32 v50, 4, v42
	s_mov_b32 s7, exec_lo
	s_waitcnt lgkmcnt(0)
	v_cndmask_b32_e64 v20, 0, 1, vcc_lo
	s_delay_alu instid0(VALU_DEP_1) | instskip(NEXT) | instid1(VALU_DEP_1)
	v_lshlrev_b32_e32 v20, 2, v20
	v_add_lshl_u32 v49, v20, v42, 2
	ds_bpermute_b32 v26, v49, v16
	ds_bpermute_b32 v20, v49, v18
	v_cmpx_le_u32_e64 v50, v15
	;; [unrolled: 22-line block ×4, first 2 shown]
	s_cbranch_execz .LBB600_57
; %bb.56:
	s_waitcnt lgkmcnt(1)
	v_add_co_u32 v15, vcc_lo, v17, v20
	v_add_co_ci_u32_e32 v18, vcc_lo, 0, v18, vcc_lo
	s_delay_alu instid0(VALU_DEP_2) | instskip(SKIP_1) | instid1(VALU_DEP_2)
	v_add_co_u32 v17, vcc_lo, v15, 0
	s_waitcnt lgkmcnt(0)
	v_add_co_ci_u32_e32 v18, vcc_lo, v18, v16, vcc_lo
.LBB600_57:
	s_or_b32 exec_lo, exec_lo, s7
	v_mov_b32_e32 v26, 0
	s_branch .LBB600_59
.LBB600_58:                             ;   in Loop: Header=BB600_59 Depth=1
	s_or_b32 exec_lo, exec_lo, s7
	v_add_co_u32 v17, vcc_lo, v17, v15
	v_subrev_nc_u32_e32 v25, 32, v25
	v_add_co_ci_u32_e32 v18, vcc_lo, v18, v16, vcc_lo
.LBB600_59:                             ; =>This Loop Header: Depth=1
                                        ;     Child Loop BB600_62 Depth 2
	v_and_b32_e32 v15, 0xff, v19
	s_delay_alu instid0(VALU_DEP_1) | instskip(SKIP_2) | instid1(VALU_DEP_1)
	v_cmp_ne_u16_e32 vcc_lo, 2, v15
	v_cndmask_b32_e64 v15, 0, 1, vcc_lo
	;;#ASMSTART
	;;#ASMEND
	v_cmp_ne_u32_e32 vcc_lo, 0, v15
	s_waitcnt lgkmcnt(0)
	v_dual_mov_b32 v15, v17 :: v_dual_mov_b32 v16, v18
	s_cmp_lg_u32 vcc_lo, exec_lo
	s_cbranch_scc1 .LBB600_74
; %bb.60:                               ;   in Loop: Header=BB600_59 Depth=1
	v_lshlrev_b64 v[17:18], 4, v[25:26]
	s_mov_b32 s7, exec_lo
	s_delay_alu instid0(VALU_DEP_1) | instskip(NEXT) | instid1(VALU_DEP_2)
	v_add_co_u32 v27, vcc_lo, s4, v17
	v_add_co_ci_u32_e32 v28, vcc_lo, s5, v18, vcc_lo
	;;#ASMSTART
	global_load_dwordx4 v[17:20], v[27:28] off glc	
s_waitcnt vmcnt(0)
	;;#ASMEND
	v_and_b32_e32 v20, 0xff, v18
	v_and_b32_e32 v55, 0xff00, v18
	v_or3_b32 v17, v17, 0, 0
	v_and_b32_e32 v56, 0xff000000, v18
	v_and_b32_e32 v18, 0xff0000, v18
	s_delay_alu instid0(VALU_DEP_4) | instskip(SKIP_2) | instid1(VALU_DEP_3)
	v_or3_b32 v20, 0, v20, v55
	v_and_b32_e32 v55, 0xff, v19
	v_or3_b32 v17, v17, 0, 0
	v_or3_b32 v18, v20, v18, v56
	s_delay_alu instid0(VALU_DEP_3)
	v_cmpx_eq_u16_e32 0, v55
	s_cbranch_execz .LBB600_64
; %bb.61:                               ;   in Loop: Header=BB600_59 Depth=1
	s_mov_b32 s8, 0
.LBB600_62:                             ;   Parent Loop BB600_59 Depth=1
                                        ; =>  This Inner Loop Header: Depth=2
	;;#ASMSTART
	global_load_dwordx4 v[17:20], v[27:28] off glc	
s_waitcnt vmcnt(0)
	;;#ASMEND
	v_and_b32_e32 v20, 0xff, v19
	s_delay_alu instid0(VALU_DEP_1) | instskip(SKIP_1) | instid1(SALU_CYCLE_1)
	v_cmp_ne_u16_e32 vcc_lo, 0, v20
	s_or_b32 s8, vcc_lo, s8
	s_and_not1_b32 exec_lo, exec_lo, s8
	s_cbranch_execnz .LBB600_62
; %bb.63:                               ;   in Loop: Header=BB600_59 Depth=1
	s_or_b32 exec_lo, exec_lo, s8
.LBB600_64:                             ;   in Loop: Header=BB600_59 Depth=1
	s_delay_alu instid0(SALU_CYCLE_1)
	s_or_b32 exec_lo, exec_lo, s7
	v_dual_mov_b32 v27, v17 :: v_dual_and_b32 v20, 0xff, v19
	ds_bpermute_b32 v55, v45, v17
	ds_bpermute_b32 v28, v45, v18
	s_mov_b32 s7, exec_lo
	v_cmp_eq_u16_e32 vcc_lo, 2, v20
	v_and_or_b32 v20, vcc_lo, v46, 0x80000000
	s_delay_alu instid0(VALU_DEP_1) | instskip(NEXT) | instid1(VALU_DEP_1)
	v_ctz_i32_b32_e32 v20, v20
	v_cmpx_lt_u32_e64 v42, v20
	s_cbranch_execz .LBB600_66
; %bb.65:                               ;   in Loop: Header=BB600_59 Depth=1
	s_waitcnt lgkmcnt(1)
	v_add_co_u32 v27, vcc_lo, v17, v55
	v_add_co_ci_u32_e32 v18, vcc_lo, 0, v18, vcc_lo
	s_delay_alu instid0(VALU_DEP_2) | instskip(SKIP_1) | instid1(VALU_DEP_2)
	v_add_co_u32 v17, vcc_lo, 0, v27
	s_waitcnt lgkmcnt(0)
	v_add_co_ci_u32_e32 v18, vcc_lo, v28, v18, vcc_lo
.LBB600_66:                             ;   in Loop: Header=BB600_59 Depth=1
	s_or_b32 exec_lo, exec_lo, s7
	s_waitcnt lgkmcnt(1)
	ds_bpermute_b32 v55, v47, v27
	s_waitcnt lgkmcnt(1)
	ds_bpermute_b32 v28, v47, v18
	s_mov_b32 s7, exec_lo
	v_cmpx_le_u32_e64 v48, v20
	s_cbranch_execz .LBB600_68
; %bb.67:                               ;   in Loop: Header=BB600_59 Depth=1
	s_waitcnt lgkmcnt(1)
	v_add_co_u32 v27, vcc_lo, v17, v55
	v_add_co_ci_u32_e32 v18, vcc_lo, 0, v18, vcc_lo
	s_delay_alu instid0(VALU_DEP_2) | instskip(SKIP_1) | instid1(VALU_DEP_2)
	v_add_co_u32 v17, vcc_lo, 0, v27
	s_waitcnt lgkmcnt(0)
	v_add_co_ci_u32_e32 v18, vcc_lo, v28, v18, vcc_lo
.LBB600_68:                             ;   in Loop: Header=BB600_59 Depth=1
	s_or_b32 exec_lo, exec_lo, s7
	s_waitcnt lgkmcnt(1)
	ds_bpermute_b32 v55, v49, v27
	s_waitcnt lgkmcnt(1)
	ds_bpermute_b32 v28, v49, v18
	s_mov_b32 s7, exec_lo
	v_cmpx_le_u32_e64 v50, v20
	;; [unrolled: 17-line block ×3, first 2 shown]
	s_cbranch_execz .LBB600_72
; %bb.71:                               ;   in Loop: Header=BB600_59 Depth=1
	s_waitcnt lgkmcnt(1)
	v_add_co_u32 v27, vcc_lo, v17, v55
	v_add_co_ci_u32_e32 v18, vcc_lo, 0, v18, vcc_lo
	s_delay_alu instid0(VALU_DEP_2) | instskip(SKIP_1) | instid1(VALU_DEP_2)
	v_add_co_u32 v17, vcc_lo, 0, v27
	s_waitcnt lgkmcnt(0)
	v_add_co_ci_u32_e32 v18, vcc_lo, v28, v18, vcc_lo
.LBB600_72:                             ;   in Loop: Header=BB600_59 Depth=1
	s_or_b32 exec_lo, exec_lo, s7
	s_waitcnt lgkmcnt(0)
	ds_bpermute_b32 v28, v53, v27
	ds_bpermute_b32 v27, v53, v18
	s_mov_b32 s7, exec_lo
	v_cmpx_le_u32_e64 v54, v20
	s_cbranch_execz .LBB600_58
; %bb.73:                               ;   in Loop: Header=BB600_59 Depth=1
	s_waitcnt lgkmcnt(1)
	v_add_co_u32 v17, vcc_lo, v17, v28
	v_add_co_ci_u32_e32 v18, vcc_lo, 0, v18, vcc_lo
	s_delay_alu instid0(VALU_DEP_2) | instskip(SKIP_1) | instid1(VALU_DEP_2)
	v_add_co_u32 v17, vcc_lo, v17, 0
	s_waitcnt lgkmcnt(0)
	v_add_co_ci_u32_e32 v18, vcc_lo, v18, v27, vcc_lo
	s_branch .LBB600_58
.LBB600_74:                             ;   in Loop: Header=BB600_59 Depth=1
                                        ; implicit-def: $vgpr17_vgpr18
	s_cbranch_execz .LBB600_59
; %bb.75:
	s_and_saveexec_b32 s7, s3
	s_cbranch_execz .LBB600_77
; %bb.76:
	s_add_i32 s10, s15, 32
	s_mov_b32 s11, 0
	v_add_co_u32 v17, vcc_lo, v15, v13
	s_lshl_b64 s[10:11], s[10:11], 4
	v_dual_mov_b32 v19, 2 :: v_dual_mov_b32 v20, 0
	s_add_u32 s10, s4, s10
	s_addc_u32 s11, s5, s11
	v_add_co_ci_u32_e32 v18, vcc_lo, v16, v14, vcc_lo
	v_dual_mov_b32 v26, s11 :: v_dual_mov_b32 v25, s10
	;;#ASMSTART
	global_store_dwordx4 v[25:26], v[17:20] off	
s_waitcnt vmcnt(0)
	;;#ASMEND
	ds_store_b128 v20, v[13:16] offset:6144
.LBB600_77:
	s_or_b32 exec_lo, exec_lo, s7
	v_cmp_eq_u32_e32 vcc_lo, 0, v0
	s_and_b32 exec_lo, exec_lo, vcc_lo
	s_cbranch_execz .LBB600_79
; %bb.78:
	v_mov_b32_e32 v13, 0
	ds_store_b64 v13, v[15:16] offset:24
.LBB600_79:
	s_or_b32 exec_lo, exec_lo, s6
	s_waitcnt lgkmcnt(1)
	v_cndmask_b32_e64 v16, v29, v23, s3
	v_cmp_ne_u32_e32 vcc_lo, 0, v0
	v_mov_b32_e32 v15, 0
	s_waitcnt lgkmcnt(0)
	s_barrier
	buffer_gl0_inv
	v_cndmask_b32_e32 v16, 0, v16, vcc_lo
	ds_load_b64 v[13:14], v15 offset:24
	v_cndmask_b32_e64 v17, v30, v24, s3
	s_waitcnt lgkmcnt(0)
	s_barrier
	buffer_gl0_inv
	v_cndmask_b32_e32 v17, 0, v17, vcc_lo
	v_add_co_u32 v29, vcc_lo, v13, v16
	s_delay_alu instid0(VALU_DEP_2) | instskip(SKIP_3) | instid1(VALU_DEP_2)
	v_add_co_ci_u32_e32 v30, vcc_lo, v14, v17, vcc_lo
	ds_load_b128 v[13:16], v15 offset:6144
	v_add_co_u32 v27, vcc_lo, v29, v41
	v_add_co_ci_u32_e32 v28, vcc_lo, 0, v30, vcc_lo
	v_add_co_u32 v25, vcc_lo, v27, v40
	s_delay_alu instid0(VALU_DEP_2) | instskip(NEXT) | instid1(VALU_DEP_2)
	v_add_co_ci_u32_e32 v26, vcc_lo, 0, v28, vcc_lo
	v_add_co_u32 v23, vcc_lo, v25, v39
	s_delay_alu instid0(VALU_DEP_2) | instskip(NEXT) | instid1(VALU_DEP_2)
	;; [unrolled: 3-line block ×3, first 2 shown]
	v_add_co_ci_u32_e32 v20, vcc_lo, 0, v24, vcc_lo
	v_add_co_u32 v17, vcc_lo, v19, v37
	s_delay_alu instid0(VALU_DEP_2)
	v_add_co_ci_u32_e32 v18, vcc_lo, 0, v20, vcc_lo
	s_load_b64 s[6:7], s[0:1], 0x30
.LBB600_80:
	s_waitcnt lgkmcnt(0)
	v_cmp_gt_u64_e32 vcc_lo, 0x81, v[13:14]
	s_mov_b32 s0, -1
	s_cbranch_vccnz .LBB600_108
.LBB600_81:
	s_and_b32 vcc_lo, exec_lo, s0
	s_cbranch_vccnz .LBB600_127
.LBB600_82:
	v_cmp_eq_u32_e32 vcc_lo, 0, v0
	s_and_b32 s0, vcc_lo, s9
	s_delay_alu instid0(SALU_CYCLE_1)
	s_and_saveexec_b32 s1, s0
	s_cbranch_execnz .LBB600_143
.LBB600_83:
	s_nop 0
	s_sendmsg sendmsg(MSG_DEALLOC_VGPRS)
	s_endpgm
.LBB600_84:
                                        ; kill: def $vgpr13_vgpr14 killed $sgpr0_sgpr1 killed $exec
                                        ; implicit-def: $vgpr17_vgpr18
                                        ; implicit-def: $vgpr19_vgpr20
                                        ; implicit-def: $vgpr23_vgpr24
                                        ; implicit-def: $vgpr25_vgpr26
                                        ; implicit-def: $vgpr27_vgpr28
                                        ; implicit-def: $vgpr29_vgpr30
                                        ; implicit-def: $vgpr15_vgpr16
	s_load_b64 s[6:7], s[0:1], 0x30
	s_and_b32 vcc_lo, exec_lo, s3
	s_cbranch_vccz .LBB600_80
; %bb.85:
	s_waitcnt lgkmcnt(0)
	v_dual_mov_b32 v14, 0 :: v_dual_mov_b32 v15, v21
	v_mov_b32_dpp v16, v21 row_shr:1 row_mask:0xf bank_mask:0xf
	s_delay_alu instid0(VALU_DEP_2)
	v_mov_b32_dpp v13, v14 row_shr:1 row_mask:0xf bank_mask:0xf
	s_and_saveexec_b32 s0, s2
; %bb.86:
	s_delay_alu instid0(VALU_DEP_2) | instskip(SKIP_1) | instid1(VALU_DEP_2)
	v_add_co_u32 v15, vcc_lo, v21, v16
	v_add_co_ci_u32_e32 v14, vcc_lo, 0, v22, vcc_lo
	v_add_co_u32 v21, vcc_lo, 0, v15
	s_delay_alu instid0(VALU_DEP_2) | instskip(NEXT) | instid1(VALU_DEP_1)
	v_add_co_ci_u32_e32 v22, vcc_lo, v13, v14, vcc_lo
	v_mov_b32_e32 v14, v22
; %bb.87:
	s_or_b32 exec_lo, exec_lo, s0
	v_mov_b32_dpp v13, v15 row_shr:2 row_mask:0xf bank_mask:0xf
	s_delay_alu instid0(VALU_DEP_2)
	v_mov_b32_dpp v16, v14 row_shr:2 row_mask:0xf bank_mask:0xf
	s_mov_b32 s0, exec_lo
	v_cmpx_lt_u32_e32 1, v44
; %bb.88:
	s_delay_alu instid0(VALU_DEP_3) | instskip(SKIP_1) | instid1(VALU_DEP_2)
	v_add_co_u32 v15, vcc_lo, v21, v13
	v_add_co_ci_u32_e32 v14, vcc_lo, 0, v22, vcc_lo
	v_add_co_u32 v13, vcc_lo, 0, v15
	s_delay_alu instid0(VALU_DEP_2) | instskip(NEXT) | instid1(VALU_DEP_1)
	v_add_co_ci_u32_e32 v14, vcc_lo, v16, v14, vcc_lo
	v_dual_mov_b32 v22, v14 :: v_dual_mov_b32 v21, v13
; %bb.89:
	s_or_b32 exec_lo, exec_lo, s0
	v_mov_b32_dpp v13, v15 row_shr:4 row_mask:0xf bank_mask:0xf
	v_mov_b32_dpp v16, v14 row_shr:4 row_mask:0xf bank_mask:0xf
	s_mov_b32 s0, exec_lo
	v_cmpx_lt_u32_e32 3, v44
; %bb.90:
	s_delay_alu instid0(VALU_DEP_3) | instskip(SKIP_1) | instid1(VALU_DEP_2)
	v_add_co_u32 v15, vcc_lo, v21, v13
	v_add_co_ci_u32_e32 v14, vcc_lo, 0, v22, vcc_lo
	v_add_co_u32 v13, vcc_lo, 0, v15
	s_delay_alu instid0(VALU_DEP_2) | instskip(NEXT) | instid1(VALU_DEP_1)
	v_add_co_ci_u32_e32 v14, vcc_lo, v16, v14, vcc_lo
	v_dual_mov_b32 v22, v14 :: v_dual_mov_b32 v21, v13
; %bb.91:
	s_or_b32 exec_lo, exec_lo, s0
	v_mov_b32_dpp v16, v15 row_shr:8 row_mask:0xf bank_mask:0xf
	v_mov_b32_dpp v13, v14 row_shr:8 row_mask:0xf bank_mask:0xf
	s_mov_b32 s0, exec_lo
	v_cmpx_lt_u32_e32 7, v44
; %bb.92:
	s_delay_alu instid0(VALU_DEP_3) | instskip(SKIP_1) | instid1(VALU_DEP_2)
	v_add_co_u32 v15, vcc_lo, v21, v16
	v_add_co_ci_u32_e32 v14, vcc_lo, 0, v22, vcc_lo
	v_add_co_u32 v21, vcc_lo, 0, v15
	s_delay_alu instid0(VALU_DEP_2) | instskip(NEXT) | instid1(VALU_DEP_1)
	v_add_co_ci_u32_e32 v22, vcc_lo, v13, v14, vcc_lo
	v_mov_b32_e32 v14, v22
; %bb.93:
	s_or_b32 exec_lo, exec_lo, s0
	ds_swizzle_b32 v15, v15 offset:swizzle(BROADCAST,32,15)
	ds_swizzle_b32 v13, v14 offset:swizzle(BROADCAST,32,15)
	v_and_b32_e32 v14, 16, v42
	s_mov_b32 s0, exec_lo
	s_delay_alu instid0(VALU_DEP_1)
	v_cmpx_ne_u32_e32 0, v14
	s_cbranch_execz .LBB600_95
; %bb.94:
	s_waitcnt lgkmcnt(1)
	v_add_co_u32 v14, vcc_lo, v21, v15
	v_add_co_ci_u32_e32 v15, vcc_lo, 0, v22, vcc_lo
	s_delay_alu instid0(VALU_DEP_2) | instskip(SKIP_1) | instid1(VALU_DEP_2)
	v_add_co_u32 v21, vcc_lo, v14, 0
	s_waitcnt lgkmcnt(0)
	v_add_co_ci_u32_e32 v22, vcc_lo, v15, v13, vcc_lo
.LBB600_95:
	s_or_b32 exec_lo, exec_lo, s0
	s_waitcnt lgkmcnt(0)
	v_or_b32_e32 v13, 31, v0
	v_lshrrev_b32_e32 v15, 5, v0
	s_mov_b32 s0, exec_lo
	s_delay_alu instid0(VALU_DEP_2)
	v_cmpx_eq_u32_e64 v13, v0
	s_cbranch_execz .LBB600_97
; %bb.96:
	s_delay_alu instid0(VALU_DEP_2)
	v_lshlrev_b32_e32 v13, 3, v15
	ds_store_b64 v13, v[21:22]
.LBB600_97:
	s_or_b32 exec_lo, exec_lo, s0
	s_delay_alu instid0(SALU_CYCLE_1)
	s_mov_b32 s0, exec_lo
	s_waitcnt lgkmcnt(0)
	s_barrier
	buffer_gl0_inv
	v_cmpx_gt_u32_e32 4, v0
	s_cbranch_execz .LBB600_103
; %bb.98:
	v_lshlrev_b32_e32 v13, 1, v0
	s_mov_b32 s1, exec_lo
	s_delay_alu instid0(VALU_DEP_1)
	v_add_nc_u32_e32 v16, v43, v13
	ds_load_b64 v[13:14], v16
	s_waitcnt lgkmcnt(0)
	v_dual_mov_b32 v18, v13 :: v_dual_and_b32 v17, 3, v42
	v_mov_b32_dpp v20, v13 row_shr:1 row_mask:0xf bank_mask:0xf
	v_mov_b32_dpp v19, v14 row_shr:1 row_mask:0xf bank_mask:0xf
	s_delay_alu instid0(VALU_DEP_3)
	v_cmpx_ne_u32_e32 0, v17
; %bb.99:
	s_delay_alu instid0(VALU_DEP_3) | instskip(SKIP_1) | instid1(VALU_DEP_2)
	v_add_co_u32 v18, vcc_lo, v13, v20
	v_add_co_ci_u32_e32 v14, vcc_lo, 0, v14, vcc_lo
	v_add_co_u32 v13, vcc_lo, 0, v18
	s_delay_alu instid0(VALU_DEP_2)
	v_add_co_ci_u32_e32 v14, vcc_lo, v19, v14, vcc_lo
; %bb.100:
	s_or_b32 exec_lo, exec_lo, s1
	v_mov_b32_dpp v19, v18 row_shr:2 row_mask:0xf bank_mask:0xf
	s_delay_alu instid0(VALU_DEP_2)
	v_mov_b32_dpp v18, v14 row_shr:2 row_mask:0xf bank_mask:0xf
	s_mov_b32 s1, exec_lo
	v_cmpx_lt_u32_e32 1, v17
; %bb.101:
	s_delay_alu instid0(VALU_DEP_3) | instskip(SKIP_1) | instid1(VALU_DEP_2)
	v_add_co_u32 v13, vcc_lo, v13, v19
	v_add_co_ci_u32_e32 v14, vcc_lo, 0, v14, vcc_lo
	v_add_co_u32 v13, vcc_lo, v13, 0
	s_delay_alu instid0(VALU_DEP_2)
	v_add_co_ci_u32_e32 v14, vcc_lo, v14, v18, vcc_lo
; %bb.102:
	s_or_b32 exec_lo, exec_lo, s1
	ds_store_b64 v16, v[13:14]
.LBB600_103:
	s_or_b32 exec_lo, exec_lo, s0
	v_mov_b32_e32 v17, 0
	v_mov_b32_e32 v18, 0
	s_mov_b32 s0, exec_lo
	s_waitcnt lgkmcnt(0)
	s_barrier
	buffer_gl0_inv
	v_cmpx_lt_u32_e32 31, v0
	s_cbranch_execz .LBB600_105
; %bb.104:
	v_lshl_add_u32 v13, v15, 3, -8
	ds_load_b64 v[17:18], v13
.LBB600_105:
	s_or_b32 exec_lo, exec_lo, s0
	v_dual_mov_b32 v16, 0 :: v_dual_add_nc_u32 v13, -1, v42
	s_delay_alu instid0(VALU_DEP_1) | instskip(SKIP_4) | instid1(VALU_DEP_3)
	v_cmp_gt_i32_e32 vcc_lo, 0, v13
	v_cndmask_b32_e32 v13, v13, v42, vcc_lo
	s_waitcnt lgkmcnt(0)
	v_add_co_u32 v14, vcc_lo, v17, v21
	v_add_co_ci_u32_e32 v15, vcc_lo, v18, v22, vcc_lo
	v_lshlrev_b32_e32 v13, 2, v13
	v_cmp_eq_u32_e32 vcc_lo, 0, v0
	ds_bpermute_b32 v19, v13, v14
	ds_bpermute_b32 v20, v13, v15
	ds_load_b64 v[13:14], v16 offset:24
	s_and_saveexec_b32 s0, vcc_lo
	s_cbranch_execz .LBB600_107
; %bb.106:
	s_add_u32 s2, s4, 0x200
	s_addc_u32 s3, s5, 0
	s_delay_alu instid0(SALU_CYCLE_1)
	v_dual_mov_b32 v15, 2 :: v_dual_mov_b32 v22, s3
	v_mov_b32_e32 v21, s2
	s_waitcnt lgkmcnt(0)
	;;#ASMSTART
	global_store_dwordx4 v[21:22], v[13:16] off	
s_waitcnt vmcnt(0)
	;;#ASMEND
.LBB600_107:
	s_or_b32 exec_lo, exec_lo, s0
	v_cmp_eq_u32_e64 s0, 0, v42
	s_waitcnt lgkmcnt(0)
	s_barrier
	buffer_gl0_inv
	v_cndmask_b32_e64 v15, v19, v17, s0
	v_cndmask_b32_e64 v16, v20, v18, s0
	s_delay_alu instid0(VALU_DEP_2) | instskip(NEXT) | instid1(VALU_DEP_2)
	v_cndmask_b32_e64 v29, v15, 0, vcc_lo
	v_cndmask_b32_e64 v30, v16, 0, vcc_lo
	v_mov_b32_e32 v15, 0
	v_mov_b32_e32 v16, 0
	s_delay_alu instid0(VALU_DEP_4) | instskip(NEXT) | instid1(VALU_DEP_4)
	v_add_co_u32 v27, vcc_lo, v29, v41
	v_add_co_ci_u32_e32 v28, vcc_lo, 0, v30, vcc_lo
	s_delay_alu instid0(VALU_DEP_2) | instskip(NEXT) | instid1(VALU_DEP_2)
	v_add_co_u32 v25, vcc_lo, v27, v40
	v_add_co_ci_u32_e32 v26, vcc_lo, 0, v28, vcc_lo
	s_delay_alu instid0(VALU_DEP_2) | instskip(NEXT) | instid1(VALU_DEP_2)
	;; [unrolled: 3-line block ×4, first 2 shown]
	v_add_co_u32 v17, vcc_lo, v19, v37
	v_add_co_ci_u32_e32 v18, vcc_lo, 0, v20, vcc_lo
	v_cmp_gt_u64_e32 vcc_lo, 0x81, v[13:14]
	s_mov_b32 s0, -1
	s_cbranch_vccz .LBB600_81
.LBB600_108:
	v_add_co_u32 v21, vcc_lo, v15, v13
	v_add_co_ci_u32_e32 v22, vcc_lo, v16, v14, vcc_lo
	s_delay_alu instid0(VALU_DEP_1) | instskip(SKIP_1) | instid1(SALU_CYCLE_1)
	v_cmp_lt_u64_e32 vcc_lo, v[29:30], v[21:22]
	s_or_b32 s1, s14, vcc_lo
	s_and_saveexec_b32 s0, s1
	s_cbranch_execz .LBB600_111
; %bb.109:
	v_and_b32_e32 v37, 1, v36
	s_delay_alu instid0(VALU_DEP_1)
	v_cmp_eq_u32_e32 vcc_lo, 1, v37
	s_and_b32 exec_lo, exec_lo, vcc_lo
	s_cbranch_execz .LBB600_111
; %bb.110:
	v_lshlrev_b64 v[37:38], 3, v[29:30]
	s_lshl_b64 s[2:3], s[12:13], 3
	s_delay_alu instid0(SALU_CYCLE_1) | instskip(SKIP_1) | instid1(VALU_DEP_1)
	s_add_u32 s1, s6, s2
	s_addc_u32 s2, s7, s3
	v_add_co_u32 v37, vcc_lo, s1, v37
	s_delay_alu instid0(VALU_DEP_2)
	v_add_co_ci_u32_e32 v38, vcc_lo, s2, v38, vcc_lo
	global_store_b64 v[37:38], v[9:10], off
.LBB600_111:
	s_or_b32 exec_lo, exec_lo, s0
	v_cmp_lt_u64_e32 vcc_lo, v[27:28], v[21:22]
	s_or_b32 s1, s14, vcc_lo
	s_delay_alu instid0(SALU_CYCLE_1)
	s_and_saveexec_b32 s0, s1
	s_cbranch_execz .LBB600_114
; %bb.112:
	v_and_b32_e32 v30, 1, v34
	s_delay_alu instid0(VALU_DEP_1)
	v_cmp_eq_u32_e32 vcc_lo, 1, v30
	s_and_b32 exec_lo, exec_lo, vcc_lo
	s_cbranch_execz .LBB600_114
; %bb.113:
	v_lshlrev_b64 v[37:38], 3, v[27:28]
	s_lshl_b64 s[2:3], s[12:13], 3
	s_delay_alu instid0(SALU_CYCLE_1) | instskip(SKIP_1) | instid1(VALU_DEP_1)
	s_add_u32 s1, s6, s2
	s_addc_u32 s2, s7, s3
	v_add_co_u32 v37, vcc_lo, s1, v37
	s_delay_alu instid0(VALU_DEP_2)
	v_add_co_ci_u32_e32 v38, vcc_lo, s2, v38, vcc_lo
	global_store_b64 v[37:38], v[11:12], off
.LBB600_114:
	s_or_b32 exec_lo, exec_lo, s0
	v_cmp_lt_u64_e32 vcc_lo, v[25:26], v[21:22]
	s_or_b32 s1, s14, vcc_lo
	s_delay_alu instid0(SALU_CYCLE_1)
	;; [unrolled: 23-line block ×5, first 2 shown]
	s_and_saveexec_b32 s0, s1
	s_cbranch_execz .LBB600_126
; %bb.124:
	v_and_b32_e32 v20, 1, v32
	s_delay_alu instid0(VALU_DEP_1)
	v_cmp_eq_u32_e32 vcc_lo, 1, v20
	s_and_b32 exec_lo, exec_lo, vcc_lo
	s_cbranch_execz .LBB600_126
; %bb.125:
	v_lshlrev_b64 v[20:21], 3, v[17:18]
	s_lshl_b64 s[2:3], s[12:13], 3
	s_delay_alu instid0(SALU_CYCLE_1) | instskip(SKIP_1) | instid1(VALU_DEP_1)
	s_add_u32 s1, s6, s2
	s_addc_u32 s2, s7, s3
	v_add_co_u32 v20, vcc_lo, s1, v20
	s_delay_alu instid0(VALU_DEP_2)
	v_add_co_ci_u32_e32 v21, vcc_lo, s2, v21, vcc_lo
	global_store_b64 v[20:21], v[3:4], off
.LBB600_126:
	s_or_b32 exec_lo, exec_lo, s0
	s_branch .LBB600_82
.LBB600_127:
	v_and_b32_e32 v18, 1, v36
	s_mov_b32 s0, exec_lo
	s_delay_alu instid0(VALU_DEP_1)
	v_cmpx_eq_u32_e32 1, v18
	s_cbranch_execz .LBB600_129
; %bb.128:
	v_sub_nc_u32_e32 v18, v29, v15
	s_delay_alu instid0(VALU_DEP_1)
	v_lshlrev_b32_e32 v18, 3, v18
	ds_store_b64 v18, v[9:10]
.LBB600_129:
	s_or_b32 exec_lo, exec_lo, s0
	v_and_b32_e32 v9, 1, v34
	s_mov_b32 s0, exec_lo
	s_delay_alu instid0(VALU_DEP_1)
	v_cmpx_eq_u32_e32 1, v9
	s_cbranch_execz .LBB600_131
; %bb.130:
	v_sub_nc_u32_e32 v9, v27, v15
	s_delay_alu instid0(VALU_DEP_1)
	v_lshlrev_b32_e32 v9, 3, v9
	ds_store_b64 v9, v[11:12]
.LBB600_131:
	s_or_b32 exec_lo, exec_lo, s0
	v_and_b32_e32 v9, 1, v33
	s_mov_b32 s0, exec_lo
	s_delay_alu instid0(VALU_DEP_1)
	v_cmpx_eq_u32_e32 1, v9
	s_cbranch_execz .LBB600_133
; %bb.132:
	v_sub_nc_u32_e32 v9, v25, v15
	s_delay_alu instid0(VALU_DEP_1)
	v_lshlrev_b32_e32 v9, 3, v9
	ds_store_b64 v9, v[5:6]
.LBB600_133:
	s_or_b32 exec_lo, exec_lo, s0
	v_and_b32_e32 v5, 1, v35
	s_mov_b32 s0, exec_lo
	s_delay_alu instid0(VALU_DEP_1)
	v_cmpx_eq_u32_e32 1, v5
	s_cbranch_execz .LBB600_135
; %bb.134:
	v_sub_nc_u32_e32 v5, v23, v15
	s_delay_alu instid0(VALU_DEP_1)
	v_lshlrev_b32_e32 v5, 3, v5
	ds_store_b64 v5, v[7:8]
.LBB600_135:
	s_or_b32 exec_lo, exec_lo, s0
	v_and_b32_e32 v5, 1, v31
	s_mov_b32 s0, exec_lo
	s_delay_alu instid0(VALU_DEP_1)
	v_cmpx_eq_u32_e32 1, v5
	s_cbranch_execz .LBB600_137
; %bb.136:
	v_sub_nc_u32_e32 v5, v19, v15
	s_delay_alu instid0(VALU_DEP_1)
	v_lshlrev_b32_e32 v5, 3, v5
	ds_store_b64 v5, v[1:2]
.LBB600_137:
	s_or_b32 exec_lo, exec_lo, s0
	v_and_b32_e32 v1, 1, v32
	s_mov_b32 s0, exec_lo
	s_delay_alu instid0(VALU_DEP_1)
	v_cmpx_eq_u32_e32 1, v1
	s_cbranch_execz .LBB600_139
; %bb.138:
	v_sub_nc_u32_e32 v1, v17, v15
	s_delay_alu instid0(VALU_DEP_1)
	v_lshlrev_b32_e32 v1, 3, v1
	ds_store_b64 v1, v[3:4]
.LBB600_139:
	s_or_b32 exec_lo, exec_lo, s0
	v_mov_b32_e32 v3, 0
	s_mov_b32 s1, exec_lo
	s_waitcnt lgkmcnt(0)
	s_waitcnt_vscnt null, 0x0
	s_barrier
	buffer_gl0_inv
	v_mov_b32_e32 v1, v3
	s_delay_alu instid0(VALU_DEP_1)
	v_cmpx_gt_u64_e64 v[13:14], v[0:1]
	s_cbranch_execz .LBB600_142
; %bb.140:
	v_lshlrev_b64 v[4:5], 3, v[15:16]
	s_lshl_b64 s[2:3], s[12:13], 3
	v_or_b32_e32 v2, 0x80, v0
	s_delay_alu instid0(VALU_DEP_2) | instskip(NEXT) | instid1(VALU_DEP_3)
	v_add_co_u32 v4, vcc_lo, s6, v4
	v_add_co_ci_u32_e32 v5, vcc_lo, s7, v5, vcc_lo
	s_delay_alu instid0(VALU_DEP_2) | instskip(NEXT) | instid1(VALU_DEP_2)
	v_add_co_u32 v6, vcc_lo, v4, s2
	v_add_co_ci_u32_e32 v7, vcc_lo, s3, v5, vcc_lo
	v_dual_mov_b32 v5, v1 :: v_dual_mov_b32 v4, v0
	s_mov_b32 s2, 0
	.p2align	6
.LBB600_141:                            ; =>This Inner Loop Header: Depth=1
	s_delay_alu instid0(VALU_DEP_1) | instskip(NEXT) | instid1(VALU_DEP_2)
	v_lshlrev_b32_e32 v1, 3, v4
	v_lshlrev_b64 v[10:11], 3, v[4:5]
	v_dual_mov_b32 v5, v3 :: v_dual_mov_b32 v4, v2
	v_cmp_le_u64_e32 vcc_lo, v[13:14], v[2:3]
	v_add_nc_u32_e32 v2, 0x80, v2
	ds_load_b64 v[8:9], v1
	v_add_co_u32 v10, s0, v6, v10
	s_delay_alu instid0(VALU_DEP_1)
	v_add_co_ci_u32_e64 v11, s0, v7, v11, s0
	s_or_b32 s2, vcc_lo, s2
	s_waitcnt lgkmcnt(0)
	global_store_b64 v[10:11], v[8:9], off
	s_and_not1_b32 exec_lo, exec_lo, s2
	s_cbranch_execnz .LBB600_141
.LBB600_142:
	s_or_b32 exec_lo, exec_lo, s1
	v_cmp_eq_u32_e32 vcc_lo, 0, v0
	s_and_b32 s0, vcc_lo, s9
	s_delay_alu instid0(SALU_CYCLE_1)
	s_and_saveexec_b32 s1, s0
	s_cbranch_execz .LBB600_83
.LBB600_143:
	v_add_co_u32 v0, vcc_lo, v15, v13
	v_add_co_ci_u32_e32 v1, vcc_lo, v16, v14, vcc_lo
	v_mov_b32_e32 v2, 0
	s_delay_alu instid0(VALU_DEP_3) | instskip(NEXT) | instid1(VALU_DEP_3)
	v_add_co_u32 v0, vcc_lo, v0, s12
	v_add_co_ci_u32_e32 v1, vcc_lo, s13, v1, vcc_lo
	global_store_b64 v2, v[0:1], s[16:17]
	s_nop 0
	s_sendmsg sendmsg(MSG_DEALLOC_VGPRS)
	s_endpgm
	.section	.rodata,"a",@progbits
	.p2align	6, 0x0
	.amdhsa_kernel _ZN7rocprim17ROCPRIM_400000_NS6detail17trampoline_kernelINS0_14default_configENS1_25partition_config_selectorILNS1_17partition_subalgoE5ElNS0_10empty_typeEbEEZZNS1_14partition_implILS5_5ELb0ES3_mN6hipcub16HIPCUB_304000_NS21CountingInputIteratorIllEEPS6_NSA_22TransformInputIteratorIbN2at6native12_GLOBAL__N_19NonZeroOpIN3c107complexIfEEEEPKSL_lEENS0_5tupleIJPlS6_EEENSQ_IJSD_SD_EEES6_PiJS6_EEE10hipError_tPvRmT3_T4_T5_T6_T7_T9_mT8_P12ihipStream_tbDpT10_ENKUlT_T0_E_clISt17integral_constantIbLb0EES1E_EEDaS19_S1A_EUlS19_E_NS1_11comp_targetILNS1_3genE9ELNS1_11target_archE1100ELNS1_3gpuE3ELNS1_3repE0EEENS1_30default_config_static_selectorELNS0_4arch9wavefront6targetE0EEEvT1_
		.amdhsa_group_segment_fixed_size 6160
		.amdhsa_private_segment_fixed_size 0
		.amdhsa_kernarg_size 120
		.amdhsa_user_sgpr_count 15
		.amdhsa_user_sgpr_dispatch_ptr 0
		.amdhsa_user_sgpr_queue_ptr 0
		.amdhsa_user_sgpr_kernarg_segment_ptr 1
		.amdhsa_user_sgpr_dispatch_id 0
		.amdhsa_user_sgpr_private_segment_size 0
		.amdhsa_wavefront_size32 1
		.amdhsa_uses_dynamic_stack 0
		.amdhsa_enable_private_segment 0
		.amdhsa_system_sgpr_workgroup_id_x 1
		.amdhsa_system_sgpr_workgroup_id_y 0
		.amdhsa_system_sgpr_workgroup_id_z 0
		.amdhsa_system_sgpr_workgroup_info 0
		.amdhsa_system_vgpr_workitem_id 0
		.amdhsa_next_free_vgpr 57
		.amdhsa_next_free_sgpr 23
		.amdhsa_reserve_vcc 1
		.amdhsa_float_round_mode_32 0
		.amdhsa_float_round_mode_16_64 0
		.amdhsa_float_denorm_mode_32 3
		.amdhsa_float_denorm_mode_16_64 3
		.amdhsa_dx10_clamp 1
		.amdhsa_ieee_mode 1
		.amdhsa_fp16_overflow 0
		.amdhsa_workgroup_processor_mode 1
		.amdhsa_memory_ordered 1
		.amdhsa_forward_progress 0
		.amdhsa_shared_vgpr_count 0
		.amdhsa_exception_fp_ieee_invalid_op 0
		.amdhsa_exception_fp_denorm_src 0
		.amdhsa_exception_fp_ieee_div_zero 0
		.amdhsa_exception_fp_ieee_overflow 0
		.amdhsa_exception_fp_ieee_underflow 0
		.amdhsa_exception_fp_ieee_inexact 0
		.amdhsa_exception_int_div_zero 0
	.end_amdhsa_kernel
	.section	.text._ZN7rocprim17ROCPRIM_400000_NS6detail17trampoline_kernelINS0_14default_configENS1_25partition_config_selectorILNS1_17partition_subalgoE5ElNS0_10empty_typeEbEEZZNS1_14partition_implILS5_5ELb0ES3_mN6hipcub16HIPCUB_304000_NS21CountingInputIteratorIllEEPS6_NSA_22TransformInputIteratorIbN2at6native12_GLOBAL__N_19NonZeroOpIN3c107complexIfEEEEPKSL_lEENS0_5tupleIJPlS6_EEENSQ_IJSD_SD_EEES6_PiJS6_EEE10hipError_tPvRmT3_T4_T5_T6_T7_T9_mT8_P12ihipStream_tbDpT10_ENKUlT_T0_E_clISt17integral_constantIbLb0EES1E_EEDaS19_S1A_EUlS19_E_NS1_11comp_targetILNS1_3genE9ELNS1_11target_archE1100ELNS1_3gpuE3ELNS1_3repE0EEENS1_30default_config_static_selectorELNS0_4arch9wavefront6targetE0EEEvT1_,"axG",@progbits,_ZN7rocprim17ROCPRIM_400000_NS6detail17trampoline_kernelINS0_14default_configENS1_25partition_config_selectorILNS1_17partition_subalgoE5ElNS0_10empty_typeEbEEZZNS1_14partition_implILS5_5ELb0ES3_mN6hipcub16HIPCUB_304000_NS21CountingInputIteratorIllEEPS6_NSA_22TransformInputIteratorIbN2at6native12_GLOBAL__N_19NonZeroOpIN3c107complexIfEEEEPKSL_lEENS0_5tupleIJPlS6_EEENSQ_IJSD_SD_EEES6_PiJS6_EEE10hipError_tPvRmT3_T4_T5_T6_T7_T9_mT8_P12ihipStream_tbDpT10_ENKUlT_T0_E_clISt17integral_constantIbLb0EES1E_EEDaS19_S1A_EUlS19_E_NS1_11comp_targetILNS1_3genE9ELNS1_11target_archE1100ELNS1_3gpuE3ELNS1_3repE0EEENS1_30default_config_static_selectorELNS0_4arch9wavefront6targetE0EEEvT1_,comdat
.Lfunc_end600:
	.size	_ZN7rocprim17ROCPRIM_400000_NS6detail17trampoline_kernelINS0_14default_configENS1_25partition_config_selectorILNS1_17partition_subalgoE5ElNS0_10empty_typeEbEEZZNS1_14partition_implILS5_5ELb0ES3_mN6hipcub16HIPCUB_304000_NS21CountingInputIteratorIllEEPS6_NSA_22TransformInputIteratorIbN2at6native12_GLOBAL__N_19NonZeroOpIN3c107complexIfEEEEPKSL_lEENS0_5tupleIJPlS6_EEENSQ_IJSD_SD_EEES6_PiJS6_EEE10hipError_tPvRmT3_T4_T5_T6_T7_T9_mT8_P12ihipStream_tbDpT10_ENKUlT_T0_E_clISt17integral_constantIbLb0EES1E_EEDaS19_S1A_EUlS19_E_NS1_11comp_targetILNS1_3genE9ELNS1_11target_archE1100ELNS1_3gpuE3ELNS1_3repE0EEENS1_30default_config_static_selectorELNS0_4arch9wavefront6targetE0EEEvT1_, .Lfunc_end600-_ZN7rocprim17ROCPRIM_400000_NS6detail17trampoline_kernelINS0_14default_configENS1_25partition_config_selectorILNS1_17partition_subalgoE5ElNS0_10empty_typeEbEEZZNS1_14partition_implILS5_5ELb0ES3_mN6hipcub16HIPCUB_304000_NS21CountingInputIteratorIllEEPS6_NSA_22TransformInputIteratorIbN2at6native12_GLOBAL__N_19NonZeroOpIN3c107complexIfEEEEPKSL_lEENS0_5tupleIJPlS6_EEENSQ_IJSD_SD_EEES6_PiJS6_EEE10hipError_tPvRmT3_T4_T5_T6_T7_T9_mT8_P12ihipStream_tbDpT10_ENKUlT_T0_E_clISt17integral_constantIbLb0EES1E_EEDaS19_S1A_EUlS19_E_NS1_11comp_targetILNS1_3genE9ELNS1_11target_archE1100ELNS1_3gpuE3ELNS1_3repE0EEENS1_30default_config_static_selectorELNS0_4arch9wavefront6targetE0EEEvT1_
                                        ; -- End function
	.section	.AMDGPU.csdata,"",@progbits
; Kernel info:
; codeLenInByte = 6608
; NumSgprs: 25
; NumVgprs: 57
; ScratchSize: 0
; MemoryBound: 0
; FloatMode: 240
; IeeeMode: 1
; LDSByteSize: 6160 bytes/workgroup (compile time only)
; SGPRBlocks: 3
; VGPRBlocks: 7
; NumSGPRsForWavesPerEU: 25
; NumVGPRsForWavesPerEU: 57
; Occupancy: 16
; WaveLimiterHint : 1
; COMPUTE_PGM_RSRC2:SCRATCH_EN: 0
; COMPUTE_PGM_RSRC2:USER_SGPR: 15
; COMPUTE_PGM_RSRC2:TRAP_HANDLER: 0
; COMPUTE_PGM_RSRC2:TGID_X_EN: 1
; COMPUTE_PGM_RSRC2:TGID_Y_EN: 0
; COMPUTE_PGM_RSRC2:TGID_Z_EN: 0
; COMPUTE_PGM_RSRC2:TIDIG_COMP_CNT: 0
	.section	.text._ZN7rocprim17ROCPRIM_400000_NS6detail17trampoline_kernelINS0_14default_configENS1_25partition_config_selectorILNS1_17partition_subalgoE5ElNS0_10empty_typeEbEEZZNS1_14partition_implILS5_5ELb0ES3_mN6hipcub16HIPCUB_304000_NS21CountingInputIteratorIllEEPS6_NSA_22TransformInputIteratorIbN2at6native12_GLOBAL__N_19NonZeroOpIN3c107complexIfEEEEPKSL_lEENS0_5tupleIJPlS6_EEENSQ_IJSD_SD_EEES6_PiJS6_EEE10hipError_tPvRmT3_T4_T5_T6_T7_T9_mT8_P12ihipStream_tbDpT10_ENKUlT_T0_E_clISt17integral_constantIbLb0EES1E_EEDaS19_S1A_EUlS19_E_NS1_11comp_targetILNS1_3genE8ELNS1_11target_archE1030ELNS1_3gpuE2ELNS1_3repE0EEENS1_30default_config_static_selectorELNS0_4arch9wavefront6targetE0EEEvT1_,"axG",@progbits,_ZN7rocprim17ROCPRIM_400000_NS6detail17trampoline_kernelINS0_14default_configENS1_25partition_config_selectorILNS1_17partition_subalgoE5ElNS0_10empty_typeEbEEZZNS1_14partition_implILS5_5ELb0ES3_mN6hipcub16HIPCUB_304000_NS21CountingInputIteratorIllEEPS6_NSA_22TransformInputIteratorIbN2at6native12_GLOBAL__N_19NonZeroOpIN3c107complexIfEEEEPKSL_lEENS0_5tupleIJPlS6_EEENSQ_IJSD_SD_EEES6_PiJS6_EEE10hipError_tPvRmT3_T4_T5_T6_T7_T9_mT8_P12ihipStream_tbDpT10_ENKUlT_T0_E_clISt17integral_constantIbLb0EES1E_EEDaS19_S1A_EUlS19_E_NS1_11comp_targetILNS1_3genE8ELNS1_11target_archE1030ELNS1_3gpuE2ELNS1_3repE0EEENS1_30default_config_static_selectorELNS0_4arch9wavefront6targetE0EEEvT1_,comdat
	.globl	_ZN7rocprim17ROCPRIM_400000_NS6detail17trampoline_kernelINS0_14default_configENS1_25partition_config_selectorILNS1_17partition_subalgoE5ElNS0_10empty_typeEbEEZZNS1_14partition_implILS5_5ELb0ES3_mN6hipcub16HIPCUB_304000_NS21CountingInputIteratorIllEEPS6_NSA_22TransformInputIteratorIbN2at6native12_GLOBAL__N_19NonZeroOpIN3c107complexIfEEEEPKSL_lEENS0_5tupleIJPlS6_EEENSQ_IJSD_SD_EEES6_PiJS6_EEE10hipError_tPvRmT3_T4_T5_T6_T7_T9_mT8_P12ihipStream_tbDpT10_ENKUlT_T0_E_clISt17integral_constantIbLb0EES1E_EEDaS19_S1A_EUlS19_E_NS1_11comp_targetILNS1_3genE8ELNS1_11target_archE1030ELNS1_3gpuE2ELNS1_3repE0EEENS1_30default_config_static_selectorELNS0_4arch9wavefront6targetE0EEEvT1_ ; -- Begin function _ZN7rocprim17ROCPRIM_400000_NS6detail17trampoline_kernelINS0_14default_configENS1_25partition_config_selectorILNS1_17partition_subalgoE5ElNS0_10empty_typeEbEEZZNS1_14partition_implILS5_5ELb0ES3_mN6hipcub16HIPCUB_304000_NS21CountingInputIteratorIllEEPS6_NSA_22TransformInputIteratorIbN2at6native12_GLOBAL__N_19NonZeroOpIN3c107complexIfEEEEPKSL_lEENS0_5tupleIJPlS6_EEENSQ_IJSD_SD_EEES6_PiJS6_EEE10hipError_tPvRmT3_T4_T5_T6_T7_T9_mT8_P12ihipStream_tbDpT10_ENKUlT_T0_E_clISt17integral_constantIbLb0EES1E_EEDaS19_S1A_EUlS19_E_NS1_11comp_targetILNS1_3genE8ELNS1_11target_archE1030ELNS1_3gpuE2ELNS1_3repE0EEENS1_30default_config_static_selectorELNS0_4arch9wavefront6targetE0EEEvT1_
	.p2align	8
	.type	_ZN7rocprim17ROCPRIM_400000_NS6detail17trampoline_kernelINS0_14default_configENS1_25partition_config_selectorILNS1_17partition_subalgoE5ElNS0_10empty_typeEbEEZZNS1_14partition_implILS5_5ELb0ES3_mN6hipcub16HIPCUB_304000_NS21CountingInputIteratorIllEEPS6_NSA_22TransformInputIteratorIbN2at6native12_GLOBAL__N_19NonZeroOpIN3c107complexIfEEEEPKSL_lEENS0_5tupleIJPlS6_EEENSQ_IJSD_SD_EEES6_PiJS6_EEE10hipError_tPvRmT3_T4_T5_T6_T7_T9_mT8_P12ihipStream_tbDpT10_ENKUlT_T0_E_clISt17integral_constantIbLb0EES1E_EEDaS19_S1A_EUlS19_E_NS1_11comp_targetILNS1_3genE8ELNS1_11target_archE1030ELNS1_3gpuE2ELNS1_3repE0EEENS1_30default_config_static_selectorELNS0_4arch9wavefront6targetE0EEEvT1_,@function
_ZN7rocprim17ROCPRIM_400000_NS6detail17trampoline_kernelINS0_14default_configENS1_25partition_config_selectorILNS1_17partition_subalgoE5ElNS0_10empty_typeEbEEZZNS1_14partition_implILS5_5ELb0ES3_mN6hipcub16HIPCUB_304000_NS21CountingInputIteratorIllEEPS6_NSA_22TransformInputIteratorIbN2at6native12_GLOBAL__N_19NonZeroOpIN3c107complexIfEEEEPKSL_lEENS0_5tupleIJPlS6_EEENSQ_IJSD_SD_EEES6_PiJS6_EEE10hipError_tPvRmT3_T4_T5_T6_T7_T9_mT8_P12ihipStream_tbDpT10_ENKUlT_T0_E_clISt17integral_constantIbLb0EES1E_EEDaS19_S1A_EUlS19_E_NS1_11comp_targetILNS1_3genE8ELNS1_11target_archE1030ELNS1_3gpuE2ELNS1_3repE0EEENS1_30default_config_static_selectorELNS0_4arch9wavefront6targetE0EEEvT1_: ; @_ZN7rocprim17ROCPRIM_400000_NS6detail17trampoline_kernelINS0_14default_configENS1_25partition_config_selectorILNS1_17partition_subalgoE5ElNS0_10empty_typeEbEEZZNS1_14partition_implILS5_5ELb0ES3_mN6hipcub16HIPCUB_304000_NS21CountingInputIteratorIllEEPS6_NSA_22TransformInputIteratorIbN2at6native12_GLOBAL__N_19NonZeroOpIN3c107complexIfEEEEPKSL_lEENS0_5tupleIJPlS6_EEENSQ_IJSD_SD_EEES6_PiJS6_EEE10hipError_tPvRmT3_T4_T5_T6_T7_T9_mT8_P12ihipStream_tbDpT10_ENKUlT_T0_E_clISt17integral_constantIbLb0EES1E_EEDaS19_S1A_EUlS19_E_NS1_11comp_targetILNS1_3genE8ELNS1_11target_archE1030ELNS1_3gpuE2ELNS1_3repE0EEENS1_30default_config_static_selectorELNS0_4arch9wavefront6targetE0EEEvT1_
; %bb.0:
	.section	.rodata,"a",@progbits
	.p2align	6, 0x0
	.amdhsa_kernel _ZN7rocprim17ROCPRIM_400000_NS6detail17trampoline_kernelINS0_14default_configENS1_25partition_config_selectorILNS1_17partition_subalgoE5ElNS0_10empty_typeEbEEZZNS1_14partition_implILS5_5ELb0ES3_mN6hipcub16HIPCUB_304000_NS21CountingInputIteratorIllEEPS6_NSA_22TransformInputIteratorIbN2at6native12_GLOBAL__N_19NonZeroOpIN3c107complexIfEEEEPKSL_lEENS0_5tupleIJPlS6_EEENSQ_IJSD_SD_EEES6_PiJS6_EEE10hipError_tPvRmT3_T4_T5_T6_T7_T9_mT8_P12ihipStream_tbDpT10_ENKUlT_T0_E_clISt17integral_constantIbLb0EES1E_EEDaS19_S1A_EUlS19_E_NS1_11comp_targetILNS1_3genE8ELNS1_11target_archE1030ELNS1_3gpuE2ELNS1_3repE0EEENS1_30default_config_static_selectorELNS0_4arch9wavefront6targetE0EEEvT1_
		.amdhsa_group_segment_fixed_size 0
		.amdhsa_private_segment_fixed_size 0
		.amdhsa_kernarg_size 120
		.amdhsa_user_sgpr_count 15
		.amdhsa_user_sgpr_dispatch_ptr 0
		.amdhsa_user_sgpr_queue_ptr 0
		.amdhsa_user_sgpr_kernarg_segment_ptr 1
		.amdhsa_user_sgpr_dispatch_id 0
		.amdhsa_user_sgpr_private_segment_size 0
		.amdhsa_wavefront_size32 1
		.amdhsa_uses_dynamic_stack 0
		.amdhsa_enable_private_segment 0
		.amdhsa_system_sgpr_workgroup_id_x 1
		.amdhsa_system_sgpr_workgroup_id_y 0
		.amdhsa_system_sgpr_workgroup_id_z 0
		.amdhsa_system_sgpr_workgroup_info 0
		.amdhsa_system_vgpr_workitem_id 0
		.amdhsa_next_free_vgpr 1
		.amdhsa_next_free_sgpr 1
		.amdhsa_reserve_vcc 0
		.amdhsa_float_round_mode_32 0
		.amdhsa_float_round_mode_16_64 0
		.amdhsa_float_denorm_mode_32 3
		.amdhsa_float_denorm_mode_16_64 3
		.amdhsa_dx10_clamp 1
		.amdhsa_ieee_mode 1
		.amdhsa_fp16_overflow 0
		.amdhsa_workgroup_processor_mode 1
		.amdhsa_memory_ordered 1
		.amdhsa_forward_progress 0
		.amdhsa_shared_vgpr_count 0
		.amdhsa_exception_fp_ieee_invalid_op 0
		.amdhsa_exception_fp_denorm_src 0
		.amdhsa_exception_fp_ieee_div_zero 0
		.amdhsa_exception_fp_ieee_overflow 0
		.amdhsa_exception_fp_ieee_underflow 0
		.amdhsa_exception_fp_ieee_inexact 0
		.amdhsa_exception_int_div_zero 0
	.end_amdhsa_kernel
	.section	.text._ZN7rocprim17ROCPRIM_400000_NS6detail17trampoline_kernelINS0_14default_configENS1_25partition_config_selectorILNS1_17partition_subalgoE5ElNS0_10empty_typeEbEEZZNS1_14partition_implILS5_5ELb0ES3_mN6hipcub16HIPCUB_304000_NS21CountingInputIteratorIllEEPS6_NSA_22TransformInputIteratorIbN2at6native12_GLOBAL__N_19NonZeroOpIN3c107complexIfEEEEPKSL_lEENS0_5tupleIJPlS6_EEENSQ_IJSD_SD_EEES6_PiJS6_EEE10hipError_tPvRmT3_T4_T5_T6_T7_T9_mT8_P12ihipStream_tbDpT10_ENKUlT_T0_E_clISt17integral_constantIbLb0EES1E_EEDaS19_S1A_EUlS19_E_NS1_11comp_targetILNS1_3genE8ELNS1_11target_archE1030ELNS1_3gpuE2ELNS1_3repE0EEENS1_30default_config_static_selectorELNS0_4arch9wavefront6targetE0EEEvT1_,"axG",@progbits,_ZN7rocprim17ROCPRIM_400000_NS6detail17trampoline_kernelINS0_14default_configENS1_25partition_config_selectorILNS1_17partition_subalgoE5ElNS0_10empty_typeEbEEZZNS1_14partition_implILS5_5ELb0ES3_mN6hipcub16HIPCUB_304000_NS21CountingInputIteratorIllEEPS6_NSA_22TransformInputIteratorIbN2at6native12_GLOBAL__N_19NonZeroOpIN3c107complexIfEEEEPKSL_lEENS0_5tupleIJPlS6_EEENSQ_IJSD_SD_EEES6_PiJS6_EEE10hipError_tPvRmT3_T4_T5_T6_T7_T9_mT8_P12ihipStream_tbDpT10_ENKUlT_T0_E_clISt17integral_constantIbLb0EES1E_EEDaS19_S1A_EUlS19_E_NS1_11comp_targetILNS1_3genE8ELNS1_11target_archE1030ELNS1_3gpuE2ELNS1_3repE0EEENS1_30default_config_static_selectorELNS0_4arch9wavefront6targetE0EEEvT1_,comdat
.Lfunc_end601:
	.size	_ZN7rocprim17ROCPRIM_400000_NS6detail17trampoline_kernelINS0_14default_configENS1_25partition_config_selectorILNS1_17partition_subalgoE5ElNS0_10empty_typeEbEEZZNS1_14partition_implILS5_5ELb0ES3_mN6hipcub16HIPCUB_304000_NS21CountingInputIteratorIllEEPS6_NSA_22TransformInputIteratorIbN2at6native12_GLOBAL__N_19NonZeroOpIN3c107complexIfEEEEPKSL_lEENS0_5tupleIJPlS6_EEENSQ_IJSD_SD_EEES6_PiJS6_EEE10hipError_tPvRmT3_T4_T5_T6_T7_T9_mT8_P12ihipStream_tbDpT10_ENKUlT_T0_E_clISt17integral_constantIbLb0EES1E_EEDaS19_S1A_EUlS19_E_NS1_11comp_targetILNS1_3genE8ELNS1_11target_archE1030ELNS1_3gpuE2ELNS1_3repE0EEENS1_30default_config_static_selectorELNS0_4arch9wavefront6targetE0EEEvT1_, .Lfunc_end601-_ZN7rocprim17ROCPRIM_400000_NS6detail17trampoline_kernelINS0_14default_configENS1_25partition_config_selectorILNS1_17partition_subalgoE5ElNS0_10empty_typeEbEEZZNS1_14partition_implILS5_5ELb0ES3_mN6hipcub16HIPCUB_304000_NS21CountingInputIteratorIllEEPS6_NSA_22TransformInputIteratorIbN2at6native12_GLOBAL__N_19NonZeroOpIN3c107complexIfEEEEPKSL_lEENS0_5tupleIJPlS6_EEENSQ_IJSD_SD_EEES6_PiJS6_EEE10hipError_tPvRmT3_T4_T5_T6_T7_T9_mT8_P12ihipStream_tbDpT10_ENKUlT_T0_E_clISt17integral_constantIbLb0EES1E_EEDaS19_S1A_EUlS19_E_NS1_11comp_targetILNS1_3genE8ELNS1_11target_archE1030ELNS1_3gpuE2ELNS1_3repE0EEENS1_30default_config_static_selectorELNS0_4arch9wavefront6targetE0EEEvT1_
                                        ; -- End function
	.section	.AMDGPU.csdata,"",@progbits
; Kernel info:
; codeLenInByte = 0
; NumSgprs: 0
; NumVgprs: 0
; ScratchSize: 0
; MemoryBound: 0
; FloatMode: 240
; IeeeMode: 1
; LDSByteSize: 0 bytes/workgroup (compile time only)
; SGPRBlocks: 0
; VGPRBlocks: 0
; NumSGPRsForWavesPerEU: 1
; NumVGPRsForWavesPerEU: 1
; Occupancy: 16
; WaveLimiterHint : 0
; COMPUTE_PGM_RSRC2:SCRATCH_EN: 0
; COMPUTE_PGM_RSRC2:USER_SGPR: 15
; COMPUTE_PGM_RSRC2:TRAP_HANDLER: 0
; COMPUTE_PGM_RSRC2:TGID_X_EN: 1
; COMPUTE_PGM_RSRC2:TGID_Y_EN: 0
; COMPUTE_PGM_RSRC2:TGID_Z_EN: 0
; COMPUTE_PGM_RSRC2:TIDIG_COMP_CNT: 0
	.section	.text._ZN7rocprim17ROCPRIM_400000_NS6detail17trampoline_kernelINS0_14default_configENS1_25partition_config_selectorILNS1_17partition_subalgoE5ElNS0_10empty_typeEbEEZZNS1_14partition_implILS5_5ELb0ES3_mN6hipcub16HIPCUB_304000_NS21CountingInputIteratorIllEEPS6_NSA_22TransformInputIteratorIbN2at6native12_GLOBAL__N_19NonZeroOpIN3c107complexIfEEEEPKSL_lEENS0_5tupleIJPlS6_EEENSQ_IJSD_SD_EEES6_PiJS6_EEE10hipError_tPvRmT3_T4_T5_T6_T7_T9_mT8_P12ihipStream_tbDpT10_ENKUlT_T0_E_clISt17integral_constantIbLb1EES1E_EEDaS19_S1A_EUlS19_E_NS1_11comp_targetILNS1_3genE0ELNS1_11target_archE4294967295ELNS1_3gpuE0ELNS1_3repE0EEENS1_30default_config_static_selectorELNS0_4arch9wavefront6targetE0EEEvT1_,"axG",@progbits,_ZN7rocprim17ROCPRIM_400000_NS6detail17trampoline_kernelINS0_14default_configENS1_25partition_config_selectorILNS1_17partition_subalgoE5ElNS0_10empty_typeEbEEZZNS1_14partition_implILS5_5ELb0ES3_mN6hipcub16HIPCUB_304000_NS21CountingInputIteratorIllEEPS6_NSA_22TransformInputIteratorIbN2at6native12_GLOBAL__N_19NonZeroOpIN3c107complexIfEEEEPKSL_lEENS0_5tupleIJPlS6_EEENSQ_IJSD_SD_EEES6_PiJS6_EEE10hipError_tPvRmT3_T4_T5_T6_T7_T9_mT8_P12ihipStream_tbDpT10_ENKUlT_T0_E_clISt17integral_constantIbLb1EES1E_EEDaS19_S1A_EUlS19_E_NS1_11comp_targetILNS1_3genE0ELNS1_11target_archE4294967295ELNS1_3gpuE0ELNS1_3repE0EEENS1_30default_config_static_selectorELNS0_4arch9wavefront6targetE0EEEvT1_,comdat
	.globl	_ZN7rocprim17ROCPRIM_400000_NS6detail17trampoline_kernelINS0_14default_configENS1_25partition_config_selectorILNS1_17partition_subalgoE5ElNS0_10empty_typeEbEEZZNS1_14partition_implILS5_5ELb0ES3_mN6hipcub16HIPCUB_304000_NS21CountingInputIteratorIllEEPS6_NSA_22TransformInputIteratorIbN2at6native12_GLOBAL__N_19NonZeroOpIN3c107complexIfEEEEPKSL_lEENS0_5tupleIJPlS6_EEENSQ_IJSD_SD_EEES6_PiJS6_EEE10hipError_tPvRmT3_T4_T5_T6_T7_T9_mT8_P12ihipStream_tbDpT10_ENKUlT_T0_E_clISt17integral_constantIbLb1EES1E_EEDaS19_S1A_EUlS19_E_NS1_11comp_targetILNS1_3genE0ELNS1_11target_archE4294967295ELNS1_3gpuE0ELNS1_3repE0EEENS1_30default_config_static_selectorELNS0_4arch9wavefront6targetE0EEEvT1_ ; -- Begin function _ZN7rocprim17ROCPRIM_400000_NS6detail17trampoline_kernelINS0_14default_configENS1_25partition_config_selectorILNS1_17partition_subalgoE5ElNS0_10empty_typeEbEEZZNS1_14partition_implILS5_5ELb0ES3_mN6hipcub16HIPCUB_304000_NS21CountingInputIteratorIllEEPS6_NSA_22TransformInputIteratorIbN2at6native12_GLOBAL__N_19NonZeroOpIN3c107complexIfEEEEPKSL_lEENS0_5tupleIJPlS6_EEENSQ_IJSD_SD_EEES6_PiJS6_EEE10hipError_tPvRmT3_T4_T5_T6_T7_T9_mT8_P12ihipStream_tbDpT10_ENKUlT_T0_E_clISt17integral_constantIbLb1EES1E_EEDaS19_S1A_EUlS19_E_NS1_11comp_targetILNS1_3genE0ELNS1_11target_archE4294967295ELNS1_3gpuE0ELNS1_3repE0EEENS1_30default_config_static_selectorELNS0_4arch9wavefront6targetE0EEEvT1_
	.p2align	8
	.type	_ZN7rocprim17ROCPRIM_400000_NS6detail17trampoline_kernelINS0_14default_configENS1_25partition_config_selectorILNS1_17partition_subalgoE5ElNS0_10empty_typeEbEEZZNS1_14partition_implILS5_5ELb0ES3_mN6hipcub16HIPCUB_304000_NS21CountingInputIteratorIllEEPS6_NSA_22TransformInputIteratorIbN2at6native12_GLOBAL__N_19NonZeroOpIN3c107complexIfEEEEPKSL_lEENS0_5tupleIJPlS6_EEENSQ_IJSD_SD_EEES6_PiJS6_EEE10hipError_tPvRmT3_T4_T5_T6_T7_T9_mT8_P12ihipStream_tbDpT10_ENKUlT_T0_E_clISt17integral_constantIbLb1EES1E_EEDaS19_S1A_EUlS19_E_NS1_11comp_targetILNS1_3genE0ELNS1_11target_archE4294967295ELNS1_3gpuE0ELNS1_3repE0EEENS1_30default_config_static_selectorELNS0_4arch9wavefront6targetE0EEEvT1_,@function
_ZN7rocprim17ROCPRIM_400000_NS6detail17trampoline_kernelINS0_14default_configENS1_25partition_config_selectorILNS1_17partition_subalgoE5ElNS0_10empty_typeEbEEZZNS1_14partition_implILS5_5ELb0ES3_mN6hipcub16HIPCUB_304000_NS21CountingInputIteratorIllEEPS6_NSA_22TransformInputIteratorIbN2at6native12_GLOBAL__N_19NonZeroOpIN3c107complexIfEEEEPKSL_lEENS0_5tupleIJPlS6_EEENSQ_IJSD_SD_EEES6_PiJS6_EEE10hipError_tPvRmT3_T4_T5_T6_T7_T9_mT8_P12ihipStream_tbDpT10_ENKUlT_T0_E_clISt17integral_constantIbLb1EES1E_EEDaS19_S1A_EUlS19_E_NS1_11comp_targetILNS1_3genE0ELNS1_11target_archE4294967295ELNS1_3gpuE0ELNS1_3repE0EEENS1_30default_config_static_selectorELNS0_4arch9wavefront6targetE0EEEvT1_: ; @_ZN7rocprim17ROCPRIM_400000_NS6detail17trampoline_kernelINS0_14default_configENS1_25partition_config_selectorILNS1_17partition_subalgoE5ElNS0_10empty_typeEbEEZZNS1_14partition_implILS5_5ELb0ES3_mN6hipcub16HIPCUB_304000_NS21CountingInputIteratorIllEEPS6_NSA_22TransformInputIteratorIbN2at6native12_GLOBAL__N_19NonZeroOpIN3c107complexIfEEEEPKSL_lEENS0_5tupleIJPlS6_EEENSQ_IJSD_SD_EEES6_PiJS6_EEE10hipError_tPvRmT3_T4_T5_T6_T7_T9_mT8_P12ihipStream_tbDpT10_ENKUlT_T0_E_clISt17integral_constantIbLb1EES1E_EEDaS19_S1A_EUlS19_E_NS1_11comp_targetILNS1_3genE0ELNS1_11target_archE4294967295ELNS1_3gpuE0ELNS1_3repE0EEENS1_30default_config_static_selectorELNS0_4arch9wavefront6targetE0EEEvT1_
; %bb.0:
	.section	.rodata,"a",@progbits
	.p2align	6, 0x0
	.amdhsa_kernel _ZN7rocprim17ROCPRIM_400000_NS6detail17trampoline_kernelINS0_14default_configENS1_25partition_config_selectorILNS1_17partition_subalgoE5ElNS0_10empty_typeEbEEZZNS1_14partition_implILS5_5ELb0ES3_mN6hipcub16HIPCUB_304000_NS21CountingInputIteratorIllEEPS6_NSA_22TransformInputIteratorIbN2at6native12_GLOBAL__N_19NonZeroOpIN3c107complexIfEEEEPKSL_lEENS0_5tupleIJPlS6_EEENSQ_IJSD_SD_EEES6_PiJS6_EEE10hipError_tPvRmT3_T4_T5_T6_T7_T9_mT8_P12ihipStream_tbDpT10_ENKUlT_T0_E_clISt17integral_constantIbLb1EES1E_EEDaS19_S1A_EUlS19_E_NS1_11comp_targetILNS1_3genE0ELNS1_11target_archE4294967295ELNS1_3gpuE0ELNS1_3repE0EEENS1_30default_config_static_selectorELNS0_4arch9wavefront6targetE0EEEvT1_
		.amdhsa_group_segment_fixed_size 0
		.amdhsa_private_segment_fixed_size 0
		.amdhsa_kernarg_size 136
		.amdhsa_user_sgpr_count 15
		.amdhsa_user_sgpr_dispatch_ptr 0
		.amdhsa_user_sgpr_queue_ptr 0
		.amdhsa_user_sgpr_kernarg_segment_ptr 1
		.amdhsa_user_sgpr_dispatch_id 0
		.amdhsa_user_sgpr_private_segment_size 0
		.amdhsa_wavefront_size32 1
		.amdhsa_uses_dynamic_stack 0
		.amdhsa_enable_private_segment 0
		.amdhsa_system_sgpr_workgroup_id_x 1
		.amdhsa_system_sgpr_workgroup_id_y 0
		.amdhsa_system_sgpr_workgroup_id_z 0
		.amdhsa_system_sgpr_workgroup_info 0
		.amdhsa_system_vgpr_workitem_id 0
		.amdhsa_next_free_vgpr 1
		.amdhsa_next_free_sgpr 1
		.amdhsa_reserve_vcc 0
		.amdhsa_float_round_mode_32 0
		.amdhsa_float_round_mode_16_64 0
		.amdhsa_float_denorm_mode_32 3
		.amdhsa_float_denorm_mode_16_64 3
		.amdhsa_dx10_clamp 1
		.amdhsa_ieee_mode 1
		.amdhsa_fp16_overflow 0
		.amdhsa_workgroup_processor_mode 1
		.amdhsa_memory_ordered 1
		.amdhsa_forward_progress 0
		.amdhsa_shared_vgpr_count 0
		.amdhsa_exception_fp_ieee_invalid_op 0
		.amdhsa_exception_fp_denorm_src 0
		.amdhsa_exception_fp_ieee_div_zero 0
		.amdhsa_exception_fp_ieee_overflow 0
		.amdhsa_exception_fp_ieee_underflow 0
		.amdhsa_exception_fp_ieee_inexact 0
		.amdhsa_exception_int_div_zero 0
	.end_amdhsa_kernel
	.section	.text._ZN7rocprim17ROCPRIM_400000_NS6detail17trampoline_kernelINS0_14default_configENS1_25partition_config_selectorILNS1_17partition_subalgoE5ElNS0_10empty_typeEbEEZZNS1_14partition_implILS5_5ELb0ES3_mN6hipcub16HIPCUB_304000_NS21CountingInputIteratorIllEEPS6_NSA_22TransformInputIteratorIbN2at6native12_GLOBAL__N_19NonZeroOpIN3c107complexIfEEEEPKSL_lEENS0_5tupleIJPlS6_EEENSQ_IJSD_SD_EEES6_PiJS6_EEE10hipError_tPvRmT3_T4_T5_T6_T7_T9_mT8_P12ihipStream_tbDpT10_ENKUlT_T0_E_clISt17integral_constantIbLb1EES1E_EEDaS19_S1A_EUlS19_E_NS1_11comp_targetILNS1_3genE0ELNS1_11target_archE4294967295ELNS1_3gpuE0ELNS1_3repE0EEENS1_30default_config_static_selectorELNS0_4arch9wavefront6targetE0EEEvT1_,"axG",@progbits,_ZN7rocprim17ROCPRIM_400000_NS6detail17trampoline_kernelINS0_14default_configENS1_25partition_config_selectorILNS1_17partition_subalgoE5ElNS0_10empty_typeEbEEZZNS1_14partition_implILS5_5ELb0ES3_mN6hipcub16HIPCUB_304000_NS21CountingInputIteratorIllEEPS6_NSA_22TransformInputIteratorIbN2at6native12_GLOBAL__N_19NonZeroOpIN3c107complexIfEEEEPKSL_lEENS0_5tupleIJPlS6_EEENSQ_IJSD_SD_EEES6_PiJS6_EEE10hipError_tPvRmT3_T4_T5_T6_T7_T9_mT8_P12ihipStream_tbDpT10_ENKUlT_T0_E_clISt17integral_constantIbLb1EES1E_EEDaS19_S1A_EUlS19_E_NS1_11comp_targetILNS1_3genE0ELNS1_11target_archE4294967295ELNS1_3gpuE0ELNS1_3repE0EEENS1_30default_config_static_selectorELNS0_4arch9wavefront6targetE0EEEvT1_,comdat
.Lfunc_end602:
	.size	_ZN7rocprim17ROCPRIM_400000_NS6detail17trampoline_kernelINS0_14default_configENS1_25partition_config_selectorILNS1_17partition_subalgoE5ElNS0_10empty_typeEbEEZZNS1_14partition_implILS5_5ELb0ES3_mN6hipcub16HIPCUB_304000_NS21CountingInputIteratorIllEEPS6_NSA_22TransformInputIteratorIbN2at6native12_GLOBAL__N_19NonZeroOpIN3c107complexIfEEEEPKSL_lEENS0_5tupleIJPlS6_EEENSQ_IJSD_SD_EEES6_PiJS6_EEE10hipError_tPvRmT3_T4_T5_T6_T7_T9_mT8_P12ihipStream_tbDpT10_ENKUlT_T0_E_clISt17integral_constantIbLb1EES1E_EEDaS19_S1A_EUlS19_E_NS1_11comp_targetILNS1_3genE0ELNS1_11target_archE4294967295ELNS1_3gpuE0ELNS1_3repE0EEENS1_30default_config_static_selectorELNS0_4arch9wavefront6targetE0EEEvT1_, .Lfunc_end602-_ZN7rocprim17ROCPRIM_400000_NS6detail17trampoline_kernelINS0_14default_configENS1_25partition_config_selectorILNS1_17partition_subalgoE5ElNS0_10empty_typeEbEEZZNS1_14partition_implILS5_5ELb0ES3_mN6hipcub16HIPCUB_304000_NS21CountingInputIteratorIllEEPS6_NSA_22TransformInputIteratorIbN2at6native12_GLOBAL__N_19NonZeroOpIN3c107complexIfEEEEPKSL_lEENS0_5tupleIJPlS6_EEENSQ_IJSD_SD_EEES6_PiJS6_EEE10hipError_tPvRmT3_T4_T5_T6_T7_T9_mT8_P12ihipStream_tbDpT10_ENKUlT_T0_E_clISt17integral_constantIbLb1EES1E_EEDaS19_S1A_EUlS19_E_NS1_11comp_targetILNS1_3genE0ELNS1_11target_archE4294967295ELNS1_3gpuE0ELNS1_3repE0EEENS1_30default_config_static_selectorELNS0_4arch9wavefront6targetE0EEEvT1_
                                        ; -- End function
	.section	.AMDGPU.csdata,"",@progbits
; Kernel info:
; codeLenInByte = 0
; NumSgprs: 0
; NumVgprs: 0
; ScratchSize: 0
; MemoryBound: 0
; FloatMode: 240
; IeeeMode: 1
; LDSByteSize: 0 bytes/workgroup (compile time only)
; SGPRBlocks: 0
; VGPRBlocks: 0
; NumSGPRsForWavesPerEU: 1
; NumVGPRsForWavesPerEU: 1
; Occupancy: 16
; WaveLimiterHint : 0
; COMPUTE_PGM_RSRC2:SCRATCH_EN: 0
; COMPUTE_PGM_RSRC2:USER_SGPR: 15
; COMPUTE_PGM_RSRC2:TRAP_HANDLER: 0
; COMPUTE_PGM_RSRC2:TGID_X_EN: 1
; COMPUTE_PGM_RSRC2:TGID_Y_EN: 0
; COMPUTE_PGM_RSRC2:TGID_Z_EN: 0
; COMPUTE_PGM_RSRC2:TIDIG_COMP_CNT: 0
	.section	.text._ZN7rocprim17ROCPRIM_400000_NS6detail17trampoline_kernelINS0_14default_configENS1_25partition_config_selectorILNS1_17partition_subalgoE5ElNS0_10empty_typeEbEEZZNS1_14partition_implILS5_5ELb0ES3_mN6hipcub16HIPCUB_304000_NS21CountingInputIteratorIllEEPS6_NSA_22TransformInputIteratorIbN2at6native12_GLOBAL__N_19NonZeroOpIN3c107complexIfEEEEPKSL_lEENS0_5tupleIJPlS6_EEENSQ_IJSD_SD_EEES6_PiJS6_EEE10hipError_tPvRmT3_T4_T5_T6_T7_T9_mT8_P12ihipStream_tbDpT10_ENKUlT_T0_E_clISt17integral_constantIbLb1EES1E_EEDaS19_S1A_EUlS19_E_NS1_11comp_targetILNS1_3genE5ELNS1_11target_archE942ELNS1_3gpuE9ELNS1_3repE0EEENS1_30default_config_static_selectorELNS0_4arch9wavefront6targetE0EEEvT1_,"axG",@progbits,_ZN7rocprim17ROCPRIM_400000_NS6detail17trampoline_kernelINS0_14default_configENS1_25partition_config_selectorILNS1_17partition_subalgoE5ElNS0_10empty_typeEbEEZZNS1_14partition_implILS5_5ELb0ES3_mN6hipcub16HIPCUB_304000_NS21CountingInputIteratorIllEEPS6_NSA_22TransformInputIteratorIbN2at6native12_GLOBAL__N_19NonZeroOpIN3c107complexIfEEEEPKSL_lEENS0_5tupleIJPlS6_EEENSQ_IJSD_SD_EEES6_PiJS6_EEE10hipError_tPvRmT3_T4_T5_T6_T7_T9_mT8_P12ihipStream_tbDpT10_ENKUlT_T0_E_clISt17integral_constantIbLb1EES1E_EEDaS19_S1A_EUlS19_E_NS1_11comp_targetILNS1_3genE5ELNS1_11target_archE942ELNS1_3gpuE9ELNS1_3repE0EEENS1_30default_config_static_selectorELNS0_4arch9wavefront6targetE0EEEvT1_,comdat
	.globl	_ZN7rocprim17ROCPRIM_400000_NS6detail17trampoline_kernelINS0_14default_configENS1_25partition_config_selectorILNS1_17partition_subalgoE5ElNS0_10empty_typeEbEEZZNS1_14partition_implILS5_5ELb0ES3_mN6hipcub16HIPCUB_304000_NS21CountingInputIteratorIllEEPS6_NSA_22TransformInputIteratorIbN2at6native12_GLOBAL__N_19NonZeroOpIN3c107complexIfEEEEPKSL_lEENS0_5tupleIJPlS6_EEENSQ_IJSD_SD_EEES6_PiJS6_EEE10hipError_tPvRmT3_T4_T5_T6_T7_T9_mT8_P12ihipStream_tbDpT10_ENKUlT_T0_E_clISt17integral_constantIbLb1EES1E_EEDaS19_S1A_EUlS19_E_NS1_11comp_targetILNS1_3genE5ELNS1_11target_archE942ELNS1_3gpuE9ELNS1_3repE0EEENS1_30default_config_static_selectorELNS0_4arch9wavefront6targetE0EEEvT1_ ; -- Begin function _ZN7rocprim17ROCPRIM_400000_NS6detail17trampoline_kernelINS0_14default_configENS1_25partition_config_selectorILNS1_17partition_subalgoE5ElNS0_10empty_typeEbEEZZNS1_14partition_implILS5_5ELb0ES3_mN6hipcub16HIPCUB_304000_NS21CountingInputIteratorIllEEPS6_NSA_22TransformInputIteratorIbN2at6native12_GLOBAL__N_19NonZeroOpIN3c107complexIfEEEEPKSL_lEENS0_5tupleIJPlS6_EEENSQ_IJSD_SD_EEES6_PiJS6_EEE10hipError_tPvRmT3_T4_T5_T6_T7_T9_mT8_P12ihipStream_tbDpT10_ENKUlT_T0_E_clISt17integral_constantIbLb1EES1E_EEDaS19_S1A_EUlS19_E_NS1_11comp_targetILNS1_3genE5ELNS1_11target_archE942ELNS1_3gpuE9ELNS1_3repE0EEENS1_30default_config_static_selectorELNS0_4arch9wavefront6targetE0EEEvT1_
	.p2align	8
	.type	_ZN7rocprim17ROCPRIM_400000_NS6detail17trampoline_kernelINS0_14default_configENS1_25partition_config_selectorILNS1_17partition_subalgoE5ElNS0_10empty_typeEbEEZZNS1_14partition_implILS5_5ELb0ES3_mN6hipcub16HIPCUB_304000_NS21CountingInputIteratorIllEEPS6_NSA_22TransformInputIteratorIbN2at6native12_GLOBAL__N_19NonZeroOpIN3c107complexIfEEEEPKSL_lEENS0_5tupleIJPlS6_EEENSQ_IJSD_SD_EEES6_PiJS6_EEE10hipError_tPvRmT3_T4_T5_T6_T7_T9_mT8_P12ihipStream_tbDpT10_ENKUlT_T0_E_clISt17integral_constantIbLb1EES1E_EEDaS19_S1A_EUlS19_E_NS1_11comp_targetILNS1_3genE5ELNS1_11target_archE942ELNS1_3gpuE9ELNS1_3repE0EEENS1_30default_config_static_selectorELNS0_4arch9wavefront6targetE0EEEvT1_,@function
_ZN7rocprim17ROCPRIM_400000_NS6detail17trampoline_kernelINS0_14default_configENS1_25partition_config_selectorILNS1_17partition_subalgoE5ElNS0_10empty_typeEbEEZZNS1_14partition_implILS5_5ELb0ES3_mN6hipcub16HIPCUB_304000_NS21CountingInputIteratorIllEEPS6_NSA_22TransformInputIteratorIbN2at6native12_GLOBAL__N_19NonZeroOpIN3c107complexIfEEEEPKSL_lEENS0_5tupleIJPlS6_EEENSQ_IJSD_SD_EEES6_PiJS6_EEE10hipError_tPvRmT3_T4_T5_T6_T7_T9_mT8_P12ihipStream_tbDpT10_ENKUlT_T0_E_clISt17integral_constantIbLb1EES1E_EEDaS19_S1A_EUlS19_E_NS1_11comp_targetILNS1_3genE5ELNS1_11target_archE942ELNS1_3gpuE9ELNS1_3repE0EEENS1_30default_config_static_selectorELNS0_4arch9wavefront6targetE0EEEvT1_: ; @_ZN7rocprim17ROCPRIM_400000_NS6detail17trampoline_kernelINS0_14default_configENS1_25partition_config_selectorILNS1_17partition_subalgoE5ElNS0_10empty_typeEbEEZZNS1_14partition_implILS5_5ELb0ES3_mN6hipcub16HIPCUB_304000_NS21CountingInputIteratorIllEEPS6_NSA_22TransformInputIteratorIbN2at6native12_GLOBAL__N_19NonZeroOpIN3c107complexIfEEEEPKSL_lEENS0_5tupleIJPlS6_EEENSQ_IJSD_SD_EEES6_PiJS6_EEE10hipError_tPvRmT3_T4_T5_T6_T7_T9_mT8_P12ihipStream_tbDpT10_ENKUlT_T0_E_clISt17integral_constantIbLb1EES1E_EEDaS19_S1A_EUlS19_E_NS1_11comp_targetILNS1_3genE5ELNS1_11target_archE942ELNS1_3gpuE9ELNS1_3repE0EEENS1_30default_config_static_selectorELNS0_4arch9wavefront6targetE0EEEvT1_
; %bb.0:
	.section	.rodata,"a",@progbits
	.p2align	6, 0x0
	.amdhsa_kernel _ZN7rocprim17ROCPRIM_400000_NS6detail17trampoline_kernelINS0_14default_configENS1_25partition_config_selectorILNS1_17partition_subalgoE5ElNS0_10empty_typeEbEEZZNS1_14partition_implILS5_5ELb0ES3_mN6hipcub16HIPCUB_304000_NS21CountingInputIteratorIllEEPS6_NSA_22TransformInputIteratorIbN2at6native12_GLOBAL__N_19NonZeroOpIN3c107complexIfEEEEPKSL_lEENS0_5tupleIJPlS6_EEENSQ_IJSD_SD_EEES6_PiJS6_EEE10hipError_tPvRmT3_T4_T5_T6_T7_T9_mT8_P12ihipStream_tbDpT10_ENKUlT_T0_E_clISt17integral_constantIbLb1EES1E_EEDaS19_S1A_EUlS19_E_NS1_11comp_targetILNS1_3genE5ELNS1_11target_archE942ELNS1_3gpuE9ELNS1_3repE0EEENS1_30default_config_static_selectorELNS0_4arch9wavefront6targetE0EEEvT1_
		.amdhsa_group_segment_fixed_size 0
		.amdhsa_private_segment_fixed_size 0
		.amdhsa_kernarg_size 136
		.amdhsa_user_sgpr_count 15
		.amdhsa_user_sgpr_dispatch_ptr 0
		.amdhsa_user_sgpr_queue_ptr 0
		.amdhsa_user_sgpr_kernarg_segment_ptr 1
		.amdhsa_user_sgpr_dispatch_id 0
		.amdhsa_user_sgpr_private_segment_size 0
		.amdhsa_wavefront_size32 1
		.amdhsa_uses_dynamic_stack 0
		.amdhsa_enable_private_segment 0
		.amdhsa_system_sgpr_workgroup_id_x 1
		.amdhsa_system_sgpr_workgroup_id_y 0
		.amdhsa_system_sgpr_workgroup_id_z 0
		.amdhsa_system_sgpr_workgroup_info 0
		.amdhsa_system_vgpr_workitem_id 0
		.amdhsa_next_free_vgpr 1
		.amdhsa_next_free_sgpr 1
		.amdhsa_reserve_vcc 0
		.amdhsa_float_round_mode_32 0
		.amdhsa_float_round_mode_16_64 0
		.amdhsa_float_denorm_mode_32 3
		.amdhsa_float_denorm_mode_16_64 3
		.amdhsa_dx10_clamp 1
		.amdhsa_ieee_mode 1
		.amdhsa_fp16_overflow 0
		.amdhsa_workgroup_processor_mode 1
		.amdhsa_memory_ordered 1
		.amdhsa_forward_progress 0
		.amdhsa_shared_vgpr_count 0
		.amdhsa_exception_fp_ieee_invalid_op 0
		.amdhsa_exception_fp_denorm_src 0
		.amdhsa_exception_fp_ieee_div_zero 0
		.amdhsa_exception_fp_ieee_overflow 0
		.amdhsa_exception_fp_ieee_underflow 0
		.amdhsa_exception_fp_ieee_inexact 0
		.amdhsa_exception_int_div_zero 0
	.end_amdhsa_kernel
	.section	.text._ZN7rocprim17ROCPRIM_400000_NS6detail17trampoline_kernelINS0_14default_configENS1_25partition_config_selectorILNS1_17partition_subalgoE5ElNS0_10empty_typeEbEEZZNS1_14partition_implILS5_5ELb0ES3_mN6hipcub16HIPCUB_304000_NS21CountingInputIteratorIllEEPS6_NSA_22TransformInputIteratorIbN2at6native12_GLOBAL__N_19NonZeroOpIN3c107complexIfEEEEPKSL_lEENS0_5tupleIJPlS6_EEENSQ_IJSD_SD_EEES6_PiJS6_EEE10hipError_tPvRmT3_T4_T5_T6_T7_T9_mT8_P12ihipStream_tbDpT10_ENKUlT_T0_E_clISt17integral_constantIbLb1EES1E_EEDaS19_S1A_EUlS19_E_NS1_11comp_targetILNS1_3genE5ELNS1_11target_archE942ELNS1_3gpuE9ELNS1_3repE0EEENS1_30default_config_static_selectorELNS0_4arch9wavefront6targetE0EEEvT1_,"axG",@progbits,_ZN7rocprim17ROCPRIM_400000_NS6detail17trampoline_kernelINS0_14default_configENS1_25partition_config_selectorILNS1_17partition_subalgoE5ElNS0_10empty_typeEbEEZZNS1_14partition_implILS5_5ELb0ES3_mN6hipcub16HIPCUB_304000_NS21CountingInputIteratorIllEEPS6_NSA_22TransformInputIteratorIbN2at6native12_GLOBAL__N_19NonZeroOpIN3c107complexIfEEEEPKSL_lEENS0_5tupleIJPlS6_EEENSQ_IJSD_SD_EEES6_PiJS6_EEE10hipError_tPvRmT3_T4_T5_T6_T7_T9_mT8_P12ihipStream_tbDpT10_ENKUlT_T0_E_clISt17integral_constantIbLb1EES1E_EEDaS19_S1A_EUlS19_E_NS1_11comp_targetILNS1_3genE5ELNS1_11target_archE942ELNS1_3gpuE9ELNS1_3repE0EEENS1_30default_config_static_selectorELNS0_4arch9wavefront6targetE0EEEvT1_,comdat
.Lfunc_end603:
	.size	_ZN7rocprim17ROCPRIM_400000_NS6detail17trampoline_kernelINS0_14default_configENS1_25partition_config_selectorILNS1_17partition_subalgoE5ElNS0_10empty_typeEbEEZZNS1_14partition_implILS5_5ELb0ES3_mN6hipcub16HIPCUB_304000_NS21CountingInputIteratorIllEEPS6_NSA_22TransformInputIteratorIbN2at6native12_GLOBAL__N_19NonZeroOpIN3c107complexIfEEEEPKSL_lEENS0_5tupleIJPlS6_EEENSQ_IJSD_SD_EEES6_PiJS6_EEE10hipError_tPvRmT3_T4_T5_T6_T7_T9_mT8_P12ihipStream_tbDpT10_ENKUlT_T0_E_clISt17integral_constantIbLb1EES1E_EEDaS19_S1A_EUlS19_E_NS1_11comp_targetILNS1_3genE5ELNS1_11target_archE942ELNS1_3gpuE9ELNS1_3repE0EEENS1_30default_config_static_selectorELNS0_4arch9wavefront6targetE0EEEvT1_, .Lfunc_end603-_ZN7rocprim17ROCPRIM_400000_NS6detail17trampoline_kernelINS0_14default_configENS1_25partition_config_selectorILNS1_17partition_subalgoE5ElNS0_10empty_typeEbEEZZNS1_14partition_implILS5_5ELb0ES3_mN6hipcub16HIPCUB_304000_NS21CountingInputIteratorIllEEPS6_NSA_22TransformInputIteratorIbN2at6native12_GLOBAL__N_19NonZeroOpIN3c107complexIfEEEEPKSL_lEENS0_5tupleIJPlS6_EEENSQ_IJSD_SD_EEES6_PiJS6_EEE10hipError_tPvRmT3_T4_T5_T6_T7_T9_mT8_P12ihipStream_tbDpT10_ENKUlT_T0_E_clISt17integral_constantIbLb1EES1E_EEDaS19_S1A_EUlS19_E_NS1_11comp_targetILNS1_3genE5ELNS1_11target_archE942ELNS1_3gpuE9ELNS1_3repE0EEENS1_30default_config_static_selectorELNS0_4arch9wavefront6targetE0EEEvT1_
                                        ; -- End function
	.section	.AMDGPU.csdata,"",@progbits
; Kernel info:
; codeLenInByte = 0
; NumSgprs: 0
; NumVgprs: 0
; ScratchSize: 0
; MemoryBound: 0
; FloatMode: 240
; IeeeMode: 1
; LDSByteSize: 0 bytes/workgroup (compile time only)
; SGPRBlocks: 0
; VGPRBlocks: 0
; NumSGPRsForWavesPerEU: 1
; NumVGPRsForWavesPerEU: 1
; Occupancy: 16
; WaveLimiterHint : 0
; COMPUTE_PGM_RSRC2:SCRATCH_EN: 0
; COMPUTE_PGM_RSRC2:USER_SGPR: 15
; COMPUTE_PGM_RSRC2:TRAP_HANDLER: 0
; COMPUTE_PGM_RSRC2:TGID_X_EN: 1
; COMPUTE_PGM_RSRC2:TGID_Y_EN: 0
; COMPUTE_PGM_RSRC2:TGID_Z_EN: 0
; COMPUTE_PGM_RSRC2:TIDIG_COMP_CNT: 0
	.section	.text._ZN7rocprim17ROCPRIM_400000_NS6detail17trampoline_kernelINS0_14default_configENS1_25partition_config_selectorILNS1_17partition_subalgoE5ElNS0_10empty_typeEbEEZZNS1_14partition_implILS5_5ELb0ES3_mN6hipcub16HIPCUB_304000_NS21CountingInputIteratorIllEEPS6_NSA_22TransformInputIteratorIbN2at6native12_GLOBAL__N_19NonZeroOpIN3c107complexIfEEEEPKSL_lEENS0_5tupleIJPlS6_EEENSQ_IJSD_SD_EEES6_PiJS6_EEE10hipError_tPvRmT3_T4_T5_T6_T7_T9_mT8_P12ihipStream_tbDpT10_ENKUlT_T0_E_clISt17integral_constantIbLb1EES1E_EEDaS19_S1A_EUlS19_E_NS1_11comp_targetILNS1_3genE4ELNS1_11target_archE910ELNS1_3gpuE8ELNS1_3repE0EEENS1_30default_config_static_selectorELNS0_4arch9wavefront6targetE0EEEvT1_,"axG",@progbits,_ZN7rocprim17ROCPRIM_400000_NS6detail17trampoline_kernelINS0_14default_configENS1_25partition_config_selectorILNS1_17partition_subalgoE5ElNS0_10empty_typeEbEEZZNS1_14partition_implILS5_5ELb0ES3_mN6hipcub16HIPCUB_304000_NS21CountingInputIteratorIllEEPS6_NSA_22TransformInputIteratorIbN2at6native12_GLOBAL__N_19NonZeroOpIN3c107complexIfEEEEPKSL_lEENS0_5tupleIJPlS6_EEENSQ_IJSD_SD_EEES6_PiJS6_EEE10hipError_tPvRmT3_T4_T5_T6_T7_T9_mT8_P12ihipStream_tbDpT10_ENKUlT_T0_E_clISt17integral_constantIbLb1EES1E_EEDaS19_S1A_EUlS19_E_NS1_11comp_targetILNS1_3genE4ELNS1_11target_archE910ELNS1_3gpuE8ELNS1_3repE0EEENS1_30default_config_static_selectorELNS0_4arch9wavefront6targetE0EEEvT1_,comdat
	.globl	_ZN7rocprim17ROCPRIM_400000_NS6detail17trampoline_kernelINS0_14default_configENS1_25partition_config_selectorILNS1_17partition_subalgoE5ElNS0_10empty_typeEbEEZZNS1_14partition_implILS5_5ELb0ES3_mN6hipcub16HIPCUB_304000_NS21CountingInputIteratorIllEEPS6_NSA_22TransformInputIteratorIbN2at6native12_GLOBAL__N_19NonZeroOpIN3c107complexIfEEEEPKSL_lEENS0_5tupleIJPlS6_EEENSQ_IJSD_SD_EEES6_PiJS6_EEE10hipError_tPvRmT3_T4_T5_T6_T7_T9_mT8_P12ihipStream_tbDpT10_ENKUlT_T0_E_clISt17integral_constantIbLb1EES1E_EEDaS19_S1A_EUlS19_E_NS1_11comp_targetILNS1_3genE4ELNS1_11target_archE910ELNS1_3gpuE8ELNS1_3repE0EEENS1_30default_config_static_selectorELNS0_4arch9wavefront6targetE0EEEvT1_ ; -- Begin function _ZN7rocprim17ROCPRIM_400000_NS6detail17trampoline_kernelINS0_14default_configENS1_25partition_config_selectorILNS1_17partition_subalgoE5ElNS0_10empty_typeEbEEZZNS1_14partition_implILS5_5ELb0ES3_mN6hipcub16HIPCUB_304000_NS21CountingInputIteratorIllEEPS6_NSA_22TransformInputIteratorIbN2at6native12_GLOBAL__N_19NonZeroOpIN3c107complexIfEEEEPKSL_lEENS0_5tupleIJPlS6_EEENSQ_IJSD_SD_EEES6_PiJS6_EEE10hipError_tPvRmT3_T4_T5_T6_T7_T9_mT8_P12ihipStream_tbDpT10_ENKUlT_T0_E_clISt17integral_constantIbLb1EES1E_EEDaS19_S1A_EUlS19_E_NS1_11comp_targetILNS1_3genE4ELNS1_11target_archE910ELNS1_3gpuE8ELNS1_3repE0EEENS1_30default_config_static_selectorELNS0_4arch9wavefront6targetE0EEEvT1_
	.p2align	8
	.type	_ZN7rocprim17ROCPRIM_400000_NS6detail17trampoline_kernelINS0_14default_configENS1_25partition_config_selectorILNS1_17partition_subalgoE5ElNS0_10empty_typeEbEEZZNS1_14partition_implILS5_5ELb0ES3_mN6hipcub16HIPCUB_304000_NS21CountingInputIteratorIllEEPS6_NSA_22TransformInputIteratorIbN2at6native12_GLOBAL__N_19NonZeroOpIN3c107complexIfEEEEPKSL_lEENS0_5tupleIJPlS6_EEENSQ_IJSD_SD_EEES6_PiJS6_EEE10hipError_tPvRmT3_T4_T5_T6_T7_T9_mT8_P12ihipStream_tbDpT10_ENKUlT_T0_E_clISt17integral_constantIbLb1EES1E_EEDaS19_S1A_EUlS19_E_NS1_11comp_targetILNS1_3genE4ELNS1_11target_archE910ELNS1_3gpuE8ELNS1_3repE0EEENS1_30default_config_static_selectorELNS0_4arch9wavefront6targetE0EEEvT1_,@function
_ZN7rocprim17ROCPRIM_400000_NS6detail17trampoline_kernelINS0_14default_configENS1_25partition_config_selectorILNS1_17partition_subalgoE5ElNS0_10empty_typeEbEEZZNS1_14partition_implILS5_5ELb0ES3_mN6hipcub16HIPCUB_304000_NS21CountingInputIteratorIllEEPS6_NSA_22TransformInputIteratorIbN2at6native12_GLOBAL__N_19NonZeroOpIN3c107complexIfEEEEPKSL_lEENS0_5tupleIJPlS6_EEENSQ_IJSD_SD_EEES6_PiJS6_EEE10hipError_tPvRmT3_T4_T5_T6_T7_T9_mT8_P12ihipStream_tbDpT10_ENKUlT_T0_E_clISt17integral_constantIbLb1EES1E_EEDaS19_S1A_EUlS19_E_NS1_11comp_targetILNS1_3genE4ELNS1_11target_archE910ELNS1_3gpuE8ELNS1_3repE0EEENS1_30default_config_static_selectorELNS0_4arch9wavefront6targetE0EEEvT1_: ; @_ZN7rocprim17ROCPRIM_400000_NS6detail17trampoline_kernelINS0_14default_configENS1_25partition_config_selectorILNS1_17partition_subalgoE5ElNS0_10empty_typeEbEEZZNS1_14partition_implILS5_5ELb0ES3_mN6hipcub16HIPCUB_304000_NS21CountingInputIteratorIllEEPS6_NSA_22TransformInputIteratorIbN2at6native12_GLOBAL__N_19NonZeroOpIN3c107complexIfEEEEPKSL_lEENS0_5tupleIJPlS6_EEENSQ_IJSD_SD_EEES6_PiJS6_EEE10hipError_tPvRmT3_T4_T5_T6_T7_T9_mT8_P12ihipStream_tbDpT10_ENKUlT_T0_E_clISt17integral_constantIbLb1EES1E_EEDaS19_S1A_EUlS19_E_NS1_11comp_targetILNS1_3genE4ELNS1_11target_archE910ELNS1_3gpuE8ELNS1_3repE0EEENS1_30default_config_static_selectorELNS0_4arch9wavefront6targetE0EEEvT1_
; %bb.0:
	.section	.rodata,"a",@progbits
	.p2align	6, 0x0
	.amdhsa_kernel _ZN7rocprim17ROCPRIM_400000_NS6detail17trampoline_kernelINS0_14default_configENS1_25partition_config_selectorILNS1_17partition_subalgoE5ElNS0_10empty_typeEbEEZZNS1_14partition_implILS5_5ELb0ES3_mN6hipcub16HIPCUB_304000_NS21CountingInputIteratorIllEEPS6_NSA_22TransformInputIteratorIbN2at6native12_GLOBAL__N_19NonZeroOpIN3c107complexIfEEEEPKSL_lEENS0_5tupleIJPlS6_EEENSQ_IJSD_SD_EEES6_PiJS6_EEE10hipError_tPvRmT3_T4_T5_T6_T7_T9_mT8_P12ihipStream_tbDpT10_ENKUlT_T0_E_clISt17integral_constantIbLb1EES1E_EEDaS19_S1A_EUlS19_E_NS1_11comp_targetILNS1_3genE4ELNS1_11target_archE910ELNS1_3gpuE8ELNS1_3repE0EEENS1_30default_config_static_selectorELNS0_4arch9wavefront6targetE0EEEvT1_
		.amdhsa_group_segment_fixed_size 0
		.amdhsa_private_segment_fixed_size 0
		.amdhsa_kernarg_size 136
		.amdhsa_user_sgpr_count 15
		.amdhsa_user_sgpr_dispatch_ptr 0
		.amdhsa_user_sgpr_queue_ptr 0
		.amdhsa_user_sgpr_kernarg_segment_ptr 1
		.amdhsa_user_sgpr_dispatch_id 0
		.amdhsa_user_sgpr_private_segment_size 0
		.amdhsa_wavefront_size32 1
		.amdhsa_uses_dynamic_stack 0
		.amdhsa_enable_private_segment 0
		.amdhsa_system_sgpr_workgroup_id_x 1
		.amdhsa_system_sgpr_workgroup_id_y 0
		.amdhsa_system_sgpr_workgroup_id_z 0
		.amdhsa_system_sgpr_workgroup_info 0
		.amdhsa_system_vgpr_workitem_id 0
		.amdhsa_next_free_vgpr 1
		.amdhsa_next_free_sgpr 1
		.amdhsa_reserve_vcc 0
		.amdhsa_float_round_mode_32 0
		.amdhsa_float_round_mode_16_64 0
		.amdhsa_float_denorm_mode_32 3
		.amdhsa_float_denorm_mode_16_64 3
		.amdhsa_dx10_clamp 1
		.amdhsa_ieee_mode 1
		.amdhsa_fp16_overflow 0
		.amdhsa_workgroup_processor_mode 1
		.amdhsa_memory_ordered 1
		.amdhsa_forward_progress 0
		.amdhsa_shared_vgpr_count 0
		.amdhsa_exception_fp_ieee_invalid_op 0
		.amdhsa_exception_fp_denorm_src 0
		.amdhsa_exception_fp_ieee_div_zero 0
		.amdhsa_exception_fp_ieee_overflow 0
		.amdhsa_exception_fp_ieee_underflow 0
		.amdhsa_exception_fp_ieee_inexact 0
		.amdhsa_exception_int_div_zero 0
	.end_amdhsa_kernel
	.section	.text._ZN7rocprim17ROCPRIM_400000_NS6detail17trampoline_kernelINS0_14default_configENS1_25partition_config_selectorILNS1_17partition_subalgoE5ElNS0_10empty_typeEbEEZZNS1_14partition_implILS5_5ELb0ES3_mN6hipcub16HIPCUB_304000_NS21CountingInputIteratorIllEEPS6_NSA_22TransformInputIteratorIbN2at6native12_GLOBAL__N_19NonZeroOpIN3c107complexIfEEEEPKSL_lEENS0_5tupleIJPlS6_EEENSQ_IJSD_SD_EEES6_PiJS6_EEE10hipError_tPvRmT3_T4_T5_T6_T7_T9_mT8_P12ihipStream_tbDpT10_ENKUlT_T0_E_clISt17integral_constantIbLb1EES1E_EEDaS19_S1A_EUlS19_E_NS1_11comp_targetILNS1_3genE4ELNS1_11target_archE910ELNS1_3gpuE8ELNS1_3repE0EEENS1_30default_config_static_selectorELNS0_4arch9wavefront6targetE0EEEvT1_,"axG",@progbits,_ZN7rocprim17ROCPRIM_400000_NS6detail17trampoline_kernelINS0_14default_configENS1_25partition_config_selectorILNS1_17partition_subalgoE5ElNS0_10empty_typeEbEEZZNS1_14partition_implILS5_5ELb0ES3_mN6hipcub16HIPCUB_304000_NS21CountingInputIteratorIllEEPS6_NSA_22TransformInputIteratorIbN2at6native12_GLOBAL__N_19NonZeroOpIN3c107complexIfEEEEPKSL_lEENS0_5tupleIJPlS6_EEENSQ_IJSD_SD_EEES6_PiJS6_EEE10hipError_tPvRmT3_T4_T5_T6_T7_T9_mT8_P12ihipStream_tbDpT10_ENKUlT_T0_E_clISt17integral_constantIbLb1EES1E_EEDaS19_S1A_EUlS19_E_NS1_11comp_targetILNS1_3genE4ELNS1_11target_archE910ELNS1_3gpuE8ELNS1_3repE0EEENS1_30default_config_static_selectorELNS0_4arch9wavefront6targetE0EEEvT1_,comdat
.Lfunc_end604:
	.size	_ZN7rocprim17ROCPRIM_400000_NS6detail17trampoline_kernelINS0_14default_configENS1_25partition_config_selectorILNS1_17partition_subalgoE5ElNS0_10empty_typeEbEEZZNS1_14partition_implILS5_5ELb0ES3_mN6hipcub16HIPCUB_304000_NS21CountingInputIteratorIllEEPS6_NSA_22TransformInputIteratorIbN2at6native12_GLOBAL__N_19NonZeroOpIN3c107complexIfEEEEPKSL_lEENS0_5tupleIJPlS6_EEENSQ_IJSD_SD_EEES6_PiJS6_EEE10hipError_tPvRmT3_T4_T5_T6_T7_T9_mT8_P12ihipStream_tbDpT10_ENKUlT_T0_E_clISt17integral_constantIbLb1EES1E_EEDaS19_S1A_EUlS19_E_NS1_11comp_targetILNS1_3genE4ELNS1_11target_archE910ELNS1_3gpuE8ELNS1_3repE0EEENS1_30default_config_static_selectorELNS0_4arch9wavefront6targetE0EEEvT1_, .Lfunc_end604-_ZN7rocprim17ROCPRIM_400000_NS6detail17trampoline_kernelINS0_14default_configENS1_25partition_config_selectorILNS1_17partition_subalgoE5ElNS0_10empty_typeEbEEZZNS1_14partition_implILS5_5ELb0ES3_mN6hipcub16HIPCUB_304000_NS21CountingInputIteratorIllEEPS6_NSA_22TransformInputIteratorIbN2at6native12_GLOBAL__N_19NonZeroOpIN3c107complexIfEEEEPKSL_lEENS0_5tupleIJPlS6_EEENSQ_IJSD_SD_EEES6_PiJS6_EEE10hipError_tPvRmT3_T4_T5_T6_T7_T9_mT8_P12ihipStream_tbDpT10_ENKUlT_T0_E_clISt17integral_constantIbLb1EES1E_EEDaS19_S1A_EUlS19_E_NS1_11comp_targetILNS1_3genE4ELNS1_11target_archE910ELNS1_3gpuE8ELNS1_3repE0EEENS1_30default_config_static_selectorELNS0_4arch9wavefront6targetE0EEEvT1_
                                        ; -- End function
	.section	.AMDGPU.csdata,"",@progbits
; Kernel info:
; codeLenInByte = 0
; NumSgprs: 0
; NumVgprs: 0
; ScratchSize: 0
; MemoryBound: 0
; FloatMode: 240
; IeeeMode: 1
; LDSByteSize: 0 bytes/workgroup (compile time only)
; SGPRBlocks: 0
; VGPRBlocks: 0
; NumSGPRsForWavesPerEU: 1
; NumVGPRsForWavesPerEU: 1
; Occupancy: 15
; WaveLimiterHint : 0
; COMPUTE_PGM_RSRC2:SCRATCH_EN: 0
; COMPUTE_PGM_RSRC2:USER_SGPR: 15
; COMPUTE_PGM_RSRC2:TRAP_HANDLER: 0
; COMPUTE_PGM_RSRC2:TGID_X_EN: 1
; COMPUTE_PGM_RSRC2:TGID_Y_EN: 0
; COMPUTE_PGM_RSRC2:TGID_Z_EN: 0
; COMPUTE_PGM_RSRC2:TIDIG_COMP_CNT: 0
	.section	.text._ZN7rocprim17ROCPRIM_400000_NS6detail17trampoline_kernelINS0_14default_configENS1_25partition_config_selectorILNS1_17partition_subalgoE5ElNS0_10empty_typeEbEEZZNS1_14partition_implILS5_5ELb0ES3_mN6hipcub16HIPCUB_304000_NS21CountingInputIteratorIllEEPS6_NSA_22TransformInputIteratorIbN2at6native12_GLOBAL__N_19NonZeroOpIN3c107complexIfEEEEPKSL_lEENS0_5tupleIJPlS6_EEENSQ_IJSD_SD_EEES6_PiJS6_EEE10hipError_tPvRmT3_T4_T5_T6_T7_T9_mT8_P12ihipStream_tbDpT10_ENKUlT_T0_E_clISt17integral_constantIbLb1EES1E_EEDaS19_S1A_EUlS19_E_NS1_11comp_targetILNS1_3genE3ELNS1_11target_archE908ELNS1_3gpuE7ELNS1_3repE0EEENS1_30default_config_static_selectorELNS0_4arch9wavefront6targetE0EEEvT1_,"axG",@progbits,_ZN7rocprim17ROCPRIM_400000_NS6detail17trampoline_kernelINS0_14default_configENS1_25partition_config_selectorILNS1_17partition_subalgoE5ElNS0_10empty_typeEbEEZZNS1_14partition_implILS5_5ELb0ES3_mN6hipcub16HIPCUB_304000_NS21CountingInputIteratorIllEEPS6_NSA_22TransformInputIteratorIbN2at6native12_GLOBAL__N_19NonZeroOpIN3c107complexIfEEEEPKSL_lEENS0_5tupleIJPlS6_EEENSQ_IJSD_SD_EEES6_PiJS6_EEE10hipError_tPvRmT3_T4_T5_T6_T7_T9_mT8_P12ihipStream_tbDpT10_ENKUlT_T0_E_clISt17integral_constantIbLb1EES1E_EEDaS19_S1A_EUlS19_E_NS1_11comp_targetILNS1_3genE3ELNS1_11target_archE908ELNS1_3gpuE7ELNS1_3repE0EEENS1_30default_config_static_selectorELNS0_4arch9wavefront6targetE0EEEvT1_,comdat
	.globl	_ZN7rocprim17ROCPRIM_400000_NS6detail17trampoline_kernelINS0_14default_configENS1_25partition_config_selectorILNS1_17partition_subalgoE5ElNS0_10empty_typeEbEEZZNS1_14partition_implILS5_5ELb0ES3_mN6hipcub16HIPCUB_304000_NS21CountingInputIteratorIllEEPS6_NSA_22TransformInputIteratorIbN2at6native12_GLOBAL__N_19NonZeroOpIN3c107complexIfEEEEPKSL_lEENS0_5tupleIJPlS6_EEENSQ_IJSD_SD_EEES6_PiJS6_EEE10hipError_tPvRmT3_T4_T5_T6_T7_T9_mT8_P12ihipStream_tbDpT10_ENKUlT_T0_E_clISt17integral_constantIbLb1EES1E_EEDaS19_S1A_EUlS19_E_NS1_11comp_targetILNS1_3genE3ELNS1_11target_archE908ELNS1_3gpuE7ELNS1_3repE0EEENS1_30default_config_static_selectorELNS0_4arch9wavefront6targetE0EEEvT1_ ; -- Begin function _ZN7rocprim17ROCPRIM_400000_NS6detail17trampoline_kernelINS0_14default_configENS1_25partition_config_selectorILNS1_17partition_subalgoE5ElNS0_10empty_typeEbEEZZNS1_14partition_implILS5_5ELb0ES3_mN6hipcub16HIPCUB_304000_NS21CountingInputIteratorIllEEPS6_NSA_22TransformInputIteratorIbN2at6native12_GLOBAL__N_19NonZeroOpIN3c107complexIfEEEEPKSL_lEENS0_5tupleIJPlS6_EEENSQ_IJSD_SD_EEES6_PiJS6_EEE10hipError_tPvRmT3_T4_T5_T6_T7_T9_mT8_P12ihipStream_tbDpT10_ENKUlT_T0_E_clISt17integral_constantIbLb1EES1E_EEDaS19_S1A_EUlS19_E_NS1_11comp_targetILNS1_3genE3ELNS1_11target_archE908ELNS1_3gpuE7ELNS1_3repE0EEENS1_30default_config_static_selectorELNS0_4arch9wavefront6targetE0EEEvT1_
	.p2align	8
	.type	_ZN7rocprim17ROCPRIM_400000_NS6detail17trampoline_kernelINS0_14default_configENS1_25partition_config_selectorILNS1_17partition_subalgoE5ElNS0_10empty_typeEbEEZZNS1_14partition_implILS5_5ELb0ES3_mN6hipcub16HIPCUB_304000_NS21CountingInputIteratorIllEEPS6_NSA_22TransformInputIteratorIbN2at6native12_GLOBAL__N_19NonZeroOpIN3c107complexIfEEEEPKSL_lEENS0_5tupleIJPlS6_EEENSQ_IJSD_SD_EEES6_PiJS6_EEE10hipError_tPvRmT3_T4_T5_T6_T7_T9_mT8_P12ihipStream_tbDpT10_ENKUlT_T0_E_clISt17integral_constantIbLb1EES1E_EEDaS19_S1A_EUlS19_E_NS1_11comp_targetILNS1_3genE3ELNS1_11target_archE908ELNS1_3gpuE7ELNS1_3repE0EEENS1_30default_config_static_selectorELNS0_4arch9wavefront6targetE0EEEvT1_,@function
_ZN7rocprim17ROCPRIM_400000_NS6detail17trampoline_kernelINS0_14default_configENS1_25partition_config_selectorILNS1_17partition_subalgoE5ElNS0_10empty_typeEbEEZZNS1_14partition_implILS5_5ELb0ES3_mN6hipcub16HIPCUB_304000_NS21CountingInputIteratorIllEEPS6_NSA_22TransformInputIteratorIbN2at6native12_GLOBAL__N_19NonZeroOpIN3c107complexIfEEEEPKSL_lEENS0_5tupleIJPlS6_EEENSQ_IJSD_SD_EEES6_PiJS6_EEE10hipError_tPvRmT3_T4_T5_T6_T7_T9_mT8_P12ihipStream_tbDpT10_ENKUlT_T0_E_clISt17integral_constantIbLb1EES1E_EEDaS19_S1A_EUlS19_E_NS1_11comp_targetILNS1_3genE3ELNS1_11target_archE908ELNS1_3gpuE7ELNS1_3repE0EEENS1_30default_config_static_selectorELNS0_4arch9wavefront6targetE0EEEvT1_: ; @_ZN7rocprim17ROCPRIM_400000_NS6detail17trampoline_kernelINS0_14default_configENS1_25partition_config_selectorILNS1_17partition_subalgoE5ElNS0_10empty_typeEbEEZZNS1_14partition_implILS5_5ELb0ES3_mN6hipcub16HIPCUB_304000_NS21CountingInputIteratorIllEEPS6_NSA_22TransformInputIteratorIbN2at6native12_GLOBAL__N_19NonZeroOpIN3c107complexIfEEEEPKSL_lEENS0_5tupleIJPlS6_EEENSQ_IJSD_SD_EEES6_PiJS6_EEE10hipError_tPvRmT3_T4_T5_T6_T7_T9_mT8_P12ihipStream_tbDpT10_ENKUlT_T0_E_clISt17integral_constantIbLb1EES1E_EEDaS19_S1A_EUlS19_E_NS1_11comp_targetILNS1_3genE3ELNS1_11target_archE908ELNS1_3gpuE7ELNS1_3repE0EEENS1_30default_config_static_selectorELNS0_4arch9wavefront6targetE0EEEvT1_
; %bb.0:
	.section	.rodata,"a",@progbits
	.p2align	6, 0x0
	.amdhsa_kernel _ZN7rocprim17ROCPRIM_400000_NS6detail17trampoline_kernelINS0_14default_configENS1_25partition_config_selectorILNS1_17partition_subalgoE5ElNS0_10empty_typeEbEEZZNS1_14partition_implILS5_5ELb0ES3_mN6hipcub16HIPCUB_304000_NS21CountingInputIteratorIllEEPS6_NSA_22TransformInputIteratorIbN2at6native12_GLOBAL__N_19NonZeroOpIN3c107complexIfEEEEPKSL_lEENS0_5tupleIJPlS6_EEENSQ_IJSD_SD_EEES6_PiJS6_EEE10hipError_tPvRmT3_T4_T5_T6_T7_T9_mT8_P12ihipStream_tbDpT10_ENKUlT_T0_E_clISt17integral_constantIbLb1EES1E_EEDaS19_S1A_EUlS19_E_NS1_11comp_targetILNS1_3genE3ELNS1_11target_archE908ELNS1_3gpuE7ELNS1_3repE0EEENS1_30default_config_static_selectorELNS0_4arch9wavefront6targetE0EEEvT1_
		.amdhsa_group_segment_fixed_size 0
		.amdhsa_private_segment_fixed_size 0
		.amdhsa_kernarg_size 136
		.amdhsa_user_sgpr_count 15
		.amdhsa_user_sgpr_dispatch_ptr 0
		.amdhsa_user_sgpr_queue_ptr 0
		.amdhsa_user_sgpr_kernarg_segment_ptr 1
		.amdhsa_user_sgpr_dispatch_id 0
		.amdhsa_user_sgpr_private_segment_size 0
		.amdhsa_wavefront_size32 1
		.amdhsa_uses_dynamic_stack 0
		.amdhsa_enable_private_segment 0
		.amdhsa_system_sgpr_workgroup_id_x 1
		.amdhsa_system_sgpr_workgroup_id_y 0
		.amdhsa_system_sgpr_workgroup_id_z 0
		.amdhsa_system_sgpr_workgroup_info 0
		.amdhsa_system_vgpr_workitem_id 0
		.amdhsa_next_free_vgpr 1
		.amdhsa_next_free_sgpr 1
		.amdhsa_reserve_vcc 0
		.amdhsa_float_round_mode_32 0
		.amdhsa_float_round_mode_16_64 0
		.amdhsa_float_denorm_mode_32 3
		.amdhsa_float_denorm_mode_16_64 3
		.amdhsa_dx10_clamp 1
		.amdhsa_ieee_mode 1
		.amdhsa_fp16_overflow 0
		.amdhsa_workgroup_processor_mode 1
		.amdhsa_memory_ordered 1
		.amdhsa_forward_progress 0
		.amdhsa_shared_vgpr_count 0
		.amdhsa_exception_fp_ieee_invalid_op 0
		.amdhsa_exception_fp_denorm_src 0
		.amdhsa_exception_fp_ieee_div_zero 0
		.amdhsa_exception_fp_ieee_overflow 0
		.amdhsa_exception_fp_ieee_underflow 0
		.amdhsa_exception_fp_ieee_inexact 0
		.amdhsa_exception_int_div_zero 0
	.end_amdhsa_kernel
	.section	.text._ZN7rocprim17ROCPRIM_400000_NS6detail17trampoline_kernelINS0_14default_configENS1_25partition_config_selectorILNS1_17partition_subalgoE5ElNS0_10empty_typeEbEEZZNS1_14partition_implILS5_5ELb0ES3_mN6hipcub16HIPCUB_304000_NS21CountingInputIteratorIllEEPS6_NSA_22TransformInputIteratorIbN2at6native12_GLOBAL__N_19NonZeroOpIN3c107complexIfEEEEPKSL_lEENS0_5tupleIJPlS6_EEENSQ_IJSD_SD_EEES6_PiJS6_EEE10hipError_tPvRmT3_T4_T5_T6_T7_T9_mT8_P12ihipStream_tbDpT10_ENKUlT_T0_E_clISt17integral_constantIbLb1EES1E_EEDaS19_S1A_EUlS19_E_NS1_11comp_targetILNS1_3genE3ELNS1_11target_archE908ELNS1_3gpuE7ELNS1_3repE0EEENS1_30default_config_static_selectorELNS0_4arch9wavefront6targetE0EEEvT1_,"axG",@progbits,_ZN7rocprim17ROCPRIM_400000_NS6detail17trampoline_kernelINS0_14default_configENS1_25partition_config_selectorILNS1_17partition_subalgoE5ElNS0_10empty_typeEbEEZZNS1_14partition_implILS5_5ELb0ES3_mN6hipcub16HIPCUB_304000_NS21CountingInputIteratorIllEEPS6_NSA_22TransformInputIteratorIbN2at6native12_GLOBAL__N_19NonZeroOpIN3c107complexIfEEEEPKSL_lEENS0_5tupleIJPlS6_EEENSQ_IJSD_SD_EEES6_PiJS6_EEE10hipError_tPvRmT3_T4_T5_T6_T7_T9_mT8_P12ihipStream_tbDpT10_ENKUlT_T0_E_clISt17integral_constantIbLb1EES1E_EEDaS19_S1A_EUlS19_E_NS1_11comp_targetILNS1_3genE3ELNS1_11target_archE908ELNS1_3gpuE7ELNS1_3repE0EEENS1_30default_config_static_selectorELNS0_4arch9wavefront6targetE0EEEvT1_,comdat
.Lfunc_end605:
	.size	_ZN7rocprim17ROCPRIM_400000_NS6detail17trampoline_kernelINS0_14default_configENS1_25partition_config_selectorILNS1_17partition_subalgoE5ElNS0_10empty_typeEbEEZZNS1_14partition_implILS5_5ELb0ES3_mN6hipcub16HIPCUB_304000_NS21CountingInputIteratorIllEEPS6_NSA_22TransformInputIteratorIbN2at6native12_GLOBAL__N_19NonZeroOpIN3c107complexIfEEEEPKSL_lEENS0_5tupleIJPlS6_EEENSQ_IJSD_SD_EEES6_PiJS6_EEE10hipError_tPvRmT3_T4_T5_T6_T7_T9_mT8_P12ihipStream_tbDpT10_ENKUlT_T0_E_clISt17integral_constantIbLb1EES1E_EEDaS19_S1A_EUlS19_E_NS1_11comp_targetILNS1_3genE3ELNS1_11target_archE908ELNS1_3gpuE7ELNS1_3repE0EEENS1_30default_config_static_selectorELNS0_4arch9wavefront6targetE0EEEvT1_, .Lfunc_end605-_ZN7rocprim17ROCPRIM_400000_NS6detail17trampoline_kernelINS0_14default_configENS1_25partition_config_selectorILNS1_17partition_subalgoE5ElNS0_10empty_typeEbEEZZNS1_14partition_implILS5_5ELb0ES3_mN6hipcub16HIPCUB_304000_NS21CountingInputIteratorIllEEPS6_NSA_22TransformInputIteratorIbN2at6native12_GLOBAL__N_19NonZeroOpIN3c107complexIfEEEEPKSL_lEENS0_5tupleIJPlS6_EEENSQ_IJSD_SD_EEES6_PiJS6_EEE10hipError_tPvRmT3_T4_T5_T6_T7_T9_mT8_P12ihipStream_tbDpT10_ENKUlT_T0_E_clISt17integral_constantIbLb1EES1E_EEDaS19_S1A_EUlS19_E_NS1_11comp_targetILNS1_3genE3ELNS1_11target_archE908ELNS1_3gpuE7ELNS1_3repE0EEENS1_30default_config_static_selectorELNS0_4arch9wavefront6targetE0EEEvT1_
                                        ; -- End function
	.section	.AMDGPU.csdata,"",@progbits
; Kernel info:
; codeLenInByte = 0
; NumSgprs: 0
; NumVgprs: 0
; ScratchSize: 0
; MemoryBound: 0
; FloatMode: 240
; IeeeMode: 1
; LDSByteSize: 0 bytes/workgroup (compile time only)
; SGPRBlocks: 0
; VGPRBlocks: 0
; NumSGPRsForWavesPerEU: 1
; NumVGPRsForWavesPerEU: 1
; Occupancy: 16
; WaveLimiterHint : 0
; COMPUTE_PGM_RSRC2:SCRATCH_EN: 0
; COMPUTE_PGM_RSRC2:USER_SGPR: 15
; COMPUTE_PGM_RSRC2:TRAP_HANDLER: 0
; COMPUTE_PGM_RSRC2:TGID_X_EN: 1
; COMPUTE_PGM_RSRC2:TGID_Y_EN: 0
; COMPUTE_PGM_RSRC2:TGID_Z_EN: 0
; COMPUTE_PGM_RSRC2:TIDIG_COMP_CNT: 0
	.section	.text._ZN7rocprim17ROCPRIM_400000_NS6detail17trampoline_kernelINS0_14default_configENS1_25partition_config_selectorILNS1_17partition_subalgoE5ElNS0_10empty_typeEbEEZZNS1_14partition_implILS5_5ELb0ES3_mN6hipcub16HIPCUB_304000_NS21CountingInputIteratorIllEEPS6_NSA_22TransformInputIteratorIbN2at6native12_GLOBAL__N_19NonZeroOpIN3c107complexIfEEEEPKSL_lEENS0_5tupleIJPlS6_EEENSQ_IJSD_SD_EEES6_PiJS6_EEE10hipError_tPvRmT3_T4_T5_T6_T7_T9_mT8_P12ihipStream_tbDpT10_ENKUlT_T0_E_clISt17integral_constantIbLb1EES1E_EEDaS19_S1A_EUlS19_E_NS1_11comp_targetILNS1_3genE2ELNS1_11target_archE906ELNS1_3gpuE6ELNS1_3repE0EEENS1_30default_config_static_selectorELNS0_4arch9wavefront6targetE0EEEvT1_,"axG",@progbits,_ZN7rocprim17ROCPRIM_400000_NS6detail17trampoline_kernelINS0_14default_configENS1_25partition_config_selectorILNS1_17partition_subalgoE5ElNS0_10empty_typeEbEEZZNS1_14partition_implILS5_5ELb0ES3_mN6hipcub16HIPCUB_304000_NS21CountingInputIteratorIllEEPS6_NSA_22TransformInputIteratorIbN2at6native12_GLOBAL__N_19NonZeroOpIN3c107complexIfEEEEPKSL_lEENS0_5tupleIJPlS6_EEENSQ_IJSD_SD_EEES6_PiJS6_EEE10hipError_tPvRmT3_T4_T5_T6_T7_T9_mT8_P12ihipStream_tbDpT10_ENKUlT_T0_E_clISt17integral_constantIbLb1EES1E_EEDaS19_S1A_EUlS19_E_NS1_11comp_targetILNS1_3genE2ELNS1_11target_archE906ELNS1_3gpuE6ELNS1_3repE0EEENS1_30default_config_static_selectorELNS0_4arch9wavefront6targetE0EEEvT1_,comdat
	.globl	_ZN7rocprim17ROCPRIM_400000_NS6detail17trampoline_kernelINS0_14default_configENS1_25partition_config_selectorILNS1_17partition_subalgoE5ElNS0_10empty_typeEbEEZZNS1_14partition_implILS5_5ELb0ES3_mN6hipcub16HIPCUB_304000_NS21CountingInputIteratorIllEEPS6_NSA_22TransformInputIteratorIbN2at6native12_GLOBAL__N_19NonZeroOpIN3c107complexIfEEEEPKSL_lEENS0_5tupleIJPlS6_EEENSQ_IJSD_SD_EEES6_PiJS6_EEE10hipError_tPvRmT3_T4_T5_T6_T7_T9_mT8_P12ihipStream_tbDpT10_ENKUlT_T0_E_clISt17integral_constantIbLb1EES1E_EEDaS19_S1A_EUlS19_E_NS1_11comp_targetILNS1_3genE2ELNS1_11target_archE906ELNS1_3gpuE6ELNS1_3repE0EEENS1_30default_config_static_selectorELNS0_4arch9wavefront6targetE0EEEvT1_ ; -- Begin function _ZN7rocprim17ROCPRIM_400000_NS6detail17trampoline_kernelINS0_14default_configENS1_25partition_config_selectorILNS1_17partition_subalgoE5ElNS0_10empty_typeEbEEZZNS1_14partition_implILS5_5ELb0ES3_mN6hipcub16HIPCUB_304000_NS21CountingInputIteratorIllEEPS6_NSA_22TransformInputIteratorIbN2at6native12_GLOBAL__N_19NonZeroOpIN3c107complexIfEEEEPKSL_lEENS0_5tupleIJPlS6_EEENSQ_IJSD_SD_EEES6_PiJS6_EEE10hipError_tPvRmT3_T4_T5_T6_T7_T9_mT8_P12ihipStream_tbDpT10_ENKUlT_T0_E_clISt17integral_constantIbLb1EES1E_EEDaS19_S1A_EUlS19_E_NS1_11comp_targetILNS1_3genE2ELNS1_11target_archE906ELNS1_3gpuE6ELNS1_3repE0EEENS1_30default_config_static_selectorELNS0_4arch9wavefront6targetE0EEEvT1_
	.p2align	8
	.type	_ZN7rocprim17ROCPRIM_400000_NS6detail17trampoline_kernelINS0_14default_configENS1_25partition_config_selectorILNS1_17partition_subalgoE5ElNS0_10empty_typeEbEEZZNS1_14partition_implILS5_5ELb0ES3_mN6hipcub16HIPCUB_304000_NS21CountingInputIteratorIllEEPS6_NSA_22TransformInputIteratorIbN2at6native12_GLOBAL__N_19NonZeroOpIN3c107complexIfEEEEPKSL_lEENS0_5tupleIJPlS6_EEENSQ_IJSD_SD_EEES6_PiJS6_EEE10hipError_tPvRmT3_T4_T5_T6_T7_T9_mT8_P12ihipStream_tbDpT10_ENKUlT_T0_E_clISt17integral_constantIbLb1EES1E_EEDaS19_S1A_EUlS19_E_NS1_11comp_targetILNS1_3genE2ELNS1_11target_archE906ELNS1_3gpuE6ELNS1_3repE0EEENS1_30default_config_static_selectorELNS0_4arch9wavefront6targetE0EEEvT1_,@function
_ZN7rocprim17ROCPRIM_400000_NS6detail17trampoline_kernelINS0_14default_configENS1_25partition_config_selectorILNS1_17partition_subalgoE5ElNS0_10empty_typeEbEEZZNS1_14partition_implILS5_5ELb0ES3_mN6hipcub16HIPCUB_304000_NS21CountingInputIteratorIllEEPS6_NSA_22TransformInputIteratorIbN2at6native12_GLOBAL__N_19NonZeroOpIN3c107complexIfEEEEPKSL_lEENS0_5tupleIJPlS6_EEENSQ_IJSD_SD_EEES6_PiJS6_EEE10hipError_tPvRmT3_T4_T5_T6_T7_T9_mT8_P12ihipStream_tbDpT10_ENKUlT_T0_E_clISt17integral_constantIbLb1EES1E_EEDaS19_S1A_EUlS19_E_NS1_11comp_targetILNS1_3genE2ELNS1_11target_archE906ELNS1_3gpuE6ELNS1_3repE0EEENS1_30default_config_static_selectorELNS0_4arch9wavefront6targetE0EEEvT1_: ; @_ZN7rocprim17ROCPRIM_400000_NS6detail17trampoline_kernelINS0_14default_configENS1_25partition_config_selectorILNS1_17partition_subalgoE5ElNS0_10empty_typeEbEEZZNS1_14partition_implILS5_5ELb0ES3_mN6hipcub16HIPCUB_304000_NS21CountingInputIteratorIllEEPS6_NSA_22TransformInputIteratorIbN2at6native12_GLOBAL__N_19NonZeroOpIN3c107complexIfEEEEPKSL_lEENS0_5tupleIJPlS6_EEENSQ_IJSD_SD_EEES6_PiJS6_EEE10hipError_tPvRmT3_T4_T5_T6_T7_T9_mT8_P12ihipStream_tbDpT10_ENKUlT_T0_E_clISt17integral_constantIbLb1EES1E_EEDaS19_S1A_EUlS19_E_NS1_11comp_targetILNS1_3genE2ELNS1_11target_archE906ELNS1_3gpuE6ELNS1_3repE0EEENS1_30default_config_static_selectorELNS0_4arch9wavefront6targetE0EEEvT1_
; %bb.0:
	.section	.rodata,"a",@progbits
	.p2align	6, 0x0
	.amdhsa_kernel _ZN7rocprim17ROCPRIM_400000_NS6detail17trampoline_kernelINS0_14default_configENS1_25partition_config_selectorILNS1_17partition_subalgoE5ElNS0_10empty_typeEbEEZZNS1_14partition_implILS5_5ELb0ES3_mN6hipcub16HIPCUB_304000_NS21CountingInputIteratorIllEEPS6_NSA_22TransformInputIteratorIbN2at6native12_GLOBAL__N_19NonZeroOpIN3c107complexIfEEEEPKSL_lEENS0_5tupleIJPlS6_EEENSQ_IJSD_SD_EEES6_PiJS6_EEE10hipError_tPvRmT3_T4_T5_T6_T7_T9_mT8_P12ihipStream_tbDpT10_ENKUlT_T0_E_clISt17integral_constantIbLb1EES1E_EEDaS19_S1A_EUlS19_E_NS1_11comp_targetILNS1_3genE2ELNS1_11target_archE906ELNS1_3gpuE6ELNS1_3repE0EEENS1_30default_config_static_selectorELNS0_4arch9wavefront6targetE0EEEvT1_
		.amdhsa_group_segment_fixed_size 0
		.amdhsa_private_segment_fixed_size 0
		.amdhsa_kernarg_size 136
		.amdhsa_user_sgpr_count 15
		.amdhsa_user_sgpr_dispatch_ptr 0
		.amdhsa_user_sgpr_queue_ptr 0
		.amdhsa_user_sgpr_kernarg_segment_ptr 1
		.amdhsa_user_sgpr_dispatch_id 0
		.amdhsa_user_sgpr_private_segment_size 0
		.amdhsa_wavefront_size32 1
		.amdhsa_uses_dynamic_stack 0
		.amdhsa_enable_private_segment 0
		.amdhsa_system_sgpr_workgroup_id_x 1
		.amdhsa_system_sgpr_workgroup_id_y 0
		.amdhsa_system_sgpr_workgroup_id_z 0
		.amdhsa_system_sgpr_workgroup_info 0
		.amdhsa_system_vgpr_workitem_id 0
		.amdhsa_next_free_vgpr 1
		.amdhsa_next_free_sgpr 1
		.amdhsa_reserve_vcc 0
		.amdhsa_float_round_mode_32 0
		.amdhsa_float_round_mode_16_64 0
		.amdhsa_float_denorm_mode_32 3
		.amdhsa_float_denorm_mode_16_64 3
		.amdhsa_dx10_clamp 1
		.amdhsa_ieee_mode 1
		.amdhsa_fp16_overflow 0
		.amdhsa_workgroup_processor_mode 1
		.amdhsa_memory_ordered 1
		.amdhsa_forward_progress 0
		.amdhsa_shared_vgpr_count 0
		.amdhsa_exception_fp_ieee_invalid_op 0
		.amdhsa_exception_fp_denorm_src 0
		.amdhsa_exception_fp_ieee_div_zero 0
		.amdhsa_exception_fp_ieee_overflow 0
		.amdhsa_exception_fp_ieee_underflow 0
		.amdhsa_exception_fp_ieee_inexact 0
		.amdhsa_exception_int_div_zero 0
	.end_amdhsa_kernel
	.section	.text._ZN7rocprim17ROCPRIM_400000_NS6detail17trampoline_kernelINS0_14default_configENS1_25partition_config_selectorILNS1_17partition_subalgoE5ElNS0_10empty_typeEbEEZZNS1_14partition_implILS5_5ELb0ES3_mN6hipcub16HIPCUB_304000_NS21CountingInputIteratorIllEEPS6_NSA_22TransformInputIteratorIbN2at6native12_GLOBAL__N_19NonZeroOpIN3c107complexIfEEEEPKSL_lEENS0_5tupleIJPlS6_EEENSQ_IJSD_SD_EEES6_PiJS6_EEE10hipError_tPvRmT3_T4_T5_T6_T7_T9_mT8_P12ihipStream_tbDpT10_ENKUlT_T0_E_clISt17integral_constantIbLb1EES1E_EEDaS19_S1A_EUlS19_E_NS1_11comp_targetILNS1_3genE2ELNS1_11target_archE906ELNS1_3gpuE6ELNS1_3repE0EEENS1_30default_config_static_selectorELNS0_4arch9wavefront6targetE0EEEvT1_,"axG",@progbits,_ZN7rocprim17ROCPRIM_400000_NS6detail17trampoline_kernelINS0_14default_configENS1_25partition_config_selectorILNS1_17partition_subalgoE5ElNS0_10empty_typeEbEEZZNS1_14partition_implILS5_5ELb0ES3_mN6hipcub16HIPCUB_304000_NS21CountingInputIteratorIllEEPS6_NSA_22TransformInputIteratorIbN2at6native12_GLOBAL__N_19NonZeroOpIN3c107complexIfEEEEPKSL_lEENS0_5tupleIJPlS6_EEENSQ_IJSD_SD_EEES6_PiJS6_EEE10hipError_tPvRmT3_T4_T5_T6_T7_T9_mT8_P12ihipStream_tbDpT10_ENKUlT_T0_E_clISt17integral_constantIbLb1EES1E_EEDaS19_S1A_EUlS19_E_NS1_11comp_targetILNS1_3genE2ELNS1_11target_archE906ELNS1_3gpuE6ELNS1_3repE0EEENS1_30default_config_static_selectorELNS0_4arch9wavefront6targetE0EEEvT1_,comdat
.Lfunc_end606:
	.size	_ZN7rocprim17ROCPRIM_400000_NS6detail17trampoline_kernelINS0_14default_configENS1_25partition_config_selectorILNS1_17partition_subalgoE5ElNS0_10empty_typeEbEEZZNS1_14partition_implILS5_5ELb0ES3_mN6hipcub16HIPCUB_304000_NS21CountingInputIteratorIllEEPS6_NSA_22TransformInputIteratorIbN2at6native12_GLOBAL__N_19NonZeroOpIN3c107complexIfEEEEPKSL_lEENS0_5tupleIJPlS6_EEENSQ_IJSD_SD_EEES6_PiJS6_EEE10hipError_tPvRmT3_T4_T5_T6_T7_T9_mT8_P12ihipStream_tbDpT10_ENKUlT_T0_E_clISt17integral_constantIbLb1EES1E_EEDaS19_S1A_EUlS19_E_NS1_11comp_targetILNS1_3genE2ELNS1_11target_archE906ELNS1_3gpuE6ELNS1_3repE0EEENS1_30default_config_static_selectorELNS0_4arch9wavefront6targetE0EEEvT1_, .Lfunc_end606-_ZN7rocprim17ROCPRIM_400000_NS6detail17trampoline_kernelINS0_14default_configENS1_25partition_config_selectorILNS1_17partition_subalgoE5ElNS0_10empty_typeEbEEZZNS1_14partition_implILS5_5ELb0ES3_mN6hipcub16HIPCUB_304000_NS21CountingInputIteratorIllEEPS6_NSA_22TransformInputIteratorIbN2at6native12_GLOBAL__N_19NonZeroOpIN3c107complexIfEEEEPKSL_lEENS0_5tupleIJPlS6_EEENSQ_IJSD_SD_EEES6_PiJS6_EEE10hipError_tPvRmT3_T4_T5_T6_T7_T9_mT8_P12ihipStream_tbDpT10_ENKUlT_T0_E_clISt17integral_constantIbLb1EES1E_EEDaS19_S1A_EUlS19_E_NS1_11comp_targetILNS1_3genE2ELNS1_11target_archE906ELNS1_3gpuE6ELNS1_3repE0EEENS1_30default_config_static_selectorELNS0_4arch9wavefront6targetE0EEEvT1_
                                        ; -- End function
	.section	.AMDGPU.csdata,"",@progbits
; Kernel info:
; codeLenInByte = 0
; NumSgprs: 0
; NumVgprs: 0
; ScratchSize: 0
; MemoryBound: 0
; FloatMode: 240
; IeeeMode: 1
; LDSByteSize: 0 bytes/workgroup (compile time only)
; SGPRBlocks: 0
; VGPRBlocks: 0
; NumSGPRsForWavesPerEU: 1
; NumVGPRsForWavesPerEU: 1
; Occupancy: 16
; WaveLimiterHint : 0
; COMPUTE_PGM_RSRC2:SCRATCH_EN: 0
; COMPUTE_PGM_RSRC2:USER_SGPR: 15
; COMPUTE_PGM_RSRC2:TRAP_HANDLER: 0
; COMPUTE_PGM_RSRC2:TGID_X_EN: 1
; COMPUTE_PGM_RSRC2:TGID_Y_EN: 0
; COMPUTE_PGM_RSRC2:TGID_Z_EN: 0
; COMPUTE_PGM_RSRC2:TIDIG_COMP_CNT: 0
	.section	.text._ZN7rocprim17ROCPRIM_400000_NS6detail17trampoline_kernelINS0_14default_configENS1_25partition_config_selectorILNS1_17partition_subalgoE5ElNS0_10empty_typeEbEEZZNS1_14partition_implILS5_5ELb0ES3_mN6hipcub16HIPCUB_304000_NS21CountingInputIteratorIllEEPS6_NSA_22TransformInputIteratorIbN2at6native12_GLOBAL__N_19NonZeroOpIN3c107complexIfEEEEPKSL_lEENS0_5tupleIJPlS6_EEENSQ_IJSD_SD_EEES6_PiJS6_EEE10hipError_tPvRmT3_T4_T5_T6_T7_T9_mT8_P12ihipStream_tbDpT10_ENKUlT_T0_E_clISt17integral_constantIbLb1EES1E_EEDaS19_S1A_EUlS19_E_NS1_11comp_targetILNS1_3genE10ELNS1_11target_archE1200ELNS1_3gpuE4ELNS1_3repE0EEENS1_30default_config_static_selectorELNS0_4arch9wavefront6targetE0EEEvT1_,"axG",@progbits,_ZN7rocprim17ROCPRIM_400000_NS6detail17trampoline_kernelINS0_14default_configENS1_25partition_config_selectorILNS1_17partition_subalgoE5ElNS0_10empty_typeEbEEZZNS1_14partition_implILS5_5ELb0ES3_mN6hipcub16HIPCUB_304000_NS21CountingInputIteratorIllEEPS6_NSA_22TransformInputIteratorIbN2at6native12_GLOBAL__N_19NonZeroOpIN3c107complexIfEEEEPKSL_lEENS0_5tupleIJPlS6_EEENSQ_IJSD_SD_EEES6_PiJS6_EEE10hipError_tPvRmT3_T4_T5_T6_T7_T9_mT8_P12ihipStream_tbDpT10_ENKUlT_T0_E_clISt17integral_constantIbLb1EES1E_EEDaS19_S1A_EUlS19_E_NS1_11comp_targetILNS1_3genE10ELNS1_11target_archE1200ELNS1_3gpuE4ELNS1_3repE0EEENS1_30default_config_static_selectorELNS0_4arch9wavefront6targetE0EEEvT1_,comdat
	.globl	_ZN7rocprim17ROCPRIM_400000_NS6detail17trampoline_kernelINS0_14default_configENS1_25partition_config_selectorILNS1_17partition_subalgoE5ElNS0_10empty_typeEbEEZZNS1_14partition_implILS5_5ELb0ES3_mN6hipcub16HIPCUB_304000_NS21CountingInputIteratorIllEEPS6_NSA_22TransformInputIteratorIbN2at6native12_GLOBAL__N_19NonZeroOpIN3c107complexIfEEEEPKSL_lEENS0_5tupleIJPlS6_EEENSQ_IJSD_SD_EEES6_PiJS6_EEE10hipError_tPvRmT3_T4_T5_T6_T7_T9_mT8_P12ihipStream_tbDpT10_ENKUlT_T0_E_clISt17integral_constantIbLb1EES1E_EEDaS19_S1A_EUlS19_E_NS1_11comp_targetILNS1_3genE10ELNS1_11target_archE1200ELNS1_3gpuE4ELNS1_3repE0EEENS1_30default_config_static_selectorELNS0_4arch9wavefront6targetE0EEEvT1_ ; -- Begin function _ZN7rocprim17ROCPRIM_400000_NS6detail17trampoline_kernelINS0_14default_configENS1_25partition_config_selectorILNS1_17partition_subalgoE5ElNS0_10empty_typeEbEEZZNS1_14partition_implILS5_5ELb0ES3_mN6hipcub16HIPCUB_304000_NS21CountingInputIteratorIllEEPS6_NSA_22TransformInputIteratorIbN2at6native12_GLOBAL__N_19NonZeroOpIN3c107complexIfEEEEPKSL_lEENS0_5tupleIJPlS6_EEENSQ_IJSD_SD_EEES6_PiJS6_EEE10hipError_tPvRmT3_T4_T5_T6_T7_T9_mT8_P12ihipStream_tbDpT10_ENKUlT_T0_E_clISt17integral_constantIbLb1EES1E_EEDaS19_S1A_EUlS19_E_NS1_11comp_targetILNS1_3genE10ELNS1_11target_archE1200ELNS1_3gpuE4ELNS1_3repE0EEENS1_30default_config_static_selectorELNS0_4arch9wavefront6targetE0EEEvT1_
	.p2align	8
	.type	_ZN7rocprim17ROCPRIM_400000_NS6detail17trampoline_kernelINS0_14default_configENS1_25partition_config_selectorILNS1_17partition_subalgoE5ElNS0_10empty_typeEbEEZZNS1_14partition_implILS5_5ELb0ES3_mN6hipcub16HIPCUB_304000_NS21CountingInputIteratorIllEEPS6_NSA_22TransformInputIteratorIbN2at6native12_GLOBAL__N_19NonZeroOpIN3c107complexIfEEEEPKSL_lEENS0_5tupleIJPlS6_EEENSQ_IJSD_SD_EEES6_PiJS6_EEE10hipError_tPvRmT3_T4_T5_T6_T7_T9_mT8_P12ihipStream_tbDpT10_ENKUlT_T0_E_clISt17integral_constantIbLb1EES1E_EEDaS19_S1A_EUlS19_E_NS1_11comp_targetILNS1_3genE10ELNS1_11target_archE1200ELNS1_3gpuE4ELNS1_3repE0EEENS1_30default_config_static_selectorELNS0_4arch9wavefront6targetE0EEEvT1_,@function
_ZN7rocprim17ROCPRIM_400000_NS6detail17trampoline_kernelINS0_14default_configENS1_25partition_config_selectorILNS1_17partition_subalgoE5ElNS0_10empty_typeEbEEZZNS1_14partition_implILS5_5ELb0ES3_mN6hipcub16HIPCUB_304000_NS21CountingInputIteratorIllEEPS6_NSA_22TransformInputIteratorIbN2at6native12_GLOBAL__N_19NonZeroOpIN3c107complexIfEEEEPKSL_lEENS0_5tupleIJPlS6_EEENSQ_IJSD_SD_EEES6_PiJS6_EEE10hipError_tPvRmT3_T4_T5_T6_T7_T9_mT8_P12ihipStream_tbDpT10_ENKUlT_T0_E_clISt17integral_constantIbLb1EES1E_EEDaS19_S1A_EUlS19_E_NS1_11comp_targetILNS1_3genE10ELNS1_11target_archE1200ELNS1_3gpuE4ELNS1_3repE0EEENS1_30default_config_static_selectorELNS0_4arch9wavefront6targetE0EEEvT1_: ; @_ZN7rocprim17ROCPRIM_400000_NS6detail17trampoline_kernelINS0_14default_configENS1_25partition_config_selectorILNS1_17partition_subalgoE5ElNS0_10empty_typeEbEEZZNS1_14partition_implILS5_5ELb0ES3_mN6hipcub16HIPCUB_304000_NS21CountingInputIteratorIllEEPS6_NSA_22TransformInputIteratorIbN2at6native12_GLOBAL__N_19NonZeroOpIN3c107complexIfEEEEPKSL_lEENS0_5tupleIJPlS6_EEENSQ_IJSD_SD_EEES6_PiJS6_EEE10hipError_tPvRmT3_T4_T5_T6_T7_T9_mT8_P12ihipStream_tbDpT10_ENKUlT_T0_E_clISt17integral_constantIbLb1EES1E_EEDaS19_S1A_EUlS19_E_NS1_11comp_targetILNS1_3genE10ELNS1_11target_archE1200ELNS1_3gpuE4ELNS1_3repE0EEENS1_30default_config_static_selectorELNS0_4arch9wavefront6targetE0EEEvT1_
; %bb.0:
	.section	.rodata,"a",@progbits
	.p2align	6, 0x0
	.amdhsa_kernel _ZN7rocprim17ROCPRIM_400000_NS6detail17trampoline_kernelINS0_14default_configENS1_25partition_config_selectorILNS1_17partition_subalgoE5ElNS0_10empty_typeEbEEZZNS1_14partition_implILS5_5ELb0ES3_mN6hipcub16HIPCUB_304000_NS21CountingInputIteratorIllEEPS6_NSA_22TransformInputIteratorIbN2at6native12_GLOBAL__N_19NonZeroOpIN3c107complexIfEEEEPKSL_lEENS0_5tupleIJPlS6_EEENSQ_IJSD_SD_EEES6_PiJS6_EEE10hipError_tPvRmT3_T4_T5_T6_T7_T9_mT8_P12ihipStream_tbDpT10_ENKUlT_T0_E_clISt17integral_constantIbLb1EES1E_EEDaS19_S1A_EUlS19_E_NS1_11comp_targetILNS1_3genE10ELNS1_11target_archE1200ELNS1_3gpuE4ELNS1_3repE0EEENS1_30default_config_static_selectorELNS0_4arch9wavefront6targetE0EEEvT1_
		.amdhsa_group_segment_fixed_size 0
		.amdhsa_private_segment_fixed_size 0
		.amdhsa_kernarg_size 136
		.amdhsa_user_sgpr_count 15
		.amdhsa_user_sgpr_dispatch_ptr 0
		.amdhsa_user_sgpr_queue_ptr 0
		.amdhsa_user_sgpr_kernarg_segment_ptr 1
		.amdhsa_user_sgpr_dispatch_id 0
		.amdhsa_user_sgpr_private_segment_size 0
		.amdhsa_wavefront_size32 1
		.amdhsa_uses_dynamic_stack 0
		.amdhsa_enable_private_segment 0
		.amdhsa_system_sgpr_workgroup_id_x 1
		.amdhsa_system_sgpr_workgroup_id_y 0
		.amdhsa_system_sgpr_workgroup_id_z 0
		.amdhsa_system_sgpr_workgroup_info 0
		.amdhsa_system_vgpr_workitem_id 0
		.amdhsa_next_free_vgpr 1
		.amdhsa_next_free_sgpr 1
		.amdhsa_reserve_vcc 0
		.amdhsa_float_round_mode_32 0
		.amdhsa_float_round_mode_16_64 0
		.amdhsa_float_denorm_mode_32 3
		.amdhsa_float_denorm_mode_16_64 3
		.amdhsa_dx10_clamp 1
		.amdhsa_ieee_mode 1
		.amdhsa_fp16_overflow 0
		.amdhsa_workgroup_processor_mode 1
		.amdhsa_memory_ordered 1
		.amdhsa_forward_progress 0
		.amdhsa_shared_vgpr_count 0
		.amdhsa_exception_fp_ieee_invalid_op 0
		.amdhsa_exception_fp_denorm_src 0
		.amdhsa_exception_fp_ieee_div_zero 0
		.amdhsa_exception_fp_ieee_overflow 0
		.amdhsa_exception_fp_ieee_underflow 0
		.amdhsa_exception_fp_ieee_inexact 0
		.amdhsa_exception_int_div_zero 0
	.end_amdhsa_kernel
	.section	.text._ZN7rocprim17ROCPRIM_400000_NS6detail17trampoline_kernelINS0_14default_configENS1_25partition_config_selectorILNS1_17partition_subalgoE5ElNS0_10empty_typeEbEEZZNS1_14partition_implILS5_5ELb0ES3_mN6hipcub16HIPCUB_304000_NS21CountingInputIteratorIllEEPS6_NSA_22TransformInputIteratorIbN2at6native12_GLOBAL__N_19NonZeroOpIN3c107complexIfEEEEPKSL_lEENS0_5tupleIJPlS6_EEENSQ_IJSD_SD_EEES6_PiJS6_EEE10hipError_tPvRmT3_T4_T5_T6_T7_T9_mT8_P12ihipStream_tbDpT10_ENKUlT_T0_E_clISt17integral_constantIbLb1EES1E_EEDaS19_S1A_EUlS19_E_NS1_11comp_targetILNS1_3genE10ELNS1_11target_archE1200ELNS1_3gpuE4ELNS1_3repE0EEENS1_30default_config_static_selectorELNS0_4arch9wavefront6targetE0EEEvT1_,"axG",@progbits,_ZN7rocprim17ROCPRIM_400000_NS6detail17trampoline_kernelINS0_14default_configENS1_25partition_config_selectorILNS1_17partition_subalgoE5ElNS0_10empty_typeEbEEZZNS1_14partition_implILS5_5ELb0ES3_mN6hipcub16HIPCUB_304000_NS21CountingInputIteratorIllEEPS6_NSA_22TransformInputIteratorIbN2at6native12_GLOBAL__N_19NonZeroOpIN3c107complexIfEEEEPKSL_lEENS0_5tupleIJPlS6_EEENSQ_IJSD_SD_EEES6_PiJS6_EEE10hipError_tPvRmT3_T4_T5_T6_T7_T9_mT8_P12ihipStream_tbDpT10_ENKUlT_T0_E_clISt17integral_constantIbLb1EES1E_EEDaS19_S1A_EUlS19_E_NS1_11comp_targetILNS1_3genE10ELNS1_11target_archE1200ELNS1_3gpuE4ELNS1_3repE0EEENS1_30default_config_static_selectorELNS0_4arch9wavefront6targetE0EEEvT1_,comdat
.Lfunc_end607:
	.size	_ZN7rocprim17ROCPRIM_400000_NS6detail17trampoline_kernelINS0_14default_configENS1_25partition_config_selectorILNS1_17partition_subalgoE5ElNS0_10empty_typeEbEEZZNS1_14partition_implILS5_5ELb0ES3_mN6hipcub16HIPCUB_304000_NS21CountingInputIteratorIllEEPS6_NSA_22TransformInputIteratorIbN2at6native12_GLOBAL__N_19NonZeroOpIN3c107complexIfEEEEPKSL_lEENS0_5tupleIJPlS6_EEENSQ_IJSD_SD_EEES6_PiJS6_EEE10hipError_tPvRmT3_T4_T5_T6_T7_T9_mT8_P12ihipStream_tbDpT10_ENKUlT_T0_E_clISt17integral_constantIbLb1EES1E_EEDaS19_S1A_EUlS19_E_NS1_11comp_targetILNS1_3genE10ELNS1_11target_archE1200ELNS1_3gpuE4ELNS1_3repE0EEENS1_30default_config_static_selectorELNS0_4arch9wavefront6targetE0EEEvT1_, .Lfunc_end607-_ZN7rocprim17ROCPRIM_400000_NS6detail17trampoline_kernelINS0_14default_configENS1_25partition_config_selectorILNS1_17partition_subalgoE5ElNS0_10empty_typeEbEEZZNS1_14partition_implILS5_5ELb0ES3_mN6hipcub16HIPCUB_304000_NS21CountingInputIteratorIllEEPS6_NSA_22TransformInputIteratorIbN2at6native12_GLOBAL__N_19NonZeroOpIN3c107complexIfEEEEPKSL_lEENS0_5tupleIJPlS6_EEENSQ_IJSD_SD_EEES6_PiJS6_EEE10hipError_tPvRmT3_T4_T5_T6_T7_T9_mT8_P12ihipStream_tbDpT10_ENKUlT_T0_E_clISt17integral_constantIbLb1EES1E_EEDaS19_S1A_EUlS19_E_NS1_11comp_targetILNS1_3genE10ELNS1_11target_archE1200ELNS1_3gpuE4ELNS1_3repE0EEENS1_30default_config_static_selectorELNS0_4arch9wavefront6targetE0EEEvT1_
                                        ; -- End function
	.section	.AMDGPU.csdata,"",@progbits
; Kernel info:
; codeLenInByte = 0
; NumSgprs: 0
; NumVgprs: 0
; ScratchSize: 0
; MemoryBound: 0
; FloatMode: 240
; IeeeMode: 1
; LDSByteSize: 0 bytes/workgroup (compile time only)
; SGPRBlocks: 0
; VGPRBlocks: 0
; NumSGPRsForWavesPerEU: 1
; NumVGPRsForWavesPerEU: 1
; Occupancy: 16
; WaveLimiterHint : 0
; COMPUTE_PGM_RSRC2:SCRATCH_EN: 0
; COMPUTE_PGM_RSRC2:USER_SGPR: 15
; COMPUTE_PGM_RSRC2:TRAP_HANDLER: 0
; COMPUTE_PGM_RSRC2:TGID_X_EN: 1
; COMPUTE_PGM_RSRC2:TGID_Y_EN: 0
; COMPUTE_PGM_RSRC2:TGID_Z_EN: 0
; COMPUTE_PGM_RSRC2:TIDIG_COMP_CNT: 0
	.section	.text._ZN7rocprim17ROCPRIM_400000_NS6detail17trampoline_kernelINS0_14default_configENS1_25partition_config_selectorILNS1_17partition_subalgoE5ElNS0_10empty_typeEbEEZZNS1_14partition_implILS5_5ELb0ES3_mN6hipcub16HIPCUB_304000_NS21CountingInputIteratorIllEEPS6_NSA_22TransformInputIteratorIbN2at6native12_GLOBAL__N_19NonZeroOpIN3c107complexIfEEEEPKSL_lEENS0_5tupleIJPlS6_EEENSQ_IJSD_SD_EEES6_PiJS6_EEE10hipError_tPvRmT3_T4_T5_T6_T7_T9_mT8_P12ihipStream_tbDpT10_ENKUlT_T0_E_clISt17integral_constantIbLb1EES1E_EEDaS19_S1A_EUlS19_E_NS1_11comp_targetILNS1_3genE9ELNS1_11target_archE1100ELNS1_3gpuE3ELNS1_3repE0EEENS1_30default_config_static_selectorELNS0_4arch9wavefront6targetE0EEEvT1_,"axG",@progbits,_ZN7rocprim17ROCPRIM_400000_NS6detail17trampoline_kernelINS0_14default_configENS1_25partition_config_selectorILNS1_17partition_subalgoE5ElNS0_10empty_typeEbEEZZNS1_14partition_implILS5_5ELb0ES3_mN6hipcub16HIPCUB_304000_NS21CountingInputIteratorIllEEPS6_NSA_22TransformInputIteratorIbN2at6native12_GLOBAL__N_19NonZeroOpIN3c107complexIfEEEEPKSL_lEENS0_5tupleIJPlS6_EEENSQ_IJSD_SD_EEES6_PiJS6_EEE10hipError_tPvRmT3_T4_T5_T6_T7_T9_mT8_P12ihipStream_tbDpT10_ENKUlT_T0_E_clISt17integral_constantIbLb1EES1E_EEDaS19_S1A_EUlS19_E_NS1_11comp_targetILNS1_3genE9ELNS1_11target_archE1100ELNS1_3gpuE3ELNS1_3repE0EEENS1_30default_config_static_selectorELNS0_4arch9wavefront6targetE0EEEvT1_,comdat
	.globl	_ZN7rocprim17ROCPRIM_400000_NS6detail17trampoline_kernelINS0_14default_configENS1_25partition_config_selectorILNS1_17partition_subalgoE5ElNS0_10empty_typeEbEEZZNS1_14partition_implILS5_5ELb0ES3_mN6hipcub16HIPCUB_304000_NS21CountingInputIteratorIllEEPS6_NSA_22TransformInputIteratorIbN2at6native12_GLOBAL__N_19NonZeroOpIN3c107complexIfEEEEPKSL_lEENS0_5tupleIJPlS6_EEENSQ_IJSD_SD_EEES6_PiJS6_EEE10hipError_tPvRmT3_T4_T5_T6_T7_T9_mT8_P12ihipStream_tbDpT10_ENKUlT_T0_E_clISt17integral_constantIbLb1EES1E_EEDaS19_S1A_EUlS19_E_NS1_11comp_targetILNS1_3genE9ELNS1_11target_archE1100ELNS1_3gpuE3ELNS1_3repE0EEENS1_30default_config_static_selectorELNS0_4arch9wavefront6targetE0EEEvT1_ ; -- Begin function _ZN7rocprim17ROCPRIM_400000_NS6detail17trampoline_kernelINS0_14default_configENS1_25partition_config_selectorILNS1_17partition_subalgoE5ElNS0_10empty_typeEbEEZZNS1_14partition_implILS5_5ELb0ES3_mN6hipcub16HIPCUB_304000_NS21CountingInputIteratorIllEEPS6_NSA_22TransformInputIteratorIbN2at6native12_GLOBAL__N_19NonZeroOpIN3c107complexIfEEEEPKSL_lEENS0_5tupleIJPlS6_EEENSQ_IJSD_SD_EEES6_PiJS6_EEE10hipError_tPvRmT3_T4_T5_T6_T7_T9_mT8_P12ihipStream_tbDpT10_ENKUlT_T0_E_clISt17integral_constantIbLb1EES1E_EEDaS19_S1A_EUlS19_E_NS1_11comp_targetILNS1_3genE9ELNS1_11target_archE1100ELNS1_3gpuE3ELNS1_3repE0EEENS1_30default_config_static_selectorELNS0_4arch9wavefront6targetE0EEEvT1_
	.p2align	8
	.type	_ZN7rocprim17ROCPRIM_400000_NS6detail17trampoline_kernelINS0_14default_configENS1_25partition_config_selectorILNS1_17partition_subalgoE5ElNS0_10empty_typeEbEEZZNS1_14partition_implILS5_5ELb0ES3_mN6hipcub16HIPCUB_304000_NS21CountingInputIteratorIllEEPS6_NSA_22TransformInputIteratorIbN2at6native12_GLOBAL__N_19NonZeroOpIN3c107complexIfEEEEPKSL_lEENS0_5tupleIJPlS6_EEENSQ_IJSD_SD_EEES6_PiJS6_EEE10hipError_tPvRmT3_T4_T5_T6_T7_T9_mT8_P12ihipStream_tbDpT10_ENKUlT_T0_E_clISt17integral_constantIbLb1EES1E_EEDaS19_S1A_EUlS19_E_NS1_11comp_targetILNS1_3genE9ELNS1_11target_archE1100ELNS1_3gpuE3ELNS1_3repE0EEENS1_30default_config_static_selectorELNS0_4arch9wavefront6targetE0EEEvT1_,@function
_ZN7rocprim17ROCPRIM_400000_NS6detail17trampoline_kernelINS0_14default_configENS1_25partition_config_selectorILNS1_17partition_subalgoE5ElNS0_10empty_typeEbEEZZNS1_14partition_implILS5_5ELb0ES3_mN6hipcub16HIPCUB_304000_NS21CountingInputIteratorIllEEPS6_NSA_22TransformInputIteratorIbN2at6native12_GLOBAL__N_19NonZeroOpIN3c107complexIfEEEEPKSL_lEENS0_5tupleIJPlS6_EEENSQ_IJSD_SD_EEES6_PiJS6_EEE10hipError_tPvRmT3_T4_T5_T6_T7_T9_mT8_P12ihipStream_tbDpT10_ENKUlT_T0_E_clISt17integral_constantIbLb1EES1E_EEDaS19_S1A_EUlS19_E_NS1_11comp_targetILNS1_3genE9ELNS1_11target_archE1100ELNS1_3gpuE3ELNS1_3repE0EEENS1_30default_config_static_selectorELNS0_4arch9wavefront6targetE0EEEvT1_: ; @_ZN7rocprim17ROCPRIM_400000_NS6detail17trampoline_kernelINS0_14default_configENS1_25partition_config_selectorILNS1_17partition_subalgoE5ElNS0_10empty_typeEbEEZZNS1_14partition_implILS5_5ELb0ES3_mN6hipcub16HIPCUB_304000_NS21CountingInputIteratorIllEEPS6_NSA_22TransformInputIteratorIbN2at6native12_GLOBAL__N_19NonZeroOpIN3c107complexIfEEEEPKSL_lEENS0_5tupleIJPlS6_EEENSQ_IJSD_SD_EEES6_PiJS6_EEE10hipError_tPvRmT3_T4_T5_T6_T7_T9_mT8_P12ihipStream_tbDpT10_ENKUlT_T0_E_clISt17integral_constantIbLb1EES1E_EEDaS19_S1A_EUlS19_E_NS1_11comp_targetILNS1_3genE9ELNS1_11target_archE1100ELNS1_3gpuE3ELNS1_3repE0EEENS1_30default_config_static_selectorELNS0_4arch9wavefront6targetE0EEEvT1_
; %bb.0:
	s_clause 0x4
	s_load_b64 s[4:5], s[0:1], 0x20
	s_load_b64 s[16:17], s[0:1], 0x30
	;; [unrolled: 1-line block ×3, first 2 shown]
	s_load_b128 s[8:11], s[0:1], 0x48
	s_load_b64 s[18:19], s[0:1], 0x68
	v_cmp_eq_u32_e64 s2, 0, v0
	s_delay_alu instid0(VALU_DEP_1)
	s_and_saveexec_b32 s3, s2
	s_cbranch_execz .LBB608_4
; %bb.1:
	s_mov_b32 s7, exec_lo
	s_mov_b32 s6, exec_lo
	v_mbcnt_lo_u32_b32 v1, s7, 0
                                        ; implicit-def: $vgpr2
	s_delay_alu instid0(VALU_DEP_1)
	v_cmpx_eq_u32_e32 0, v1
	s_cbranch_execz .LBB608_3
; %bb.2:
	s_load_b64 s[12:13], s[0:1], 0x78
	s_bcnt1_i32_b32 s7, s7
	s_delay_alu instid0(SALU_CYCLE_1)
	v_dual_mov_b32 v2, 0 :: v_dual_mov_b32 v3, s7
	s_waitcnt lgkmcnt(0)
	global_atomic_add_u32 v2, v2, v3, s[12:13] glc
.LBB608_3:
	s_or_b32 exec_lo, exec_lo, s6
	s_waitcnt vmcnt(0)
	v_readfirstlane_b32 s6, v2
	s_delay_alu instid0(VALU_DEP_1)
	v_dual_mov_b32 v2, 0 :: v_dual_add_nc_u32 v1, s6, v1
	ds_store_b32 v2, v1
.LBB608_4:
	s_or_b32 exec_lo, exec_lo, s3
	v_mov_b32_e32 v1, 0
	s_clause 0x1
	s_load_b128 s[12:15], s[0:1], 0x8
	s_load_b32 s0, s[0:1], 0x70
	s_waitcnt lgkmcnt(0)
	s_barrier
	buffer_gl0_inv
	ds_load_b32 v3, v1
	s_waitcnt lgkmcnt(0)
	s_barrier
	buffer_gl0_inv
	global_load_b64 v[1:2], v1, s[10:11]
	s_add_u32 s3, s14, s12
	s_mul_i32 s24, s0, 0x300
	s_addc_u32 s6, s15, s13
	s_add_i32 s7, s0, -1
	s_add_u32 s0, s14, s24
	v_readfirstlane_b32 s23, v3
	s_addc_u32 s1, s15, 0
	s_delay_alu instid0(SALU_CYCLE_1) | instskip(NEXT) | instid1(VALU_DEP_2)
	v_cmp_ge_u64_e64 s0, s[0:1], s[20:21]
	s_cmp_eq_u32 s23, s7
	s_mov_b32 s7, -1
	s_cselect_b32 s21, -1, 0
	s_delay_alu instid0(VALU_DEP_1) | instid1(SALU_CYCLE_1)
	s_and_b32 s1, s0, s21
	s_mul_i32 s0, s23, 0x300
	s_xor_b32 s22, s1, -1
	s_mov_b32 s1, 0
	s_and_b32 vcc_lo, exec_lo, s22
	s_waitcnt vmcnt(0)
	v_readfirstlane_b32 s10, v1
	v_readfirstlane_b32 s11, v2
	s_cbranch_vccz .LBB608_6
; %bb.5:
	s_add_u32 s7, s0, s3
	s_addc_u32 s12, 0, s6
	v_add_co_u32 v1, s7, s7, v0
	s_delay_alu instid0(VALU_DEP_1) | instskip(SKIP_1) | instid1(VALU_DEP_3)
	v_add_co_ci_u32_e64 v2, null, s12, 0, s7
	v_lshlrev_b32_e32 v13, 3, v0
	v_add_co_u32 v3, vcc_lo, 0x80, v1
	s_delay_alu instid0(VALU_DEP_3)
	v_add_co_ci_u32_e32 v4, vcc_lo, 0, v2, vcc_lo
	v_add_co_u32 v5, vcc_lo, 0x100, v1
	v_add_co_ci_u32_e32 v6, vcc_lo, 0, v2, vcc_lo
	v_add_co_u32 v7, vcc_lo, 0x180, v1
	;; [unrolled: 2-line block ×4, first 2 shown]
	v_add_co_ci_u32_e32 v12, vcc_lo, 0, v2, vcc_lo
	ds_store_2addr_stride64_b64 v13, v[1:2], v[3:4] offset1:2
	ds_store_2addr_stride64_b64 v13, v[5:6], v[7:8] offset0:4 offset1:6
	ds_store_2addr_stride64_b64 v13, v[9:10], v[11:12] offset0:8 offset1:10
	s_waitcnt lgkmcnt(0)
	s_mov_b32 s7, s1
	s_barrier
.LBB608_6:
	v_or_b32_e32 v17, 0x100, v0
	v_or_b32_e32 v16, 0x180, v0
	;; [unrolled: 1-line block ×4, first 2 shown]
	s_and_not1_b32 vcc_lo, exec_lo, s7
	s_cbranch_vccnz .LBB608_8
; %bb.7:
	v_or_b32_e32 v3, 0x80, v0
	s_add_u32 s3, s3, s0
	s_addc_u32 s6, s6, 0
	v_add_co_u32 v1, s7, s3, v0
	s_delay_alu instid0(VALU_DEP_1) | instskip(SKIP_1) | instid1(VALU_DEP_1)
	v_add_co_ci_u32_e64 v2, null, s6, 0, s7
	v_add_co_u32 v3, s7, s3, v3
	v_add_co_ci_u32_e64 v4, null, s6, 0, s7
	v_add_co_u32 v5, s7, s3, v17
	s_delay_alu instid0(VALU_DEP_1) | instskip(SKIP_1) | instid1(VALU_DEP_1)
	v_add_co_ci_u32_e64 v6, null, s6, 0, s7
	v_add_co_u32 v7, s7, s3, v16
	v_add_co_ci_u32_e64 v8, null, s6, 0, s7
	v_add_co_u32 v9, s7, s3, v14
	v_lshlrev_b32_e32 v15, 3, v0
	v_add_co_u32 v11, s3, s3, v13
	v_add_co_ci_u32_e64 v10, null, s6, 0, s7
	v_add_co_ci_u32_e64 v12, null, s6, 0, s3
	ds_store_2addr_stride64_b64 v15, v[1:2], v[3:4] offset1:2
	ds_store_2addr_stride64_b64 v15, v[5:6], v[7:8] offset0:4 offset1:6
	ds_store_2addr_stride64_b64 v15, v[9:10], v[11:12] offset0:8 offset1:10
	s_waitcnt lgkmcnt(0)
	s_barrier
.LBB608_8:
	v_mul_u32_u24_e32 v1, 6, v0
	buffer_gl0_inv
	s_lshl_b64 s[6:7], s[14:15], 3
	s_mov_b32 s15, -1
	s_add_u32 s3, s4, s6
	v_lshlrev_b32_e32 v15, 3, v1
	s_addc_u32 s4, s5, s7
	s_lshl_b64 s[0:1], s[0:1], 3
	ds_load_b128 v[9:12], v15
	ds_load_b128 v[5:8], v15 offset:16
	ds_load_b128 v[1:4], v15 offset:32
	s_add_u32 s12, s3, s0
	s_addc_u32 s13, s4, s1
	s_and_b32 vcc_lo, exec_lo, s22
	s_waitcnt lgkmcnt(0)
	s_barrier
	buffer_gl0_inv
	s_cbranch_vccz .LBB608_10
; %bb.9:
	v_lshlrev_b32_e32 v24, 3, v0
	s_mov_b32 s15, 0
	s_clause 0x1
	global_load_b64 v[18:19], v24, s[12:13]
	global_load_b64 v[20:21], v24, s[12:13] offset:1024
	v_add_co_u32 v26, s0, s12, v24
	s_delay_alu instid0(VALU_DEP_1)
	v_add_co_ci_u32_e64 v27, null, s13, 0, s0
	s_clause 0x1
	global_load_b64 v[22:23], v24, s[12:13] offset:2048
	global_load_b64 v[24:25], v24, s[12:13] offset:3072
	v_add_co_u32 v26, vcc_lo, 0x1000, v26
	v_add_co_ci_u32_e32 v27, vcc_lo, 0, v27, vcc_lo
	s_clause 0x1
	global_load_b64 v[28:29], v[26:27], off
	global_load_b64 v[26:27], v[26:27], off offset:1024
	s_waitcnt vmcnt(5)
	v_cmp_neq_f32_e32 vcc_lo, 0, v18
	v_cmp_neq_f32_e64 s0, 0, v19
	s_waitcnt vmcnt(4)
	v_cmp_neq_f32_e64 s1, 0, v20
	v_cmp_neq_f32_e64 s3, 0, v21
	s_waitcnt vmcnt(3)
	v_cmp_neq_f32_e64 s4, 0, v22
	v_cmp_neq_f32_e64 s5, 0, v23
	s_or_b32 s0, vcc_lo, s0
	s_waitcnt vmcnt(2)
	v_cmp_neq_f32_e64 s6, 0, v24
	v_cndmask_b32_e64 v18, 0, 1, s0
	s_or_b32 s0, s1, s3
	v_cmp_neq_f32_e64 s7, 0, v25
	v_cndmask_b32_e64 v19, 0, 1, s0
	s_or_b32 s0, s4, s5
	s_waitcnt vmcnt(1)
	v_cmp_neq_f32_e32 vcc_lo, 0, v28
	v_cndmask_b32_e64 v20, 0, 1, s0
	v_cmp_neq_f32_e64 s0, 0, v29
	s_waitcnt vmcnt(0)
	v_cmp_neq_f32_e64 s1, 0, v26
	v_cmp_neq_f32_e64 s3, 0, v27
	s_or_b32 s4, s6, s7
	s_or_b32 s0, vcc_lo, s0
	v_cndmask_b32_e64 v21, 0, 1, s4
	v_cndmask_b32_e64 v22, 0, 1, s0
	s_or_b32 s0, s1, s3
	s_delay_alu instid0(SALU_CYCLE_1)
	v_cndmask_b32_e64 v23, 0, 1, s0
	ds_store_b8 v0, v18
	ds_store_b8 v0, v19 offset:128
	ds_store_b8 v0, v20 offset:256
	;; [unrolled: 1-line block ×5, first 2 shown]
	s_waitcnt lgkmcnt(0)
	s_barrier
.LBB608_10:
	s_and_not1_b32 vcc_lo, exec_lo, s15
	s_cbranch_vccnz .LBB608_24
; %bb.11:
	s_add_i32 s24, s24, s14
	v_dual_mov_b32 v18, 0 :: v_dual_mov_b32 v19, 0
	s_sub_i32 s1, s20, s24
	s_mov_b32 s3, exec_lo
	s_addk_i32 s1, 0x300
	s_delay_alu instid0(SALU_CYCLE_1)
	v_cmpx_gt_u32_e64 s1, v0
	s_cbranch_execz .LBB608_13
; %bb.12:
	v_lshlrev_b32_e32 v19, 3, v0
	global_load_b64 v[19:20], v19, s[12:13]
	s_waitcnt vmcnt(0)
	v_cmp_neq_f32_e32 vcc_lo, 0, v19
	v_cmp_neq_f32_e64 s0, 0, v20
	s_delay_alu instid0(VALU_DEP_1) | instskip(NEXT) | instid1(SALU_CYCLE_1)
	s_or_b32 s0, vcc_lo, s0
	v_cndmask_b32_e64 v19, 0, 1, s0
.LBB608_13:
	s_or_b32 exec_lo, exec_lo, s3
	v_or_b32_e32 v20, 0x80, v0
	s_mov_b32 s3, exec_lo
	s_delay_alu instid0(VALU_DEP_1)
	v_cmpx_gt_u32_e64 s1, v20
	s_cbranch_execz .LBB608_15
; %bb.14:
	v_lshlrev_b32_e32 v18, 3, v0
	global_load_b64 v[20:21], v18, s[12:13] offset:1024
	s_waitcnt vmcnt(0)
	v_cmp_neq_f32_e32 vcc_lo, 0, v20
	v_cmp_neq_f32_e64 s0, 0, v21
	s_delay_alu instid0(VALU_DEP_1) | instskip(NEXT) | instid1(SALU_CYCLE_1)
	s_or_b32 s0, vcc_lo, s0
	v_cndmask_b32_e64 v18, 0, 1, s0
.LBB608_15:
	s_or_b32 exec_lo, exec_lo, s3
	v_cmp_gt_u32_e32 vcc_lo, s1, v17
	v_dual_mov_b32 v17, 0 :: v_dual_mov_b32 v20, 0
	s_and_saveexec_b32 s3, vcc_lo
	s_cbranch_execz .LBB608_17
; %bb.16:
	v_lshlrev_b32_e32 v20, 3, v0
	global_load_b64 v[20:21], v20, s[12:13] offset:2048
	s_waitcnt vmcnt(0)
	v_cmp_neq_f32_e32 vcc_lo, 0, v20
	v_cmp_neq_f32_e64 s0, 0, v21
	s_delay_alu instid0(VALU_DEP_1) | instskip(NEXT) | instid1(SALU_CYCLE_1)
	s_or_b32 s0, vcc_lo, s0
	v_cndmask_b32_e64 v20, 0, 1, s0
.LBB608_17:
	s_or_b32 exec_lo, exec_lo, s3
	s_delay_alu instid0(SALU_CYCLE_1)
	s_mov_b32 s3, exec_lo
	v_cmpx_gt_u32_e64 s1, v16
	s_cbranch_execz .LBB608_19
; %bb.18:
	v_lshlrev_b32_e32 v16, 3, v0
	global_load_b64 v[16:17], v16, s[12:13] offset:3072
	s_waitcnt vmcnt(0)
	v_cmp_neq_f32_e32 vcc_lo, 0, v16
	v_cmp_neq_f32_e64 s0, 0, v17
	s_delay_alu instid0(VALU_DEP_1) | instskip(NEXT) | instid1(SALU_CYCLE_1)
	s_or_b32 s0, vcc_lo, s0
	v_cndmask_b32_e64 v17, 0, 1, s0
.LBB608_19:
	s_or_b32 exec_lo, exec_lo, s3
	v_dual_mov_b32 v16, 0 :: v_dual_mov_b32 v21, 0
	s_mov_b32 s3, exec_lo
	v_cmpx_gt_u32_e64 s1, v14
	s_cbranch_execz .LBB608_21
; %bb.20:
	v_lshlrev_b32_e32 v14, 3, v14
	global_load_b64 v[21:22], v14, s[12:13]
	s_waitcnt vmcnt(0)
	v_cmp_neq_f32_e32 vcc_lo, 0, v21
	v_cmp_neq_f32_e64 s0, 0, v22
	s_delay_alu instid0(VALU_DEP_1) | instskip(NEXT) | instid1(SALU_CYCLE_1)
	s_or_b32 s0, vcc_lo, s0
	v_cndmask_b32_e64 v21, 0, 1, s0
.LBB608_21:
	s_or_b32 exec_lo, exec_lo, s3
	v_cmp_gt_u32_e32 vcc_lo, s1, v13
	s_and_saveexec_b32 s1, vcc_lo
	s_cbranch_execz .LBB608_23
; %bb.22:
	v_lshlrev_b32_e32 v13, 3, v13
	global_load_b64 v[13:14], v13, s[12:13]
	s_waitcnt vmcnt(0)
	v_cmp_neq_f32_e32 vcc_lo, 0, v13
	v_cmp_neq_f32_e64 s0, 0, v14
	s_delay_alu instid0(VALU_DEP_1) | instskip(NEXT) | instid1(SALU_CYCLE_1)
	s_or_b32 s0, vcc_lo, s0
	v_cndmask_b32_e64 v16, 0, 1, s0
.LBB608_23:
	s_or_b32 exec_lo, exec_lo, s1
	ds_store_b8 v0, v19
	ds_store_b8 v0, v18 offset:128
	ds_store_b8 v0, v20 offset:256
	ds_store_b8 v0, v17 offset:384
	ds_store_b8 v0, v21 offset:512
	ds_store_b8 v0, v16 offset:640
	s_waitcnt lgkmcnt(0)
	s_barrier
.LBB608_24:
	v_mad_i32_i24 v43, 0xffffffd6, v0, v15
	buffer_gl0_inv
	v_mbcnt_lo_u32_b32 v42, -1, 0
	s_cmp_lg_u32 s23, 0
	s_mov_b32 s1, -1
	ds_load_u16 v36, v43
	ds_load_u16 v33, v43 offset:2
	ds_load_u16 v31, v43 offset:4
	v_mov_b32_e32 v14, 0
	v_and_b32_e32 v44, 15, v42
	s_waitcnt lgkmcnt(0)
	s_barrier
	buffer_gl0_inv
	v_and_b32_e32 v41, 0xff, v36
	v_lshrrev_b16 v34, 8, v36
	v_lshrrev_b16 v35, 8, v33
	v_and_b32_e32 v39, 0xff, v33
	v_lshrrev_b16 v32, 8, v31
	v_and_b32_e32 v37, 0xff, v31
	v_and_b32_e32 v40, 0xffff, v34
	;; [unrolled: 1-line block ×3, first 2 shown]
	s_delay_alu instid0(VALU_DEP_4) | instskip(NEXT) | instid1(VALU_DEP_3)
	v_and_b32_e32 v16, 0xffff, v32
	v_add_co_u32 v13, s0, v40, v41
	s_delay_alu instid0(VALU_DEP_1) | instskip(SKIP_1) | instid1(VALU_DEP_3)
	v_add_co_ci_u32_e64 v15, null, 0, 0, s0
	v_cmp_ne_u32_e64 s0, 0, v44
	v_add_co_u32 v13, vcc_lo, v13, v39
	s_delay_alu instid0(VALU_DEP_3) | instskip(NEXT) | instid1(VALU_DEP_2)
	v_add_co_ci_u32_e32 v15, vcc_lo, 0, v15, vcc_lo
	v_add_co_u32 v13, vcc_lo, v13, v38
	s_delay_alu instid0(VALU_DEP_2) | instskip(NEXT) | instid1(VALU_DEP_2)
	v_add_co_ci_u32_e32 v15, vcc_lo, 0, v15, vcc_lo
	v_add_co_u32 v13, vcc_lo, v13, v37
	s_delay_alu instid0(VALU_DEP_2) | instskip(NEXT) | instid1(VALU_DEP_2)
	v_add_co_ci_u32_e32 v15, vcc_lo, 0, v15, vcc_lo
	v_add_co_u32 v21, vcc_lo, v13, v16
	s_delay_alu instid0(VALU_DEP_2)
	v_add_co_ci_u32_e32 v22, vcc_lo, 0, v15, vcc_lo
	s_cbranch_scc0 .LBB608_93
; %bb.25:
	s_delay_alu instid0(VALU_DEP_2)
	v_mov_b32_e32 v15, v21
	v_mov_b32_dpp v13, v21 row_shr:1 row_mask:0xf bank_mask:0xf
	v_mov_b32_dpp v18, v14 row_shr:1 row_mask:0xf bank_mask:0xf
	v_dual_mov_b32 v17, v21 :: v_dual_mov_b32 v16, v22
	s_and_saveexec_b32 s1, s0
; %bb.26:
	s_delay_alu instid0(VALU_DEP_3) | instskip(SKIP_1) | instid1(VALU_DEP_2)
	v_add_co_u32 v17, vcc_lo, v21, v13
	v_add_co_ci_u32_e32 v14, vcc_lo, 0, v22, vcc_lo
	v_add_co_u32 v13, vcc_lo, 0, v17
	s_delay_alu instid0(VALU_DEP_2) | instskip(NEXT) | instid1(VALU_DEP_1)
	v_add_co_ci_u32_e32 v14, vcc_lo, v18, v14, vcc_lo
	v_dual_mov_b32 v16, v14 :: v_dual_mov_b32 v15, v13
; %bb.27:
	s_or_b32 exec_lo, exec_lo, s1
	v_mov_b32_dpp v13, v17 row_shr:2 row_mask:0xf bank_mask:0xf
	v_mov_b32_dpp v18, v14 row_shr:2 row_mask:0xf bank_mask:0xf
	s_mov_b32 s1, exec_lo
	v_cmpx_lt_u32_e32 1, v44
; %bb.28:
	s_delay_alu instid0(VALU_DEP_3) | instskip(SKIP_1) | instid1(VALU_DEP_2)
	v_add_co_u32 v17, vcc_lo, v15, v13
	v_add_co_ci_u32_e32 v14, vcc_lo, 0, v16, vcc_lo
	v_add_co_u32 v13, vcc_lo, 0, v17
	s_delay_alu instid0(VALU_DEP_2) | instskip(NEXT) | instid1(VALU_DEP_1)
	v_add_co_ci_u32_e32 v14, vcc_lo, v18, v14, vcc_lo
	v_dual_mov_b32 v16, v14 :: v_dual_mov_b32 v15, v13
; %bb.29:
	s_or_b32 exec_lo, exec_lo, s1
	v_mov_b32_dpp v13, v17 row_shr:4 row_mask:0xf bank_mask:0xf
	v_mov_b32_dpp v18, v14 row_shr:4 row_mask:0xf bank_mask:0xf
	s_mov_b32 s1, exec_lo
	v_cmpx_lt_u32_e32 3, v44
; %bb.30:
	s_delay_alu instid0(VALU_DEP_3) | instskip(SKIP_1) | instid1(VALU_DEP_2)
	v_add_co_u32 v17, vcc_lo, v15, v13
	v_add_co_ci_u32_e32 v14, vcc_lo, 0, v16, vcc_lo
	v_add_co_u32 v13, vcc_lo, 0, v17
	s_delay_alu instid0(VALU_DEP_2) | instskip(NEXT) | instid1(VALU_DEP_1)
	v_add_co_ci_u32_e32 v14, vcc_lo, v18, v14, vcc_lo
	v_dual_mov_b32 v16, v14 :: v_dual_mov_b32 v15, v13
; %bb.31:
	s_or_b32 exec_lo, exec_lo, s1
	v_mov_b32_dpp v18, v17 row_shr:8 row_mask:0xf bank_mask:0xf
	v_mov_b32_dpp v13, v14 row_shr:8 row_mask:0xf bank_mask:0xf
	s_mov_b32 s1, exec_lo
	v_cmpx_lt_u32_e32 7, v44
; %bb.32:
	s_delay_alu instid0(VALU_DEP_3) | instskip(SKIP_1) | instid1(VALU_DEP_2)
	v_add_co_u32 v17, vcc_lo, v15, v18
	v_add_co_ci_u32_e32 v14, vcc_lo, 0, v16, vcc_lo
	v_add_co_u32 v15, vcc_lo, 0, v17
	s_delay_alu instid0(VALU_DEP_2) | instskip(NEXT) | instid1(VALU_DEP_1)
	v_add_co_ci_u32_e32 v16, vcc_lo, v13, v14, vcc_lo
	v_mov_b32_e32 v14, v16
; %bb.33:
	s_or_b32 exec_lo, exec_lo, s1
	ds_swizzle_b32 v13, v17 offset:swizzle(BROADCAST,32,15)
	ds_swizzle_b32 v18, v14 offset:swizzle(BROADCAST,32,15)
	v_and_b32_e32 v19, 16, v42
	s_mov_b32 s1, exec_lo
	s_delay_alu instid0(VALU_DEP_1)
	v_cmpx_ne_u32_e32 0, v19
	s_cbranch_execz .LBB608_35
; %bb.34:
	s_waitcnt lgkmcnt(1)
	v_add_co_u32 v17, vcc_lo, v15, v13
	v_add_co_ci_u32_e32 v14, vcc_lo, 0, v16, vcc_lo
	s_delay_alu instid0(VALU_DEP_2) | instskip(SKIP_1) | instid1(VALU_DEP_2)
	v_add_co_u32 v13, vcc_lo, 0, v17
	s_waitcnt lgkmcnt(0)
	v_add_co_ci_u32_e32 v14, vcc_lo, v18, v14, vcc_lo
	s_delay_alu instid0(VALU_DEP_1)
	v_dual_mov_b32 v16, v14 :: v_dual_mov_b32 v15, v13
.LBB608_35:
	s_or_b32 exec_lo, exec_lo, s1
	s_waitcnt lgkmcnt(0)
	v_or_b32_e32 v18, 31, v0
	v_lshrrev_b32_e32 v13, 5, v0
	s_mov_b32 s1, exec_lo
	s_delay_alu instid0(VALU_DEP_2)
	v_cmpx_eq_u32_e64 v18, v0
	s_cbranch_execz .LBB608_37
; %bb.36:
	s_delay_alu instid0(VALU_DEP_2)
	v_lshlrev_b32_e32 v18, 3, v13
	ds_store_b64 v18, v[15:16]
.LBB608_37:
	s_or_b32 exec_lo, exec_lo, s1
	s_delay_alu instid0(SALU_CYCLE_1)
	s_mov_b32 s1, exec_lo
	s_waitcnt lgkmcnt(0)
	s_barrier
	buffer_gl0_inv
	v_cmpx_gt_u32_e32 4, v0
	s_cbranch_execz .LBB608_43
; %bb.38:
	v_lshlrev_b32_e32 v18, 3, v0
	s_mov_b32 s3, exec_lo
	ds_load_b64 v[15:16], v18
	s_waitcnt lgkmcnt(0)
	v_dual_mov_b32 v20, v15 :: v_dual_and_b32 v19, 3, v42
	v_mov_b32_dpp v24, v15 row_shr:1 row_mask:0xf bank_mask:0xf
	v_mov_b32_dpp v23, v16 row_shr:1 row_mask:0xf bank_mask:0xf
	s_delay_alu instid0(VALU_DEP_3)
	v_cmpx_ne_u32_e32 0, v19
; %bb.39:
	s_delay_alu instid0(VALU_DEP_3) | instskip(SKIP_1) | instid1(VALU_DEP_2)
	v_add_co_u32 v20, vcc_lo, v15, v24
	v_add_co_ci_u32_e32 v16, vcc_lo, 0, v16, vcc_lo
	v_add_co_u32 v15, vcc_lo, 0, v20
	s_delay_alu instid0(VALU_DEP_2)
	v_add_co_ci_u32_e32 v16, vcc_lo, v23, v16, vcc_lo
; %bb.40:
	s_or_b32 exec_lo, exec_lo, s3
	v_mov_b32_dpp v23, v20 row_shr:2 row_mask:0xf bank_mask:0xf
	s_delay_alu instid0(VALU_DEP_2)
	v_mov_b32_dpp v20, v16 row_shr:2 row_mask:0xf bank_mask:0xf
	s_mov_b32 s3, exec_lo
	v_cmpx_lt_u32_e32 1, v19
; %bb.41:
	s_delay_alu instid0(VALU_DEP_3) | instskip(SKIP_1) | instid1(VALU_DEP_2)
	v_add_co_u32 v15, vcc_lo, v15, v23
	v_add_co_ci_u32_e32 v16, vcc_lo, 0, v16, vcc_lo
	v_add_co_u32 v15, vcc_lo, v15, 0
	s_delay_alu instid0(VALU_DEP_2)
	v_add_co_ci_u32_e32 v16, vcc_lo, v16, v20, vcc_lo
; %bb.42:
	s_or_b32 exec_lo, exec_lo, s3
	ds_store_b64 v18, v[15:16]
.LBB608_43:
	s_or_b32 exec_lo, exec_lo, s1
	v_cmp_gt_u32_e32 vcc_lo, 32, v0
	s_mov_b32 s3, exec_lo
	s_waitcnt lgkmcnt(0)
	s_barrier
	buffer_gl0_inv
                                        ; implicit-def: $vgpr23_vgpr24
	v_cmpx_lt_u32_e32 31, v0
	s_cbranch_execz .LBB608_45
; %bb.44:
	v_lshl_add_u32 v13, v13, 3, -8
	ds_load_b64 v[23:24], v13
	s_waitcnt lgkmcnt(0)
	v_add_co_u32 v17, s1, v17, v23
	s_delay_alu instid0(VALU_DEP_1)
	v_add_co_ci_u32_e64 v14, s1, v14, v24, s1
.LBB608_45:
	s_or_b32 exec_lo, exec_lo, s3
	v_add_nc_u32_e32 v13, -1, v42
	s_delay_alu instid0(VALU_DEP_1) | instskip(NEXT) | instid1(VALU_DEP_1)
	v_cmp_gt_i32_e64 s1, 0, v13
	v_cndmask_b32_e64 v13, v13, v42, s1
	v_cmp_eq_u32_e64 s1, 0, v42
	s_delay_alu instid0(VALU_DEP_2)
	v_lshlrev_b32_e32 v13, 2, v13
	ds_bpermute_b32 v29, v13, v17
	ds_bpermute_b32 v30, v13, v14
	s_and_saveexec_b32 s3, vcc_lo
	s_cbranch_execz .LBB608_88
; %bb.46:
	v_mov_b32_e32 v16, 0
	ds_load_b64 v[13:14], v16 offset:24
	s_and_saveexec_b32 s4, s1
	s_cbranch_execz .LBB608_48
; %bb.47:
	s_add_i32 s6, s23, 32
	s_mov_b32 s7, 0
	s_delay_alu instid0(SALU_CYCLE_1) | instskip(NEXT) | instid1(SALU_CYCLE_1)
	s_lshl_b64 s[6:7], s[6:7], 4
	s_add_u32 s6, s18, s6
	s_addc_u32 s7, s19, s7
	s_delay_alu instid0(SALU_CYCLE_1)
	v_dual_mov_b32 v15, 1 :: v_dual_mov_b32 v18, s7
	v_mov_b32_e32 v17, s6
	s_waitcnt lgkmcnt(0)
	;;#ASMSTART
	global_store_dwordx4 v[17:18], v[13:16] off	
s_waitcnt vmcnt(0)
	;;#ASMEND
.LBB608_48:
	s_or_b32 exec_lo, exec_lo, s4
	v_xad_u32 v25, v42, -1, s23
	s_mov_b32 s5, 0
	s_mov_b32 s4, exec_lo
	s_delay_alu instid0(VALU_DEP_1) | instskip(NEXT) | instid1(VALU_DEP_1)
	v_add_nc_u32_e32 v15, 32, v25
	v_lshlrev_b64 v[15:16], 4, v[15:16]
	s_delay_alu instid0(VALU_DEP_1) | instskip(NEXT) | instid1(VALU_DEP_2)
	v_add_co_u32 v15, vcc_lo, s18, v15
	v_add_co_ci_u32_e32 v16, vcc_lo, s19, v16, vcc_lo
	;;#ASMSTART
	global_load_dwordx4 v[17:20], v[15:16] off glc	
s_waitcnt vmcnt(0)
	;;#ASMEND
	v_and_b32_e32 v20, 0xff, v18
	v_and_b32_e32 v26, 0xff00, v18
	v_or3_b32 v17, v17, 0, 0
	v_and_b32_e32 v27, 0xff000000, v18
	v_and_b32_e32 v18, 0xff0000, v18
	s_delay_alu instid0(VALU_DEP_4) | instskip(SKIP_2) | instid1(VALU_DEP_3)
	v_or3_b32 v20, 0, v20, v26
	v_and_b32_e32 v26, 0xff, v19
	v_or3_b32 v17, v17, 0, 0
	v_or3_b32 v18, v20, v18, v27
	s_delay_alu instid0(VALU_DEP_3)
	v_cmpx_eq_u16_e32 0, v26
	s_cbranch_execz .LBB608_54
; %bb.49:
	s_mov_b32 s6, 1
	.p2align	6
.LBB608_50:                             ; =>This Loop Header: Depth=1
                                        ;     Child Loop BB608_51 Depth 2
	s_delay_alu instid0(SALU_CYCLE_1)
	s_max_u32 s7, s6, 1
.LBB608_51:                             ;   Parent Loop BB608_50 Depth=1
                                        ; =>  This Inner Loop Header: Depth=2
	s_delay_alu instid0(SALU_CYCLE_1)
	s_add_i32 s7, s7, -1
	s_sleep 1
	s_cmp_eq_u32 s7, 0
	s_cbranch_scc0 .LBB608_51
; %bb.52:                               ;   in Loop: Header=BB608_50 Depth=1
	;;#ASMSTART
	global_load_dwordx4 v[17:20], v[15:16] off glc	
s_waitcnt vmcnt(0)
	;;#ASMEND
	v_and_b32_e32 v20, 0xff, v19
	s_cmp_lt_u32 s6, 32
	s_cselect_b32 s7, -1, 0
	s_delay_alu instid0(SALU_CYCLE_1) | instskip(NEXT) | instid1(VALU_DEP_1)
	s_cmp_lg_u32 s7, 0
	v_cmp_ne_u16_e32 vcc_lo, 0, v20
	s_addc_u32 s6, s6, 0
	s_or_b32 s5, vcc_lo, s5
	s_delay_alu instid0(SALU_CYCLE_1)
	s_and_not1_b32 exec_lo, exec_lo, s5
	s_cbranch_execnz .LBB608_50
; %bb.53:
	s_or_b32 exec_lo, exec_lo, s5
.LBB608_54:
	s_delay_alu instid0(SALU_CYCLE_1)
	s_or_b32 exec_lo, exec_lo, s4
	v_cmp_ne_u32_e32 vcc_lo, 31, v42
	v_and_b32_e32 v16, 0xff, v19
	v_lshlrev_b32_e64 v46, v42, -1
	s_mov_b32 s4, exec_lo
	v_add_co_ci_u32_e32 v15, vcc_lo, 0, v42, vcc_lo
	s_delay_alu instid0(VALU_DEP_3) | instskip(NEXT) | instid1(VALU_DEP_2)
	v_cmp_eq_u16_e32 vcc_lo, 2, v16
	v_dual_mov_b32 v16, v17 :: v_dual_lshlrev_b32 v45, 2, v15
	v_and_or_b32 v15, vcc_lo, v46, 0x80000000
	ds_bpermute_b32 v26, v45, v17
	ds_bpermute_b32 v20, v45, v18
	v_ctz_i32_b32_e32 v15, v15
	s_delay_alu instid0(VALU_DEP_1)
	v_cmpx_lt_u32_e64 v42, v15
	s_cbranch_execz .LBB608_56
; %bb.55:
	s_waitcnt lgkmcnt(1)
	v_add_co_u32 v16, vcc_lo, v17, v26
	v_add_co_ci_u32_e32 v18, vcc_lo, 0, v18, vcc_lo
	s_delay_alu instid0(VALU_DEP_2) | instskip(SKIP_1) | instid1(VALU_DEP_2)
	v_add_co_u32 v17, vcc_lo, 0, v16
	s_waitcnt lgkmcnt(0)
	v_add_co_ci_u32_e32 v18, vcc_lo, v20, v18, vcc_lo
.LBB608_56:
	s_or_b32 exec_lo, exec_lo, s4
	v_cmp_gt_u32_e32 vcc_lo, 30, v42
	v_add_nc_u32_e32 v48, 2, v42
	s_mov_b32 s4, exec_lo
	s_waitcnt lgkmcnt(0)
	v_cndmask_b32_e64 v20, 0, 1, vcc_lo
	s_delay_alu instid0(VALU_DEP_1) | instskip(NEXT) | instid1(VALU_DEP_1)
	v_lshlrev_b32_e32 v20, 1, v20
	v_add_lshl_u32 v47, v20, v42, 2
	ds_bpermute_b32 v26, v47, v16
	ds_bpermute_b32 v20, v47, v18
	v_cmpx_le_u32_e64 v48, v15
	s_cbranch_execz .LBB608_58
; %bb.57:
	s_waitcnt lgkmcnt(1)
	v_add_co_u32 v16, vcc_lo, v17, v26
	v_add_co_ci_u32_e32 v18, vcc_lo, 0, v18, vcc_lo
	s_delay_alu instid0(VALU_DEP_2) | instskip(SKIP_1) | instid1(VALU_DEP_2)
	v_add_co_u32 v17, vcc_lo, 0, v16
	s_waitcnt lgkmcnt(0)
	v_add_co_ci_u32_e32 v18, vcc_lo, v20, v18, vcc_lo
.LBB608_58:
	s_or_b32 exec_lo, exec_lo, s4
	v_cmp_gt_u32_e32 vcc_lo, 28, v42
	v_add_nc_u32_e32 v50, 4, v42
	s_mov_b32 s4, exec_lo
	s_waitcnt lgkmcnt(0)
	v_cndmask_b32_e64 v20, 0, 1, vcc_lo
	s_delay_alu instid0(VALU_DEP_1) | instskip(NEXT) | instid1(VALU_DEP_1)
	v_lshlrev_b32_e32 v20, 2, v20
	v_add_lshl_u32 v49, v20, v42, 2
	ds_bpermute_b32 v26, v49, v16
	ds_bpermute_b32 v20, v49, v18
	v_cmpx_le_u32_e64 v50, v15
	;; [unrolled: 22-line block ×4, first 2 shown]
	s_cbranch_execz .LBB608_64
; %bb.63:
	s_waitcnt lgkmcnt(1)
	v_add_co_u32 v15, vcc_lo, v17, v20
	v_add_co_ci_u32_e32 v18, vcc_lo, 0, v18, vcc_lo
	s_delay_alu instid0(VALU_DEP_2) | instskip(SKIP_1) | instid1(VALU_DEP_2)
	v_add_co_u32 v17, vcc_lo, v15, 0
	s_waitcnt lgkmcnt(0)
	v_add_co_ci_u32_e32 v18, vcc_lo, v18, v16, vcc_lo
.LBB608_64:
	s_or_b32 exec_lo, exec_lo, s4
	v_mov_b32_e32 v26, 0
	s_branch .LBB608_66
.LBB608_65:                             ;   in Loop: Header=BB608_66 Depth=1
	s_or_b32 exec_lo, exec_lo, s4
	v_add_co_u32 v17, vcc_lo, v17, v15
	v_subrev_nc_u32_e32 v25, 32, v25
	v_add_co_ci_u32_e32 v18, vcc_lo, v18, v16, vcc_lo
.LBB608_66:                             ; =>This Loop Header: Depth=1
                                        ;     Child Loop BB608_69 Depth 2
                                        ;       Child Loop BB608_70 Depth 3
	v_and_b32_e32 v15, 0xff, v19
	s_delay_alu instid0(VALU_DEP_1) | instskip(SKIP_2) | instid1(VALU_DEP_1)
	v_cmp_ne_u16_e32 vcc_lo, 2, v15
	v_cndmask_b32_e64 v15, 0, 1, vcc_lo
	;;#ASMSTART
	;;#ASMEND
	v_cmp_ne_u32_e32 vcc_lo, 0, v15
	s_waitcnt lgkmcnt(0)
	v_dual_mov_b32 v15, v17 :: v_dual_mov_b32 v16, v18
	s_cmp_lg_u32 vcc_lo, exec_lo
	s_cbranch_scc1 .LBB608_83
; %bb.67:                               ;   in Loop: Header=BB608_66 Depth=1
	v_lshlrev_b64 v[17:18], 4, v[25:26]
	s_mov_b32 s4, exec_lo
	s_delay_alu instid0(VALU_DEP_1) | instskip(NEXT) | instid1(VALU_DEP_2)
	v_add_co_u32 v27, vcc_lo, s18, v17
	v_add_co_ci_u32_e32 v28, vcc_lo, s19, v18, vcc_lo
	;;#ASMSTART
	global_load_dwordx4 v[17:20], v[27:28] off glc	
s_waitcnt vmcnt(0)
	;;#ASMEND
	v_and_b32_e32 v20, 0xff, v18
	v_and_b32_e32 v55, 0xff00, v18
	v_or3_b32 v17, v17, 0, 0
	v_and_b32_e32 v56, 0xff000000, v18
	v_and_b32_e32 v18, 0xff0000, v18
	s_delay_alu instid0(VALU_DEP_4) | instskip(SKIP_2) | instid1(VALU_DEP_3)
	v_or3_b32 v20, 0, v20, v55
	v_and_b32_e32 v55, 0xff, v19
	v_or3_b32 v17, v17, 0, 0
	v_or3_b32 v18, v20, v18, v56
	s_delay_alu instid0(VALU_DEP_3)
	v_cmpx_eq_u16_e32 0, v55
	s_cbranch_execz .LBB608_73
; %bb.68:                               ;   in Loop: Header=BB608_66 Depth=1
	s_mov_b32 s6, 1
	s_mov_b32 s5, 0
	.p2align	6
.LBB608_69:                             ;   Parent Loop BB608_66 Depth=1
                                        ; =>  This Loop Header: Depth=2
                                        ;       Child Loop BB608_70 Depth 3
	s_max_u32 s7, s6, 1
.LBB608_70:                             ;   Parent Loop BB608_66 Depth=1
                                        ;     Parent Loop BB608_69 Depth=2
                                        ; =>    This Inner Loop Header: Depth=3
	s_delay_alu instid0(SALU_CYCLE_1)
	s_add_i32 s7, s7, -1
	s_sleep 1
	s_cmp_eq_u32 s7, 0
	s_cbranch_scc0 .LBB608_70
; %bb.71:                               ;   in Loop: Header=BB608_69 Depth=2
	;;#ASMSTART
	global_load_dwordx4 v[17:20], v[27:28] off glc	
s_waitcnt vmcnt(0)
	;;#ASMEND
	v_and_b32_e32 v20, 0xff, v19
	s_cmp_lt_u32 s6, 32
	s_cselect_b32 s7, -1, 0
	s_delay_alu instid0(SALU_CYCLE_1) | instskip(NEXT) | instid1(VALU_DEP_1)
	s_cmp_lg_u32 s7, 0
	v_cmp_ne_u16_e32 vcc_lo, 0, v20
	s_addc_u32 s6, s6, 0
	s_or_b32 s5, vcc_lo, s5
	s_delay_alu instid0(SALU_CYCLE_1)
	s_and_not1_b32 exec_lo, exec_lo, s5
	s_cbranch_execnz .LBB608_69
; %bb.72:                               ;   in Loop: Header=BB608_66 Depth=1
	s_or_b32 exec_lo, exec_lo, s5
.LBB608_73:                             ;   in Loop: Header=BB608_66 Depth=1
	s_delay_alu instid0(SALU_CYCLE_1)
	s_or_b32 exec_lo, exec_lo, s4
	v_dual_mov_b32 v27, v17 :: v_dual_and_b32 v20, 0xff, v19
	ds_bpermute_b32 v55, v45, v17
	ds_bpermute_b32 v28, v45, v18
	s_mov_b32 s4, exec_lo
	v_cmp_eq_u16_e32 vcc_lo, 2, v20
	v_and_or_b32 v20, vcc_lo, v46, 0x80000000
	s_delay_alu instid0(VALU_DEP_1) | instskip(NEXT) | instid1(VALU_DEP_1)
	v_ctz_i32_b32_e32 v20, v20
	v_cmpx_lt_u32_e64 v42, v20
	s_cbranch_execz .LBB608_75
; %bb.74:                               ;   in Loop: Header=BB608_66 Depth=1
	s_waitcnt lgkmcnt(1)
	v_add_co_u32 v27, vcc_lo, v17, v55
	v_add_co_ci_u32_e32 v18, vcc_lo, 0, v18, vcc_lo
	s_delay_alu instid0(VALU_DEP_2) | instskip(SKIP_1) | instid1(VALU_DEP_2)
	v_add_co_u32 v17, vcc_lo, 0, v27
	s_waitcnt lgkmcnt(0)
	v_add_co_ci_u32_e32 v18, vcc_lo, v28, v18, vcc_lo
.LBB608_75:                             ;   in Loop: Header=BB608_66 Depth=1
	s_or_b32 exec_lo, exec_lo, s4
	s_waitcnt lgkmcnt(1)
	ds_bpermute_b32 v55, v47, v27
	s_waitcnt lgkmcnt(1)
	ds_bpermute_b32 v28, v47, v18
	s_mov_b32 s4, exec_lo
	v_cmpx_le_u32_e64 v48, v20
	s_cbranch_execz .LBB608_77
; %bb.76:                               ;   in Loop: Header=BB608_66 Depth=1
	s_waitcnt lgkmcnt(1)
	v_add_co_u32 v27, vcc_lo, v17, v55
	v_add_co_ci_u32_e32 v18, vcc_lo, 0, v18, vcc_lo
	s_delay_alu instid0(VALU_DEP_2) | instskip(SKIP_1) | instid1(VALU_DEP_2)
	v_add_co_u32 v17, vcc_lo, 0, v27
	s_waitcnt lgkmcnt(0)
	v_add_co_ci_u32_e32 v18, vcc_lo, v28, v18, vcc_lo
.LBB608_77:                             ;   in Loop: Header=BB608_66 Depth=1
	s_or_b32 exec_lo, exec_lo, s4
	s_waitcnt lgkmcnt(1)
	ds_bpermute_b32 v55, v49, v27
	s_waitcnt lgkmcnt(1)
	ds_bpermute_b32 v28, v49, v18
	s_mov_b32 s4, exec_lo
	v_cmpx_le_u32_e64 v50, v20
	;; [unrolled: 17-line block ×3, first 2 shown]
	s_cbranch_execz .LBB608_81
; %bb.80:                               ;   in Loop: Header=BB608_66 Depth=1
	s_waitcnt lgkmcnt(1)
	v_add_co_u32 v27, vcc_lo, v17, v55
	v_add_co_ci_u32_e32 v18, vcc_lo, 0, v18, vcc_lo
	s_delay_alu instid0(VALU_DEP_2) | instskip(SKIP_1) | instid1(VALU_DEP_2)
	v_add_co_u32 v17, vcc_lo, 0, v27
	s_waitcnt lgkmcnt(0)
	v_add_co_ci_u32_e32 v18, vcc_lo, v28, v18, vcc_lo
.LBB608_81:                             ;   in Loop: Header=BB608_66 Depth=1
	s_or_b32 exec_lo, exec_lo, s4
	s_waitcnt lgkmcnt(0)
	ds_bpermute_b32 v28, v53, v27
	ds_bpermute_b32 v27, v53, v18
	s_mov_b32 s4, exec_lo
	v_cmpx_le_u32_e64 v54, v20
	s_cbranch_execz .LBB608_65
; %bb.82:                               ;   in Loop: Header=BB608_66 Depth=1
	s_waitcnt lgkmcnt(1)
	v_add_co_u32 v17, vcc_lo, v17, v28
	v_add_co_ci_u32_e32 v18, vcc_lo, 0, v18, vcc_lo
	s_delay_alu instid0(VALU_DEP_2) | instskip(SKIP_1) | instid1(VALU_DEP_2)
	v_add_co_u32 v17, vcc_lo, v17, 0
	s_waitcnt lgkmcnt(0)
	v_add_co_ci_u32_e32 v18, vcc_lo, v18, v27, vcc_lo
	s_branch .LBB608_65
.LBB608_83:                             ;   in Loop: Header=BB608_66 Depth=1
                                        ; implicit-def: $vgpr17_vgpr18
	s_cbranch_execz .LBB608_66
; %bb.84:
	s_and_saveexec_b32 s4, s1
	s_cbranch_execz .LBB608_86
; %bb.85:
	s_add_i32 s6, s23, 32
	s_mov_b32 s7, 0
	v_add_co_u32 v17, vcc_lo, v15, v13
	s_lshl_b64 s[6:7], s[6:7], 4
	v_dual_mov_b32 v19, 2 :: v_dual_mov_b32 v20, 0
	s_add_u32 s6, s18, s6
	s_addc_u32 s7, s19, s7
	v_add_co_ci_u32_e32 v18, vcc_lo, v16, v14, vcc_lo
	v_dual_mov_b32 v26, s7 :: v_dual_mov_b32 v25, s6
	;;#ASMSTART
	global_store_dwordx4 v[25:26], v[17:20] off	
s_waitcnt vmcnt(0)
	;;#ASMEND
	ds_store_b128 v20, v[13:16] offset:6144
.LBB608_86:
	s_or_b32 exec_lo, exec_lo, s4
	s_delay_alu instid0(SALU_CYCLE_1)
	s_and_b32 exec_lo, exec_lo, s2
	s_cbranch_execz .LBB608_88
; %bb.87:
	v_mov_b32_e32 v13, 0
	ds_store_b64 v13, v[15:16] offset:24
.LBB608_88:
	s_or_b32 exec_lo, exec_lo, s3
	v_mov_b32_e32 v15, 0
	s_waitcnt lgkmcnt(0)
	s_barrier
	buffer_gl0_inv
	v_cndmask_b32_e64 v16, v29, v23, s1
	ds_load_b64 v[13:14], v15 offset:24
	v_cndmask_b32_e64 v17, v30, v24, s1
	s_waitcnt lgkmcnt(0)
	s_barrier
	v_cndmask_b32_e64 v16, v16, 0, s2
	buffer_gl0_inv
	v_cndmask_b32_e64 v17, v17, 0, s2
	v_add_co_u32 v29, vcc_lo, v13, v16
	s_delay_alu instid0(VALU_DEP_2) | instskip(SKIP_3) | instid1(VALU_DEP_2)
	v_add_co_ci_u32_e32 v30, vcc_lo, v14, v17, vcc_lo
	ds_load_b128 v[13:16], v15 offset:6144
	v_add_co_u32 v27, vcc_lo, v29, v41
	v_add_co_ci_u32_e32 v28, vcc_lo, 0, v30, vcc_lo
	v_add_co_u32 v25, vcc_lo, v27, v40
	s_delay_alu instid0(VALU_DEP_2) | instskip(NEXT) | instid1(VALU_DEP_2)
	v_add_co_ci_u32_e32 v26, vcc_lo, 0, v28, vcc_lo
	v_add_co_u32 v23, vcc_lo, v25, v39
	s_delay_alu instid0(VALU_DEP_2) | instskip(NEXT) | instid1(VALU_DEP_2)
	;; [unrolled: 3-line block ×3, first 2 shown]
	v_add_co_ci_u32_e32 v20, vcc_lo, 0, v24, vcc_lo
	v_add_co_u32 v17, vcc_lo, v19, v37
	s_delay_alu instid0(VALU_DEP_2)
	v_add_co_ci_u32_e32 v18, vcc_lo, 0, v20, vcc_lo
.LBB608_89:
	s_waitcnt lgkmcnt(0)
	v_cmp_gt_u64_e32 vcc_lo, 0x81, v[13:14]
	s_mov_b32 s0, -1
	s_cbranch_vccnz .LBB608_117
.LBB608_90:
	s_and_b32 vcc_lo, exec_lo, s0
	s_cbranch_vccnz .LBB608_136
.LBB608_91:
	s_and_b32 s0, s2, s21
	s_delay_alu instid0(SALU_CYCLE_1)
	s_and_saveexec_b32 s1, s0
	s_cbranch_execnz .LBB608_152
.LBB608_92:
	s_nop 0
	s_sendmsg sendmsg(MSG_DEALLOC_VGPRS)
	s_endpgm
.LBB608_93:
                                        ; kill: def $vgpr13_vgpr14 killed $sgpr0_sgpr1 killed $exec
                                        ; implicit-def: $vgpr17_vgpr18
                                        ; implicit-def: $vgpr19_vgpr20
                                        ; implicit-def: $vgpr23_vgpr24
                                        ; implicit-def: $vgpr25_vgpr26
                                        ; implicit-def: $vgpr27_vgpr28
                                        ; implicit-def: $vgpr29_vgpr30
                                        ; implicit-def: $vgpr15_vgpr16
	s_and_b32 vcc_lo, exec_lo, s1
	s_cbranch_vccz .LBB608_89
; %bb.94:
	s_waitcnt lgkmcnt(0)
	v_dual_mov_b32 v14, 0 :: v_dual_mov_b32 v15, v21
	v_mov_b32_dpp v16, v21 row_shr:1 row_mask:0xf bank_mask:0xf
	s_delay_alu instid0(VALU_DEP_2)
	v_mov_b32_dpp v13, v14 row_shr:1 row_mask:0xf bank_mask:0xf
	s_and_saveexec_b32 s1, s0
; %bb.95:
	s_delay_alu instid0(VALU_DEP_2) | instskip(SKIP_1) | instid1(VALU_DEP_2)
	v_add_co_u32 v15, vcc_lo, v21, v16
	v_add_co_ci_u32_e32 v14, vcc_lo, 0, v22, vcc_lo
	v_add_co_u32 v21, vcc_lo, 0, v15
	s_delay_alu instid0(VALU_DEP_2) | instskip(NEXT) | instid1(VALU_DEP_1)
	v_add_co_ci_u32_e32 v22, vcc_lo, v13, v14, vcc_lo
	v_mov_b32_e32 v14, v22
; %bb.96:
	s_or_b32 exec_lo, exec_lo, s1
	v_mov_b32_dpp v13, v15 row_shr:2 row_mask:0xf bank_mask:0xf
	s_delay_alu instid0(VALU_DEP_2)
	v_mov_b32_dpp v16, v14 row_shr:2 row_mask:0xf bank_mask:0xf
	s_mov_b32 s0, exec_lo
	v_cmpx_lt_u32_e32 1, v44
; %bb.97:
	s_delay_alu instid0(VALU_DEP_3) | instskip(SKIP_1) | instid1(VALU_DEP_2)
	v_add_co_u32 v15, vcc_lo, v21, v13
	v_add_co_ci_u32_e32 v14, vcc_lo, 0, v22, vcc_lo
	v_add_co_u32 v13, vcc_lo, 0, v15
	s_delay_alu instid0(VALU_DEP_2) | instskip(NEXT) | instid1(VALU_DEP_1)
	v_add_co_ci_u32_e32 v14, vcc_lo, v16, v14, vcc_lo
	v_dual_mov_b32 v22, v14 :: v_dual_mov_b32 v21, v13
; %bb.98:
	s_or_b32 exec_lo, exec_lo, s0
	v_mov_b32_dpp v13, v15 row_shr:4 row_mask:0xf bank_mask:0xf
	v_mov_b32_dpp v16, v14 row_shr:4 row_mask:0xf bank_mask:0xf
	s_mov_b32 s0, exec_lo
	v_cmpx_lt_u32_e32 3, v44
; %bb.99:
	s_delay_alu instid0(VALU_DEP_3) | instskip(SKIP_1) | instid1(VALU_DEP_2)
	v_add_co_u32 v15, vcc_lo, v21, v13
	v_add_co_ci_u32_e32 v14, vcc_lo, 0, v22, vcc_lo
	v_add_co_u32 v13, vcc_lo, 0, v15
	s_delay_alu instid0(VALU_DEP_2) | instskip(NEXT) | instid1(VALU_DEP_1)
	v_add_co_ci_u32_e32 v14, vcc_lo, v16, v14, vcc_lo
	v_dual_mov_b32 v22, v14 :: v_dual_mov_b32 v21, v13
; %bb.100:
	s_or_b32 exec_lo, exec_lo, s0
	v_mov_b32_dpp v16, v15 row_shr:8 row_mask:0xf bank_mask:0xf
	v_mov_b32_dpp v13, v14 row_shr:8 row_mask:0xf bank_mask:0xf
	s_mov_b32 s0, exec_lo
	v_cmpx_lt_u32_e32 7, v44
; %bb.101:
	s_delay_alu instid0(VALU_DEP_3) | instskip(SKIP_1) | instid1(VALU_DEP_2)
	v_add_co_u32 v15, vcc_lo, v21, v16
	v_add_co_ci_u32_e32 v14, vcc_lo, 0, v22, vcc_lo
	v_add_co_u32 v21, vcc_lo, 0, v15
	s_delay_alu instid0(VALU_DEP_2) | instskip(NEXT) | instid1(VALU_DEP_1)
	v_add_co_ci_u32_e32 v22, vcc_lo, v13, v14, vcc_lo
	v_mov_b32_e32 v14, v22
; %bb.102:
	s_or_b32 exec_lo, exec_lo, s0
	ds_swizzle_b32 v15, v15 offset:swizzle(BROADCAST,32,15)
	ds_swizzle_b32 v13, v14 offset:swizzle(BROADCAST,32,15)
	v_and_b32_e32 v14, 16, v42
	s_mov_b32 s0, exec_lo
	s_delay_alu instid0(VALU_DEP_1)
	v_cmpx_ne_u32_e32 0, v14
	s_cbranch_execz .LBB608_104
; %bb.103:
	s_waitcnt lgkmcnt(1)
	v_add_co_u32 v14, vcc_lo, v21, v15
	v_add_co_ci_u32_e32 v15, vcc_lo, 0, v22, vcc_lo
	s_delay_alu instid0(VALU_DEP_2) | instskip(SKIP_1) | instid1(VALU_DEP_2)
	v_add_co_u32 v21, vcc_lo, v14, 0
	s_waitcnt lgkmcnt(0)
	v_add_co_ci_u32_e32 v22, vcc_lo, v15, v13, vcc_lo
.LBB608_104:
	s_or_b32 exec_lo, exec_lo, s0
	s_waitcnt lgkmcnt(0)
	v_or_b32_e32 v13, 31, v0
	v_lshrrev_b32_e32 v15, 5, v0
	s_mov_b32 s0, exec_lo
	s_delay_alu instid0(VALU_DEP_2)
	v_cmpx_eq_u32_e64 v13, v0
	s_cbranch_execz .LBB608_106
; %bb.105:
	s_delay_alu instid0(VALU_DEP_2)
	v_lshlrev_b32_e32 v13, 3, v15
	ds_store_b64 v13, v[21:22]
.LBB608_106:
	s_or_b32 exec_lo, exec_lo, s0
	s_delay_alu instid0(SALU_CYCLE_1)
	s_mov_b32 s0, exec_lo
	s_waitcnt lgkmcnt(0)
	s_barrier
	buffer_gl0_inv
	v_cmpx_gt_u32_e32 4, v0
	s_cbranch_execz .LBB608_112
; %bb.107:
	v_lshlrev_b32_e32 v13, 1, v0
	s_mov_b32 s1, exec_lo
	s_delay_alu instid0(VALU_DEP_1)
	v_add_nc_u32_e32 v16, v43, v13
	ds_load_b64 v[13:14], v16
	s_waitcnt lgkmcnt(0)
	v_dual_mov_b32 v18, v13 :: v_dual_and_b32 v17, 3, v42
	v_mov_b32_dpp v20, v13 row_shr:1 row_mask:0xf bank_mask:0xf
	v_mov_b32_dpp v19, v14 row_shr:1 row_mask:0xf bank_mask:0xf
	s_delay_alu instid0(VALU_DEP_3)
	v_cmpx_ne_u32_e32 0, v17
; %bb.108:
	s_delay_alu instid0(VALU_DEP_3) | instskip(SKIP_1) | instid1(VALU_DEP_2)
	v_add_co_u32 v18, vcc_lo, v13, v20
	v_add_co_ci_u32_e32 v14, vcc_lo, 0, v14, vcc_lo
	v_add_co_u32 v13, vcc_lo, 0, v18
	s_delay_alu instid0(VALU_DEP_2)
	v_add_co_ci_u32_e32 v14, vcc_lo, v19, v14, vcc_lo
; %bb.109:
	s_or_b32 exec_lo, exec_lo, s1
	v_mov_b32_dpp v19, v18 row_shr:2 row_mask:0xf bank_mask:0xf
	s_delay_alu instid0(VALU_DEP_2)
	v_mov_b32_dpp v18, v14 row_shr:2 row_mask:0xf bank_mask:0xf
	s_mov_b32 s1, exec_lo
	v_cmpx_lt_u32_e32 1, v17
; %bb.110:
	s_delay_alu instid0(VALU_DEP_3) | instskip(SKIP_1) | instid1(VALU_DEP_2)
	v_add_co_u32 v13, vcc_lo, v13, v19
	v_add_co_ci_u32_e32 v14, vcc_lo, 0, v14, vcc_lo
	v_add_co_u32 v13, vcc_lo, v13, 0
	s_delay_alu instid0(VALU_DEP_2)
	v_add_co_ci_u32_e32 v14, vcc_lo, v14, v18, vcc_lo
; %bb.111:
	s_or_b32 exec_lo, exec_lo, s1
	ds_store_b64 v16, v[13:14]
.LBB608_112:
	s_or_b32 exec_lo, exec_lo, s0
	v_mov_b32_e32 v17, 0
	v_mov_b32_e32 v18, 0
	s_mov_b32 s0, exec_lo
	s_waitcnt lgkmcnt(0)
	s_barrier
	buffer_gl0_inv
	v_cmpx_lt_u32_e32 31, v0
	s_cbranch_execz .LBB608_114
; %bb.113:
	v_lshl_add_u32 v13, v15, 3, -8
	ds_load_b64 v[17:18], v13
.LBB608_114:
	s_or_b32 exec_lo, exec_lo, s0
	v_dual_mov_b32 v16, 0 :: v_dual_add_nc_u32 v13, -1, v42
	s_delay_alu instid0(VALU_DEP_1) | instskip(SKIP_4) | instid1(VALU_DEP_3)
	v_cmp_gt_i32_e32 vcc_lo, 0, v13
	v_cndmask_b32_e32 v13, v13, v42, vcc_lo
	s_waitcnt lgkmcnt(0)
	v_add_co_u32 v14, vcc_lo, v17, v21
	v_add_co_ci_u32_e32 v15, vcc_lo, v18, v22, vcc_lo
	v_lshlrev_b32_e32 v13, 2, v13
	ds_bpermute_b32 v19, v13, v14
	ds_bpermute_b32 v20, v13, v15
	ds_load_b64 v[13:14], v16 offset:24
	s_and_saveexec_b32 s0, s2
	s_cbranch_execz .LBB608_116
; %bb.115:
	s_add_u32 s4, s18, 0x200
	s_addc_u32 s5, s19, 0
	s_delay_alu instid0(SALU_CYCLE_1)
	v_dual_mov_b32 v15, 2 :: v_dual_mov_b32 v22, s5
	v_mov_b32_e32 v21, s4
	s_waitcnt lgkmcnt(0)
	;;#ASMSTART
	global_store_dwordx4 v[21:22], v[13:16] off	
s_waitcnt vmcnt(0)
	;;#ASMEND
.LBB608_116:
	s_or_b32 exec_lo, exec_lo, s0
	v_cmp_eq_u32_e32 vcc_lo, 0, v42
	s_waitcnt lgkmcnt(0)
	s_barrier
	buffer_gl0_inv
	v_dual_cndmask_b32 v15, v19, v17 :: v_dual_cndmask_b32 v16, v20, v18
	s_delay_alu instid0(VALU_DEP_1) | instskip(NEXT) | instid1(VALU_DEP_2)
	v_cndmask_b32_e64 v29, v15, 0, s2
	v_cndmask_b32_e64 v30, v16, 0, s2
	v_mov_b32_e32 v15, 0
	v_mov_b32_e32 v16, 0
	s_delay_alu instid0(VALU_DEP_4) | instskip(NEXT) | instid1(VALU_DEP_4)
	v_add_co_u32 v27, vcc_lo, v29, v41
	v_add_co_ci_u32_e32 v28, vcc_lo, 0, v30, vcc_lo
	s_delay_alu instid0(VALU_DEP_2) | instskip(NEXT) | instid1(VALU_DEP_2)
	v_add_co_u32 v25, vcc_lo, v27, v40
	v_add_co_ci_u32_e32 v26, vcc_lo, 0, v28, vcc_lo
	s_delay_alu instid0(VALU_DEP_2) | instskip(NEXT) | instid1(VALU_DEP_2)
	v_add_co_u32 v23, vcc_lo, v25, v39
	v_add_co_ci_u32_e32 v24, vcc_lo, 0, v26, vcc_lo
	s_delay_alu instid0(VALU_DEP_2) | instskip(NEXT) | instid1(VALU_DEP_2)
	v_add_co_u32 v19, vcc_lo, v23, v38
	v_add_co_ci_u32_e32 v20, vcc_lo, 0, v24, vcc_lo
	s_delay_alu instid0(VALU_DEP_2) | instskip(NEXT) | instid1(VALU_DEP_2)
	v_add_co_u32 v17, vcc_lo, v19, v37
	v_add_co_ci_u32_e32 v18, vcc_lo, 0, v20, vcc_lo
	v_cmp_gt_u64_e32 vcc_lo, 0x81, v[13:14]
	s_mov_b32 s0, -1
	s_cbranch_vccz .LBB608_90
.LBB608_117:
	v_add_co_u32 v21, vcc_lo, v15, v13
	v_add_co_ci_u32_e32 v22, vcc_lo, v16, v14, vcc_lo
	s_delay_alu instid0(VALU_DEP_1) | instskip(SKIP_1) | instid1(SALU_CYCLE_1)
	v_cmp_lt_u64_e32 vcc_lo, v[29:30], v[21:22]
	s_or_b32 s1, s22, vcc_lo
	s_and_saveexec_b32 s0, s1
	s_cbranch_execz .LBB608_120
; %bb.118:
	v_and_b32_e32 v37, 1, v36
	s_delay_alu instid0(VALU_DEP_1)
	v_cmp_eq_u32_e32 vcc_lo, 1, v37
	s_and_b32 exec_lo, exec_lo, vcc_lo
	s_cbranch_execz .LBB608_120
; %bb.119:
	v_lshlrev_b64 v[37:38], 3, v[29:30]
	s_lshl_b64 s[4:5], s[10:11], 3
	s_delay_alu instid0(SALU_CYCLE_1) | instskip(SKIP_1) | instid1(VALU_DEP_1)
	s_add_u32 s1, s16, s4
	s_addc_u32 s3, s17, s5
	v_add_co_u32 v37, vcc_lo, s1, v37
	s_delay_alu instid0(VALU_DEP_2)
	v_add_co_ci_u32_e32 v38, vcc_lo, s3, v38, vcc_lo
	global_store_b64 v[37:38], v[9:10], off
.LBB608_120:
	s_or_b32 exec_lo, exec_lo, s0
	v_cmp_lt_u64_e32 vcc_lo, v[27:28], v[21:22]
	s_or_b32 s1, s22, vcc_lo
	s_delay_alu instid0(SALU_CYCLE_1)
	s_and_saveexec_b32 s0, s1
	s_cbranch_execz .LBB608_123
; %bb.121:
	v_and_b32_e32 v30, 1, v34
	s_delay_alu instid0(VALU_DEP_1)
	v_cmp_eq_u32_e32 vcc_lo, 1, v30
	s_and_b32 exec_lo, exec_lo, vcc_lo
	s_cbranch_execz .LBB608_123
; %bb.122:
	v_lshlrev_b64 v[37:38], 3, v[27:28]
	s_lshl_b64 s[4:5], s[10:11], 3
	s_delay_alu instid0(SALU_CYCLE_1) | instskip(SKIP_1) | instid1(VALU_DEP_1)
	s_add_u32 s1, s16, s4
	s_addc_u32 s3, s17, s5
	v_add_co_u32 v37, vcc_lo, s1, v37
	s_delay_alu instid0(VALU_DEP_2)
	v_add_co_ci_u32_e32 v38, vcc_lo, s3, v38, vcc_lo
	global_store_b64 v[37:38], v[11:12], off
.LBB608_123:
	s_or_b32 exec_lo, exec_lo, s0
	v_cmp_lt_u64_e32 vcc_lo, v[25:26], v[21:22]
	s_or_b32 s1, s22, vcc_lo
	s_delay_alu instid0(SALU_CYCLE_1)
	;; [unrolled: 23-line block ×5, first 2 shown]
	s_and_saveexec_b32 s0, s1
	s_cbranch_execz .LBB608_135
; %bb.133:
	v_and_b32_e32 v20, 1, v32
	s_delay_alu instid0(VALU_DEP_1)
	v_cmp_eq_u32_e32 vcc_lo, 1, v20
	s_and_b32 exec_lo, exec_lo, vcc_lo
	s_cbranch_execz .LBB608_135
; %bb.134:
	v_lshlrev_b64 v[20:21], 3, v[17:18]
	s_lshl_b64 s[4:5], s[10:11], 3
	s_delay_alu instid0(SALU_CYCLE_1) | instskip(SKIP_1) | instid1(VALU_DEP_1)
	s_add_u32 s1, s16, s4
	s_addc_u32 s3, s17, s5
	v_add_co_u32 v20, vcc_lo, s1, v20
	s_delay_alu instid0(VALU_DEP_2)
	v_add_co_ci_u32_e32 v21, vcc_lo, s3, v21, vcc_lo
	global_store_b64 v[20:21], v[3:4], off
.LBB608_135:
	s_or_b32 exec_lo, exec_lo, s0
	s_branch .LBB608_91
.LBB608_136:
	v_and_b32_e32 v18, 1, v36
	s_mov_b32 s0, exec_lo
	s_delay_alu instid0(VALU_DEP_1)
	v_cmpx_eq_u32_e32 1, v18
	s_cbranch_execz .LBB608_138
; %bb.137:
	v_sub_nc_u32_e32 v18, v29, v15
	s_delay_alu instid0(VALU_DEP_1)
	v_lshlrev_b32_e32 v18, 3, v18
	ds_store_b64 v18, v[9:10]
.LBB608_138:
	s_or_b32 exec_lo, exec_lo, s0
	v_and_b32_e32 v9, 1, v34
	s_mov_b32 s0, exec_lo
	s_delay_alu instid0(VALU_DEP_1)
	v_cmpx_eq_u32_e32 1, v9
	s_cbranch_execz .LBB608_140
; %bb.139:
	v_sub_nc_u32_e32 v9, v27, v15
	s_delay_alu instid0(VALU_DEP_1)
	v_lshlrev_b32_e32 v9, 3, v9
	ds_store_b64 v9, v[11:12]
.LBB608_140:
	s_or_b32 exec_lo, exec_lo, s0
	;; [unrolled: 12-line block ×6, first 2 shown]
	v_mov_b32_e32 v1, 0
	s_mov_b32 s1, exec_lo
	s_waitcnt lgkmcnt(0)
	s_waitcnt_vscnt null, 0x0
	s_barrier
	buffer_gl0_inv
	v_cmpx_gt_u64_e64 v[13:14], v[0:1]
	s_cbranch_execz .LBB608_151
; %bb.149:
	v_lshlrev_b64 v[4:5], 3, v[15:16]
	s_lshl_b64 s[4:5], s[10:11], 3
	v_dual_mov_b32 v3, v1 :: v_dual_mov_b32 v2, v0
	v_or_b32_e32 v0, 0x80, v0
	s_mov_b32 s3, 0
	s_delay_alu instid0(VALU_DEP_3) | instskip(SKIP_1) | instid1(VALU_DEP_2)
	v_add_co_u32 v4, vcc_lo, s16, v4
	v_add_co_ci_u32_e32 v5, vcc_lo, s17, v5, vcc_lo
	v_add_co_u32 v4, vcc_lo, v4, s4
	s_delay_alu instid0(VALU_DEP_2)
	v_add_co_ci_u32_e32 v5, vcc_lo, s5, v5, vcc_lo
	.p2align	6
.LBB608_150:                            ; =>This Inner Loop Header: Depth=1
	v_lshlrev_b32_e32 v6, 3, v2
	v_lshlrev_b64 v[8:9], 3, v[2:3]
	v_mov_b32_e32 v3, v1
	v_cmp_le_u64_e32 vcc_lo, v[13:14], v[0:1]
	v_mov_b32_e32 v2, v0
	ds_load_b64 v[6:7], v6
	v_add_nc_u32_e32 v0, 0x80, v0
	v_add_co_u32 v8, s0, v4, v8
	s_delay_alu instid0(VALU_DEP_1)
	v_add_co_ci_u32_e64 v9, s0, v5, v9, s0
	s_or_b32 s3, vcc_lo, s3
	s_waitcnt lgkmcnt(0)
	global_store_b64 v[8:9], v[6:7], off
	s_and_not1_b32 exec_lo, exec_lo, s3
	s_cbranch_execnz .LBB608_150
.LBB608_151:
	s_or_b32 exec_lo, exec_lo, s1
	s_and_b32 s0, s2, s21
	s_delay_alu instid0(SALU_CYCLE_1)
	s_and_saveexec_b32 s1, s0
	s_cbranch_execz .LBB608_92
.LBB608_152:
	v_add_co_u32 v0, vcc_lo, v15, v13
	v_add_co_ci_u32_e32 v1, vcc_lo, v16, v14, vcc_lo
	v_mov_b32_e32 v2, 0
	s_delay_alu instid0(VALU_DEP_3) | instskip(NEXT) | instid1(VALU_DEP_3)
	v_add_co_u32 v0, vcc_lo, v0, s10
	v_add_co_ci_u32_e32 v1, vcc_lo, s11, v1, vcc_lo
	global_store_b64 v2, v[0:1], s[8:9]
	s_nop 0
	s_sendmsg sendmsg(MSG_DEALLOC_VGPRS)
	s_endpgm
	.section	.rodata,"a",@progbits
	.p2align	6, 0x0
	.amdhsa_kernel _ZN7rocprim17ROCPRIM_400000_NS6detail17trampoline_kernelINS0_14default_configENS1_25partition_config_selectorILNS1_17partition_subalgoE5ElNS0_10empty_typeEbEEZZNS1_14partition_implILS5_5ELb0ES3_mN6hipcub16HIPCUB_304000_NS21CountingInputIteratorIllEEPS6_NSA_22TransformInputIteratorIbN2at6native12_GLOBAL__N_19NonZeroOpIN3c107complexIfEEEEPKSL_lEENS0_5tupleIJPlS6_EEENSQ_IJSD_SD_EEES6_PiJS6_EEE10hipError_tPvRmT3_T4_T5_T6_T7_T9_mT8_P12ihipStream_tbDpT10_ENKUlT_T0_E_clISt17integral_constantIbLb1EES1E_EEDaS19_S1A_EUlS19_E_NS1_11comp_targetILNS1_3genE9ELNS1_11target_archE1100ELNS1_3gpuE3ELNS1_3repE0EEENS1_30default_config_static_selectorELNS0_4arch9wavefront6targetE0EEEvT1_
		.amdhsa_group_segment_fixed_size 6160
		.amdhsa_private_segment_fixed_size 0
		.amdhsa_kernarg_size 136
		.amdhsa_user_sgpr_count 15
		.amdhsa_user_sgpr_dispatch_ptr 0
		.amdhsa_user_sgpr_queue_ptr 0
		.amdhsa_user_sgpr_kernarg_segment_ptr 1
		.amdhsa_user_sgpr_dispatch_id 0
		.amdhsa_user_sgpr_private_segment_size 0
		.amdhsa_wavefront_size32 1
		.amdhsa_uses_dynamic_stack 0
		.amdhsa_enable_private_segment 0
		.amdhsa_system_sgpr_workgroup_id_x 1
		.amdhsa_system_sgpr_workgroup_id_y 0
		.amdhsa_system_sgpr_workgroup_id_z 0
		.amdhsa_system_sgpr_workgroup_info 0
		.amdhsa_system_vgpr_workitem_id 0
		.amdhsa_next_free_vgpr 57
		.amdhsa_next_free_sgpr 25
		.amdhsa_reserve_vcc 1
		.amdhsa_float_round_mode_32 0
		.amdhsa_float_round_mode_16_64 0
		.amdhsa_float_denorm_mode_32 3
		.amdhsa_float_denorm_mode_16_64 3
		.amdhsa_dx10_clamp 1
		.amdhsa_ieee_mode 1
		.amdhsa_fp16_overflow 0
		.amdhsa_workgroup_processor_mode 1
		.amdhsa_memory_ordered 1
		.amdhsa_forward_progress 0
		.amdhsa_shared_vgpr_count 0
		.amdhsa_exception_fp_ieee_invalid_op 0
		.amdhsa_exception_fp_denorm_src 0
		.amdhsa_exception_fp_ieee_div_zero 0
		.amdhsa_exception_fp_ieee_overflow 0
		.amdhsa_exception_fp_ieee_underflow 0
		.amdhsa_exception_fp_ieee_inexact 0
		.amdhsa_exception_int_div_zero 0
	.end_amdhsa_kernel
	.section	.text._ZN7rocprim17ROCPRIM_400000_NS6detail17trampoline_kernelINS0_14default_configENS1_25partition_config_selectorILNS1_17partition_subalgoE5ElNS0_10empty_typeEbEEZZNS1_14partition_implILS5_5ELb0ES3_mN6hipcub16HIPCUB_304000_NS21CountingInputIteratorIllEEPS6_NSA_22TransformInputIteratorIbN2at6native12_GLOBAL__N_19NonZeroOpIN3c107complexIfEEEEPKSL_lEENS0_5tupleIJPlS6_EEENSQ_IJSD_SD_EEES6_PiJS6_EEE10hipError_tPvRmT3_T4_T5_T6_T7_T9_mT8_P12ihipStream_tbDpT10_ENKUlT_T0_E_clISt17integral_constantIbLb1EES1E_EEDaS19_S1A_EUlS19_E_NS1_11comp_targetILNS1_3genE9ELNS1_11target_archE1100ELNS1_3gpuE3ELNS1_3repE0EEENS1_30default_config_static_selectorELNS0_4arch9wavefront6targetE0EEEvT1_,"axG",@progbits,_ZN7rocprim17ROCPRIM_400000_NS6detail17trampoline_kernelINS0_14default_configENS1_25partition_config_selectorILNS1_17partition_subalgoE5ElNS0_10empty_typeEbEEZZNS1_14partition_implILS5_5ELb0ES3_mN6hipcub16HIPCUB_304000_NS21CountingInputIteratorIllEEPS6_NSA_22TransformInputIteratorIbN2at6native12_GLOBAL__N_19NonZeroOpIN3c107complexIfEEEEPKSL_lEENS0_5tupleIJPlS6_EEENSQ_IJSD_SD_EEES6_PiJS6_EEE10hipError_tPvRmT3_T4_T5_T6_T7_T9_mT8_P12ihipStream_tbDpT10_ENKUlT_T0_E_clISt17integral_constantIbLb1EES1E_EEDaS19_S1A_EUlS19_E_NS1_11comp_targetILNS1_3genE9ELNS1_11target_archE1100ELNS1_3gpuE3ELNS1_3repE0EEENS1_30default_config_static_selectorELNS0_4arch9wavefront6targetE0EEEvT1_,comdat
.Lfunc_end608:
	.size	_ZN7rocprim17ROCPRIM_400000_NS6detail17trampoline_kernelINS0_14default_configENS1_25partition_config_selectorILNS1_17partition_subalgoE5ElNS0_10empty_typeEbEEZZNS1_14partition_implILS5_5ELb0ES3_mN6hipcub16HIPCUB_304000_NS21CountingInputIteratorIllEEPS6_NSA_22TransformInputIteratorIbN2at6native12_GLOBAL__N_19NonZeroOpIN3c107complexIfEEEEPKSL_lEENS0_5tupleIJPlS6_EEENSQ_IJSD_SD_EEES6_PiJS6_EEE10hipError_tPvRmT3_T4_T5_T6_T7_T9_mT8_P12ihipStream_tbDpT10_ENKUlT_T0_E_clISt17integral_constantIbLb1EES1E_EEDaS19_S1A_EUlS19_E_NS1_11comp_targetILNS1_3genE9ELNS1_11target_archE1100ELNS1_3gpuE3ELNS1_3repE0EEENS1_30default_config_static_selectorELNS0_4arch9wavefront6targetE0EEEvT1_, .Lfunc_end608-_ZN7rocprim17ROCPRIM_400000_NS6detail17trampoline_kernelINS0_14default_configENS1_25partition_config_selectorILNS1_17partition_subalgoE5ElNS0_10empty_typeEbEEZZNS1_14partition_implILS5_5ELb0ES3_mN6hipcub16HIPCUB_304000_NS21CountingInputIteratorIllEEPS6_NSA_22TransformInputIteratorIbN2at6native12_GLOBAL__N_19NonZeroOpIN3c107complexIfEEEEPKSL_lEENS0_5tupleIJPlS6_EEENSQ_IJSD_SD_EEES6_PiJS6_EEE10hipError_tPvRmT3_T4_T5_T6_T7_T9_mT8_P12ihipStream_tbDpT10_ENKUlT_T0_E_clISt17integral_constantIbLb1EES1E_EEDaS19_S1A_EUlS19_E_NS1_11comp_targetILNS1_3genE9ELNS1_11target_archE1100ELNS1_3gpuE3ELNS1_3repE0EEENS1_30default_config_static_selectorELNS0_4arch9wavefront6targetE0EEEvT1_
                                        ; -- End function
	.section	.AMDGPU.csdata,"",@progbits
; Kernel info:
; codeLenInByte = 6840
; NumSgprs: 27
; NumVgprs: 57
; ScratchSize: 0
; MemoryBound: 0
; FloatMode: 240
; IeeeMode: 1
; LDSByteSize: 6160 bytes/workgroup (compile time only)
; SGPRBlocks: 3
; VGPRBlocks: 7
; NumSGPRsForWavesPerEU: 27
; NumVGPRsForWavesPerEU: 57
; Occupancy: 16
; WaveLimiterHint : 1
; COMPUTE_PGM_RSRC2:SCRATCH_EN: 0
; COMPUTE_PGM_RSRC2:USER_SGPR: 15
; COMPUTE_PGM_RSRC2:TRAP_HANDLER: 0
; COMPUTE_PGM_RSRC2:TGID_X_EN: 1
; COMPUTE_PGM_RSRC2:TGID_Y_EN: 0
; COMPUTE_PGM_RSRC2:TGID_Z_EN: 0
; COMPUTE_PGM_RSRC2:TIDIG_COMP_CNT: 0
	.section	.text._ZN7rocprim17ROCPRIM_400000_NS6detail17trampoline_kernelINS0_14default_configENS1_25partition_config_selectorILNS1_17partition_subalgoE5ElNS0_10empty_typeEbEEZZNS1_14partition_implILS5_5ELb0ES3_mN6hipcub16HIPCUB_304000_NS21CountingInputIteratorIllEEPS6_NSA_22TransformInputIteratorIbN2at6native12_GLOBAL__N_19NonZeroOpIN3c107complexIfEEEEPKSL_lEENS0_5tupleIJPlS6_EEENSQ_IJSD_SD_EEES6_PiJS6_EEE10hipError_tPvRmT3_T4_T5_T6_T7_T9_mT8_P12ihipStream_tbDpT10_ENKUlT_T0_E_clISt17integral_constantIbLb1EES1E_EEDaS19_S1A_EUlS19_E_NS1_11comp_targetILNS1_3genE8ELNS1_11target_archE1030ELNS1_3gpuE2ELNS1_3repE0EEENS1_30default_config_static_selectorELNS0_4arch9wavefront6targetE0EEEvT1_,"axG",@progbits,_ZN7rocprim17ROCPRIM_400000_NS6detail17trampoline_kernelINS0_14default_configENS1_25partition_config_selectorILNS1_17partition_subalgoE5ElNS0_10empty_typeEbEEZZNS1_14partition_implILS5_5ELb0ES3_mN6hipcub16HIPCUB_304000_NS21CountingInputIteratorIllEEPS6_NSA_22TransformInputIteratorIbN2at6native12_GLOBAL__N_19NonZeroOpIN3c107complexIfEEEEPKSL_lEENS0_5tupleIJPlS6_EEENSQ_IJSD_SD_EEES6_PiJS6_EEE10hipError_tPvRmT3_T4_T5_T6_T7_T9_mT8_P12ihipStream_tbDpT10_ENKUlT_T0_E_clISt17integral_constantIbLb1EES1E_EEDaS19_S1A_EUlS19_E_NS1_11comp_targetILNS1_3genE8ELNS1_11target_archE1030ELNS1_3gpuE2ELNS1_3repE0EEENS1_30default_config_static_selectorELNS0_4arch9wavefront6targetE0EEEvT1_,comdat
	.globl	_ZN7rocprim17ROCPRIM_400000_NS6detail17trampoline_kernelINS0_14default_configENS1_25partition_config_selectorILNS1_17partition_subalgoE5ElNS0_10empty_typeEbEEZZNS1_14partition_implILS5_5ELb0ES3_mN6hipcub16HIPCUB_304000_NS21CountingInputIteratorIllEEPS6_NSA_22TransformInputIteratorIbN2at6native12_GLOBAL__N_19NonZeroOpIN3c107complexIfEEEEPKSL_lEENS0_5tupleIJPlS6_EEENSQ_IJSD_SD_EEES6_PiJS6_EEE10hipError_tPvRmT3_T4_T5_T6_T7_T9_mT8_P12ihipStream_tbDpT10_ENKUlT_T0_E_clISt17integral_constantIbLb1EES1E_EEDaS19_S1A_EUlS19_E_NS1_11comp_targetILNS1_3genE8ELNS1_11target_archE1030ELNS1_3gpuE2ELNS1_3repE0EEENS1_30default_config_static_selectorELNS0_4arch9wavefront6targetE0EEEvT1_ ; -- Begin function _ZN7rocprim17ROCPRIM_400000_NS6detail17trampoline_kernelINS0_14default_configENS1_25partition_config_selectorILNS1_17partition_subalgoE5ElNS0_10empty_typeEbEEZZNS1_14partition_implILS5_5ELb0ES3_mN6hipcub16HIPCUB_304000_NS21CountingInputIteratorIllEEPS6_NSA_22TransformInputIteratorIbN2at6native12_GLOBAL__N_19NonZeroOpIN3c107complexIfEEEEPKSL_lEENS0_5tupleIJPlS6_EEENSQ_IJSD_SD_EEES6_PiJS6_EEE10hipError_tPvRmT3_T4_T5_T6_T7_T9_mT8_P12ihipStream_tbDpT10_ENKUlT_T0_E_clISt17integral_constantIbLb1EES1E_EEDaS19_S1A_EUlS19_E_NS1_11comp_targetILNS1_3genE8ELNS1_11target_archE1030ELNS1_3gpuE2ELNS1_3repE0EEENS1_30default_config_static_selectorELNS0_4arch9wavefront6targetE0EEEvT1_
	.p2align	8
	.type	_ZN7rocprim17ROCPRIM_400000_NS6detail17trampoline_kernelINS0_14default_configENS1_25partition_config_selectorILNS1_17partition_subalgoE5ElNS0_10empty_typeEbEEZZNS1_14partition_implILS5_5ELb0ES3_mN6hipcub16HIPCUB_304000_NS21CountingInputIteratorIllEEPS6_NSA_22TransformInputIteratorIbN2at6native12_GLOBAL__N_19NonZeroOpIN3c107complexIfEEEEPKSL_lEENS0_5tupleIJPlS6_EEENSQ_IJSD_SD_EEES6_PiJS6_EEE10hipError_tPvRmT3_T4_T5_T6_T7_T9_mT8_P12ihipStream_tbDpT10_ENKUlT_T0_E_clISt17integral_constantIbLb1EES1E_EEDaS19_S1A_EUlS19_E_NS1_11comp_targetILNS1_3genE8ELNS1_11target_archE1030ELNS1_3gpuE2ELNS1_3repE0EEENS1_30default_config_static_selectorELNS0_4arch9wavefront6targetE0EEEvT1_,@function
_ZN7rocprim17ROCPRIM_400000_NS6detail17trampoline_kernelINS0_14default_configENS1_25partition_config_selectorILNS1_17partition_subalgoE5ElNS0_10empty_typeEbEEZZNS1_14partition_implILS5_5ELb0ES3_mN6hipcub16HIPCUB_304000_NS21CountingInputIteratorIllEEPS6_NSA_22TransformInputIteratorIbN2at6native12_GLOBAL__N_19NonZeroOpIN3c107complexIfEEEEPKSL_lEENS0_5tupleIJPlS6_EEENSQ_IJSD_SD_EEES6_PiJS6_EEE10hipError_tPvRmT3_T4_T5_T6_T7_T9_mT8_P12ihipStream_tbDpT10_ENKUlT_T0_E_clISt17integral_constantIbLb1EES1E_EEDaS19_S1A_EUlS19_E_NS1_11comp_targetILNS1_3genE8ELNS1_11target_archE1030ELNS1_3gpuE2ELNS1_3repE0EEENS1_30default_config_static_selectorELNS0_4arch9wavefront6targetE0EEEvT1_: ; @_ZN7rocprim17ROCPRIM_400000_NS6detail17trampoline_kernelINS0_14default_configENS1_25partition_config_selectorILNS1_17partition_subalgoE5ElNS0_10empty_typeEbEEZZNS1_14partition_implILS5_5ELb0ES3_mN6hipcub16HIPCUB_304000_NS21CountingInputIteratorIllEEPS6_NSA_22TransformInputIteratorIbN2at6native12_GLOBAL__N_19NonZeroOpIN3c107complexIfEEEEPKSL_lEENS0_5tupleIJPlS6_EEENSQ_IJSD_SD_EEES6_PiJS6_EEE10hipError_tPvRmT3_T4_T5_T6_T7_T9_mT8_P12ihipStream_tbDpT10_ENKUlT_T0_E_clISt17integral_constantIbLb1EES1E_EEDaS19_S1A_EUlS19_E_NS1_11comp_targetILNS1_3genE8ELNS1_11target_archE1030ELNS1_3gpuE2ELNS1_3repE0EEENS1_30default_config_static_selectorELNS0_4arch9wavefront6targetE0EEEvT1_
; %bb.0:
	.section	.rodata,"a",@progbits
	.p2align	6, 0x0
	.amdhsa_kernel _ZN7rocprim17ROCPRIM_400000_NS6detail17trampoline_kernelINS0_14default_configENS1_25partition_config_selectorILNS1_17partition_subalgoE5ElNS0_10empty_typeEbEEZZNS1_14partition_implILS5_5ELb0ES3_mN6hipcub16HIPCUB_304000_NS21CountingInputIteratorIllEEPS6_NSA_22TransformInputIteratorIbN2at6native12_GLOBAL__N_19NonZeroOpIN3c107complexIfEEEEPKSL_lEENS0_5tupleIJPlS6_EEENSQ_IJSD_SD_EEES6_PiJS6_EEE10hipError_tPvRmT3_T4_T5_T6_T7_T9_mT8_P12ihipStream_tbDpT10_ENKUlT_T0_E_clISt17integral_constantIbLb1EES1E_EEDaS19_S1A_EUlS19_E_NS1_11comp_targetILNS1_3genE8ELNS1_11target_archE1030ELNS1_3gpuE2ELNS1_3repE0EEENS1_30default_config_static_selectorELNS0_4arch9wavefront6targetE0EEEvT1_
		.amdhsa_group_segment_fixed_size 0
		.amdhsa_private_segment_fixed_size 0
		.amdhsa_kernarg_size 136
		.amdhsa_user_sgpr_count 15
		.amdhsa_user_sgpr_dispatch_ptr 0
		.amdhsa_user_sgpr_queue_ptr 0
		.amdhsa_user_sgpr_kernarg_segment_ptr 1
		.amdhsa_user_sgpr_dispatch_id 0
		.amdhsa_user_sgpr_private_segment_size 0
		.amdhsa_wavefront_size32 1
		.amdhsa_uses_dynamic_stack 0
		.amdhsa_enable_private_segment 0
		.amdhsa_system_sgpr_workgroup_id_x 1
		.amdhsa_system_sgpr_workgroup_id_y 0
		.amdhsa_system_sgpr_workgroup_id_z 0
		.amdhsa_system_sgpr_workgroup_info 0
		.amdhsa_system_vgpr_workitem_id 0
		.amdhsa_next_free_vgpr 1
		.amdhsa_next_free_sgpr 1
		.amdhsa_reserve_vcc 0
		.amdhsa_float_round_mode_32 0
		.amdhsa_float_round_mode_16_64 0
		.amdhsa_float_denorm_mode_32 3
		.amdhsa_float_denorm_mode_16_64 3
		.amdhsa_dx10_clamp 1
		.amdhsa_ieee_mode 1
		.amdhsa_fp16_overflow 0
		.amdhsa_workgroup_processor_mode 1
		.amdhsa_memory_ordered 1
		.amdhsa_forward_progress 0
		.amdhsa_shared_vgpr_count 0
		.amdhsa_exception_fp_ieee_invalid_op 0
		.amdhsa_exception_fp_denorm_src 0
		.amdhsa_exception_fp_ieee_div_zero 0
		.amdhsa_exception_fp_ieee_overflow 0
		.amdhsa_exception_fp_ieee_underflow 0
		.amdhsa_exception_fp_ieee_inexact 0
		.amdhsa_exception_int_div_zero 0
	.end_amdhsa_kernel
	.section	.text._ZN7rocprim17ROCPRIM_400000_NS6detail17trampoline_kernelINS0_14default_configENS1_25partition_config_selectorILNS1_17partition_subalgoE5ElNS0_10empty_typeEbEEZZNS1_14partition_implILS5_5ELb0ES3_mN6hipcub16HIPCUB_304000_NS21CountingInputIteratorIllEEPS6_NSA_22TransformInputIteratorIbN2at6native12_GLOBAL__N_19NonZeroOpIN3c107complexIfEEEEPKSL_lEENS0_5tupleIJPlS6_EEENSQ_IJSD_SD_EEES6_PiJS6_EEE10hipError_tPvRmT3_T4_T5_T6_T7_T9_mT8_P12ihipStream_tbDpT10_ENKUlT_T0_E_clISt17integral_constantIbLb1EES1E_EEDaS19_S1A_EUlS19_E_NS1_11comp_targetILNS1_3genE8ELNS1_11target_archE1030ELNS1_3gpuE2ELNS1_3repE0EEENS1_30default_config_static_selectorELNS0_4arch9wavefront6targetE0EEEvT1_,"axG",@progbits,_ZN7rocprim17ROCPRIM_400000_NS6detail17trampoline_kernelINS0_14default_configENS1_25partition_config_selectorILNS1_17partition_subalgoE5ElNS0_10empty_typeEbEEZZNS1_14partition_implILS5_5ELb0ES3_mN6hipcub16HIPCUB_304000_NS21CountingInputIteratorIllEEPS6_NSA_22TransformInputIteratorIbN2at6native12_GLOBAL__N_19NonZeroOpIN3c107complexIfEEEEPKSL_lEENS0_5tupleIJPlS6_EEENSQ_IJSD_SD_EEES6_PiJS6_EEE10hipError_tPvRmT3_T4_T5_T6_T7_T9_mT8_P12ihipStream_tbDpT10_ENKUlT_T0_E_clISt17integral_constantIbLb1EES1E_EEDaS19_S1A_EUlS19_E_NS1_11comp_targetILNS1_3genE8ELNS1_11target_archE1030ELNS1_3gpuE2ELNS1_3repE0EEENS1_30default_config_static_selectorELNS0_4arch9wavefront6targetE0EEEvT1_,comdat
.Lfunc_end609:
	.size	_ZN7rocprim17ROCPRIM_400000_NS6detail17trampoline_kernelINS0_14default_configENS1_25partition_config_selectorILNS1_17partition_subalgoE5ElNS0_10empty_typeEbEEZZNS1_14partition_implILS5_5ELb0ES3_mN6hipcub16HIPCUB_304000_NS21CountingInputIteratorIllEEPS6_NSA_22TransformInputIteratorIbN2at6native12_GLOBAL__N_19NonZeroOpIN3c107complexIfEEEEPKSL_lEENS0_5tupleIJPlS6_EEENSQ_IJSD_SD_EEES6_PiJS6_EEE10hipError_tPvRmT3_T4_T5_T6_T7_T9_mT8_P12ihipStream_tbDpT10_ENKUlT_T0_E_clISt17integral_constantIbLb1EES1E_EEDaS19_S1A_EUlS19_E_NS1_11comp_targetILNS1_3genE8ELNS1_11target_archE1030ELNS1_3gpuE2ELNS1_3repE0EEENS1_30default_config_static_selectorELNS0_4arch9wavefront6targetE0EEEvT1_, .Lfunc_end609-_ZN7rocprim17ROCPRIM_400000_NS6detail17trampoline_kernelINS0_14default_configENS1_25partition_config_selectorILNS1_17partition_subalgoE5ElNS0_10empty_typeEbEEZZNS1_14partition_implILS5_5ELb0ES3_mN6hipcub16HIPCUB_304000_NS21CountingInputIteratorIllEEPS6_NSA_22TransformInputIteratorIbN2at6native12_GLOBAL__N_19NonZeroOpIN3c107complexIfEEEEPKSL_lEENS0_5tupleIJPlS6_EEENSQ_IJSD_SD_EEES6_PiJS6_EEE10hipError_tPvRmT3_T4_T5_T6_T7_T9_mT8_P12ihipStream_tbDpT10_ENKUlT_T0_E_clISt17integral_constantIbLb1EES1E_EEDaS19_S1A_EUlS19_E_NS1_11comp_targetILNS1_3genE8ELNS1_11target_archE1030ELNS1_3gpuE2ELNS1_3repE0EEENS1_30default_config_static_selectorELNS0_4arch9wavefront6targetE0EEEvT1_
                                        ; -- End function
	.section	.AMDGPU.csdata,"",@progbits
; Kernel info:
; codeLenInByte = 0
; NumSgprs: 0
; NumVgprs: 0
; ScratchSize: 0
; MemoryBound: 0
; FloatMode: 240
; IeeeMode: 1
; LDSByteSize: 0 bytes/workgroup (compile time only)
; SGPRBlocks: 0
; VGPRBlocks: 0
; NumSGPRsForWavesPerEU: 1
; NumVGPRsForWavesPerEU: 1
; Occupancy: 16
; WaveLimiterHint : 0
; COMPUTE_PGM_RSRC2:SCRATCH_EN: 0
; COMPUTE_PGM_RSRC2:USER_SGPR: 15
; COMPUTE_PGM_RSRC2:TRAP_HANDLER: 0
; COMPUTE_PGM_RSRC2:TGID_X_EN: 1
; COMPUTE_PGM_RSRC2:TGID_Y_EN: 0
; COMPUTE_PGM_RSRC2:TGID_Z_EN: 0
; COMPUTE_PGM_RSRC2:TIDIG_COMP_CNT: 0
	.section	.text._ZN7rocprim17ROCPRIM_400000_NS6detail17trampoline_kernelINS0_14default_configENS1_25partition_config_selectorILNS1_17partition_subalgoE5ElNS0_10empty_typeEbEEZZNS1_14partition_implILS5_5ELb0ES3_mN6hipcub16HIPCUB_304000_NS21CountingInputIteratorIllEEPS6_NSA_22TransformInputIteratorIbN2at6native12_GLOBAL__N_19NonZeroOpIN3c107complexIfEEEEPKSL_lEENS0_5tupleIJPlS6_EEENSQ_IJSD_SD_EEES6_PiJS6_EEE10hipError_tPvRmT3_T4_T5_T6_T7_T9_mT8_P12ihipStream_tbDpT10_ENKUlT_T0_E_clISt17integral_constantIbLb1EES1D_IbLb0EEEEDaS19_S1A_EUlS19_E_NS1_11comp_targetILNS1_3genE0ELNS1_11target_archE4294967295ELNS1_3gpuE0ELNS1_3repE0EEENS1_30default_config_static_selectorELNS0_4arch9wavefront6targetE0EEEvT1_,"axG",@progbits,_ZN7rocprim17ROCPRIM_400000_NS6detail17trampoline_kernelINS0_14default_configENS1_25partition_config_selectorILNS1_17partition_subalgoE5ElNS0_10empty_typeEbEEZZNS1_14partition_implILS5_5ELb0ES3_mN6hipcub16HIPCUB_304000_NS21CountingInputIteratorIllEEPS6_NSA_22TransformInputIteratorIbN2at6native12_GLOBAL__N_19NonZeroOpIN3c107complexIfEEEEPKSL_lEENS0_5tupleIJPlS6_EEENSQ_IJSD_SD_EEES6_PiJS6_EEE10hipError_tPvRmT3_T4_T5_T6_T7_T9_mT8_P12ihipStream_tbDpT10_ENKUlT_T0_E_clISt17integral_constantIbLb1EES1D_IbLb0EEEEDaS19_S1A_EUlS19_E_NS1_11comp_targetILNS1_3genE0ELNS1_11target_archE4294967295ELNS1_3gpuE0ELNS1_3repE0EEENS1_30default_config_static_selectorELNS0_4arch9wavefront6targetE0EEEvT1_,comdat
	.globl	_ZN7rocprim17ROCPRIM_400000_NS6detail17trampoline_kernelINS0_14default_configENS1_25partition_config_selectorILNS1_17partition_subalgoE5ElNS0_10empty_typeEbEEZZNS1_14partition_implILS5_5ELb0ES3_mN6hipcub16HIPCUB_304000_NS21CountingInputIteratorIllEEPS6_NSA_22TransformInputIteratorIbN2at6native12_GLOBAL__N_19NonZeroOpIN3c107complexIfEEEEPKSL_lEENS0_5tupleIJPlS6_EEENSQ_IJSD_SD_EEES6_PiJS6_EEE10hipError_tPvRmT3_T4_T5_T6_T7_T9_mT8_P12ihipStream_tbDpT10_ENKUlT_T0_E_clISt17integral_constantIbLb1EES1D_IbLb0EEEEDaS19_S1A_EUlS19_E_NS1_11comp_targetILNS1_3genE0ELNS1_11target_archE4294967295ELNS1_3gpuE0ELNS1_3repE0EEENS1_30default_config_static_selectorELNS0_4arch9wavefront6targetE0EEEvT1_ ; -- Begin function _ZN7rocprim17ROCPRIM_400000_NS6detail17trampoline_kernelINS0_14default_configENS1_25partition_config_selectorILNS1_17partition_subalgoE5ElNS0_10empty_typeEbEEZZNS1_14partition_implILS5_5ELb0ES3_mN6hipcub16HIPCUB_304000_NS21CountingInputIteratorIllEEPS6_NSA_22TransformInputIteratorIbN2at6native12_GLOBAL__N_19NonZeroOpIN3c107complexIfEEEEPKSL_lEENS0_5tupleIJPlS6_EEENSQ_IJSD_SD_EEES6_PiJS6_EEE10hipError_tPvRmT3_T4_T5_T6_T7_T9_mT8_P12ihipStream_tbDpT10_ENKUlT_T0_E_clISt17integral_constantIbLb1EES1D_IbLb0EEEEDaS19_S1A_EUlS19_E_NS1_11comp_targetILNS1_3genE0ELNS1_11target_archE4294967295ELNS1_3gpuE0ELNS1_3repE0EEENS1_30default_config_static_selectorELNS0_4arch9wavefront6targetE0EEEvT1_
	.p2align	8
	.type	_ZN7rocprim17ROCPRIM_400000_NS6detail17trampoline_kernelINS0_14default_configENS1_25partition_config_selectorILNS1_17partition_subalgoE5ElNS0_10empty_typeEbEEZZNS1_14partition_implILS5_5ELb0ES3_mN6hipcub16HIPCUB_304000_NS21CountingInputIteratorIllEEPS6_NSA_22TransformInputIteratorIbN2at6native12_GLOBAL__N_19NonZeroOpIN3c107complexIfEEEEPKSL_lEENS0_5tupleIJPlS6_EEENSQ_IJSD_SD_EEES6_PiJS6_EEE10hipError_tPvRmT3_T4_T5_T6_T7_T9_mT8_P12ihipStream_tbDpT10_ENKUlT_T0_E_clISt17integral_constantIbLb1EES1D_IbLb0EEEEDaS19_S1A_EUlS19_E_NS1_11comp_targetILNS1_3genE0ELNS1_11target_archE4294967295ELNS1_3gpuE0ELNS1_3repE0EEENS1_30default_config_static_selectorELNS0_4arch9wavefront6targetE0EEEvT1_,@function
_ZN7rocprim17ROCPRIM_400000_NS6detail17trampoline_kernelINS0_14default_configENS1_25partition_config_selectorILNS1_17partition_subalgoE5ElNS0_10empty_typeEbEEZZNS1_14partition_implILS5_5ELb0ES3_mN6hipcub16HIPCUB_304000_NS21CountingInputIteratorIllEEPS6_NSA_22TransformInputIteratorIbN2at6native12_GLOBAL__N_19NonZeroOpIN3c107complexIfEEEEPKSL_lEENS0_5tupleIJPlS6_EEENSQ_IJSD_SD_EEES6_PiJS6_EEE10hipError_tPvRmT3_T4_T5_T6_T7_T9_mT8_P12ihipStream_tbDpT10_ENKUlT_T0_E_clISt17integral_constantIbLb1EES1D_IbLb0EEEEDaS19_S1A_EUlS19_E_NS1_11comp_targetILNS1_3genE0ELNS1_11target_archE4294967295ELNS1_3gpuE0ELNS1_3repE0EEENS1_30default_config_static_selectorELNS0_4arch9wavefront6targetE0EEEvT1_: ; @_ZN7rocprim17ROCPRIM_400000_NS6detail17trampoline_kernelINS0_14default_configENS1_25partition_config_selectorILNS1_17partition_subalgoE5ElNS0_10empty_typeEbEEZZNS1_14partition_implILS5_5ELb0ES3_mN6hipcub16HIPCUB_304000_NS21CountingInputIteratorIllEEPS6_NSA_22TransformInputIteratorIbN2at6native12_GLOBAL__N_19NonZeroOpIN3c107complexIfEEEEPKSL_lEENS0_5tupleIJPlS6_EEENSQ_IJSD_SD_EEES6_PiJS6_EEE10hipError_tPvRmT3_T4_T5_T6_T7_T9_mT8_P12ihipStream_tbDpT10_ENKUlT_T0_E_clISt17integral_constantIbLb1EES1D_IbLb0EEEEDaS19_S1A_EUlS19_E_NS1_11comp_targetILNS1_3genE0ELNS1_11target_archE4294967295ELNS1_3gpuE0ELNS1_3repE0EEENS1_30default_config_static_selectorELNS0_4arch9wavefront6targetE0EEEvT1_
; %bb.0:
	.section	.rodata,"a",@progbits
	.p2align	6, 0x0
	.amdhsa_kernel _ZN7rocprim17ROCPRIM_400000_NS6detail17trampoline_kernelINS0_14default_configENS1_25partition_config_selectorILNS1_17partition_subalgoE5ElNS0_10empty_typeEbEEZZNS1_14partition_implILS5_5ELb0ES3_mN6hipcub16HIPCUB_304000_NS21CountingInputIteratorIllEEPS6_NSA_22TransformInputIteratorIbN2at6native12_GLOBAL__N_19NonZeroOpIN3c107complexIfEEEEPKSL_lEENS0_5tupleIJPlS6_EEENSQ_IJSD_SD_EEES6_PiJS6_EEE10hipError_tPvRmT3_T4_T5_T6_T7_T9_mT8_P12ihipStream_tbDpT10_ENKUlT_T0_E_clISt17integral_constantIbLb1EES1D_IbLb0EEEEDaS19_S1A_EUlS19_E_NS1_11comp_targetILNS1_3genE0ELNS1_11target_archE4294967295ELNS1_3gpuE0ELNS1_3repE0EEENS1_30default_config_static_selectorELNS0_4arch9wavefront6targetE0EEEvT1_
		.amdhsa_group_segment_fixed_size 0
		.amdhsa_private_segment_fixed_size 0
		.amdhsa_kernarg_size 120
		.amdhsa_user_sgpr_count 15
		.amdhsa_user_sgpr_dispatch_ptr 0
		.amdhsa_user_sgpr_queue_ptr 0
		.amdhsa_user_sgpr_kernarg_segment_ptr 1
		.amdhsa_user_sgpr_dispatch_id 0
		.amdhsa_user_sgpr_private_segment_size 0
		.amdhsa_wavefront_size32 1
		.amdhsa_uses_dynamic_stack 0
		.amdhsa_enable_private_segment 0
		.amdhsa_system_sgpr_workgroup_id_x 1
		.amdhsa_system_sgpr_workgroup_id_y 0
		.amdhsa_system_sgpr_workgroup_id_z 0
		.amdhsa_system_sgpr_workgroup_info 0
		.amdhsa_system_vgpr_workitem_id 0
		.amdhsa_next_free_vgpr 1
		.amdhsa_next_free_sgpr 1
		.amdhsa_reserve_vcc 0
		.amdhsa_float_round_mode_32 0
		.amdhsa_float_round_mode_16_64 0
		.amdhsa_float_denorm_mode_32 3
		.amdhsa_float_denorm_mode_16_64 3
		.amdhsa_dx10_clamp 1
		.amdhsa_ieee_mode 1
		.amdhsa_fp16_overflow 0
		.amdhsa_workgroup_processor_mode 1
		.amdhsa_memory_ordered 1
		.amdhsa_forward_progress 0
		.amdhsa_shared_vgpr_count 0
		.amdhsa_exception_fp_ieee_invalid_op 0
		.amdhsa_exception_fp_denorm_src 0
		.amdhsa_exception_fp_ieee_div_zero 0
		.amdhsa_exception_fp_ieee_overflow 0
		.amdhsa_exception_fp_ieee_underflow 0
		.amdhsa_exception_fp_ieee_inexact 0
		.amdhsa_exception_int_div_zero 0
	.end_amdhsa_kernel
	.section	.text._ZN7rocprim17ROCPRIM_400000_NS6detail17trampoline_kernelINS0_14default_configENS1_25partition_config_selectorILNS1_17partition_subalgoE5ElNS0_10empty_typeEbEEZZNS1_14partition_implILS5_5ELb0ES3_mN6hipcub16HIPCUB_304000_NS21CountingInputIteratorIllEEPS6_NSA_22TransformInputIteratorIbN2at6native12_GLOBAL__N_19NonZeroOpIN3c107complexIfEEEEPKSL_lEENS0_5tupleIJPlS6_EEENSQ_IJSD_SD_EEES6_PiJS6_EEE10hipError_tPvRmT3_T4_T5_T6_T7_T9_mT8_P12ihipStream_tbDpT10_ENKUlT_T0_E_clISt17integral_constantIbLb1EES1D_IbLb0EEEEDaS19_S1A_EUlS19_E_NS1_11comp_targetILNS1_3genE0ELNS1_11target_archE4294967295ELNS1_3gpuE0ELNS1_3repE0EEENS1_30default_config_static_selectorELNS0_4arch9wavefront6targetE0EEEvT1_,"axG",@progbits,_ZN7rocprim17ROCPRIM_400000_NS6detail17trampoline_kernelINS0_14default_configENS1_25partition_config_selectorILNS1_17partition_subalgoE5ElNS0_10empty_typeEbEEZZNS1_14partition_implILS5_5ELb0ES3_mN6hipcub16HIPCUB_304000_NS21CountingInputIteratorIllEEPS6_NSA_22TransformInputIteratorIbN2at6native12_GLOBAL__N_19NonZeroOpIN3c107complexIfEEEEPKSL_lEENS0_5tupleIJPlS6_EEENSQ_IJSD_SD_EEES6_PiJS6_EEE10hipError_tPvRmT3_T4_T5_T6_T7_T9_mT8_P12ihipStream_tbDpT10_ENKUlT_T0_E_clISt17integral_constantIbLb1EES1D_IbLb0EEEEDaS19_S1A_EUlS19_E_NS1_11comp_targetILNS1_3genE0ELNS1_11target_archE4294967295ELNS1_3gpuE0ELNS1_3repE0EEENS1_30default_config_static_selectorELNS0_4arch9wavefront6targetE0EEEvT1_,comdat
.Lfunc_end610:
	.size	_ZN7rocprim17ROCPRIM_400000_NS6detail17trampoline_kernelINS0_14default_configENS1_25partition_config_selectorILNS1_17partition_subalgoE5ElNS0_10empty_typeEbEEZZNS1_14partition_implILS5_5ELb0ES3_mN6hipcub16HIPCUB_304000_NS21CountingInputIteratorIllEEPS6_NSA_22TransformInputIteratorIbN2at6native12_GLOBAL__N_19NonZeroOpIN3c107complexIfEEEEPKSL_lEENS0_5tupleIJPlS6_EEENSQ_IJSD_SD_EEES6_PiJS6_EEE10hipError_tPvRmT3_T4_T5_T6_T7_T9_mT8_P12ihipStream_tbDpT10_ENKUlT_T0_E_clISt17integral_constantIbLb1EES1D_IbLb0EEEEDaS19_S1A_EUlS19_E_NS1_11comp_targetILNS1_3genE0ELNS1_11target_archE4294967295ELNS1_3gpuE0ELNS1_3repE0EEENS1_30default_config_static_selectorELNS0_4arch9wavefront6targetE0EEEvT1_, .Lfunc_end610-_ZN7rocprim17ROCPRIM_400000_NS6detail17trampoline_kernelINS0_14default_configENS1_25partition_config_selectorILNS1_17partition_subalgoE5ElNS0_10empty_typeEbEEZZNS1_14partition_implILS5_5ELb0ES3_mN6hipcub16HIPCUB_304000_NS21CountingInputIteratorIllEEPS6_NSA_22TransformInputIteratorIbN2at6native12_GLOBAL__N_19NonZeroOpIN3c107complexIfEEEEPKSL_lEENS0_5tupleIJPlS6_EEENSQ_IJSD_SD_EEES6_PiJS6_EEE10hipError_tPvRmT3_T4_T5_T6_T7_T9_mT8_P12ihipStream_tbDpT10_ENKUlT_T0_E_clISt17integral_constantIbLb1EES1D_IbLb0EEEEDaS19_S1A_EUlS19_E_NS1_11comp_targetILNS1_3genE0ELNS1_11target_archE4294967295ELNS1_3gpuE0ELNS1_3repE0EEENS1_30default_config_static_selectorELNS0_4arch9wavefront6targetE0EEEvT1_
                                        ; -- End function
	.section	.AMDGPU.csdata,"",@progbits
; Kernel info:
; codeLenInByte = 0
; NumSgprs: 0
; NumVgprs: 0
; ScratchSize: 0
; MemoryBound: 0
; FloatMode: 240
; IeeeMode: 1
; LDSByteSize: 0 bytes/workgroup (compile time only)
; SGPRBlocks: 0
; VGPRBlocks: 0
; NumSGPRsForWavesPerEU: 1
; NumVGPRsForWavesPerEU: 1
; Occupancy: 16
; WaveLimiterHint : 0
; COMPUTE_PGM_RSRC2:SCRATCH_EN: 0
; COMPUTE_PGM_RSRC2:USER_SGPR: 15
; COMPUTE_PGM_RSRC2:TRAP_HANDLER: 0
; COMPUTE_PGM_RSRC2:TGID_X_EN: 1
; COMPUTE_PGM_RSRC2:TGID_Y_EN: 0
; COMPUTE_PGM_RSRC2:TGID_Z_EN: 0
; COMPUTE_PGM_RSRC2:TIDIG_COMP_CNT: 0
	.section	.text._ZN7rocprim17ROCPRIM_400000_NS6detail17trampoline_kernelINS0_14default_configENS1_25partition_config_selectorILNS1_17partition_subalgoE5ElNS0_10empty_typeEbEEZZNS1_14partition_implILS5_5ELb0ES3_mN6hipcub16HIPCUB_304000_NS21CountingInputIteratorIllEEPS6_NSA_22TransformInputIteratorIbN2at6native12_GLOBAL__N_19NonZeroOpIN3c107complexIfEEEEPKSL_lEENS0_5tupleIJPlS6_EEENSQ_IJSD_SD_EEES6_PiJS6_EEE10hipError_tPvRmT3_T4_T5_T6_T7_T9_mT8_P12ihipStream_tbDpT10_ENKUlT_T0_E_clISt17integral_constantIbLb1EES1D_IbLb0EEEEDaS19_S1A_EUlS19_E_NS1_11comp_targetILNS1_3genE5ELNS1_11target_archE942ELNS1_3gpuE9ELNS1_3repE0EEENS1_30default_config_static_selectorELNS0_4arch9wavefront6targetE0EEEvT1_,"axG",@progbits,_ZN7rocprim17ROCPRIM_400000_NS6detail17trampoline_kernelINS0_14default_configENS1_25partition_config_selectorILNS1_17partition_subalgoE5ElNS0_10empty_typeEbEEZZNS1_14partition_implILS5_5ELb0ES3_mN6hipcub16HIPCUB_304000_NS21CountingInputIteratorIllEEPS6_NSA_22TransformInputIteratorIbN2at6native12_GLOBAL__N_19NonZeroOpIN3c107complexIfEEEEPKSL_lEENS0_5tupleIJPlS6_EEENSQ_IJSD_SD_EEES6_PiJS6_EEE10hipError_tPvRmT3_T4_T5_T6_T7_T9_mT8_P12ihipStream_tbDpT10_ENKUlT_T0_E_clISt17integral_constantIbLb1EES1D_IbLb0EEEEDaS19_S1A_EUlS19_E_NS1_11comp_targetILNS1_3genE5ELNS1_11target_archE942ELNS1_3gpuE9ELNS1_3repE0EEENS1_30default_config_static_selectorELNS0_4arch9wavefront6targetE0EEEvT1_,comdat
	.globl	_ZN7rocprim17ROCPRIM_400000_NS6detail17trampoline_kernelINS0_14default_configENS1_25partition_config_selectorILNS1_17partition_subalgoE5ElNS0_10empty_typeEbEEZZNS1_14partition_implILS5_5ELb0ES3_mN6hipcub16HIPCUB_304000_NS21CountingInputIteratorIllEEPS6_NSA_22TransformInputIteratorIbN2at6native12_GLOBAL__N_19NonZeroOpIN3c107complexIfEEEEPKSL_lEENS0_5tupleIJPlS6_EEENSQ_IJSD_SD_EEES6_PiJS6_EEE10hipError_tPvRmT3_T4_T5_T6_T7_T9_mT8_P12ihipStream_tbDpT10_ENKUlT_T0_E_clISt17integral_constantIbLb1EES1D_IbLb0EEEEDaS19_S1A_EUlS19_E_NS1_11comp_targetILNS1_3genE5ELNS1_11target_archE942ELNS1_3gpuE9ELNS1_3repE0EEENS1_30default_config_static_selectorELNS0_4arch9wavefront6targetE0EEEvT1_ ; -- Begin function _ZN7rocprim17ROCPRIM_400000_NS6detail17trampoline_kernelINS0_14default_configENS1_25partition_config_selectorILNS1_17partition_subalgoE5ElNS0_10empty_typeEbEEZZNS1_14partition_implILS5_5ELb0ES3_mN6hipcub16HIPCUB_304000_NS21CountingInputIteratorIllEEPS6_NSA_22TransformInputIteratorIbN2at6native12_GLOBAL__N_19NonZeroOpIN3c107complexIfEEEEPKSL_lEENS0_5tupleIJPlS6_EEENSQ_IJSD_SD_EEES6_PiJS6_EEE10hipError_tPvRmT3_T4_T5_T6_T7_T9_mT8_P12ihipStream_tbDpT10_ENKUlT_T0_E_clISt17integral_constantIbLb1EES1D_IbLb0EEEEDaS19_S1A_EUlS19_E_NS1_11comp_targetILNS1_3genE5ELNS1_11target_archE942ELNS1_3gpuE9ELNS1_3repE0EEENS1_30default_config_static_selectorELNS0_4arch9wavefront6targetE0EEEvT1_
	.p2align	8
	.type	_ZN7rocprim17ROCPRIM_400000_NS6detail17trampoline_kernelINS0_14default_configENS1_25partition_config_selectorILNS1_17partition_subalgoE5ElNS0_10empty_typeEbEEZZNS1_14partition_implILS5_5ELb0ES3_mN6hipcub16HIPCUB_304000_NS21CountingInputIteratorIllEEPS6_NSA_22TransformInputIteratorIbN2at6native12_GLOBAL__N_19NonZeroOpIN3c107complexIfEEEEPKSL_lEENS0_5tupleIJPlS6_EEENSQ_IJSD_SD_EEES6_PiJS6_EEE10hipError_tPvRmT3_T4_T5_T6_T7_T9_mT8_P12ihipStream_tbDpT10_ENKUlT_T0_E_clISt17integral_constantIbLb1EES1D_IbLb0EEEEDaS19_S1A_EUlS19_E_NS1_11comp_targetILNS1_3genE5ELNS1_11target_archE942ELNS1_3gpuE9ELNS1_3repE0EEENS1_30default_config_static_selectorELNS0_4arch9wavefront6targetE0EEEvT1_,@function
_ZN7rocprim17ROCPRIM_400000_NS6detail17trampoline_kernelINS0_14default_configENS1_25partition_config_selectorILNS1_17partition_subalgoE5ElNS0_10empty_typeEbEEZZNS1_14partition_implILS5_5ELb0ES3_mN6hipcub16HIPCUB_304000_NS21CountingInputIteratorIllEEPS6_NSA_22TransformInputIteratorIbN2at6native12_GLOBAL__N_19NonZeroOpIN3c107complexIfEEEEPKSL_lEENS0_5tupleIJPlS6_EEENSQ_IJSD_SD_EEES6_PiJS6_EEE10hipError_tPvRmT3_T4_T5_T6_T7_T9_mT8_P12ihipStream_tbDpT10_ENKUlT_T0_E_clISt17integral_constantIbLb1EES1D_IbLb0EEEEDaS19_S1A_EUlS19_E_NS1_11comp_targetILNS1_3genE5ELNS1_11target_archE942ELNS1_3gpuE9ELNS1_3repE0EEENS1_30default_config_static_selectorELNS0_4arch9wavefront6targetE0EEEvT1_: ; @_ZN7rocprim17ROCPRIM_400000_NS6detail17trampoline_kernelINS0_14default_configENS1_25partition_config_selectorILNS1_17partition_subalgoE5ElNS0_10empty_typeEbEEZZNS1_14partition_implILS5_5ELb0ES3_mN6hipcub16HIPCUB_304000_NS21CountingInputIteratorIllEEPS6_NSA_22TransformInputIteratorIbN2at6native12_GLOBAL__N_19NonZeroOpIN3c107complexIfEEEEPKSL_lEENS0_5tupleIJPlS6_EEENSQ_IJSD_SD_EEES6_PiJS6_EEE10hipError_tPvRmT3_T4_T5_T6_T7_T9_mT8_P12ihipStream_tbDpT10_ENKUlT_T0_E_clISt17integral_constantIbLb1EES1D_IbLb0EEEEDaS19_S1A_EUlS19_E_NS1_11comp_targetILNS1_3genE5ELNS1_11target_archE942ELNS1_3gpuE9ELNS1_3repE0EEENS1_30default_config_static_selectorELNS0_4arch9wavefront6targetE0EEEvT1_
; %bb.0:
	.section	.rodata,"a",@progbits
	.p2align	6, 0x0
	.amdhsa_kernel _ZN7rocprim17ROCPRIM_400000_NS6detail17trampoline_kernelINS0_14default_configENS1_25partition_config_selectorILNS1_17partition_subalgoE5ElNS0_10empty_typeEbEEZZNS1_14partition_implILS5_5ELb0ES3_mN6hipcub16HIPCUB_304000_NS21CountingInputIteratorIllEEPS6_NSA_22TransformInputIteratorIbN2at6native12_GLOBAL__N_19NonZeroOpIN3c107complexIfEEEEPKSL_lEENS0_5tupleIJPlS6_EEENSQ_IJSD_SD_EEES6_PiJS6_EEE10hipError_tPvRmT3_T4_T5_T6_T7_T9_mT8_P12ihipStream_tbDpT10_ENKUlT_T0_E_clISt17integral_constantIbLb1EES1D_IbLb0EEEEDaS19_S1A_EUlS19_E_NS1_11comp_targetILNS1_3genE5ELNS1_11target_archE942ELNS1_3gpuE9ELNS1_3repE0EEENS1_30default_config_static_selectorELNS0_4arch9wavefront6targetE0EEEvT1_
		.amdhsa_group_segment_fixed_size 0
		.amdhsa_private_segment_fixed_size 0
		.amdhsa_kernarg_size 120
		.amdhsa_user_sgpr_count 15
		.amdhsa_user_sgpr_dispatch_ptr 0
		.amdhsa_user_sgpr_queue_ptr 0
		.amdhsa_user_sgpr_kernarg_segment_ptr 1
		.amdhsa_user_sgpr_dispatch_id 0
		.amdhsa_user_sgpr_private_segment_size 0
		.amdhsa_wavefront_size32 1
		.amdhsa_uses_dynamic_stack 0
		.amdhsa_enable_private_segment 0
		.amdhsa_system_sgpr_workgroup_id_x 1
		.amdhsa_system_sgpr_workgroup_id_y 0
		.amdhsa_system_sgpr_workgroup_id_z 0
		.amdhsa_system_sgpr_workgroup_info 0
		.amdhsa_system_vgpr_workitem_id 0
		.amdhsa_next_free_vgpr 1
		.amdhsa_next_free_sgpr 1
		.amdhsa_reserve_vcc 0
		.amdhsa_float_round_mode_32 0
		.amdhsa_float_round_mode_16_64 0
		.amdhsa_float_denorm_mode_32 3
		.amdhsa_float_denorm_mode_16_64 3
		.amdhsa_dx10_clamp 1
		.amdhsa_ieee_mode 1
		.amdhsa_fp16_overflow 0
		.amdhsa_workgroup_processor_mode 1
		.amdhsa_memory_ordered 1
		.amdhsa_forward_progress 0
		.amdhsa_shared_vgpr_count 0
		.amdhsa_exception_fp_ieee_invalid_op 0
		.amdhsa_exception_fp_denorm_src 0
		.amdhsa_exception_fp_ieee_div_zero 0
		.amdhsa_exception_fp_ieee_overflow 0
		.amdhsa_exception_fp_ieee_underflow 0
		.amdhsa_exception_fp_ieee_inexact 0
		.amdhsa_exception_int_div_zero 0
	.end_amdhsa_kernel
	.section	.text._ZN7rocprim17ROCPRIM_400000_NS6detail17trampoline_kernelINS0_14default_configENS1_25partition_config_selectorILNS1_17partition_subalgoE5ElNS0_10empty_typeEbEEZZNS1_14partition_implILS5_5ELb0ES3_mN6hipcub16HIPCUB_304000_NS21CountingInputIteratorIllEEPS6_NSA_22TransformInputIteratorIbN2at6native12_GLOBAL__N_19NonZeroOpIN3c107complexIfEEEEPKSL_lEENS0_5tupleIJPlS6_EEENSQ_IJSD_SD_EEES6_PiJS6_EEE10hipError_tPvRmT3_T4_T5_T6_T7_T9_mT8_P12ihipStream_tbDpT10_ENKUlT_T0_E_clISt17integral_constantIbLb1EES1D_IbLb0EEEEDaS19_S1A_EUlS19_E_NS1_11comp_targetILNS1_3genE5ELNS1_11target_archE942ELNS1_3gpuE9ELNS1_3repE0EEENS1_30default_config_static_selectorELNS0_4arch9wavefront6targetE0EEEvT1_,"axG",@progbits,_ZN7rocprim17ROCPRIM_400000_NS6detail17trampoline_kernelINS0_14default_configENS1_25partition_config_selectorILNS1_17partition_subalgoE5ElNS0_10empty_typeEbEEZZNS1_14partition_implILS5_5ELb0ES3_mN6hipcub16HIPCUB_304000_NS21CountingInputIteratorIllEEPS6_NSA_22TransformInputIteratorIbN2at6native12_GLOBAL__N_19NonZeroOpIN3c107complexIfEEEEPKSL_lEENS0_5tupleIJPlS6_EEENSQ_IJSD_SD_EEES6_PiJS6_EEE10hipError_tPvRmT3_T4_T5_T6_T7_T9_mT8_P12ihipStream_tbDpT10_ENKUlT_T0_E_clISt17integral_constantIbLb1EES1D_IbLb0EEEEDaS19_S1A_EUlS19_E_NS1_11comp_targetILNS1_3genE5ELNS1_11target_archE942ELNS1_3gpuE9ELNS1_3repE0EEENS1_30default_config_static_selectorELNS0_4arch9wavefront6targetE0EEEvT1_,comdat
.Lfunc_end611:
	.size	_ZN7rocprim17ROCPRIM_400000_NS6detail17trampoline_kernelINS0_14default_configENS1_25partition_config_selectorILNS1_17partition_subalgoE5ElNS0_10empty_typeEbEEZZNS1_14partition_implILS5_5ELb0ES3_mN6hipcub16HIPCUB_304000_NS21CountingInputIteratorIllEEPS6_NSA_22TransformInputIteratorIbN2at6native12_GLOBAL__N_19NonZeroOpIN3c107complexIfEEEEPKSL_lEENS0_5tupleIJPlS6_EEENSQ_IJSD_SD_EEES6_PiJS6_EEE10hipError_tPvRmT3_T4_T5_T6_T7_T9_mT8_P12ihipStream_tbDpT10_ENKUlT_T0_E_clISt17integral_constantIbLb1EES1D_IbLb0EEEEDaS19_S1A_EUlS19_E_NS1_11comp_targetILNS1_3genE5ELNS1_11target_archE942ELNS1_3gpuE9ELNS1_3repE0EEENS1_30default_config_static_selectorELNS0_4arch9wavefront6targetE0EEEvT1_, .Lfunc_end611-_ZN7rocprim17ROCPRIM_400000_NS6detail17trampoline_kernelINS0_14default_configENS1_25partition_config_selectorILNS1_17partition_subalgoE5ElNS0_10empty_typeEbEEZZNS1_14partition_implILS5_5ELb0ES3_mN6hipcub16HIPCUB_304000_NS21CountingInputIteratorIllEEPS6_NSA_22TransformInputIteratorIbN2at6native12_GLOBAL__N_19NonZeroOpIN3c107complexIfEEEEPKSL_lEENS0_5tupleIJPlS6_EEENSQ_IJSD_SD_EEES6_PiJS6_EEE10hipError_tPvRmT3_T4_T5_T6_T7_T9_mT8_P12ihipStream_tbDpT10_ENKUlT_T0_E_clISt17integral_constantIbLb1EES1D_IbLb0EEEEDaS19_S1A_EUlS19_E_NS1_11comp_targetILNS1_3genE5ELNS1_11target_archE942ELNS1_3gpuE9ELNS1_3repE0EEENS1_30default_config_static_selectorELNS0_4arch9wavefront6targetE0EEEvT1_
                                        ; -- End function
	.section	.AMDGPU.csdata,"",@progbits
; Kernel info:
; codeLenInByte = 0
; NumSgprs: 0
; NumVgprs: 0
; ScratchSize: 0
; MemoryBound: 0
; FloatMode: 240
; IeeeMode: 1
; LDSByteSize: 0 bytes/workgroup (compile time only)
; SGPRBlocks: 0
; VGPRBlocks: 0
; NumSGPRsForWavesPerEU: 1
; NumVGPRsForWavesPerEU: 1
; Occupancy: 16
; WaveLimiterHint : 0
; COMPUTE_PGM_RSRC2:SCRATCH_EN: 0
; COMPUTE_PGM_RSRC2:USER_SGPR: 15
; COMPUTE_PGM_RSRC2:TRAP_HANDLER: 0
; COMPUTE_PGM_RSRC2:TGID_X_EN: 1
; COMPUTE_PGM_RSRC2:TGID_Y_EN: 0
; COMPUTE_PGM_RSRC2:TGID_Z_EN: 0
; COMPUTE_PGM_RSRC2:TIDIG_COMP_CNT: 0
	.section	.text._ZN7rocprim17ROCPRIM_400000_NS6detail17trampoline_kernelINS0_14default_configENS1_25partition_config_selectorILNS1_17partition_subalgoE5ElNS0_10empty_typeEbEEZZNS1_14partition_implILS5_5ELb0ES3_mN6hipcub16HIPCUB_304000_NS21CountingInputIteratorIllEEPS6_NSA_22TransformInputIteratorIbN2at6native12_GLOBAL__N_19NonZeroOpIN3c107complexIfEEEEPKSL_lEENS0_5tupleIJPlS6_EEENSQ_IJSD_SD_EEES6_PiJS6_EEE10hipError_tPvRmT3_T4_T5_T6_T7_T9_mT8_P12ihipStream_tbDpT10_ENKUlT_T0_E_clISt17integral_constantIbLb1EES1D_IbLb0EEEEDaS19_S1A_EUlS19_E_NS1_11comp_targetILNS1_3genE4ELNS1_11target_archE910ELNS1_3gpuE8ELNS1_3repE0EEENS1_30default_config_static_selectorELNS0_4arch9wavefront6targetE0EEEvT1_,"axG",@progbits,_ZN7rocprim17ROCPRIM_400000_NS6detail17trampoline_kernelINS0_14default_configENS1_25partition_config_selectorILNS1_17partition_subalgoE5ElNS0_10empty_typeEbEEZZNS1_14partition_implILS5_5ELb0ES3_mN6hipcub16HIPCUB_304000_NS21CountingInputIteratorIllEEPS6_NSA_22TransformInputIteratorIbN2at6native12_GLOBAL__N_19NonZeroOpIN3c107complexIfEEEEPKSL_lEENS0_5tupleIJPlS6_EEENSQ_IJSD_SD_EEES6_PiJS6_EEE10hipError_tPvRmT3_T4_T5_T6_T7_T9_mT8_P12ihipStream_tbDpT10_ENKUlT_T0_E_clISt17integral_constantIbLb1EES1D_IbLb0EEEEDaS19_S1A_EUlS19_E_NS1_11comp_targetILNS1_3genE4ELNS1_11target_archE910ELNS1_3gpuE8ELNS1_3repE0EEENS1_30default_config_static_selectorELNS0_4arch9wavefront6targetE0EEEvT1_,comdat
	.globl	_ZN7rocprim17ROCPRIM_400000_NS6detail17trampoline_kernelINS0_14default_configENS1_25partition_config_selectorILNS1_17partition_subalgoE5ElNS0_10empty_typeEbEEZZNS1_14partition_implILS5_5ELb0ES3_mN6hipcub16HIPCUB_304000_NS21CountingInputIteratorIllEEPS6_NSA_22TransformInputIteratorIbN2at6native12_GLOBAL__N_19NonZeroOpIN3c107complexIfEEEEPKSL_lEENS0_5tupleIJPlS6_EEENSQ_IJSD_SD_EEES6_PiJS6_EEE10hipError_tPvRmT3_T4_T5_T6_T7_T9_mT8_P12ihipStream_tbDpT10_ENKUlT_T0_E_clISt17integral_constantIbLb1EES1D_IbLb0EEEEDaS19_S1A_EUlS19_E_NS1_11comp_targetILNS1_3genE4ELNS1_11target_archE910ELNS1_3gpuE8ELNS1_3repE0EEENS1_30default_config_static_selectorELNS0_4arch9wavefront6targetE0EEEvT1_ ; -- Begin function _ZN7rocprim17ROCPRIM_400000_NS6detail17trampoline_kernelINS0_14default_configENS1_25partition_config_selectorILNS1_17partition_subalgoE5ElNS0_10empty_typeEbEEZZNS1_14partition_implILS5_5ELb0ES3_mN6hipcub16HIPCUB_304000_NS21CountingInputIteratorIllEEPS6_NSA_22TransformInputIteratorIbN2at6native12_GLOBAL__N_19NonZeroOpIN3c107complexIfEEEEPKSL_lEENS0_5tupleIJPlS6_EEENSQ_IJSD_SD_EEES6_PiJS6_EEE10hipError_tPvRmT3_T4_T5_T6_T7_T9_mT8_P12ihipStream_tbDpT10_ENKUlT_T0_E_clISt17integral_constantIbLb1EES1D_IbLb0EEEEDaS19_S1A_EUlS19_E_NS1_11comp_targetILNS1_3genE4ELNS1_11target_archE910ELNS1_3gpuE8ELNS1_3repE0EEENS1_30default_config_static_selectorELNS0_4arch9wavefront6targetE0EEEvT1_
	.p2align	8
	.type	_ZN7rocprim17ROCPRIM_400000_NS6detail17trampoline_kernelINS0_14default_configENS1_25partition_config_selectorILNS1_17partition_subalgoE5ElNS0_10empty_typeEbEEZZNS1_14partition_implILS5_5ELb0ES3_mN6hipcub16HIPCUB_304000_NS21CountingInputIteratorIllEEPS6_NSA_22TransformInputIteratorIbN2at6native12_GLOBAL__N_19NonZeroOpIN3c107complexIfEEEEPKSL_lEENS0_5tupleIJPlS6_EEENSQ_IJSD_SD_EEES6_PiJS6_EEE10hipError_tPvRmT3_T4_T5_T6_T7_T9_mT8_P12ihipStream_tbDpT10_ENKUlT_T0_E_clISt17integral_constantIbLb1EES1D_IbLb0EEEEDaS19_S1A_EUlS19_E_NS1_11comp_targetILNS1_3genE4ELNS1_11target_archE910ELNS1_3gpuE8ELNS1_3repE0EEENS1_30default_config_static_selectorELNS0_4arch9wavefront6targetE0EEEvT1_,@function
_ZN7rocprim17ROCPRIM_400000_NS6detail17trampoline_kernelINS0_14default_configENS1_25partition_config_selectorILNS1_17partition_subalgoE5ElNS0_10empty_typeEbEEZZNS1_14partition_implILS5_5ELb0ES3_mN6hipcub16HIPCUB_304000_NS21CountingInputIteratorIllEEPS6_NSA_22TransformInputIteratorIbN2at6native12_GLOBAL__N_19NonZeroOpIN3c107complexIfEEEEPKSL_lEENS0_5tupleIJPlS6_EEENSQ_IJSD_SD_EEES6_PiJS6_EEE10hipError_tPvRmT3_T4_T5_T6_T7_T9_mT8_P12ihipStream_tbDpT10_ENKUlT_T0_E_clISt17integral_constantIbLb1EES1D_IbLb0EEEEDaS19_S1A_EUlS19_E_NS1_11comp_targetILNS1_3genE4ELNS1_11target_archE910ELNS1_3gpuE8ELNS1_3repE0EEENS1_30default_config_static_selectorELNS0_4arch9wavefront6targetE0EEEvT1_: ; @_ZN7rocprim17ROCPRIM_400000_NS6detail17trampoline_kernelINS0_14default_configENS1_25partition_config_selectorILNS1_17partition_subalgoE5ElNS0_10empty_typeEbEEZZNS1_14partition_implILS5_5ELb0ES3_mN6hipcub16HIPCUB_304000_NS21CountingInputIteratorIllEEPS6_NSA_22TransformInputIteratorIbN2at6native12_GLOBAL__N_19NonZeroOpIN3c107complexIfEEEEPKSL_lEENS0_5tupleIJPlS6_EEENSQ_IJSD_SD_EEES6_PiJS6_EEE10hipError_tPvRmT3_T4_T5_T6_T7_T9_mT8_P12ihipStream_tbDpT10_ENKUlT_T0_E_clISt17integral_constantIbLb1EES1D_IbLb0EEEEDaS19_S1A_EUlS19_E_NS1_11comp_targetILNS1_3genE4ELNS1_11target_archE910ELNS1_3gpuE8ELNS1_3repE0EEENS1_30default_config_static_selectorELNS0_4arch9wavefront6targetE0EEEvT1_
; %bb.0:
	.section	.rodata,"a",@progbits
	.p2align	6, 0x0
	.amdhsa_kernel _ZN7rocprim17ROCPRIM_400000_NS6detail17trampoline_kernelINS0_14default_configENS1_25partition_config_selectorILNS1_17partition_subalgoE5ElNS0_10empty_typeEbEEZZNS1_14partition_implILS5_5ELb0ES3_mN6hipcub16HIPCUB_304000_NS21CountingInputIteratorIllEEPS6_NSA_22TransformInputIteratorIbN2at6native12_GLOBAL__N_19NonZeroOpIN3c107complexIfEEEEPKSL_lEENS0_5tupleIJPlS6_EEENSQ_IJSD_SD_EEES6_PiJS6_EEE10hipError_tPvRmT3_T4_T5_T6_T7_T9_mT8_P12ihipStream_tbDpT10_ENKUlT_T0_E_clISt17integral_constantIbLb1EES1D_IbLb0EEEEDaS19_S1A_EUlS19_E_NS1_11comp_targetILNS1_3genE4ELNS1_11target_archE910ELNS1_3gpuE8ELNS1_3repE0EEENS1_30default_config_static_selectorELNS0_4arch9wavefront6targetE0EEEvT1_
		.amdhsa_group_segment_fixed_size 0
		.amdhsa_private_segment_fixed_size 0
		.amdhsa_kernarg_size 120
		.amdhsa_user_sgpr_count 15
		.amdhsa_user_sgpr_dispatch_ptr 0
		.amdhsa_user_sgpr_queue_ptr 0
		.amdhsa_user_sgpr_kernarg_segment_ptr 1
		.amdhsa_user_sgpr_dispatch_id 0
		.amdhsa_user_sgpr_private_segment_size 0
		.amdhsa_wavefront_size32 1
		.amdhsa_uses_dynamic_stack 0
		.amdhsa_enable_private_segment 0
		.amdhsa_system_sgpr_workgroup_id_x 1
		.amdhsa_system_sgpr_workgroup_id_y 0
		.amdhsa_system_sgpr_workgroup_id_z 0
		.amdhsa_system_sgpr_workgroup_info 0
		.amdhsa_system_vgpr_workitem_id 0
		.amdhsa_next_free_vgpr 1
		.amdhsa_next_free_sgpr 1
		.amdhsa_reserve_vcc 0
		.amdhsa_float_round_mode_32 0
		.amdhsa_float_round_mode_16_64 0
		.amdhsa_float_denorm_mode_32 3
		.amdhsa_float_denorm_mode_16_64 3
		.amdhsa_dx10_clamp 1
		.amdhsa_ieee_mode 1
		.amdhsa_fp16_overflow 0
		.amdhsa_workgroup_processor_mode 1
		.amdhsa_memory_ordered 1
		.amdhsa_forward_progress 0
		.amdhsa_shared_vgpr_count 0
		.amdhsa_exception_fp_ieee_invalid_op 0
		.amdhsa_exception_fp_denorm_src 0
		.amdhsa_exception_fp_ieee_div_zero 0
		.amdhsa_exception_fp_ieee_overflow 0
		.amdhsa_exception_fp_ieee_underflow 0
		.amdhsa_exception_fp_ieee_inexact 0
		.amdhsa_exception_int_div_zero 0
	.end_amdhsa_kernel
	.section	.text._ZN7rocprim17ROCPRIM_400000_NS6detail17trampoline_kernelINS0_14default_configENS1_25partition_config_selectorILNS1_17partition_subalgoE5ElNS0_10empty_typeEbEEZZNS1_14partition_implILS5_5ELb0ES3_mN6hipcub16HIPCUB_304000_NS21CountingInputIteratorIllEEPS6_NSA_22TransformInputIteratorIbN2at6native12_GLOBAL__N_19NonZeroOpIN3c107complexIfEEEEPKSL_lEENS0_5tupleIJPlS6_EEENSQ_IJSD_SD_EEES6_PiJS6_EEE10hipError_tPvRmT3_T4_T5_T6_T7_T9_mT8_P12ihipStream_tbDpT10_ENKUlT_T0_E_clISt17integral_constantIbLb1EES1D_IbLb0EEEEDaS19_S1A_EUlS19_E_NS1_11comp_targetILNS1_3genE4ELNS1_11target_archE910ELNS1_3gpuE8ELNS1_3repE0EEENS1_30default_config_static_selectorELNS0_4arch9wavefront6targetE0EEEvT1_,"axG",@progbits,_ZN7rocprim17ROCPRIM_400000_NS6detail17trampoline_kernelINS0_14default_configENS1_25partition_config_selectorILNS1_17partition_subalgoE5ElNS0_10empty_typeEbEEZZNS1_14partition_implILS5_5ELb0ES3_mN6hipcub16HIPCUB_304000_NS21CountingInputIteratorIllEEPS6_NSA_22TransformInputIteratorIbN2at6native12_GLOBAL__N_19NonZeroOpIN3c107complexIfEEEEPKSL_lEENS0_5tupleIJPlS6_EEENSQ_IJSD_SD_EEES6_PiJS6_EEE10hipError_tPvRmT3_T4_T5_T6_T7_T9_mT8_P12ihipStream_tbDpT10_ENKUlT_T0_E_clISt17integral_constantIbLb1EES1D_IbLb0EEEEDaS19_S1A_EUlS19_E_NS1_11comp_targetILNS1_3genE4ELNS1_11target_archE910ELNS1_3gpuE8ELNS1_3repE0EEENS1_30default_config_static_selectorELNS0_4arch9wavefront6targetE0EEEvT1_,comdat
.Lfunc_end612:
	.size	_ZN7rocprim17ROCPRIM_400000_NS6detail17trampoline_kernelINS0_14default_configENS1_25partition_config_selectorILNS1_17partition_subalgoE5ElNS0_10empty_typeEbEEZZNS1_14partition_implILS5_5ELb0ES3_mN6hipcub16HIPCUB_304000_NS21CountingInputIteratorIllEEPS6_NSA_22TransformInputIteratorIbN2at6native12_GLOBAL__N_19NonZeroOpIN3c107complexIfEEEEPKSL_lEENS0_5tupleIJPlS6_EEENSQ_IJSD_SD_EEES6_PiJS6_EEE10hipError_tPvRmT3_T4_T5_T6_T7_T9_mT8_P12ihipStream_tbDpT10_ENKUlT_T0_E_clISt17integral_constantIbLb1EES1D_IbLb0EEEEDaS19_S1A_EUlS19_E_NS1_11comp_targetILNS1_3genE4ELNS1_11target_archE910ELNS1_3gpuE8ELNS1_3repE0EEENS1_30default_config_static_selectorELNS0_4arch9wavefront6targetE0EEEvT1_, .Lfunc_end612-_ZN7rocprim17ROCPRIM_400000_NS6detail17trampoline_kernelINS0_14default_configENS1_25partition_config_selectorILNS1_17partition_subalgoE5ElNS0_10empty_typeEbEEZZNS1_14partition_implILS5_5ELb0ES3_mN6hipcub16HIPCUB_304000_NS21CountingInputIteratorIllEEPS6_NSA_22TransformInputIteratorIbN2at6native12_GLOBAL__N_19NonZeroOpIN3c107complexIfEEEEPKSL_lEENS0_5tupleIJPlS6_EEENSQ_IJSD_SD_EEES6_PiJS6_EEE10hipError_tPvRmT3_T4_T5_T6_T7_T9_mT8_P12ihipStream_tbDpT10_ENKUlT_T0_E_clISt17integral_constantIbLb1EES1D_IbLb0EEEEDaS19_S1A_EUlS19_E_NS1_11comp_targetILNS1_3genE4ELNS1_11target_archE910ELNS1_3gpuE8ELNS1_3repE0EEENS1_30default_config_static_selectorELNS0_4arch9wavefront6targetE0EEEvT1_
                                        ; -- End function
	.section	.AMDGPU.csdata,"",@progbits
; Kernel info:
; codeLenInByte = 0
; NumSgprs: 0
; NumVgprs: 0
; ScratchSize: 0
; MemoryBound: 0
; FloatMode: 240
; IeeeMode: 1
; LDSByteSize: 0 bytes/workgroup (compile time only)
; SGPRBlocks: 0
; VGPRBlocks: 0
; NumSGPRsForWavesPerEU: 1
; NumVGPRsForWavesPerEU: 1
; Occupancy: 15
; WaveLimiterHint : 0
; COMPUTE_PGM_RSRC2:SCRATCH_EN: 0
; COMPUTE_PGM_RSRC2:USER_SGPR: 15
; COMPUTE_PGM_RSRC2:TRAP_HANDLER: 0
; COMPUTE_PGM_RSRC2:TGID_X_EN: 1
; COMPUTE_PGM_RSRC2:TGID_Y_EN: 0
; COMPUTE_PGM_RSRC2:TGID_Z_EN: 0
; COMPUTE_PGM_RSRC2:TIDIG_COMP_CNT: 0
	.section	.text._ZN7rocprim17ROCPRIM_400000_NS6detail17trampoline_kernelINS0_14default_configENS1_25partition_config_selectorILNS1_17partition_subalgoE5ElNS0_10empty_typeEbEEZZNS1_14partition_implILS5_5ELb0ES3_mN6hipcub16HIPCUB_304000_NS21CountingInputIteratorIllEEPS6_NSA_22TransformInputIteratorIbN2at6native12_GLOBAL__N_19NonZeroOpIN3c107complexIfEEEEPKSL_lEENS0_5tupleIJPlS6_EEENSQ_IJSD_SD_EEES6_PiJS6_EEE10hipError_tPvRmT3_T4_T5_T6_T7_T9_mT8_P12ihipStream_tbDpT10_ENKUlT_T0_E_clISt17integral_constantIbLb1EES1D_IbLb0EEEEDaS19_S1A_EUlS19_E_NS1_11comp_targetILNS1_3genE3ELNS1_11target_archE908ELNS1_3gpuE7ELNS1_3repE0EEENS1_30default_config_static_selectorELNS0_4arch9wavefront6targetE0EEEvT1_,"axG",@progbits,_ZN7rocprim17ROCPRIM_400000_NS6detail17trampoline_kernelINS0_14default_configENS1_25partition_config_selectorILNS1_17partition_subalgoE5ElNS0_10empty_typeEbEEZZNS1_14partition_implILS5_5ELb0ES3_mN6hipcub16HIPCUB_304000_NS21CountingInputIteratorIllEEPS6_NSA_22TransformInputIteratorIbN2at6native12_GLOBAL__N_19NonZeroOpIN3c107complexIfEEEEPKSL_lEENS0_5tupleIJPlS6_EEENSQ_IJSD_SD_EEES6_PiJS6_EEE10hipError_tPvRmT3_T4_T5_T6_T7_T9_mT8_P12ihipStream_tbDpT10_ENKUlT_T0_E_clISt17integral_constantIbLb1EES1D_IbLb0EEEEDaS19_S1A_EUlS19_E_NS1_11comp_targetILNS1_3genE3ELNS1_11target_archE908ELNS1_3gpuE7ELNS1_3repE0EEENS1_30default_config_static_selectorELNS0_4arch9wavefront6targetE0EEEvT1_,comdat
	.globl	_ZN7rocprim17ROCPRIM_400000_NS6detail17trampoline_kernelINS0_14default_configENS1_25partition_config_selectorILNS1_17partition_subalgoE5ElNS0_10empty_typeEbEEZZNS1_14partition_implILS5_5ELb0ES3_mN6hipcub16HIPCUB_304000_NS21CountingInputIteratorIllEEPS6_NSA_22TransformInputIteratorIbN2at6native12_GLOBAL__N_19NonZeroOpIN3c107complexIfEEEEPKSL_lEENS0_5tupleIJPlS6_EEENSQ_IJSD_SD_EEES6_PiJS6_EEE10hipError_tPvRmT3_T4_T5_T6_T7_T9_mT8_P12ihipStream_tbDpT10_ENKUlT_T0_E_clISt17integral_constantIbLb1EES1D_IbLb0EEEEDaS19_S1A_EUlS19_E_NS1_11comp_targetILNS1_3genE3ELNS1_11target_archE908ELNS1_3gpuE7ELNS1_3repE0EEENS1_30default_config_static_selectorELNS0_4arch9wavefront6targetE0EEEvT1_ ; -- Begin function _ZN7rocprim17ROCPRIM_400000_NS6detail17trampoline_kernelINS0_14default_configENS1_25partition_config_selectorILNS1_17partition_subalgoE5ElNS0_10empty_typeEbEEZZNS1_14partition_implILS5_5ELb0ES3_mN6hipcub16HIPCUB_304000_NS21CountingInputIteratorIllEEPS6_NSA_22TransformInputIteratorIbN2at6native12_GLOBAL__N_19NonZeroOpIN3c107complexIfEEEEPKSL_lEENS0_5tupleIJPlS6_EEENSQ_IJSD_SD_EEES6_PiJS6_EEE10hipError_tPvRmT3_T4_T5_T6_T7_T9_mT8_P12ihipStream_tbDpT10_ENKUlT_T0_E_clISt17integral_constantIbLb1EES1D_IbLb0EEEEDaS19_S1A_EUlS19_E_NS1_11comp_targetILNS1_3genE3ELNS1_11target_archE908ELNS1_3gpuE7ELNS1_3repE0EEENS1_30default_config_static_selectorELNS0_4arch9wavefront6targetE0EEEvT1_
	.p2align	8
	.type	_ZN7rocprim17ROCPRIM_400000_NS6detail17trampoline_kernelINS0_14default_configENS1_25partition_config_selectorILNS1_17partition_subalgoE5ElNS0_10empty_typeEbEEZZNS1_14partition_implILS5_5ELb0ES3_mN6hipcub16HIPCUB_304000_NS21CountingInputIteratorIllEEPS6_NSA_22TransformInputIteratorIbN2at6native12_GLOBAL__N_19NonZeroOpIN3c107complexIfEEEEPKSL_lEENS0_5tupleIJPlS6_EEENSQ_IJSD_SD_EEES6_PiJS6_EEE10hipError_tPvRmT3_T4_T5_T6_T7_T9_mT8_P12ihipStream_tbDpT10_ENKUlT_T0_E_clISt17integral_constantIbLb1EES1D_IbLb0EEEEDaS19_S1A_EUlS19_E_NS1_11comp_targetILNS1_3genE3ELNS1_11target_archE908ELNS1_3gpuE7ELNS1_3repE0EEENS1_30default_config_static_selectorELNS0_4arch9wavefront6targetE0EEEvT1_,@function
_ZN7rocprim17ROCPRIM_400000_NS6detail17trampoline_kernelINS0_14default_configENS1_25partition_config_selectorILNS1_17partition_subalgoE5ElNS0_10empty_typeEbEEZZNS1_14partition_implILS5_5ELb0ES3_mN6hipcub16HIPCUB_304000_NS21CountingInputIteratorIllEEPS6_NSA_22TransformInputIteratorIbN2at6native12_GLOBAL__N_19NonZeroOpIN3c107complexIfEEEEPKSL_lEENS0_5tupleIJPlS6_EEENSQ_IJSD_SD_EEES6_PiJS6_EEE10hipError_tPvRmT3_T4_T5_T6_T7_T9_mT8_P12ihipStream_tbDpT10_ENKUlT_T0_E_clISt17integral_constantIbLb1EES1D_IbLb0EEEEDaS19_S1A_EUlS19_E_NS1_11comp_targetILNS1_3genE3ELNS1_11target_archE908ELNS1_3gpuE7ELNS1_3repE0EEENS1_30default_config_static_selectorELNS0_4arch9wavefront6targetE0EEEvT1_: ; @_ZN7rocprim17ROCPRIM_400000_NS6detail17trampoline_kernelINS0_14default_configENS1_25partition_config_selectorILNS1_17partition_subalgoE5ElNS0_10empty_typeEbEEZZNS1_14partition_implILS5_5ELb0ES3_mN6hipcub16HIPCUB_304000_NS21CountingInputIteratorIllEEPS6_NSA_22TransformInputIteratorIbN2at6native12_GLOBAL__N_19NonZeroOpIN3c107complexIfEEEEPKSL_lEENS0_5tupleIJPlS6_EEENSQ_IJSD_SD_EEES6_PiJS6_EEE10hipError_tPvRmT3_T4_T5_T6_T7_T9_mT8_P12ihipStream_tbDpT10_ENKUlT_T0_E_clISt17integral_constantIbLb1EES1D_IbLb0EEEEDaS19_S1A_EUlS19_E_NS1_11comp_targetILNS1_3genE3ELNS1_11target_archE908ELNS1_3gpuE7ELNS1_3repE0EEENS1_30default_config_static_selectorELNS0_4arch9wavefront6targetE0EEEvT1_
; %bb.0:
	.section	.rodata,"a",@progbits
	.p2align	6, 0x0
	.amdhsa_kernel _ZN7rocprim17ROCPRIM_400000_NS6detail17trampoline_kernelINS0_14default_configENS1_25partition_config_selectorILNS1_17partition_subalgoE5ElNS0_10empty_typeEbEEZZNS1_14partition_implILS5_5ELb0ES3_mN6hipcub16HIPCUB_304000_NS21CountingInputIteratorIllEEPS6_NSA_22TransformInputIteratorIbN2at6native12_GLOBAL__N_19NonZeroOpIN3c107complexIfEEEEPKSL_lEENS0_5tupleIJPlS6_EEENSQ_IJSD_SD_EEES6_PiJS6_EEE10hipError_tPvRmT3_T4_T5_T6_T7_T9_mT8_P12ihipStream_tbDpT10_ENKUlT_T0_E_clISt17integral_constantIbLb1EES1D_IbLb0EEEEDaS19_S1A_EUlS19_E_NS1_11comp_targetILNS1_3genE3ELNS1_11target_archE908ELNS1_3gpuE7ELNS1_3repE0EEENS1_30default_config_static_selectorELNS0_4arch9wavefront6targetE0EEEvT1_
		.amdhsa_group_segment_fixed_size 0
		.amdhsa_private_segment_fixed_size 0
		.amdhsa_kernarg_size 120
		.amdhsa_user_sgpr_count 15
		.amdhsa_user_sgpr_dispatch_ptr 0
		.amdhsa_user_sgpr_queue_ptr 0
		.amdhsa_user_sgpr_kernarg_segment_ptr 1
		.amdhsa_user_sgpr_dispatch_id 0
		.amdhsa_user_sgpr_private_segment_size 0
		.amdhsa_wavefront_size32 1
		.amdhsa_uses_dynamic_stack 0
		.amdhsa_enable_private_segment 0
		.amdhsa_system_sgpr_workgroup_id_x 1
		.amdhsa_system_sgpr_workgroup_id_y 0
		.amdhsa_system_sgpr_workgroup_id_z 0
		.amdhsa_system_sgpr_workgroup_info 0
		.amdhsa_system_vgpr_workitem_id 0
		.amdhsa_next_free_vgpr 1
		.amdhsa_next_free_sgpr 1
		.amdhsa_reserve_vcc 0
		.amdhsa_float_round_mode_32 0
		.amdhsa_float_round_mode_16_64 0
		.amdhsa_float_denorm_mode_32 3
		.amdhsa_float_denorm_mode_16_64 3
		.amdhsa_dx10_clamp 1
		.amdhsa_ieee_mode 1
		.amdhsa_fp16_overflow 0
		.amdhsa_workgroup_processor_mode 1
		.amdhsa_memory_ordered 1
		.amdhsa_forward_progress 0
		.amdhsa_shared_vgpr_count 0
		.amdhsa_exception_fp_ieee_invalid_op 0
		.amdhsa_exception_fp_denorm_src 0
		.amdhsa_exception_fp_ieee_div_zero 0
		.amdhsa_exception_fp_ieee_overflow 0
		.amdhsa_exception_fp_ieee_underflow 0
		.amdhsa_exception_fp_ieee_inexact 0
		.amdhsa_exception_int_div_zero 0
	.end_amdhsa_kernel
	.section	.text._ZN7rocprim17ROCPRIM_400000_NS6detail17trampoline_kernelINS0_14default_configENS1_25partition_config_selectorILNS1_17partition_subalgoE5ElNS0_10empty_typeEbEEZZNS1_14partition_implILS5_5ELb0ES3_mN6hipcub16HIPCUB_304000_NS21CountingInputIteratorIllEEPS6_NSA_22TransformInputIteratorIbN2at6native12_GLOBAL__N_19NonZeroOpIN3c107complexIfEEEEPKSL_lEENS0_5tupleIJPlS6_EEENSQ_IJSD_SD_EEES6_PiJS6_EEE10hipError_tPvRmT3_T4_T5_T6_T7_T9_mT8_P12ihipStream_tbDpT10_ENKUlT_T0_E_clISt17integral_constantIbLb1EES1D_IbLb0EEEEDaS19_S1A_EUlS19_E_NS1_11comp_targetILNS1_3genE3ELNS1_11target_archE908ELNS1_3gpuE7ELNS1_3repE0EEENS1_30default_config_static_selectorELNS0_4arch9wavefront6targetE0EEEvT1_,"axG",@progbits,_ZN7rocprim17ROCPRIM_400000_NS6detail17trampoline_kernelINS0_14default_configENS1_25partition_config_selectorILNS1_17partition_subalgoE5ElNS0_10empty_typeEbEEZZNS1_14partition_implILS5_5ELb0ES3_mN6hipcub16HIPCUB_304000_NS21CountingInputIteratorIllEEPS6_NSA_22TransformInputIteratorIbN2at6native12_GLOBAL__N_19NonZeroOpIN3c107complexIfEEEEPKSL_lEENS0_5tupleIJPlS6_EEENSQ_IJSD_SD_EEES6_PiJS6_EEE10hipError_tPvRmT3_T4_T5_T6_T7_T9_mT8_P12ihipStream_tbDpT10_ENKUlT_T0_E_clISt17integral_constantIbLb1EES1D_IbLb0EEEEDaS19_S1A_EUlS19_E_NS1_11comp_targetILNS1_3genE3ELNS1_11target_archE908ELNS1_3gpuE7ELNS1_3repE0EEENS1_30default_config_static_selectorELNS0_4arch9wavefront6targetE0EEEvT1_,comdat
.Lfunc_end613:
	.size	_ZN7rocprim17ROCPRIM_400000_NS6detail17trampoline_kernelINS0_14default_configENS1_25partition_config_selectorILNS1_17partition_subalgoE5ElNS0_10empty_typeEbEEZZNS1_14partition_implILS5_5ELb0ES3_mN6hipcub16HIPCUB_304000_NS21CountingInputIteratorIllEEPS6_NSA_22TransformInputIteratorIbN2at6native12_GLOBAL__N_19NonZeroOpIN3c107complexIfEEEEPKSL_lEENS0_5tupleIJPlS6_EEENSQ_IJSD_SD_EEES6_PiJS6_EEE10hipError_tPvRmT3_T4_T5_T6_T7_T9_mT8_P12ihipStream_tbDpT10_ENKUlT_T0_E_clISt17integral_constantIbLb1EES1D_IbLb0EEEEDaS19_S1A_EUlS19_E_NS1_11comp_targetILNS1_3genE3ELNS1_11target_archE908ELNS1_3gpuE7ELNS1_3repE0EEENS1_30default_config_static_selectorELNS0_4arch9wavefront6targetE0EEEvT1_, .Lfunc_end613-_ZN7rocprim17ROCPRIM_400000_NS6detail17trampoline_kernelINS0_14default_configENS1_25partition_config_selectorILNS1_17partition_subalgoE5ElNS0_10empty_typeEbEEZZNS1_14partition_implILS5_5ELb0ES3_mN6hipcub16HIPCUB_304000_NS21CountingInputIteratorIllEEPS6_NSA_22TransformInputIteratorIbN2at6native12_GLOBAL__N_19NonZeroOpIN3c107complexIfEEEEPKSL_lEENS0_5tupleIJPlS6_EEENSQ_IJSD_SD_EEES6_PiJS6_EEE10hipError_tPvRmT3_T4_T5_T6_T7_T9_mT8_P12ihipStream_tbDpT10_ENKUlT_T0_E_clISt17integral_constantIbLb1EES1D_IbLb0EEEEDaS19_S1A_EUlS19_E_NS1_11comp_targetILNS1_3genE3ELNS1_11target_archE908ELNS1_3gpuE7ELNS1_3repE0EEENS1_30default_config_static_selectorELNS0_4arch9wavefront6targetE0EEEvT1_
                                        ; -- End function
	.section	.AMDGPU.csdata,"",@progbits
; Kernel info:
; codeLenInByte = 0
; NumSgprs: 0
; NumVgprs: 0
; ScratchSize: 0
; MemoryBound: 0
; FloatMode: 240
; IeeeMode: 1
; LDSByteSize: 0 bytes/workgroup (compile time only)
; SGPRBlocks: 0
; VGPRBlocks: 0
; NumSGPRsForWavesPerEU: 1
; NumVGPRsForWavesPerEU: 1
; Occupancy: 16
; WaveLimiterHint : 0
; COMPUTE_PGM_RSRC2:SCRATCH_EN: 0
; COMPUTE_PGM_RSRC2:USER_SGPR: 15
; COMPUTE_PGM_RSRC2:TRAP_HANDLER: 0
; COMPUTE_PGM_RSRC2:TGID_X_EN: 1
; COMPUTE_PGM_RSRC2:TGID_Y_EN: 0
; COMPUTE_PGM_RSRC2:TGID_Z_EN: 0
; COMPUTE_PGM_RSRC2:TIDIG_COMP_CNT: 0
	.section	.text._ZN7rocprim17ROCPRIM_400000_NS6detail17trampoline_kernelINS0_14default_configENS1_25partition_config_selectorILNS1_17partition_subalgoE5ElNS0_10empty_typeEbEEZZNS1_14partition_implILS5_5ELb0ES3_mN6hipcub16HIPCUB_304000_NS21CountingInputIteratorIllEEPS6_NSA_22TransformInputIteratorIbN2at6native12_GLOBAL__N_19NonZeroOpIN3c107complexIfEEEEPKSL_lEENS0_5tupleIJPlS6_EEENSQ_IJSD_SD_EEES6_PiJS6_EEE10hipError_tPvRmT3_T4_T5_T6_T7_T9_mT8_P12ihipStream_tbDpT10_ENKUlT_T0_E_clISt17integral_constantIbLb1EES1D_IbLb0EEEEDaS19_S1A_EUlS19_E_NS1_11comp_targetILNS1_3genE2ELNS1_11target_archE906ELNS1_3gpuE6ELNS1_3repE0EEENS1_30default_config_static_selectorELNS0_4arch9wavefront6targetE0EEEvT1_,"axG",@progbits,_ZN7rocprim17ROCPRIM_400000_NS6detail17trampoline_kernelINS0_14default_configENS1_25partition_config_selectorILNS1_17partition_subalgoE5ElNS0_10empty_typeEbEEZZNS1_14partition_implILS5_5ELb0ES3_mN6hipcub16HIPCUB_304000_NS21CountingInputIteratorIllEEPS6_NSA_22TransformInputIteratorIbN2at6native12_GLOBAL__N_19NonZeroOpIN3c107complexIfEEEEPKSL_lEENS0_5tupleIJPlS6_EEENSQ_IJSD_SD_EEES6_PiJS6_EEE10hipError_tPvRmT3_T4_T5_T6_T7_T9_mT8_P12ihipStream_tbDpT10_ENKUlT_T0_E_clISt17integral_constantIbLb1EES1D_IbLb0EEEEDaS19_S1A_EUlS19_E_NS1_11comp_targetILNS1_3genE2ELNS1_11target_archE906ELNS1_3gpuE6ELNS1_3repE0EEENS1_30default_config_static_selectorELNS0_4arch9wavefront6targetE0EEEvT1_,comdat
	.globl	_ZN7rocprim17ROCPRIM_400000_NS6detail17trampoline_kernelINS0_14default_configENS1_25partition_config_selectorILNS1_17partition_subalgoE5ElNS0_10empty_typeEbEEZZNS1_14partition_implILS5_5ELb0ES3_mN6hipcub16HIPCUB_304000_NS21CountingInputIteratorIllEEPS6_NSA_22TransformInputIteratorIbN2at6native12_GLOBAL__N_19NonZeroOpIN3c107complexIfEEEEPKSL_lEENS0_5tupleIJPlS6_EEENSQ_IJSD_SD_EEES6_PiJS6_EEE10hipError_tPvRmT3_T4_T5_T6_T7_T9_mT8_P12ihipStream_tbDpT10_ENKUlT_T0_E_clISt17integral_constantIbLb1EES1D_IbLb0EEEEDaS19_S1A_EUlS19_E_NS1_11comp_targetILNS1_3genE2ELNS1_11target_archE906ELNS1_3gpuE6ELNS1_3repE0EEENS1_30default_config_static_selectorELNS0_4arch9wavefront6targetE0EEEvT1_ ; -- Begin function _ZN7rocprim17ROCPRIM_400000_NS6detail17trampoline_kernelINS0_14default_configENS1_25partition_config_selectorILNS1_17partition_subalgoE5ElNS0_10empty_typeEbEEZZNS1_14partition_implILS5_5ELb0ES3_mN6hipcub16HIPCUB_304000_NS21CountingInputIteratorIllEEPS6_NSA_22TransformInputIteratorIbN2at6native12_GLOBAL__N_19NonZeroOpIN3c107complexIfEEEEPKSL_lEENS0_5tupleIJPlS6_EEENSQ_IJSD_SD_EEES6_PiJS6_EEE10hipError_tPvRmT3_T4_T5_T6_T7_T9_mT8_P12ihipStream_tbDpT10_ENKUlT_T0_E_clISt17integral_constantIbLb1EES1D_IbLb0EEEEDaS19_S1A_EUlS19_E_NS1_11comp_targetILNS1_3genE2ELNS1_11target_archE906ELNS1_3gpuE6ELNS1_3repE0EEENS1_30default_config_static_selectorELNS0_4arch9wavefront6targetE0EEEvT1_
	.p2align	8
	.type	_ZN7rocprim17ROCPRIM_400000_NS6detail17trampoline_kernelINS0_14default_configENS1_25partition_config_selectorILNS1_17partition_subalgoE5ElNS0_10empty_typeEbEEZZNS1_14partition_implILS5_5ELb0ES3_mN6hipcub16HIPCUB_304000_NS21CountingInputIteratorIllEEPS6_NSA_22TransformInputIteratorIbN2at6native12_GLOBAL__N_19NonZeroOpIN3c107complexIfEEEEPKSL_lEENS0_5tupleIJPlS6_EEENSQ_IJSD_SD_EEES6_PiJS6_EEE10hipError_tPvRmT3_T4_T5_T6_T7_T9_mT8_P12ihipStream_tbDpT10_ENKUlT_T0_E_clISt17integral_constantIbLb1EES1D_IbLb0EEEEDaS19_S1A_EUlS19_E_NS1_11comp_targetILNS1_3genE2ELNS1_11target_archE906ELNS1_3gpuE6ELNS1_3repE0EEENS1_30default_config_static_selectorELNS0_4arch9wavefront6targetE0EEEvT1_,@function
_ZN7rocprim17ROCPRIM_400000_NS6detail17trampoline_kernelINS0_14default_configENS1_25partition_config_selectorILNS1_17partition_subalgoE5ElNS0_10empty_typeEbEEZZNS1_14partition_implILS5_5ELb0ES3_mN6hipcub16HIPCUB_304000_NS21CountingInputIteratorIllEEPS6_NSA_22TransformInputIteratorIbN2at6native12_GLOBAL__N_19NonZeroOpIN3c107complexIfEEEEPKSL_lEENS0_5tupleIJPlS6_EEENSQ_IJSD_SD_EEES6_PiJS6_EEE10hipError_tPvRmT3_T4_T5_T6_T7_T9_mT8_P12ihipStream_tbDpT10_ENKUlT_T0_E_clISt17integral_constantIbLb1EES1D_IbLb0EEEEDaS19_S1A_EUlS19_E_NS1_11comp_targetILNS1_3genE2ELNS1_11target_archE906ELNS1_3gpuE6ELNS1_3repE0EEENS1_30default_config_static_selectorELNS0_4arch9wavefront6targetE0EEEvT1_: ; @_ZN7rocprim17ROCPRIM_400000_NS6detail17trampoline_kernelINS0_14default_configENS1_25partition_config_selectorILNS1_17partition_subalgoE5ElNS0_10empty_typeEbEEZZNS1_14partition_implILS5_5ELb0ES3_mN6hipcub16HIPCUB_304000_NS21CountingInputIteratorIllEEPS6_NSA_22TransformInputIteratorIbN2at6native12_GLOBAL__N_19NonZeroOpIN3c107complexIfEEEEPKSL_lEENS0_5tupleIJPlS6_EEENSQ_IJSD_SD_EEES6_PiJS6_EEE10hipError_tPvRmT3_T4_T5_T6_T7_T9_mT8_P12ihipStream_tbDpT10_ENKUlT_T0_E_clISt17integral_constantIbLb1EES1D_IbLb0EEEEDaS19_S1A_EUlS19_E_NS1_11comp_targetILNS1_3genE2ELNS1_11target_archE906ELNS1_3gpuE6ELNS1_3repE0EEENS1_30default_config_static_selectorELNS0_4arch9wavefront6targetE0EEEvT1_
; %bb.0:
	.section	.rodata,"a",@progbits
	.p2align	6, 0x0
	.amdhsa_kernel _ZN7rocprim17ROCPRIM_400000_NS6detail17trampoline_kernelINS0_14default_configENS1_25partition_config_selectorILNS1_17partition_subalgoE5ElNS0_10empty_typeEbEEZZNS1_14partition_implILS5_5ELb0ES3_mN6hipcub16HIPCUB_304000_NS21CountingInputIteratorIllEEPS6_NSA_22TransformInputIteratorIbN2at6native12_GLOBAL__N_19NonZeroOpIN3c107complexIfEEEEPKSL_lEENS0_5tupleIJPlS6_EEENSQ_IJSD_SD_EEES6_PiJS6_EEE10hipError_tPvRmT3_T4_T5_T6_T7_T9_mT8_P12ihipStream_tbDpT10_ENKUlT_T0_E_clISt17integral_constantIbLb1EES1D_IbLb0EEEEDaS19_S1A_EUlS19_E_NS1_11comp_targetILNS1_3genE2ELNS1_11target_archE906ELNS1_3gpuE6ELNS1_3repE0EEENS1_30default_config_static_selectorELNS0_4arch9wavefront6targetE0EEEvT1_
		.amdhsa_group_segment_fixed_size 0
		.amdhsa_private_segment_fixed_size 0
		.amdhsa_kernarg_size 120
		.amdhsa_user_sgpr_count 15
		.amdhsa_user_sgpr_dispatch_ptr 0
		.amdhsa_user_sgpr_queue_ptr 0
		.amdhsa_user_sgpr_kernarg_segment_ptr 1
		.amdhsa_user_sgpr_dispatch_id 0
		.amdhsa_user_sgpr_private_segment_size 0
		.amdhsa_wavefront_size32 1
		.amdhsa_uses_dynamic_stack 0
		.amdhsa_enable_private_segment 0
		.amdhsa_system_sgpr_workgroup_id_x 1
		.amdhsa_system_sgpr_workgroup_id_y 0
		.amdhsa_system_sgpr_workgroup_id_z 0
		.amdhsa_system_sgpr_workgroup_info 0
		.amdhsa_system_vgpr_workitem_id 0
		.amdhsa_next_free_vgpr 1
		.amdhsa_next_free_sgpr 1
		.amdhsa_reserve_vcc 0
		.amdhsa_float_round_mode_32 0
		.amdhsa_float_round_mode_16_64 0
		.amdhsa_float_denorm_mode_32 3
		.amdhsa_float_denorm_mode_16_64 3
		.amdhsa_dx10_clamp 1
		.amdhsa_ieee_mode 1
		.amdhsa_fp16_overflow 0
		.amdhsa_workgroup_processor_mode 1
		.amdhsa_memory_ordered 1
		.amdhsa_forward_progress 0
		.amdhsa_shared_vgpr_count 0
		.amdhsa_exception_fp_ieee_invalid_op 0
		.amdhsa_exception_fp_denorm_src 0
		.amdhsa_exception_fp_ieee_div_zero 0
		.amdhsa_exception_fp_ieee_overflow 0
		.amdhsa_exception_fp_ieee_underflow 0
		.amdhsa_exception_fp_ieee_inexact 0
		.amdhsa_exception_int_div_zero 0
	.end_amdhsa_kernel
	.section	.text._ZN7rocprim17ROCPRIM_400000_NS6detail17trampoline_kernelINS0_14default_configENS1_25partition_config_selectorILNS1_17partition_subalgoE5ElNS0_10empty_typeEbEEZZNS1_14partition_implILS5_5ELb0ES3_mN6hipcub16HIPCUB_304000_NS21CountingInputIteratorIllEEPS6_NSA_22TransformInputIteratorIbN2at6native12_GLOBAL__N_19NonZeroOpIN3c107complexIfEEEEPKSL_lEENS0_5tupleIJPlS6_EEENSQ_IJSD_SD_EEES6_PiJS6_EEE10hipError_tPvRmT3_T4_T5_T6_T7_T9_mT8_P12ihipStream_tbDpT10_ENKUlT_T0_E_clISt17integral_constantIbLb1EES1D_IbLb0EEEEDaS19_S1A_EUlS19_E_NS1_11comp_targetILNS1_3genE2ELNS1_11target_archE906ELNS1_3gpuE6ELNS1_3repE0EEENS1_30default_config_static_selectorELNS0_4arch9wavefront6targetE0EEEvT1_,"axG",@progbits,_ZN7rocprim17ROCPRIM_400000_NS6detail17trampoline_kernelINS0_14default_configENS1_25partition_config_selectorILNS1_17partition_subalgoE5ElNS0_10empty_typeEbEEZZNS1_14partition_implILS5_5ELb0ES3_mN6hipcub16HIPCUB_304000_NS21CountingInputIteratorIllEEPS6_NSA_22TransformInputIteratorIbN2at6native12_GLOBAL__N_19NonZeroOpIN3c107complexIfEEEEPKSL_lEENS0_5tupleIJPlS6_EEENSQ_IJSD_SD_EEES6_PiJS6_EEE10hipError_tPvRmT3_T4_T5_T6_T7_T9_mT8_P12ihipStream_tbDpT10_ENKUlT_T0_E_clISt17integral_constantIbLb1EES1D_IbLb0EEEEDaS19_S1A_EUlS19_E_NS1_11comp_targetILNS1_3genE2ELNS1_11target_archE906ELNS1_3gpuE6ELNS1_3repE0EEENS1_30default_config_static_selectorELNS0_4arch9wavefront6targetE0EEEvT1_,comdat
.Lfunc_end614:
	.size	_ZN7rocprim17ROCPRIM_400000_NS6detail17trampoline_kernelINS0_14default_configENS1_25partition_config_selectorILNS1_17partition_subalgoE5ElNS0_10empty_typeEbEEZZNS1_14partition_implILS5_5ELb0ES3_mN6hipcub16HIPCUB_304000_NS21CountingInputIteratorIllEEPS6_NSA_22TransformInputIteratorIbN2at6native12_GLOBAL__N_19NonZeroOpIN3c107complexIfEEEEPKSL_lEENS0_5tupleIJPlS6_EEENSQ_IJSD_SD_EEES6_PiJS6_EEE10hipError_tPvRmT3_T4_T5_T6_T7_T9_mT8_P12ihipStream_tbDpT10_ENKUlT_T0_E_clISt17integral_constantIbLb1EES1D_IbLb0EEEEDaS19_S1A_EUlS19_E_NS1_11comp_targetILNS1_3genE2ELNS1_11target_archE906ELNS1_3gpuE6ELNS1_3repE0EEENS1_30default_config_static_selectorELNS0_4arch9wavefront6targetE0EEEvT1_, .Lfunc_end614-_ZN7rocprim17ROCPRIM_400000_NS6detail17trampoline_kernelINS0_14default_configENS1_25partition_config_selectorILNS1_17partition_subalgoE5ElNS0_10empty_typeEbEEZZNS1_14partition_implILS5_5ELb0ES3_mN6hipcub16HIPCUB_304000_NS21CountingInputIteratorIllEEPS6_NSA_22TransformInputIteratorIbN2at6native12_GLOBAL__N_19NonZeroOpIN3c107complexIfEEEEPKSL_lEENS0_5tupleIJPlS6_EEENSQ_IJSD_SD_EEES6_PiJS6_EEE10hipError_tPvRmT3_T4_T5_T6_T7_T9_mT8_P12ihipStream_tbDpT10_ENKUlT_T0_E_clISt17integral_constantIbLb1EES1D_IbLb0EEEEDaS19_S1A_EUlS19_E_NS1_11comp_targetILNS1_3genE2ELNS1_11target_archE906ELNS1_3gpuE6ELNS1_3repE0EEENS1_30default_config_static_selectorELNS0_4arch9wavefront6targetE0EEEvT1_
                                        ; -- End function
	.section	.AMDGPU.csdata,"",@progbits
; Kernel info:
; codeLenInByte = 0
; NumSgprs: 0
; NumVgprs: 0
; ScratchSize: 0
; MemoryBound: 0
; FloatMode: 240
; IeeeMode: 1
; LDSByteSize: 0 bytes/workgroup (compile time only)
; SGPRBlocks: 0
; VGPRBlocks: 0
; NumSGPRsForWavesPerEU: 1
; NumVGPRsForWavesPerEU: 1
; Occupancy: 16
; WaveLimiterHint : 0
; COMPUTE_PGM_RSRC2:SCRATCH_EN: 0
; COMPUTE_PGM_RSRC2:USER_SGPR: 15
; COMPUTE_PGM_RSRC2:TRAP_HANDLER: 0
; COMPUTE_PGM_RSRC2:TGID_X_EN: 1
; COMPUTE_PGM_RSRC2:TGID_Y_EN: 0
; COMPUTE_PGM_RSRC2:TGID_Z_EN: 0
; COMPUTE_PGM_RSRC2:TIDIG_COMP_CNT: 0
	.section	.text._ZN7rocprim17ROCPRIM_400000_NS6detail17trampoline_kernelINS0_14default_configENS1_25partition_config_selectorILNS1_17partition_subalgoE5ElNS0_10empty_typeEbEEZZNS1_14partition_implILS5_5ELb0ES3_mN6hipcub16HIPCUB_304000_NS21CountingInputIteratorIllEEPS6_NSA_22TransformInputIteratorIbN2at6native12_GLOBAL__N_19NonZeroOpIN3c107complexIfEEEEPKSL_lEENS0_5tupleIJPlS6_EEENSQ_IJSD_SD_EEES6_PiJS6_EEE10hipError_tPvRmT3_T4_T5_T6_T7_T9_mT8_P12ihipStream_tbDpT10_ENKUlT_T0_E_clISt17integral_constantIbLb1EES1D_IbLb0EEEEDaS19_S1A_EUlS19_E_NS1_11comp_targetILNS1_3genE10ELNS1_11target_archE1200ELNS1_3gpuE4ELNS1_3repE0EEENS1_30default_config_static_selectorELNS0_4arch9wavefront6targetE0EEEvT1_,"axG",@progbits,_ZN7rocprim17ROCPRIM_400000_NS6detail17trampoline_kernelINS0_14default_configENS1_25partition_config_selectorILNS1_17partition_subalgoE5ElNS0_10empty_typeEbEEZZNS1_14partition_implILS5_5ELb0ES3_mN6hipcub16HIPCUB_304000_NS21CountingInputIteratorIllEEPS6_NSA_22TransformInputIteratorIbN2at6native12_GLOBAL__N_19NonZeroOpIN3c107complexIfEEEEPKSL_lEENS0_5tupleIJPlS6_EEENSQ_IJSD_SD_EEES6_PiJS6_EEE10hipError_tPvRmT3_T4_T5_T6_T7_T9_mT8_P12ihipStream_tbDpT10_ENKUlT_T0_E_clISt17integral_constantIbLb1EES1D_IbLb0EEEEDaS19_S1A_EUlS19_E_NS1_11comp_targetILNS1_3genE10ELNS1_11target_archE1200ELNS1_3gpuE4ELNS1_3repE0EEENS1_30default_config_static_selectorELNS0_4arch9wavefront6targetE0EEEvT1_,comdat
	.globl	_ZN7rocprim17ROCPRIM_400000_NS6detail17trampoline_kernelINS0_14default_configENS1_25partition_config_selectorILNS1_17partition_subalgoE5ElNS0_10empty_typeEbEEZZNS1_14partition_implILS5_5ELb0ES3_mN6hipcub16HIPCUB_304000_NS21CountingInputIteratorIllEEPS6_NSA_22TransformInputIteratorIbN2at6native12_GLOBAL__N_19NonZeroOpIN3c107complexIfEEEEPKSL_lEENS0_5tupleIJPlS6_EEENSQ_IJSD_SD_EEES6_PiJS6_EEE10hipError_tPvRmT3_T4_T5_T6_T7_T9_mT8_P12ihipStream_tbDpT10_ENKUlT_T0_E_clISt17integral_constantIbLb1EES1D_IbLb0EEEEDaS19_S1A_EUlS19_E_NS1_11comp_targetILNS1_3genE10ELNS1_11target_archE1200ELNS1_3gpuE4ELNS1_3repE0EEENS1_30default_config_static_selectorELNS0_4arch9wavefront6targetE0EEEvT1_ ; -- Begin function _ZN7rocprim17ROCPRIM_400000_NS6detail17trampoline_kernelINS0_14default_configENS1_25partition_config_selectorILNS1_17partition_subalgoE5ElNS0_10empty_typeEbEEZZNS1_14partition_implILS5_5ELb0ES3_mN6hipcub16HIPCUB_304000_NS21CountingInputIteratorIllEEPS6_NSA_22TransformInputIteratorIbN2at6native12_GLOBAL__N_19NonZeroOpIN3c107complexIfEEEEPKSL_lEENS0_5tupleIJPlS6_EEENSQ_IJSD_SD_EEES6_PiJS6_EEE10hipError_tPvRmT3_T4_T5_T6_T7_T9_mT8_P12ihipStream_tbDpT10_ENKUlT_T0_E_clISt17integral_constantIbLb1EES1D_IbLb0EEEEDaS19_S1A_EUlS19_E_NS1_11comp_targetILNS1_3genE10ELNS1_11target_archE1200ELNS1_3gpuE4ELNS1_3repE0EEENS1_30default_config_static_selectorELNS0_4arch9wavefront6targetE0EEEvT1_
	.p2align	8
	.type	_ZN7rocprim17ROCPRIM_400000_NS6detail17trampoline_kernelINS0_14default_configENS1_25partition_config_selectorILNS1_17partition_subalgoE5ElNS0_10empty_typeEbEEZZNS1_14partition_implILS5_5ELb0ES3_mN6hipcub16HIPCUB_304000_NS21CountingInputIteratorIllEEPS6_NSA_22TransformInputIteratorIbN2at6native12_GLOBAL__N_19NonZeroOpIN3c107complexIfEEEEPKSL_lEENS0_5tupleIJPlS6_EEENSQ_IJSD_SD_EEES6_PiJS6_EEE10hipError_tPvRmT3_T4_T5_T6_T7_T9_mT8_P12ihipStream_tbDpT10_ENKUlT_T0_E_clISt17integral_constantIbLb1EES1D_IbLb0EEEEDaS19_S1A_EUlS19_E_NS1_11comp_targetILNS1_3genE10ELNS1_11target_archE1200ELNS1_3gpuE4ELNS1_3repE0EEENS1_30default_config_static_selectorELNS0_4arch9wavefront6targetE0EEEvT1_,@function
_ZN7rocprim17ROCPRIM_400000_NS6detail17trampoline_kernelINS0_14default_configENS1_25partition_config_selectorILNS1_17partition_subalgoE5ElNS0_10empty_typeEbEEZZNS1_14partition_implILS5_5ELb0ES3_mN6hipcub16HIPCUB_304000_NS21CountingInputIteratorIllEEPS6_NSA_22TransformInputIteratorIbN2at6native12_GLOBAL__N_19NonZeroOpIN3c107complexIfEEEEPKSL_lEENS0_5tupleIJPlS6_EEENSQ_IJSD_SD_EEES6_PiJS6_EEE10hipError_tPvRmT3_T4_T5_T6_T7_T9_mT8_P12ihipStream_tbDpT10_ENKUlT_T0_E_clISt17integral_constantIbLb1EES1D_IbLb0EEEEDaS19_S1A_EUlS19_E_NS1_11comp_targetILNS1_3genE10ELNS1_11target_archE1200ELNS1_3gpuE4ELNS1_3repE0EEENS1_30default_config_static_selectorELNS0_4arch9wavefront6targetE0EEEvT1_: ; @_ZN7rocprim17ROCPRIM_400000_NS6detail17trampoline_kernelINS0_14default_configENS1_25partition_config_selectorILNS1_17partition_subalgoE5ElNS0_10empty_typeEbEEZZNS1_14partition_implILS5_5ELb0ES3_mN6hipcub16HIPCUB_304000_NS21CountingInputIteratorIllEEPS6_NSA_22TransformInputIteratorIbN2at6native12_GLOBAL__N_19NonZeroOpIN3c107complexIfEEEEPKSL_lEENS0_5tupleIJPlS6_EEENSQ_IJSD_SD_EEES6_PiJS6_EEE10hipError_tPvRmT3_T4_T5_T6_T7_T9_mT8_P12ihipStream_tbDpT10_ENKUlT_T0_E_clISt17integral_constantIbLb1EES1D_IbLb0EEEEDaS19_S1A_EUlS19_E_NS1_11comp_targetILNS1_3genE10ELNS1_11target_archE1200ELNS1_3gpuE4ELNS1_3repE0EEENS1_30default_config_static_selectorELNS0_4arch9wavefront6targetE0EEEvT1_
; %bb.0:
	.section	.rodata,"a",@progbits
	.p2align	6, 0x0
	.amdhsa_kernel _ZN7rocprim17ROCPRIM_400000_NS6detail17trampoline_kernelINS0_14default_configENS1_25partition_config_selectorILNS1_17partition_subalgoE5ElNS0_10empty_typeEbEEZZNS1_14partition_implILS5_5ELb0ES3_mN6hipcub16HIPCUB_304000_NS21CountingInputIteratorIllEEPS6_NSA_22TransformInputIteratorIbN2at6native12_GLOBAL__N_19NonZeroOpIN3c107complexIfEEEEPKSL_lEENS0_5tupleIJPlS6_EEENSQ_IJSD_SD_EEES6_PiJS6_EEE10hipError_tPvRmT3_T4_T5_T6_T7_T9_mT8_P12ihipStream_tbDpT10_ENKUlT_T0_E_clISt17integral_constantIbLb1EES1D_IbLb0EEEEDaS19_S1A_EUlS19_E_NS1_11comp_targetILNS1_3genE10ELNS1_11target_archE1200ELNS1_3gpuE4ELNS1_3repE0EEENS1_30default_config_static_selectorELNS0_4arch9wavefront6targetE0EEEvT1_
		.amdhsa_group_segment_fixed_size 0
		.amdhsa_private_segment_fixed_size 0
		.amdhsa_kernarg_size 120
		.amdhsa_user_sgpr_count 15
		.amdhsa_user_sgpr_dispatch_ptr 0
		.amdhsa_user_sgpr_queue_ptr 0
		.amdhsa_user_sgpr_kernarg_segment_ptr 1
		.amdhsa_user_sgpr_dispatch_id 0
		.amdhsa_user_sgpr_private_segment_size 0
		.amdhsa_wavefront_size32 1
		.amdhsa_uses_dynamic_stack 0
		.amdhsa_enable_private_segment 0
		.amdhsa_system_sgpr_workgroup_id_x 1
		.amdhsa_system_sgpr_workgroup_id_y 0
		.amdhsa_system_sgpr_workgroup_id_z 0
		.amdhsa_system_sgpr_workgroup_info 0
		.amdhsa_system_vgpr_workitem_id 0
		.amdhsa_next_free_vgpr 1
		.amdhsa_next_free_sgpr 1
		.amdhsa_reserve_vcc 0
		.amdhsa_float_round_mode_32 0
		.amdhsa_float_round_mode_16_64 0
		.amdhsa_float_denorm_mode_32 3
		.amdhsa_float_denorm_mode_16_64 3
		.amdhsa_dx10_clamp 1
		.amdhsa_ieee_mode 1
		.amdhsa_fp16_overflow 0
		.amdhsa_workgroup_processor_mode 1
		.amdhsa_memory_ordered 1
		.amdhsa_forward_progress 0
		.amdhsa_shared_vgpr_count 0
		.amdhsa_exception_fp_ieee_invalid_op 0
		.amdhsa_exception_fp_denorm_src 0
		.amdhsa_exception_fp_ieee_div_zero 0
		.amdhsa_exception_fp_ieee_overflow 0
		.amdhsa_exception_fp_ieee_underflow 0
		.amdhsa_exception_fp_ieee_inexact 0
		.amdhsa_exception_int_div_zero 0
	.end_amdhsa_kernel
	.section	.text._ZN7rocprim17ROCPRIM_400000_NS6detail17trampoline_kernelINS0_14default_configENS1_25partition_config_selectorILNS1_17partition_subalgoE5ElNS0_10empty_typeEbEEZZNS1_14partition_implILS5_5ELb0ES3_mN6hipcub16HIPCUB_304000_NS21CountingInputIteratorIllEEPS6_NSA_22TransformInputIteratorIbN2at6native12_GLOBAL__N_19NonZeroOpIN3c107complexIfEEEEPKSL_lEENS0_5tupleIJPlS6_EEENSQ_IJSD_SD_EEES6_PiJS6_EEE10hipError_tPvRmT3_T4_T5_T6_T7_T9_mT8_P12ihipStream_tbDpT10_ENKUlT_T0_E_clISt17integral_constantIbLb1EES1D_IbLb0EEEEDaS19_S1A_EUlS19_E_NS1_11comp_targetILNS1_3genE10ELNS1_11target_archE1200ELNS1_3gpuE4ELNS1_3repE0EEENS1_30default_config_static_selectorELNS0_4arch9wavefront6targetE0EEEvT1_,"axG",@progbits,_ZN7rocprim17ROCPRIM_400000_NS6detail17trampoline_kernelINS0_14default_configENS1_25partition_config_selectorILNS1_17partition_subalgoE5ElNS0_10empty_typeEbEEZZNS1_14partition_implILS5_5ELb0ES3_mN6hipcub16HIPCUB_304000_NS21CountingInputIteratorIllEEPS6_NSA_22TransformInputIteratorIbN2at6native12_GLOBAL__N_19NonZeroOpIN3c107complexIfEEEEPKSL_lEENS0_5tupleIJPlS6_EEENSQ_IJSD_SD_EEES6_PiJS6_EEE10hipError_tPvRmT3_T4_T5_T6_T7_T9_mT8_P12ihipStream_tbDpT10_ENKUlT_T0_E_clISt17integral_constantIbLb1EES1D_IbLb0EEEEDaS19_S1A_EUlS19_E_NS1_11comp_targetILNS1_3genE10ELNS1_11target_archE1200ELNS1_3gpuE4ELNS1_3repE0EEENS1_30default_config_static_selectorELNS0_4arch9wavefront6targetE0EEEvT1_,comdat
.Lfunc_end615:
	.size	_ZN7rocprim17ROCPRIM_400000_NS6detail17trampoline_kernelINS0_14default_configENS1_25partition_config_selectorILNS1_17partition_subalgoE5ElNS0_10empty_typeEbEEZZNS1_14partition_implILS5_5ELb0ES3_mN6hipcub16HIPCUB_304000_NS21CountingInputIteratorIllEEPS6_NSA_22TransformInputIteratorIbN2at6native12_GLOBAL__N_19NonZeroOpIN3c107complexIfEEEEPKSL_lEENS0_5tupleIJPlS6_EEENSQ_IJSD_SD_EEES6_PiJS6_EEE10hipError_tPvRmT3_T4_T5_T6_T7_T9_mT8_P12ihipStream_tbDpT10_ENKUlT_T0_E_clISt17integral_constantIbLb1EES1D_IbLb0EEEEDaS19_S1A_EUlS19_E_NS1_11comp_targetILNS1_3genE10ELNS1_11target_archE1200ELNS1_3gpuE4ELNS1_3repE0EEENS1_30default_config_static_selectorELNS0_4arch9wavefront6targetE0EEEvT1_, .Lfunc_end615-_ZN7rocprim17ROCPRIM_400000_NS6detail17trampoline_kernelINS0_14default_configENS1_25partition_config_selectorILNS1_17partition_subalgoE5ElNS0_10empty_typeEbEEZZNS1_14partition_implILS5_5ELb0ES3_mN6hipcub16HIPCUB_304000_NS21CountingInputIteratorIllEEPS6_NSA_22TransformInputIteratorIbN2at6native12_GLOBAL__N_19NonZeroOpIN3c107complexIfEEEEPKSL_lEENS0_5tupleIJPlS6_EEENSQ_IJSD_SD_EEES6_PiJS6_EEE10hipError_tPvRmT3_T4_T5_T6_T7_T9_mT8_P12ihipStream_tbDpT10_ENKUlT_T0_E_clISt17integral_constantIbLb1EES1D_IbLb0EEEEDaS19_S1A_EUlS19_E_NS1_11comp_targetILNS1_3genE10ELNS1_11target_archE1200ELNS1_3gpuE4ELNS1_3repE0EEENS1_30default_config_static_selectorELNS0_4arch9wavefront6targetE0EEEvT1_
                                        ; -- End function
	.section	.AMDGPU.csdata,"",@progbits
; Kernel info:
; codeLenInByte = 0
; NumSgprs: 0
; NumVgprs: 0
; ScratchSize: 0
; MemoryBound: 0
; FloatMode: 240
; IeeeMode: 1
; LDSByteSize: 0 bytes/workgroup (compile time only)
; SGPRBlocks: 0
; VGPRBlocks: 0
; NumSGPRsForWavesPerEU: 1
; NumVGPRsForWavesPerEU: 1
; Occupancy: 16
; WaveLimiterHint : 0
; COMPUTE_PGM_RSRC2:SCRATCH_EN: 0
; COMPUTE_PGM_RSRC2:USER_SGPR: 15
; COMPUTE_PGM_RSRC2:TRAP_HANDLER: 0
; COMPUTE_PGM_RSRC2:TGID_X_EN: 1
; COMPUTE_PGM_RSRC2:TGID_Y_EN: 0
; COMPUTE_PGM_RSRC2:TGID_Z_EN: 0
; COMPUTE_PGM_RSRC2:TIDIG_COMP_CNT: 0
	.section	.text._ZN7rocprim17ROCPRIM_400000_NS6detail17trampoline_kernelINS0_14default_configENS1_25partition_config_selectorILNS1_17partition_subalgoE5ElNS0_10empty_typeEbEEZZNS1_14partition_implILS5_5ELb0ES3_mN6hipcub16HIPCUB_304000_NS21CountingInputIteratorIllEEPS6_NSA_22TransformInputIteratorIbN2at6native12_GLOBAL__N_19NonZeroOpIN3c107complexIfEEEEPKSL_lEENS0_5tupleIJPlS6_EEENSQ_IJSD_SD_EEES6_PiJS6_EEE10hipError_tPvRmT3_T4_T5_T6_T7_T9_mT8_P12ihipStream_tbDpT10_ENKUlT_T0_E_clISt17integral_constantIbLb1EES1D_IbLb0EEEEDaS19_S1A_EUlS19_E_NS1_11comp_targetILNS1_3genE9ELNS1_11target_archE1100ELNS1_3gpuE3ELNS1_3repE0EEENS1_30default_config_static_selectorELNS0_4arch9wavefront6targetE0EEEvT1_,"axG",@progbits,_ZN7rocprim17ROCPRIM_400000_NS6detail17trampoline_kernelINS0_14default_configENS1_25partition_config_selectorILNS1_17partition_subalgoE5ElNS0_10empty_typeEbEEZZNS1_14partition_implILS5_5ELb0ES3_mN6hipcub16HIPCUB_304000_NS21CountingInputIteratorIllEEPS6_NSA_22TransformInputIteratorIbN2at6native12_GLOBAL__N_19NonZeroOpIN3c107complexIfEEEEPKSL_lEENS0_5tupleIJPlS6_EEENSQ_IJSD_SD_EEES6_PiJS6_EEE10hipError_tPvRmT3_T4_T5_T6_T7_T9_mT8_P12ihipStream_tbDpT10_ENKUlT_T0_E_clISt17integral_constantIbLb1EES1D_IbLb0EEEEDaS19_S1A_EUlS19_E_NS1_11comp_targetILNS1_3genE9ELNS1_11target_archE1100ELNS1_3gpuE3ELNS1_3repE0EEENS1_30default_config_static_selectorELNS0_4arch9wavefront6targetE0EEEvT1_,comdat
	.globl	_ZN7rocprim17ROCPRIM_400000_NS6detail17trampoline_kernelINS0_14default_configENS1_25partition_config_selectorILNS1_17partition_subalgoE5ElNS0_10empty_typeEbEEZZNS1_14partition_implILS5_5ELb0ES3_mN6hipcub16HIPCUB_304000_NS21CountingInputIteratorIllEEPS6_NSA_22TransformInputIteratorIbN2at6native12_GLOBAL__N_19NonZeroOpIN3c107complexIfEEEEPKSL_lEENS0_5tupleIJPlS6_EEENSQ_IJSD_SD_EEES6_PiJS6_EEE10hipError_tPvRmT3_T4_T5_T6_T7_T9_mT8_P12ihipStream_tbDpT10_ENKUlT_T0_E_clISt17integral_constantIbLb1EES1D_IbLb0EEEEDaS19_S1A_EUlS19_E_NS1_11comp_targetILNS1_3genE9ELNS1_11target_archE1100ELNS1_3gpuE3ELNS1_3repE0EEENS1_30default_config_static_selectorELNS0_4arch9wavefront6targetE0EEEvT1_ ; -- Begin function _ZN7rocprim17ROCPRIM_400000_NS6detail17trampoline_kernelINS0_14default_configENS1_25partition_config_selectorILNS1_17partition_subalgoE5ElNS0_10empty_typeEbEEZZNS1_14partition_implILS5_5ELb0ES3_mN6hipcub16HIPCUB_304000_NS21CountingInputIteratorIllEEPS6_NSA_22TransformInputIteratorIbN2at6native12_GLOBAL__N_19NonZeroOpIN3c107complexIfEEEEPKSL_lEENS0_5tupleIJPlS6_EEENSQ_IJSD_SD_EEES6_PiJS6_EEE10hipError_tPvRmT3_T4_T5_T6_T7_T9_mT8_P12ihipStream_tbDpT10_ENKUlT_T0_E_clISt17integral_constantIbLb1EES1D_IbLb0EEEEDaS19_S1A_EUlS19_E_NS1_11comp_targetILNS1_3genE9ELNS1_11target_archE1100ELNS1_3gpuE3ELNS1_3repE0EEENS1_30default_config_static_selectorELNS0_4arch9wavefront6targetE0EEEvT1_
	.p2align	8
	.type	_ZN7rocprim17ROCPRIM_400000_NS6detail17trampoline_kernelINS0_14default_configENS1_25partition_config_selectorILNS1_17partition_subalgoE5ElNS0_10empty_typeEbEEZZNS1_14partition_implILS5_5ELb0ES3_mN6hipcub16HIPCUB_304000_NS21CountingInputIteratorIllEEPS6_NSA_22TransformInputIteratorIbN2at6native12_GLOBAL__N_19NonZeroOpIN3c107complexIfEEEEPKSL_lEENS0_5tupleIJPlS6_EEENSQ_IJSD_SD_EEES6_PiJS6_EEE10hipError_tPvRmT3_T4_T5_T6_T7_T9_mT8_P12ihipStream_tbDpT10_ENKUlT_T0_E_clISt17integral_constantIbLb1EES1D_IbLb0EEEEDaS19_S1A_EUlS19_E_NS1_11comp_targetILNS1_3genE9ELNS1_11target_archE1100ELNS1_3gpuE3ELNS1_3repE0EEENS1_30default_config_static_selectorELNS0_4arch9wavefront6targetE0EEEvT1_,@function
_ZN7rocprim17ROCPRIM_400000_NS6detail17trampoline_kernelINS0_14default_configENS1_25partition_config_selectorILNS1_17partition_subalgoE5ElNS0_10empty_typeEbEEZZNS1_14partition_implILS5_5ELb0ES3_mN6hipcub16HIPCUB_304000_NS21CountingInputIteratorIllEEPS6_NSA_22TransformInputIteratorIbN2at6native12_GLOBAL__N_19NonZeroOpIN3c107complexIfEEEEPKSL_lEENS0_5tupleIJPlS6_EEENSQ_IJSD_SD_EEES6_PiJS6_EEE10hipError_tPvRmT3_T4_T5_T6_T7_T9_mT8_P12ihipStream_tbDpT10_ENKUlT_T0_E_clISt17integral_constantIbLb1EES1D_IbLb0EEEEDaS19_S1A_EUlS19_E_NS1_11comp_targetILNS1_3genE9ELNS1_11target_archE1100ELNS1_3gpuE3ELNS1_3repE0EEENS1_30default_config_static_selectorELNS0_4arch9wavefront6targetE0EEEvT1_: ; @_ZN7rocprim17ROCPRIM_400000_NS6detail17trampoline_kernelINS0_14default_configENS1_25partition_config_selectorILNS1_17partition_subalgoE5ElNS0_10empty_typeEbEEZZNS1_14partition_implILS5_5ELb0ES3_mN6hipcub16HIPCUB_304000_NS21CountingInputIteratorIllEEPS6_NSA_22TransformInputIteratorIbN2at6native12_GLOBAL__N_19NonZeroOpIN3c107complexIfEEEEPKSL_lEENS0_5tupleIJPlS6_EEENSQ_IJSD_SD_EEES6_PiJS6_EEE10hipError_tPvRmT3_T4_T5_T6_T7_T9_mT8_P12ihipStream_tbDpT10_ENKUlT_T0_E_clISt17integral_constantIbLb1EES1D_IbLb0EEEEDaS19_S1A_EUlS19_E_NS1_11comp_targetILNS1_3genE9ELNS1_11target_archE1100ELNS1_3gpuE3ELNS1_3repE0EEENS1_30default_config_static_selectorELNS0_4arch9wavefront6targetE0EEEvT1_
; %bb.0:
	s_clause 0x4
	s_load_b128 s[8:11], s[0:1], 0x8
	s_load_b128 s[16:19], s[0:1], 0x48
	s_load_b32 s4, s[0:1], 0x70
	s_load_b64 s[20:21], s[0:1], 0x58
	s_load_b64 s[2:3], s[0:1], 0x20
	s_waitcnt lgkmcnt(0)
	s_add_u32 s6, s10, s8
	s_load_b64 s[12:13], s[18:19], 0x0
	s_mul_i32 s22, s4, 0x300
	s_addc_u32 s7, s11, s9
	s_add_i32 s8, s4, -1
	s_add_u32 s4, s10, s22
	s_addc_u32 s5, s11, 0
	s_cmp_eq_u32 s15, s8
	v_cmp_ge_u64_e64 s4, s[4:5], s[20:21]
	s_cselect_b32 s9, -1, 0
	s_mov_b32 s8, -1
	s_delay_alu instid0(VALU_DEP_1)
	s_and_b32 s5, s9, s4
	s_mul_i32 s4, s15, 0x300
	s_xor_b32 s14, s5, -1
	s_mov_b32 s5, 0
	s_and_b32 vcc_lo, exec_lo, s14
	s_cbranch_vccz .LBB616_2
; %bb.1:
	s_add_u32 s8, s6, s4
	s_addc_u32 s18, s7, 0
	v_add_co_u32 v1, s8, s8, v0
	s_delay_alu instid0(VALU_DEP_1) | instskip(SKIP_1) | instid1(VALU_DEP_3)
	v_add_co_ci_u32_e64 v2, null, s18, 0, s8
	v_lshlrev_b32_e32 v13, 3, v0
	v_add_co_u32 v3, vcc_lo, 0x80, v1
	s_delay_alu instid0(VALU_DEP_3)
	v_add_co_ci_u32_e32 v4, vcc_lo, 0, v2, vcc_lo
	v_add_co_u32 v5, vcc_lo, 0x100, v1
	v_add_co_ci_u32_e32 v6, vcc_lo, 0, v2, vcc_lo
	v_add_co_u32 v7, vcc_lo, 0x180, v1
	;; [unrolled: 2-line block ×4, first 2 shown]
	v_add_co_ci_u32_e32 v12, vcc_lo, 0, v2, vcc_lo
	ds_store_2addr_stride64_b64 v13, v[1:2], v[3:4] offset1:2
	ds_store_2addr_stride64_b64 v13, v[5:6], v[7:8] offset0:4 offset1:6
	ds_store_2addr_stride64_b64 v13, v[9:10], v[11:12] offset0:8 offset1:10
	s_waitcnt lgkmcnt(0)
	s_mov_b32 s8, s5
	s_barrier
.LBB616_2:
	v_or_b32_e32 v17, 0x100, v0
	v_or_b32_e32 v16, 0x180, v0
	;; [unrolled: 1-line block ×4, first 2 shown]
	s_and_not1_b32 vcc_lo, exec_lo, s8
	s_cbranch_vccnz .LBB616_4
; %bb.3:
	v_or_b32_e32 v3, 0x80, v0
	s_add_u32 s6, s6, s4
	s_addc_u32 s7, s7, 0
	v_add_co_u32 v1, s8, s6, v0
	s_delay_alu instid0(VALU_DEP_1) | instskip(SKIP_1) | instid1(VALU_DEP_1)
	v_add_co_ci_u32_e64 v2, null, s7, 0, s8
	v_add_co_u32 v3, s8, s6, v3
	v_add_co_ci_u32_e64 v4, null, s7, 0, s8
	v_add_co_u32 v5, s8, s6, v17
	s_delay_alu instid0(VALU_DEP_1) | instskip(SKIP_1) | instid1(VALU_DEP_1)
	v_add_co_ci_u32_e64 v6, null, s7, 0, s8
	v_add_co_u32 v7, s8, s6, v16
	v_add_co_ci_u32_e64 v8, null, s7, 0, s8
	v_add_co_u32 v9, s8, s6, v14
	v_lshlrev_b32_e32 v15, 3, v0
	v_add_co_u32 v11, s6, s6, v13
	v_add_co_ci_u32_e64 v10, null, s7, 0, s8
	v_add_co_ci_u32_e64 v12, null, s7, 0, s6
	ds_store_2addr_stride64_b64 v15, v[1:2], v[3:4] offset1:2
	ds_store_2addr_stride64_b64 v15, v[5:6], v[7:8] offset0:4 offset1:6
	ds_store_2addr_stride64_b64 v15, v[9:10], v[11:12] offset0:8 offset1:10
	s_waitcnt lgkmcnt(0)
	s_barrier
.LBB616_4:
	v_mul_u32_u24_e32 v1, 6, v0
	s_waitcnt lgkmcnt(0)
	buffer_gl0_inv
	s_lshl_b64 s[6:7], s[10:11], 3
	s_mov_b32 s11, -1
	s_add_u32 s6, s2, s6
	v_lshlrev_b32_e32 v15, 3, v1
	s_addc_u32 s7, s3, s7
	s_lshl_b64 s[2:3], s[4:5], 3
	ds_load_b128 v[9:12], v15
	ds_load_b128 v[5:8], v15 offset:16
	ds_load_b128 v[1:4], v15 offset:32
	s_add_u32 s18, s6, s2
	s_addc_u32 s19, s7, s3
	s_and_b32 vcc_lo, exec_lo, s14
	s_waitcnt lgkmcnt(0)
	s_barrier
	buffer_gl0_inv
	s_cbranch_vccz .LBB616_6
; %bb.5:
	v_lshlrev_b32_e32 v24, 3, v0
	s_mov_b32 s11, 0
	s_clause 0x1
	global_load_b64 v[18:19], v24, s[18:19]
	global_load_b64 v[20:21], v24, s[18:19] offset:1024
	v_add_co_u32 v26, s2, s18, v24
	s_delay_alu instid0(VALU_DEP_1)
	v_add_co_ci_u32_e64 v27, null, s19, 0, s2
	s_clause 0x1
	global_load_b64 v[22:23], v24, s[18:19] offset:2048
	global_load_b64 v[24:25], v24, s[18:19] offset:3072
	v_add_co_u32 v26, vcc_lo, 0x1000, v26
	v_add_co_ci_u32_e32 v27, vcc_lo, 0, v27, vcc_lo
	s_clause 0x1
	global_load_b64 v[28:29], v[26:27], off
	global_load_b64 v[26:27], v[26:27], off offset:1024
	s_waitcnt vmcnt(5)
	v_cmp_neq_f32_e32 vcc_lo, 0, v18
	v_cmp_neq_f32_e64 s2, 0, v19
	s_waitcnt vmcnt(4)
	v_cmp_neq_f32_e64 s3, 0, v20
	v_cmp_neq_f32_e64 s4, 0, v21
	s_waitcnt vmcnt(3)
	v_cmp_neq_f32_e64 s5, 0, v22
	v_cmp_neq_f32_e64 s6, 0, v23
	s_or_b32 s2, vcc_lo, s2
	s_waitcnt vmcnt(2)
	v_cmp_neq_f32_e64 s7, 0, v24
	v_cndmask_b32_e64 v18, 0, 1, s2
	s_or_b32 s2, s3, s4
	v_cmp_neq_f32_e64 s8, 0, v25
	v_cndmask_b32_e64 v19, 0, 1, s2
	s_or_b32 s2, s5, s6
	s_waitcnt vmcnt(1)
	v_cmp_neq_f32_e32 vcc_lo, 0, v28
	v_cndmask_b32_e64 v20, 0, 1, s2
	v_cmp_neq_f32_e64 s2, 0, v29
	s_waitcnt vmcnt(0)
	v_cmp_neq_f32_e64 s3, 0, v26
	v_cmp_neq_f32_e64 s4, 0, v27
	s_or_b32 s5, s7, s8
	s_or_b32 s2, vcc_lo, s2
	v_cndmask_b32_e64 v21, 0, 1, s5
	v_cndmask_b32_e64 v22, 0, 1, s2
	s_or_b32 s2, s3, s4
	s_delay_alu instid0(SALU_CYCLE_1)
	v_cndmask_b32_e64 v23, 0, 1, s2
	ds_store_b8 v0, v18
	ds_store_b8 v0, v19 offset:128
	ds_store_b8 v0, v20 offset:256
	ds_store_b8 v0, v21 offset:384
	ds_store_b8 v0, v22 offset:512
	ds_store_b8 v0, v23 offset:640
	s_waitcnt lgkmcnt(0)
	s_barrier
.LBB616_6:
	s_load_b64 s[4:5], s[0:1], 0x68
	s_and_not1_b32 vcc_lo, exec_lo, s11
	s_cbranch_vccnz .LBB616_20
; %bb.7:
	s_add_i32 s22, s22, s10
	v_dual_mov_b32 v18, 0 :: v_dual_mov_b32 v19, 0
	s_sub_i32 s3, s20, s22
	s_mov_b32 s6, exec_lo
	s_addk_i32 s3, 0x300
	s_delay_alu instid0(SALU_CYCLE_1)
	v_cmpx_gt_u32_e64 s3, v0
	s_cbranch_execz .LBB616_9
; %bb.8:
	v_lshlrev_b32_e32 v19, 3, v0
	global_load_b64 v[19:20], v19, s[18:19]
	s_waitcnt vmcnt(0)
	v_cmp_neq_f32_e32 vcc_lo, 0, v19
	v_cmp_neq_f32_e64 s2, 0, v20
	s_delay_alu instid0(VALU_DEP_1) | instskip(NEXT) | instid1(SALU_CYCLE_1)
	s_or_b32 s2, vcc_lo, s2
	v_cndmask_b32_e64 v19, 0, 1, s2
.LBB616_9:
	s_or_b32 exec_lo, exec_lo, s6
	v_or_b32_e32 v20, 0x80, v0
	s_mov_b32 s6, exec_lo
	s_delay_alu instid0(VALU_DEP_1)
	v_cmpx_gt_u32_e64 s3, v20
	s_cbranch_execz .LBB616_11
; %bb.10:
	v_lshlrev_b32_e32 v18, 3, v0
	global_load_b64 v[20:21], v18, s[18:19] offset:1024
	s_waitcnt vmcnt(0)
	v_cmp_neq_f32_e32 vcc_lo, 0, v20
	v_cmp_neq_f32_e64 s2, 0, v21
	s_delay_alu instid0(VALU_DEP_1) | instskip(NEXT) | instid1(SALU_CYCLE_1)
	s_or_b32 s2, vcc_lo, s2
	v_cndmask_b32_e64 v18, 0, 1, s2
.LBB616_11:
	s_or_b32 exec_lo, exec_lo, s6
	v_cmp_gt_u32_e32 vcc_lo, s3, v17
	v_dual_mov_b32 v17, 0 :: v_dual_mov_b32 v20, 0
	s_and_saveexec_b32 s6, vcc_lo
	s_cbranch_execz .LBB616_13
; %bb.12:
	v_lshlrev_b32_e32 v20, 3, v0
	global_load_b64 v[20:21], v20, s[18:19] offset:2048
	s_waitcnt vmcnt(0)
	v_cmp_neq_f32_e32 vcc_lo, 0, v20
	v_cmp_neq_f32_e64 s2, 0, v21
	s_delay_alu instid0(VALU_DEP_1) | instskip(NEXT) | instid1(SALU_CYCLE_1)
	s_or_b32 s2, vcc_lo, s2
	v_cndmask_b32_e64 v20, 0, 1, s2
.LBB616_13:
	s_or_b32 exec_lo, exec_lo, s6
	s_delay_alu instid0(SALU_CYCLE_1)
	s_mov_b32 s6, exec_lo
	v_cmpx_gt_u32_e64 s3, v16
	s_cbranch_execz .LBB616_15
; %bb.14:
	v_lshlrev_b32_e32 v16, 3, v0
	global_load_b64 v[16:17], v16, s[18:19] offset:3072
	s_waitcnt vmcnt(0)
	v_cmp_neq_f32_e32 vcc_lo, 0, v16
	v_cmp_neq_f32_e64 s2, 0, v17
	s_delay_alu instid0(VALU_DEP_1) | instskip(NEXT) | instid1(SALU_CYCLE_1)
	s_or_b32 s2, vcc_lo, s2
	v_cndmask_b32_e64 v17, 0, 1, s2
.LBB616_15:
	s_or_b32 exec_lo, exec_lo, s6
	v_dual_mov_b32 v16, 0 :: v_dual_mov_b32 v21, 0
	s_mov_b32 s6, exec_lo
	v_cmpx_gt_u32_e64 s3, v14
	s_cbranch_execz .LBB616_17
; %bb.16:
	v_lshlrev_b32_e32 v14, 3, v14
	global_load_b64 v[21:22], v14, s[18:19]
	s_waitcnt vmcnt(0)
	v_cmp_neq_f32_e32 vcc_lo, 0, v21
	v_cmp_neq_f32_e64 s2, 0, v22
	s_delay_alu instid0(VALU_DEP_1) | instskip(NEXT) | instid1(SALU_CYCLE_1)
	s_or_b32 s2, vcc_lo, s2
	v_cndmask_b32_e64 v21, 0, 1, s2
.LBB616_17:
	s_or_b32 exec_lo, exec_lo, s6
	v_cmp_gt_u32_e32 vcc_lo, s3, v13
	s_and_saveexec_b32 s3, vcc_lo
	s_cbranch_execz .LBB616_19
; %bb.18:
	v_lshlrev_b32_e32 v13, 3, v13
	global_load_b64 v[13:14], v13, s[18:19]
	s_waitcnt vmcnt(0)
	v_cmp_neq_f32_e32 vcc_lo, 0, v13
	v_cmp_neq_f32_e64 s2, 0, v14
	s_delay_alu instid0(VALU_DEP_1) | instskip(NEXT) | instid1(SALU_CYCLE_1)
	s_or_b32 s2, vcc_lo, s2
	v_cndmask_b32_e64 v16, 0, 1, s2
.LBB616_19:
	s_or_b32 exec_lo, exec_lo, s3
	ds_store_b8 v0, v19
	ds_store_b8 v0, v18 offset:128
	ds_store_b8 v0, v20 offset:256
	;; [unrolled: 1-line block ×5, first 2 shown]
	s_waitcnt lgkmcnt(0)
	s_barrier
.LBB616_20:
	v_mad_i32_i24 v43, 0xffffffd6, v0, v15
	s_waitcnt lgkmcnt(0)
	buffer_gl0_inv
	v_mbcnt_lo_u32_b32 v42, -1, 0
	s_cmp_lg_u32 s15, 0
	s_mov_b32 s3, -1
	ds_load_u16 v36, v43
	ds_load_u16 v33, v43 offset:2
	ds_load_u16 v31, v43 offset:4
	v_mov_b32_e32 v14, 0
	v_and_b32_e32 v44, 15, v42
	s_waitcnt lgkmcnt(0)
	s_barrier
	buffer_gl0_inv
	v_and_b32_e32 v41, 0xff, v36
	v_lshrrev_b16 v34, 8, v36
	v_lshrrev_b16 v35, 8, v33
	v_and_b32_e32 v39, 0xff, v33
	v_lshrrev_b16 v32, 8, v31
	v_and_b32_e32 v37, 0xff, v31
	v_and_b32_e32 v40, 0xffff, v34
	;; [unrolled: 1-line block ×3, first 2 shown]
	s_delay_alu instid0(VALU_DEP_4) | instskip(NEXT) | instid1(VALU_DEP_3)
	v_and_b32_e32 v16, 0xffff, v32
	v_add_co_u32 v13, s2, v40, v41
	s_delay_alu instid0(VALU_DEP_1) | instskip(SKIP_1) | instid1(VALU_DEP_3)
	v_add_co_ci_u32_e64 v15, null, 0, 0, s2
	v_cmp_ne_u32_e64 s2, 0, v44
	v_add_co_u32 v13, vcc_lo, v13, v39
	s_delay_alu instid0(VALU_DEP_3) | instskip(NEXT) | instid1(VALU_DEP_2)
	v_add_co_ci_u32_e32 v15, vcc_lo, 0, v15, vcc_lo
	v_add_co_u32 v13, vcc_lo, v13, v38
	s_delay_alu instid0(VALU_DEP_2) | instskip(NEXT) | instid1(VALU_DEP_2)
	v_add_co_ci_u32_e32 v15, vcc_lo, 0, v15, vcc_lo
	v_add_co_u32 v13, vcc_lo, v13, v37
	s_delay_alu instid0(VALU_DEP_2) | instskip(NEXT) | instid1(VALU_DEP_2)
	v_add_co_ci_u32_e32 v15, vcc_lo, 0, v15, vcc_lo
	v_add_co_u32 v21, vcc_lo, v13, v16
	s_delay_alu instid0(VALU_DEP_2)
	v_add_co_ci_u32_e32 v22, vcc_lo, 0, v15, vcc_lo
	s_cbranch_scc0 .LBB616_89
; %bb.21:
	s_delay_alu instid0(VALU_DEP_2)
	v_mov_b32_e32 v15, v21
	v_mov_b32_dpp v13, v21 row_shr:1 row_mask:0xf bank_mask:0xf
	v_mov_b32_dpp v18, v14 row_shr:1 row_mask:0xf bank_mask:0xf
	v_dual_mov_b32 v17, v21 :: v_dual_mov_b32 v16, v22
	s_and_saveexec_b32 s3, s2
; %bb.22:
	s_delay_alu instid0(VALU_DEP_3) | instskip(SKIP_1) | instid1(VALU_DEP_2)
	v_add_co_u32 v17, vcc_lo, v21, v13
	v_add_co_ci_u32_e32 v14, vcc_lo, 0, v22, vcc_lo
	v_add_co_u32 v13, vcc_lo, 0, v17
	s_delay_alu instid0(VALU_DEP_2) | instskip(NEXT) | instid1(VALU_DEP_1)
	v_add_co_ci_u32_e32 v14, vcc_lo, v18, v14, vcc_lo
	v_dual_mov_b32 v16, v14 :: v_dual_mov_b32 v15, v13
; %bb.23:
	s_or_b32 exec_lo, exec_lo, s3
	v_mov_b32_dpp v13, v17 row_shr:2 row_mask:0xf bank_mask:0xf
	v_mov_b32_dpp v18, v14 row_shr:2 row_mask:0xf bank_mask:0xf
	s_mov_b32 s3, exec_lo
	v_cmpx_lt_u32_e32 1, v44
; %bb.24:
	s_delay_alu instid0(VALU_DEP_3) | instskip(SKIP_1) | instid1(VALU_DEP_2)
	v_add_co_u32 v17, vcc_lo, v15, v13
	v_add_co_ci_u32_e32 v14, vcc_lo, 0, v16, vcc_lo
	v_add_co_u32 v13, vcc_lo, 0, v17
	s_delay_alu instid0(VALU_DEP_2) | instskip(NEXT) | instid1(VALU_DEP_1)
	v_add_co_ci_u32_e32 v14, vcc_lo, v18, v14, vcc_lo
	v_dual_mov_b32 v16, v14 :: v_dual_mov_b32 v15, v13
; %bb.25:
	s_or_b32 exec_lo, exec_lo, s3
	v_mov_b32_dpp v13, v17 row_shr:4 row_mask:0xf bank_mask:0xf
	v_mov_b32_dpp v18, v14 row_shr:4 row_mask:0xf bank_mask:0xf
	s_mov_b32 s3, exec_lo
	v_cmpx_lt_u32_e32 3, v44
	;; [unrolled: 14-line block ×3, first 2 shown]
; %bb.28:
	s_delay_alu instid0(VALU_DEP_3) | instskip(SKIP_1) | instid1(VALU_DEP_2)
	v_add_co_u32 v17, vcc_lo, v15, v18
	v_add_co_ci_u32_e32 v14, vcc_lo, 0, v16, vcc_lo
	v_add_co_u32 v15, vcc_lo, 0, v17
	s_delay_alu instid0(VALU_DEP_2) | instskip(NEXT) | instid1(VALU_DEP_1)
	v_add_co_ci_u32_e32 v16, vcc_lo, v13, v14, vcc_lo
	v_mov_b32_e32 v14, v16
; %bb.29:
	s_or_b32 exec_lo, exec_lo, s3
	ds_swizzle_b32 v13, v17 offset:swizzle(BROADCAST,32,15)
	ds_swizzle_b32 v18, v14 offset:swizzle(BROADCAST,32,15)
	v_and_b32_e32 v19, 16, v42
	s_mov_b32 s3, exec_lo
	s_delay_alu instid0(VALU_DEP_1)
	v_cmpx_ne_u32_e32 0, v19
	s_cbranch_execz .LBB616_31
; %bb.30:
	s_waitcnt lgkmcnt(1)
	v_add_co_u32 v17, vcc_lo, v15, v13
	v_add_co_ci_u32_e32 v14, vcc_lo, 0, v16, vcc_lo
	s_delay_alu instid0(VALU_DEP_2) | instskip(SKIP_1) | instid1(VALU_DEP_2)
	v_add_co_u32 v13, vcc_lo, 0, v17
	s_waitcnt lgkmcnt(0)
	v_add_co_ci_u32_e32 v14, vcc_lo, v18, v14, vcc_lo
	s_delay_alu instid0(VALU_DEP_1)
	v_dual_mov_b32 v16, v14 :: v_dual_mov_b32 v15, v13
.LBB616_31:
	s_or_b32 exec_lo, exec_lo, s3
	s_waitcnt lgkmcnt(0)
	v_or_b32_e32 v18, 31, v0
	v_lshrrev_b32_e32 v13, 5, v0
	s_mov_b32 s3, exec_lo
	s_delay_alu instid0(VALU_DEP_2)
	v_cmpx_eq_u32_e64 v18, v0
	s_cbranch_execz .LBB616_33
; %bb.32:
	s_delay_alu instid0(VALU_DEP_2)
	v_lshlrev_b32_e32 v18, 3, v13
	ds_store_b64 v18, v[15:16]
.LBB616_33:
	s_or_b32 exec_lo, exec_lo, s3
	s_delay_alu instid0(SALU_CYCLE_1)
	s_mov_b32 s3, exec_lo
	s_waitcnt lgkmcnt(0)
	s_barrier
	buffer_gl0_inv
	v_cmpx_gt_u32_e32 4, v0
	s_cbranch_execz .LBB616_39
; %bb.34:
	v_lshlrev_b32_e32 v18, 3, v0
	s_mov_b32 s6, exec_lo
	ds_load_b64 v[15:16], v18
	s_waitcnt lgkmcnt(0)
	v_dual_mov_b32 v20, v15 :: v_dual_and_b32 v19, 3, v42
	v_mov_b32_dpp v24, v15 row_shr:1 row_mask:0xf bank_mask:0xf
	v_mov_b32_dpp v23, v16 row_shr:1 row_mask:0xf bank_mask:0xf
	s_delay_alu instid0(VALU_DEP_3)
	v_cmpx_ne_u32_e32 0, v19
; %bb.35:
	s_delay_alu instid0(VALU_DEP_3) | instskip(SKIP_1) | instid1(VALU_DEP_2)
	v_add_co_u32 v20, vcc_lo, v15, v24
	v_add_co_ci_u32_e32 v16, vcc_lo, 0, v16, vcc_lo
	v_add_co_u32 v15, vcc_lo, 0, v20
	s_delay_alu instid0(VALU_DEP_2)
	v_add_co_ci_u32_e32 v16, vcc_lo, v23, v16, vcc_lo
; %bb.36:
	s_or_b32 exec_lo, exec_lo, s6
	v_mov_b32_dpp v23, v20 row_shr:2 row_mask:0xf bank_mask:0xf
	s_delay_alu instid0(VALU_DEP_2)
	v_mov_b32_dpp v20, v16 row_shr:2 row_mask:0xf bank_mask:0xf
	s_mov_b32 s6, exec_lo
	v_cmpx_lt_u32_e32 1, v19
; %bb.37:
	s_delay_alu instid0(VALU_DEP_3) | instskip(SKIP_1) | instid1(VALU_DEP_2)
	v_add_co_u32 v15, vcc_lo, v15, v23
	v_add_co_ci_u32_e32 v16, vcc_lo, 0, v16, vcc_lo
	v_add_co_u32 v15, vcc_lo, v15, 0
	s_delay_alu instid0(VALU_DEP_2)
	v_add_co_ci_u32_e32 v16, vcc_lo, v16, v20, vcc_lo
; %bb.38:
	s_or_b32 exec_lo, exec_lo, s6
	ds_store_b64 v18, v[15:16]
.LBB616_39:
	s_or_b32 exec_lo, exec_lo, s3
	v_cmp_gt_u32_e32 vcc_lo, 32, v0
	s_mov_b32 s6, exec_lo
	s_waitcnt lgkmcnt(0)
	s_barrier
	buffer_gl0_inv
                                        ; implicit-def: $vgpr23_vgpr24
	v_cmpx_lt_u32_e32 31, v0
	s_cbranch_execz .LBB616_41
; %bb.40:
	v_lshl_add_u32 v13, v13, 3, -8
	ds_load_b64 v[23:24], v13
	s_waitcnt lgkmcnt(0)
	v_add_co_u32 v17, s3, v17, v23
	s_delay_alu instid0(VALU_DEP_1)
	v_add_co_ci_u32_e64 v14, s3, v14, v24, s3
.LBB616_41:
	s_or_b32 exec_lo, exec_lo, s6
	v_add_nc_u32_e32 v13, -1, v42
	s_delay_alu instid0(VALU_DEP_1) | instskip(NEXT) | instid1(VALU_DEP_1)
	v_cmp_gt_i32_e64 s3, 0, v13
	v_cndmask_b32_e64 v13, v13, v42, s3
	v_cmp_eq_u32_e64 s3, 0, v42
	s_delay_alu instid0(VALU_DEP_2)
	v_lshlrev_b32_e32 v13, 2, v13
	ds_bpermute_b32 v29, v13, v17
	ds_bpermute_b32 v30, v13, v14
	s_and_saveexec_b32 s6, vcc_lo
	s_cbranch_execz .LBB616_84
; %bb.42:
	v_mov_b32_e32 v16, 0
	ds_load_b64 v[13:14], v16 offset:24
	s_and_saveexec_b32 s7, s3
	s_cbranch_execz .LBB616_44
; %bb.43:
	s_add_i32 s10, s15, 32
	s_mov_b32 s11, 0
	s_delay_alu instid0(SALU_CYCLE_1) | instskip(NEXT) | instid1(SALU_CYCLE_1)
	s_lshl_b64 s[10:11], s[10:11], 4
	s_add_u32 s10, s4, s10
	s_addc_u32 s11, s5, s11
	s_delay_alu instid0(SALU_CYCLE_1)
	v_dual_mov_b32 v15, 1 :: v_dual_mov_b32 v18, s11
	v_mov_b32_e32 v17, s10
	s_waitcnt lgkmcnt(0)
	;;#ASMSTART
	global_store_dwordx4 v[17:18], v[13:16] off	
s_waitcnt vmcnt(0)
	;;#ASMEND
.LBB616_44:
	s_or_b32 exec_lo, exec_lo, s7
	v_xad_u32 v25, v42, -1, s15
	s_mov_b32 s8, 0
	s_mov_b32 s7, exec_lo
	s_delay_alu instid0(VALU_DEP_1) | instskip(NEXT) | instid1(VALU_DEP_1)
	v_add_nc_u32_e32 v15, 32, v25
	v_lshlrev_b64 v[15:16], 4, v[15:16]
	s_delay_alu instid0(VALU_DEP_1) | instskip(NEXT) | instid1(VALU_DEP_2)
	v_add_co_u32 v15, vcc_lo, s4, v15
	v_add_co_ci_u32_e32 v16, vcc_lo, s5, v16, vcc_lo
	;;#ASMSTART
	global_load_dwordx4 v[17:20], v[15:16] off glc	
s_waitcnt vmcnt(0)
	;;#ASMEND
	v_and_b32_e32 v20, 0xff, v18
	v_and_b32_e32 v26, 0xff00, v18
	v_or3_b32 v17, v17, 0, 0
	v_and_b32_e32 v27, 0xff000000, v18
	v_and_b32_e32 v18, 0xff0000, v18
	s_delay_alu instid0(VALU_DEP_4) | instskip(SKIP_2) | instid1(VALU_DEP_3)
	v_or3_b32 v20, 0, v20, v26
	v_and_b32_e32 v26, 0xff, v19
	v_or3_b32 v17, v17, 0, 0
	v_or3_b32 v18, v20, v18, v27
	s_delay_alu instid0(VALU_DEP_3)
	v_cmpx_eq_u16_e32 0, v26
	s_cbranch_execz .LBB616_50
; %bb.45:
	s_mov_b32 s10, 1
	.p2align	6
.LBB616_46:                             ; =>This Loop Header: Depth=1
                                        ;     Child Loop BB616_47 Depth 2
	s_delay_alu instid0(SALU_CYCLE_1)
	s_max_u32 s11, s10, 1
.LBB616_47:                             ;   Parent Loop BB616_46 Depth=1
                                        ; =>  This Inner Loop Header: Depth=2
	s_delay_alu instid0(SALU_CYCLE_1)
	s_add_i32 s11, s11, -1
	s_sleep 1
	s_cmp_eq_u32 s11, 0
	s_cbranch_scc0 .LBB616_47
; %bb.48:                               ;   in Loop: Header=BB616_46 Depth=1
	;;#ASMSTART
	global_load_dwordx4 v[17:20], v[15:16] off glc	
s_waitcnt vmcnt(0)
	;;#ASMEND
	v_and_b32_e32 v20, 0xff, v19
	s_cmp_lt_u32 s10, 32
	s_cselect_b32 s11, -1, 0
	s_delay_alu instid0(SALU_CYCLE_1) | instskip(NEXT) | instid1(VALU_DEP_1)
	s_cmp_lg_u32 s11, 0
	v_cmp_ne_u16_e32 vcc_lo, 0, v20
	s_addc_u32 s10, s10, 0
	s_or_b32 s8, vcc_lo, s8
	s_delay_alu instid0(SALU_CYCLE_1)
	s_and_not1_b32 exec_lo, exec_lo, s8
	s_cbranch_execnz .LBB616_46
; %bb.49:
	s_or_b32 exec_lo, exec_lo, s8
.LBB616_50:
	s_delay_alu instid0(SALU_CYCLE_1)
	s_or_b32 exec_lo, exec_lo, s7
	v_cmp_ne_u32_e32 vcc_lo, 31, v42
	v_and_b32_e32 v16, 0xff, v19
	v_lshlrev_b32_e64 v46, v42, -1
	s_mov_b32 s7, exec_lo
	v_add_co_ci_u32_e32 v15, vcc_lo, 0, v42, vcc_lo
	s_delay_alu instid0(VALU_DEP_3) | instskip(NEXT) | instid1(VALU_DEP_2)
	v_cmp_eq_u16_e32 vcc_lo, 2, v16
	v_dual_mov_b32 v16, v17 :: v_dual_lshlrev_b32 v45, 2, v15
	v_and_or_b32 v15, vcc_lo, v46, 0x80000000
	ds_bpermute_b32 v26, v45, v17
	ds_bpermute_b32 v20, v45, v18
	v_ctz_i32_b32_e32 v15, v15
	s_delay_alu instid0(VALU_DEP_1)
	v_cmpx_lt_u32_e64 v42, v15
	s_cbranch_execz .LBB616_52
; %bb.51:
	s_waitcnt lgkmcnt(1)
	v_add_co_u32 v16, vcc_lo, v17, v26
	v_add_co_ci_u32_e32 v18, vcc_lo, 0, v18, vcc_lo
	s_delay_alu instid0(VALU_DEP_2) | instskip(SKIP_1) | instid1(VALU_DEP_2)
	v_add_co_u32 v17, vcc_lo, 0, v16
	s_waitcnt lgkmcnt(0)
	v_add_co_ci_u32_e32 v18, vcc_lo, v20, v18, vcc_lo
.LBB616_52:
	s_or_b32 exec_lo, exec_lo, s7
	v_cmp_gt_u32_e32 vcc_lo, 30, v42
	v_add_nc_u32_e32 v48, 2, v42
	s_mov_b32 s7, exec_lo
	s_waitcnt lgkmcnt(0)
	v_cndmask_b32_e64 v20, 0, 1, vcc_lo
	s_delay_alu instid0(VALU_DEP_1) | instskip(NEXT) | instid1(VALU_DEP_1)
	v_lshlrev_b32_e32 v20, 1, v20
	v_add_lshl_u32 v47, v20, v42, 2
	ds_bpermute_b32 v26, v47, v16
	ds_bpermute_b32 v20, v47, v18
	v_cmpx_le_u32_e64 v48, v15
	s_cbranch_execz .LBB616_54
; %bb.53:
	s_waitcnt lgkmcnt(1)
	v_add_co_u32 v16, vcc_lo, v17, v26
	v_add_co_ci_u32_e32 v18, vcc_lo, 0, v18, vcc_lo
	s_delay_alu instid0(VALU_DEP_2) | instskip(SKIP_1) | instid1(VALU_DEP_2)
	v_add_co_u32 v17, vcc_lo, 0, v16
	s_waitcnt lgkmcnt(0)
	v_add_co_ci_u32_e32 v18, vcc_lo, v20, v18, vcc_lo
.LBB616_54:
	s_or_b32 exec_lo, exec_lo, s7
	v_cmp_gt_u32_e32 vcc_lo, 28, v42
	v_add_nc_u32_e32 v50, 4, v42
	s_mov_b32 s7, exec_lo
	s_waitcnt lgkmcnt(0)
	v_cndmask_b32_e64 v20, 0, 1, vcc_lo
	s_delay_alu instid0(VALU_DEP_1) | instskip(NEXT) | instid1(VALU_DEP_1)
	v_lshlrev_b32_e32 v20, 2, v20
	v_add_lshl_u32 v49, v20, v42, 2
	ds_bpermute_b32 v26, v49, v16
	ds_bpermute_b32 v20, v49, v18
	v_cmpx_le_u32_e64 v50, v15
	s_cbranch_execz .LBB616_56
; %bb.55:
	s_waitcnt lgkmcnt(1)
	v_add_co_u32 v16, vcc_lo, v17, v26
	v_add_co_ci_u32_e32 v18, vcc_lo, 0, v18, vcc_lo
	s_delay_alu instid0(VALU_DEP_2) | instskip(SKIP_1) | instid1(VALU_DEP_2)
	v_add_co_u32 v17, vcc_lo, 0, v16
	s_waitcnt lgkmcnt(0)
	v_add_co_ci_u32_e32 v18, vcc_lo, v20, v18, vcc_lo
.LBB616_56:
	s_or_b32 exec_lo, exec_lo, s7
	v_cmp_gt_u32_e32 vcc_lo, 24, v42
	v_add_nc_u32_e32 v52, 8, v42
	s_mov_b32 s7, exec_lo
	s_waitcnt lgkmcnt(0)
	v_cndmask_b32_e64 v20, 0, 1, vcc_lo
	s_delay_alu instid0(VALU_DEP_1) | instskip(NEXT) | instid1(VALU_DEP_1)
	v_lshlrev_b32_e32 v20, 3, v20
	v_add_lshl_u32 v51, v20, v42, 2
	ds_bpermute_b32 v26, v51, v16
	ds_bpermute_b32 v20, v51, v18
	v_cmpx_le_u32_e64 v52, v15
	s_cbranch_execz .LBB616_58
; %bb.57:
	s_waitcnt lgkmcnt(1)
	v_add_co_u32 v16, vcc_lo, v17, v26
	v_add_co_ci_u32_e32 v18, vcc_lo, 0, v18, vcc_lo
	s_delay_alu instid0(VALU_DEP_2) | instskip(SKIP_1) | instid1(VALU_DEP_2)
	v_add_co_u32 v17, vcc_lo, 0, v16
	s_waitcnt lgkmcnt(0)
	v_add_co_ci_u32_e32 v18, vcc_lo, v20, v18, vcc_lo
.LBB616_58:
	s_or_b32 exec_lo, exec_lo, s7
	v_cmp_gt_u32_e32 vcc_lo, 16, v42
	v_add_nc_u32_e32 v54, 16, v42
	s_mov_b32 s7, exec_lo
	s_waitcnt lgkmcnt(0)
	v_cndmask_b32_e64 v20, 0, 1, vcc_lo
	s_delay_alu instid0(VALU_DEP_1) | instskip(NEXT) | instid1(VALU_DEP_1)
	v_lshlrev_b32_e32 v20, 4, v20
	v_add_lshl_u32 v53, v20, v42, 2
	ds_bpermute_b32 v20, v53, v16
	ds_bpermute_b32 v16, v53, v18
	v_cmpx_le_u32_e64 v54, v15
	s_cbranch_execz .LBB616_60
; %bb.59:
	s_waitcnt lgkmcnt(1)
	v_add_co_u32 v15, vcc_lo, v17, v20
	v_add_co_ci_u32_e32 v18, vcc_lo, 0, v18, vcc_lo
	s_delay_alu instid0(VALU_DEP_2) | instskip(SKIP_1) | instid1(VALU_DEP_2)
	v_add_co_u32 v17, vcc_lo, v15, 0
	s_waitcnt lgkmcnt(0)
	v_add_co_ci_u32_e32 v18, vcc_lo, v18, v16, vcc_lo
.LBB616_60:
	s_or_b32 exec_lo, exec_lo, s7
	v_mov_b32_e32 v26, 0
	s_branch .LBB616_62
.LBB616_61:                             ;   in Loop: Header=BB616_62 Depth=1
	s_or_b32 exec_lo, exec_lo, s7
	v_add_co_u32 v17, vcc_lo, v17, v15
	v_subrev_nc_u32_e32 v25, 32, v25
	v_add_co_ci_u32_e32 v18, vcc_lo, v18, v16, vcc_lo
.LBB616_62:                             ; =>This Loop Header: Depth=1
                                        ;     Child Loop BB616_65 Depth 2
                                        ;       Child Loop BB616_66 Depth 3
	v_and_b32_e32 v15, 0xff, v19
	s_delay_alu instid0(VALU_DEP_1) | instskip(SKIP_2) | instid1(VALU_DEP_1)
	v_cmp_ne_u16_e32 vcc_lo, 2, v15
	v_cndmask_b32_e64 v15, 0, 1, vcc_lo
	;;#ASMSTART
	;;#ASMEND
	v_cmp_ne_u32_e32 vcc_lo, 0, v15
	s_waitcnt lgkmcnt(0)
	v_dual_mov_b32 v15, v17 :: v_dual_mov_b32 v16, v18
	s_cmp_lg_u32 vcc_lo, exec_lo
	s_cbranch_scc1 .LBB616_79
; %bb.63:                               ;   in Loop: Header=BB616_62 Depth=1
	v_lshlrev_b64 v[17:18], 4, v[25:26]
	s_mov_b32 s7, exec_lo
	s_delay_alu instid0(VALU_DEP_1) | instskip(NEXT) | instid1(VALU_DEP_2)
	v_add_co_u32 v27, vcc_lo, s4, v17
	v_add_co_ci_u32_e32 v28, vcc_lo, s5, v18, vcc_lo
	;;#ASMSTART
	global_load_dwordx4 v[17:20], v[27:28] off glc	
s_waitcnt vmcnt(0)
	;;#ASMEND
	v_and_b32_e32 v20, 0xff, v18
	v_and_b32_e32 v55, 0xff00, v18
	v_or3_b32 v17, v17, 0, 0
	v_and_b32_e32 v56, 0xff000000, v18
	v_and_b32_e32 v18, 0xff0000, v18
	s_delay_alu instid0(VALU_DEP_4) | instskip(SKIP_2) | instid1(VALU_DEP_3)
	v_or3_b32 v20, 0, v20, v55
	v_and_b32_e32 v55, 0xff, v19
	v_or3_b32 v17, v17, 0, 0
	v_or3_b32 v18, v20, v18, v56
	s_delay_alu instid0(VALU_DEP_3)
	v_cmpx_eq_u16_e32 0, v55
	s_cbranch_execz .LBB616_69
; %bb.64:                               ;   in Loop: Header=BB616_62 Depth=1
	s_mov_b32 s10, 1
	s_mov_b32 s8, 0
	.p2align	6
.LBB616_65:                             ;   Parent Loop BB616_62 Depth=1
                                        ; =>  This Loop Header: Depth=2
                                        ;       Child Loop BB616_66 Depth 3
	s_max_u32 s11, s10, 1
.LBB616_66:                             ;   Parent Loop BB616_62 Depth=1
                                        ;     Parent Loop BB616_65 Depth=2
                                        ; =>    This Inner Loop Header: Depth=3
	s_delay_alu instid0(SALU_CYCLE_1)
	s_add_i32 s11, s11, -1
	s_sleep 1
	s_cmp_eq_u32 s11, 0
	s_cbranch_scc0 .LBB616_66
; %bb.67:                               ;   in Loop: Header=BB616_65 Depth=2
	;;#ASMSTART
	global_load_dwordx4 v[17:20], v[27:28] off glc	
s_waitcnt vmcnt(0)
	;;#ASMEND
	v_and_b32_e32 v20, 0xff, v19
	s_cmp_lt_u32 s10, 32
	s_cselect_b32 s11, -1, 0
	s_delay_alu instid0(SALU_CYCLE_1) | instskip(NEXT) | instid1(VALU_DEP_1)
	s_cmp_lg_u32 s11, 0
	v_cmp_ne_u16_e32 vcc_lo, 0, v20
	s_addc_u32 s10, s10, 0
	s_or_b32 s8, vcc_lo, s8
	s_delay_alu instid0(SALU_CYCLE_1)
	s_and_not1_b32 exec_lo, exec_lo, s8
	s_cbranch_execnz .LBB616_65
; %bb.68:                               ;   in Loop: Header=BB616_62 Depth=1
	s_or_b32 exec_lo, exec_lo, s8
.LBB616_69:                             ;   in Loop: Header=BB616_62 Depth=1
	s_delay_alu instid0(SALU_CYCLE_1)
	s_or_b32 exec_lo, exec_lo, s7
	v_dual_mov_b32 v27, v17 :: v_dual_and_b32 v20, 0xff, v19
	ds_bpermute_b32 v55, v45, v17
	ds_bpermute_b32 v28, v45, v18
	s_mov_b32 s7, exec_lo
	v_cmp_eq_u16_e32 vcc_lo, 2, v20
	v_and_or_b32 v20, vcc_lo, v46, 0x80000000
	s_delay_alu instid0(VALU_DEP_1) | instskip(NEXT) | instid1(VALU_DEP_1)
	v_ctz_i32_b32_e32 v20, v20
	v_cmpx_lt_u32_e64 v42, v20
	s_cbranch_execz .LBB616_71
; %bb.70:                               ;   in Loop: Header=BB616_62 Depth=1
	s_waitcnt lgkmcnt(1)
	v_add_co_u32 v27, vcc_lo, v17, v55
	v_add_co_ci_u32_e32 v18, vcc_lo, 0, v18, vcc_lo
	s_delay_alu instid0(VALU_DEP_2) | instskip(SKIP_1) | instid1(VALU_DEP_2)
	v_add_co_u32 v17, vcc_lo, 0, v27
	s_waitcnt lgkmcnt(0)
	v_add_co_ci_u32_e32 v18, vcc_lo, v28, v18, vcc_lo
.LBB616_71:                             ;   in Loop: Header=BB616_62 Depth=1
	s_or_b32 exec_lo, exec_lo, s7
	s_waitcnt lgkmcnt(1)
	ds_bpermute_b32 v55, v47, v27
	s_waitcnt lgkmcnt(1)
	ds_bpermute_b32 v28, v47, v18
	s_mov_b32 s7, exec_lo
	v_cmpx_le_u32_e64 v48, v20
	s_cbranch_execz .LBB616_73
; %bb.72:                               ;   in Loop: Header=BB616_62 Depth=1
	s_waitcnt lgkmcnt(1)
	v_add_co_u32 v27, vcc_lo, v17, v55
	v_add_co_ci_u32_e32 v18, vcc_lo, 0, v18, vcc_lo
	s_delay_alu instid0(VALU_DEP_2) | instskip(SKIP_1) | instid1(VALU_DEP_2)
	v_add_co_u32 v17, vcc_lo, 0, v27
	s_waitcnt lgkmcnt(0)
	v_add_co_ci_u32_e32 v18, vcc_lo, v28, v18, vcc_lo
.LBB616_73:                             ;   in Loop: Header=BB616_62 Depth=1
	s_or_b32 exec_lo, exec_lo, s7
	s_waitcnt lgkmcnt(1)
	ds_bpermute_b32 v55, v49, v27
	s_waitcnt lgkmcnt(1)
	ds_bpermute_b32 v28, v49, v18
	s_mov_b32 s7, exec_lo
	v_cmpx_le_u32_e64 v50, v20
	;; [unrolled: 17-line block ×3, first 2 shown]
	s_cbranch_execz .LBB616_77
; %bb.76:                               ;   in Loop: Header=BB616_62 Depth=1
	s_waitcnt lgkmcnt(1)
	v_add_co_u32 v27, vcc_lo, v17, v55
	v_add_co_ci_u32_e32 v18, vcc_lo, 0, v18, vcc_lo
	s_delay_alu instid0(VALU_DEP_2) | instskip(SKIP_1) | instid1(VALU_DEP_2)
	v_add_co_u32 v17, vcc_lo, 0, v27
	s_waitcnt lgkmcnt(0)
	v_add_co_ci_u32_e32 v18, vcc_lo, v28, v18, vcc_lo
.LBB616_77:                             ;   in Loop: Header=BB616_62 Depth=1
	s_or_b32 exec_lo, exec_lo, s7
	s_waitcnt lgkmcnt(0)
	ds_bpermute_b32 v28, v53, v27
	ds_bpermute_b32 v27, v53, v18
	s_mov_b32 s7, exec_lo
	v_cmpx_le_u32_e64 v54, v20
	s_cbranch_execz .LBB616_61
; %bb.78:                               ;   in Loop: Header=BB616_62 Depth=1
	s_waitcnt lgkmcnt(1)
	v_add_co_u32 v17, vcc_lo, v17, v28
	v_add_co_ci_u32_e32 v18, vcc_lo, 0, v18, vcc_lo
	s_delay_alu instid0(VALU_DEP_2) | instskip(SKIP_1) | instid1(VALU_DEP_2)
	v_add_co_u32 v17, vcc_lo, v17, 0
	s_waitcnt lgkmcnt(0)
	v_add_co_ci_u32_e32 v18, vcc_lo, v18, v27, vcc_lo
	s_branch .LBB616_61
.LBB616_79:                             ;   in Loop: Header=BB616_62 Depth=1
                                        ; implicit-def: $vgpr17_vgpr18
	s_cbranch_execz .LBB616_62
; %bb.80:
	s_and_saveexec_b32 s7, s3
	s_cbranch_execz .LBB616_82
; %bb.81:
	s_add_i32 s10, s15, 32
	s_mov_b32 s11, 0
	v_add_co_u32 v17, vcc_lo, v15, v13
	s_lshl_b64 s[10:11], s[10:11], 4
	v_dual_mov_b32 v19, 2 :: v_dual_mov_b32 v20, 0
	s_add_u32 s10, s4, s10
	s_addc_u32 s11, s5, s11
	v_add_co_ci_u32_e32 v18, vcc_lo, v16, v14, vcc_lo
	v_dual_mov_b32 v26, s11 :: v_dual_mov_b32 v25, s10
	;;#ASMSTART
	global_store_dwordx4 v[25:26], v[17:20] off	
s_waitcnt vmcnt(0)
	;;#ASMEND
	ds_store_b128 v20, v[13:16] offset:6144
.LBB616_82:
	s_or_b32 exec_lo, exec_lo, s7
	v_cmp_eq_u32_e32 vcc_lo, 0, v0
	s_and_b32 exec_lo, exec_lo, vcc_lo
	s_cbranch_execz .LBB616_84
; %bb.83:
	v_mov_b32_e32 v13, 0
	ds_store_b64 v13, v[15:16] offset:24
.LBB616_84:
	s_or_b32 exec_lo, exec_lo, s6
	s_waitcnt lgkmcnt(1)
	v_cndmask_b32_e64 v16, v29, v23, s3
	v_cmp_ne_u32_e32 vcc_lo, 0, v0
	v_mov_b32_e32 v15, 0
	s_waitcnt lgkmcnt(0)
	s_barrier
	buffer_gl0_inv
	v_cndmask_b32_e32 v16, 0, v16, vcc_lo
	ds_load_b64 v[13:14], v15 offset:24
	v_cndmask_b32_e64 v17, v30, v24, s3
	s_waitcnt lgkmcnt(0)
	s_barrier
	buffer_gl0_inv
	v_cndmask_b32_e32 v17, 0, v17, vcc_lo
	v_add_co_u32 v29, vcc_lo, v13, v16
	s_delay_alu instid0(VALU_DEP_2) | instskip(SKIP_3) | instid1(VALU_DEP_2)
	v_add_co_ci_u32_e32 v30, vcc_lo, v14, v17, vcc_lo
	ds_load_b128 v[13:16], v15 offset:6144
	v_add_co_u32 v27, vcc_lo, v29, v41
	v_add_co_ci_u32_e32 v28, vcc_lo, 0, v30, vcc_lo
	v_add_co_u32 v25, vcc_lo, v27, v40
	s_delay_alu instid0(VALU_DEP_2) | instskip(NEXT) | instid1(VALU_DEP_2)
	v_add_co_ci_u32_e32 v26, vcc_lo, 0, v28, vcc_lo
	v_add_co_u32 v23, vcc_lo, v25, v39
	s_delay_alu instid0(VALU_DEP_2) | instskip(NEXT) | instid1(VALU_DEP_2)
	v_add_co_ci_u32_e32 v24, vcc_lo, 0, v26, vcc_lo
	v_add_co_u32 v19, vcc_lo, v23, v38
	s_delay_alu instid0(VALU_DEP_2) | instskip(NEXT) | instid1(VALU_DEP_2)
	v_add_co_ci_u32_e32 v20, vcc_lo, 0, v24, vcc_lo
	v_add_co_u32 v17, vcc_lo, v19, v37
	s_delay_alu instid0(VALU_DEP_2)
	v_add_co_ci_u32_e32 v18, vcc_lo, 0, v20, vcc_lo
	s_load_b64 s[6:7], s[0:1], 0x30
.LBB616_85:
	s_waitcnt lgkmcnt(0)
	v_cmp_gt_u64_e32 vcc_lo, 0x81, v[13:14]
	s_mov_b32 s0, -1
	s_cbranch_vccnz .LBB616_113
.LBB616_86:
	s_and_b32 vcc_lo, exec_lo, s0
	s_cbranch_vccnz .LBB616_132
.LBB616_87:
	v_cmp_eq_u32_e32 vcc_lo, 0, v0
	s_and_b32 s0, vcc_lo, s9
	s_delay_alu instid0(SALU_CYCLE_1)
	s_and_saveexec_b32 s1, s0
	s_cbranch_execnz .LBB616_148
.LBB616_88:
	s_nop 0
	s_sendmsg sendmsg(MSG_DEALLOC_VGPRS)
	s_endpgm
.LBB616_89:
                                        ; kill: def $vgpr13_vgpr14 killed $sgpr0_sgpr1 killed $exec
                                        ; implicit-def: $vgpr17_vgpr18
                                        ; implicit-def: $vgpr19_vgpr20
                                        ; implicit-def: $vgpr23_vgpr24
                                        ; implicit-def: $vgpr25_vgpr26
                                        ; implicit-def: $vgpr27_vgpr28
                                        ; implicit-def: $vgpr29_vgpr30
                                        ; implicit-def: $vgpr15_vgpr16
	s_load_b64 s[6:7], s[0:1], 0x30
	s_and_b32 vcc_lo, exec_lo, s3
	s_cbranch_vccz .LBB616_85
; %bb.90:
	s_waitcnt lgkmcnt(0)
	v_dual_mov_b32 v14, 0 :: v_dual_mov_b32 v15, v21
	v_mov_b32_dpp v16, v21 row_shr:1 row_mask:0xf bank_mask:0xf
	s_delay_alu instid0(VALU_DEP_2)
	v_mov_b32_dpp v13, v14 row_shr:1 row_mask:0xf bank_mask:0xf
	s_and_saveexec_b32 s0, s2
; %bb.91:
	s_delay_alu instid0(VALU_DEP_2) | instskip(SKIP_1) | instid1(VALU_DEP_2)
	v_add_co_u32 v15, vcc_lo, v21, v16
	v_add_co_ci_u32_e32 v14, vcc_lo, 0, v22, vcc_lo
	v_add_co_u32 v21, vcc_lo, 0, v15
	s_delay_alu instid0(VALU_DEP_2) | instskip(NEXT) | instid1(VALU_DEP_1)
	v_add_co_ci_u32_e32 v22, vcc_lo, v13, v14, vcc_lo
	v_mov_b32_e32 v14, v22
; %bb.92:
	s_or_b32 exec_lo, exec_lo, s0
	v_mov_b32_dpp v13, v15 row_shr:2 row_mask:0xf bank_mask:0xf
	s_delay_alu instid0(VALU_DEP_2)
	v_mov_b32_dpp v16, v14 row_shr:2 row_mask:0xf bank_mask:0xf
	s_mov_b32 s0, exec_lo
	v_cmpx_lt_u32_e32 1, v44
; %bb.93:
	s_delay_alu instid0(VALU_DEP_3) | instskip(SKIP_1) | instid1(VALU_DEP_2)
	v_add_co_u32 v15, vcc_lo, v21, v13
	v_add_co_ci_u32_e32 v14, vcc_lo, 0, v22, vcc_lo
	v_add_co_u32 v13, vcc_lo, 0, v15
	s_delay_alu instid0(VALU_DEP_2) | instskip(NEXT) | instid1(VALU_DEP_1)
	v_add_co_ci_u32_e32 v14, vcc_lo, v16, v14, vcc_lo
	v_dual_mov_b32 v22, v14 :: v_dual_mov_b32 v21, v13
; %bb.94:
	s_or_b32 exec_lo, exec_lo, s0
	v_mov_b32_dpp v13, v15 row_shr:4 row_mask:0xf bank_mask:0xf
	v_mov_b32_dpp v16, v14 row_shr:4 row_mask:0xf bank_mask:0xf
	s_mov_b32 s0, exec_lo
	v_cmpx_lt_u32_e32 3, v44
; %bb.95:
	s_delay_alu instid0(VALU_DEP_3) | instskip(SKIP_1) | instid1(VALU_DEP_2)
	v_add_co_u32 v15, vcc_lo, v21, v13
	v_add_co_ci_u32_e32 v14, vcc_lo, 0, v22, vcc_lo
	v_add_co_u32 v13, vcc_lo, 0, v15
	s_delay_alu instid0(VALU_DEP_2) | instskip(NEXT) | instid1(VALU_DEP_1)
	v_add_co_ci_u32_e32 v14, vcc_lo, v16, v14, vcc_lo
	v_dual_mov_b32 v22, v14 :: v_dual_mov_b32 v21, v13
; %bb.96:
	s_or_b32 exec_lo, exec_lo, s0
	v_mov_b32_dpp v16, v15 row_shr:8 row_mask:0xf bank_mask:0xf
	v_mov_b32_dpp v13, v14 row_shr:8 row_mask:0xf bank_mask:0xf
	s_mov_b32 s0, exec_lo
	v_cmpx_lt_u32_e32 7, v44
; %bb.97:
	s_delay_alu instid0(VALU_DEP_3) | instskip(SKIP_1) | instid1(VALU_DEP_2)
	v_add_co_u32 v15, vcc_lo, v21, v16
	v_add_co_ci_u32_e32 v14, vcc_lo, 0, v22, vcc_lo
	v_add_co_u32 v21, vcc_lo, 0, v15
	s_delay_alu instid0(VALU_DEP_2) | instskip(NEXT) | instid1(VALU_DEP_1)
	v_add_co_ci_u32_e32 v22, vcc_lo, v13, v14, vcc_lo
	v_mov_b32_e32 v14, v22
; %bb.98:
	s_or_b32 exec_lo, exec_lo, s0
	ds_swizzle_b32 v15, v15 offset:swizzle(BROADCAST,32,15)
	ds_swizzle_b32 v13, v14 offset:swizzle(BROADCAST,32,15)
	v_and_b32_e32 v14, 16, v42
	s_mov_b32 s0, exec_lo
	s_delay_alu instid0(VALU_DEP_1)
	v_cmpx_ne_u32_e32 0, v14
	s_cbranch_execz .LBB616_100
; %bb.99:
	s_waitcnt lgkmcnt(1)
	v_add_co_u32 v14, vcc_lo, v21, v15
	v_add_co_ci_u32_e32 v15, vcc_lo, 0, v22, vcc_lo
	s_delay_alu instid0(VALU_DEP_2) | instskip(SKIP_1) | instid1(VALU_DEP_2)
	v_add_co_u32 v21, vcc_lo, v14, 0
	s_waitcnt lgkmcnt(0)
	v_add_co_ci_u32_e32 v22, vcc_lo, v15, v13, vcc_lo
.LBB616_100:
	s_or_b32 exec_lo, exec_lo, s0
	s_waitcnt lgkmcnt(0)
	v_or_b32_e32 v13, 31, v0
	v_lshrrev_b32_e32 v15, 5, v0
	s_mov_b32 s0, exec_lo
	s_delay_alu instid0(VALU_DEP_2)
	v_cmpx_eq_u32_e64 v13, v0
	s_cbranch_execz .LBB616_102
; %bb.101:
	s_delay_alu instid0(VALU_DEP_2)
	v_lshlrev_b32_e32 v13, 3, v15
	ds_store_b64 v13, v[21:22]
.LBB616_102:
	s_or_b32 exec_lo, exec_lo, s0
	s_delay_alu instid0(SALU_CYCLE_1)
	s_mov_b32 s0, exec_lo
	s_waitcnt lgkmcnt(0)
	s_barrier
	buffer_gl0_inv
	v_cmpx_gt_u32_e32 4, v0
	s_cbranch_execz .LBB616_108
; %bb.103:
	v_lshlrev_b32_e32 v13, 1, v0
	s_mov_b32 s1, exec_lo
	s_delay_alu instid0(VALU_DEP_1)
	v_add_nc_u32_e32 v16, v43, v13
	ds_load_b64 v[13:14], v16
	s_waitcnt lgkmcnt(0)
	v_dual_mov_b32 v18, v13 :: v_dual_and_b32 v17, 3, v42
	v_mov_b32_dpp v20, v13 row_shr:1 row_mask:0xf bank_mask:0xf
	v_mov_b32_dpp v19, v14 row_shr:1 row_mask:0xf bank_mask:0xf
	s_delay_alu instid0(VALU_DEP_3)
	v_cmpx_ne_u32_e32 0, v17
; %bb.104:
	s_delay_alu instid0(VALU_DEP_3) | instskip(SKIP_1) | instid1(VALU_DEP_2)
	v_add_co_u32 v18, vcc_lo, v13, v20
	v_add_co_ci_u32_e32 v14, vcc_lo, 0, v14, vcc_lo
	v_add_co_u32 v13, vcc_lo, 0, v18
	s_delay_alu instid0(VALU_DEP_2)
	v_add_co_ci_u32_e32 v14, vcc_lo, v19, v14, vcc_lo
; %bb.105:
	s_or_b32 exec_lo, exec_lo, s1
	v_mov_b32_dpp v19, v18 row_shr:2 row_mask:0xf bank_mask:0xf
	s_delay_alu instid0(VALU_DEP_2)
	v_mov_b32_dpp v18, v14 row_shr:2 row_mask:0xf bank_mask:0xf
	s_mov_b32 s1, exec_lo
	v_cmpx_lt_u32_e32 1, v17
; %bb.106:
	s_delay_alu instid0(VALU_DEP_3) | instskip(SKIP_1) | instid1(VALU_DEP_2)
	v_add_co_u32 v13, vcc_lo, v13, v19
	v_add_co_ci_u32_e32 v14, vcc_lo, 0, v14, vcc_lo
	v_add_co_u32 v13, vcc_lo, v13, 0
	s_delay_alu instid0(VALU_DEP_2)
	v_add_co_ci_u32_e32 v14, vcc_lo, v14, v18, vcc_lo
; %bb.107:
	s_or_b32 exec_lo, exec_lo, s1
	ds_store_b64 v16, v[13:14]
.LBB616_108:
	s_or_b32 exec_lo, exec_lo, s0
	v_mov_b32_e32 v17, 0
	v_mov_b32_e32 v18, 0
	s_mov_b32 s0, exec_lo
	s_waitcnt lgkmcnt(0)
	s_barrier
	buffer_gl0_inv
	v_cmpx_lt_u32_e32 31, v0
	s_cbranch_execz .LBB616_110
; %bb.109:
	v_lshl_add_u32 v13, v15, 3, -8
	ds_load_b64 v[17:18], v13
.LBB616_110:
	s_or_b32 exec_lo, exec_lo, s0
	v_dual_mov_b32 v16, 0 :: v_dual_add_nc_u32 v13, -1, v42
	s_delay_alu instid0(VALU_DEP_1) | instskip(SKIP_4) | instid1(VALU_DEP_3)
	v_cmp_gt_i32_e32 vcc_lo, 0, v13
	v_cndmask_b32_e32 v13, v13, v42, vcc_lo
	s_waitcnt lgkmcnt(0)
	v_add_co_u32 v14, vcc_lo, v17, v21
	v_add_co_ci_u32_e32 v15, vcc_lo, v18, v22, vcc_lo
	v_lshlrev_b32_e32 v13, 2, v13
	v_cmp_eq_u32_e32 vcc_lo, 0, v0
	ds_bpermute_b32 v19, v13, v14
	ds_bpermute_b32 v20, v13, v15
	ds_load_b64 v[13:14], v16 offset:24
	s_and_saveexec_b32 s0, vcc_lo
	s_cbranch_execz .LBB616_112
; %bb.111:
	s_add_u32 s2, s4, 0x200
	s_addc_u32 s3, s5, 0
	s_delay_alu instid0(SALU_CYCLE_1)
	v_dual_mov_b32 v15, 2 :: v_dual_mov_b32 v22, s3
	v_mov_b32_e32 v21, s2
	s_waitcnt lgkmcnt(0)
	;;#ASMSTART
	global_store_dwordx4 v[21:22], v[13:16] off	
s_waitcnt vmcnt(0)
	;;#ASMEND
.LBB616_112:
	s_or_b32 exec_lo, exec_lo, s0
	v_cmp_eq_u32_e64 s0, 0, v42
	s_waitcnt lgkmcnt(0)
	s_barrier
	buffer_gl0_inv
	v_cndmask_b32_e64 v15, v19, v17, s0
	v_cndmask_b32_e64 v16, v20, v18, s0
	s_delay_alu instid0(VALU_DEP_2) | instskip(NEXT) | instid1(VALU_DEP_2)
	v_cndmask_b32_e64 v29, v15, 0, vcc_lo
	v_cndmask_b32_e64 v30, v16, 0, vcc_lo
	v_mov_b32_e32 v15, 0
	v_mov_b32_e32 v16, 0
	s_delay_alu instid0(VALU_DEP_4) | instskip(NEXT) | instid1(VALU_DEP_4)
	v_add_co_u32 v27, vcc_lo, v29, v41
	v_add_co_ci_u32_e32 v28, vcc_lo, 0, v30, vcc_lo
	s_delay_alu instid0(VALU_DEP_2) | instskip(NEXT) | instid1(VALU_DEP_2)
	v_add_co_u32 v25, vcc_lo, v27, v40
	v_add_co_ci_u32_e32 v26, vcc_lo, 0, v28, vcc_lo
	s_delay_alu instid0(VALU_DEP_2) | instskip(NEXT) | instid1(VALU_DEP_2)
	;; [unrolled: 3-line block ×4, first 2 shown]
	v_add_co_u32 v17, vcc_lo, v19, v37
	v_add_co_ci_u32_e32 v18, vcc_lo, 0, v20, vcc_lo
	v_cmp_gt_u64_e32 vcc_lo, 0x81, v[13:14]
	s_mov_b32 s0, -1
	s_cbranch_vccz .LBB616_86
.LBB616_113:
	v_add_co_u32 v21, vcc_lo, v15, v13
	v_add_co_ci_u32_e32 v22, vcc_lo, v16, v14, vcc_lo
	s_delay_alu instid0(VALU_DEP_1) | instskip(SKIP_1) | instid1(SALU_CYCLE_1)
	v_cmp_lt_u64_e32 vcc_lo, v[29:30], v[21:22]
	s_or_b32 s1, s14, vcc_lo
	s_and_saveexec_b32 s0, s1
	s_cbranch_execz .LBB616_116
; %bb.114:
	v_and_b32_e32 v37, 1, v36
	s_delay_alu instid0(VALU_DEP_1)
	v_cmp_eq_u32_e32 vcc_lo, 1, v37
	s_and_b32 exec_lo, exec_lo, vcc_lo
	s_cbranch_execz .LBB616_116
; %bb.115:
	v_lshlrev_b64 v[37:38], 3, v[29:30]
	s_lshl_b64 s[2:3], s[12:13], 3
	s_delay_alu instid0(SALU_CYCLE_1) | instskip(SKIP_1) | instid1(VALU_DEP_1)
	s_add_u32 s1, s6, s2
	s_addc_u32 s2, s7, s3
	v_add_co_u32 v37, vcc_lo, s1, v37
	s_delay_alu instid0(VALU_DEP_2)
	v_add_co_ci_u32_e32 v38, vcc_lo, s2, v38, vcc_lo
	global_store_b64 v[37:38], v[9:10], off
.LBB616_116:
	s_or_b32 exec_lo, exec_lo, s0
	v_cmp_lt_u64_e32 vcc_lo, v[27:28], v[21:22]
	s_or_b32 s1, s14, vcc_lo
	s_delay_alu instid0(SALU_CYCLE_1)
	s_and_saveexec_b32 s0, s1
	s_cbranch_execz .LBB616_119
; %bb.117:
	v_and_b32_e32 v30, 1, v34
	s_delay_alu instid0(VALU_DEP_1)
	v_cmp_eq_u32_e32 vcc_lo, 1, v30
	s_and_b32 exec_lo, exec_lo, vcc_lo
	s_cbranch_execz .LBB616_119
; %bb.118:
	v_lshlrev_b64 v[37:38], 3, v[27:28]
	s_lshl_b64 s[2:3], s[12:13], 3
	s_delay_alu instid0(SALU_CYCLE_1) | instskip(SKIP_1) | instid1(VALU_DEP_1)
	s_add_u32 s1, s6, s2
	s_addc_u32 s2, s7, s3
	v_add_co_u32 v37, vcc_lo, s1, v37
	s_delay_alu instid0(VALU_DEP_2)
	v_add_co_ci_u32_e32 v38, vcc_lo, s2, v38, vcc_lo
	global_store_b64 v[37:38], v[11:12], off
.LBB616_119:
	s_or_b32 exec_lo, exec_lo, s0
	v_cmp_lt_u64_e32 vcc_lo, v[25:26], v[21:22]
	s_or_b32 s1, s14, vcc_lo
	s_delay_alu instid0(SALU_CYCLE_1)
	;; [unrolled: 23-line block ×5, first 2 shown]
	s_and_saveexec_b32 s0, s1
	s_cbranch_execz .LBB616_131
; %bb.129:
	v_and_b32_e32 v20, 1, v32
	s_delay_alu instid0(VALU_DEP_1)
	v_cmp_eq_u32_e32 vcc_lo, 1, v20
	s_and_b32 exec_lo, exec_lo, vcc_lo
	s_cbranch_execz .LBB616_131
; %bb.130:
	v_lshlrev_b64 v[20:21], 3, v[17:18]
	s_lshl_b64 s[2:3], s[12:13], 3
	s_delay_alu instid0(SALU_CYCLE_1) | instskip(SKIP_1) | instid1(VALU_DEP_1)
	s_add_u32 s1, s6, s2
	s_addc_u32 s2, s7, s3
	v_add_co_u32 v20, vcc_lo, s1, v20
	s_delay_alu instid0(VALU_DEP_2)
	v_add_co_ci_u32_e32 v21, vcc_lo, s2, v21, vcc_lo
	global_store_b64 v[20:21], v[3:4], off
.LBB616_131:
	s_or_b32 exec_lo, exec_lo, s0
	s_branch .LBB616_87
.LBB616_132:
	v_and_b32_e32 v18, 1, v36
	s_mov_b32 s0, exec_lo
	s_delay_alu instid0(VALU_DEP_1)
	v_cmpx_eq_u32_e32 1, v18
	s_cbranch_execz .LBB616_134
; %bb.133:
	v_sub_nc_u32_e32 v18, v29, v15
	s_delay_alu instid0(VALU_DEP_1)
	v_lshlrev_b32_e32 v18, 3, v18
	ds_store_b64 v18, v[9:10]
.LBB616_134:
	s_or_b32 exec_lo, exec_lo, s0
	v_and_b32_e32 v9, 1, v34
	s_mov_b32 s0, exec_lo
	s_delay_alu instid0(VALU_DEP_1)
	v_cmpx_eq_u32_e32 1, v9
	s_cbranch_execz .LBB616_136
; %bb.135:
	v_sub_nc_u32_e32 v9, v27, v15
	s_delay_alu instid0(VALU_DEP_1)
	v_lshlrev_b32_e32 v9, 3, v9
	ds_store_b64 v9, v[11:12]
.LBB616_136:
	s_or_b32 exec_lo, exec_lo, s0
	;; [unrolled: 12-line block ×6, first 2 shown]
	v_mov_b32_e32 v3, 0
	s_mov_b32 s1, exec_lo
	s_waitcnt lgkmcnt(0)
	s_waitcnt_vscnt null, 0x0
	s_barrier
	buffer_gl0_inv
	v_mov_b32_e32 v1, v3
	s_delay_alu instid0(VALU_DEP_1)
	v_cmpx_gt_u64_e64 v[13:14], v[0:1]
	s_cbranch_execz .LBB616_147
; %bb.145:
	v_lshlrev_b64 v[4:5], 3, v[15:16]
	s_lshl_b64 s[2:3], s[12:13], 3
	v_or_b32_e32 v2, 0x80, v0
	s_delay_alu instid0(VALU_DEP_2) | instskip(NEXT) | instid1(VALU_DEP_3)
	v_add_co_u32 v4, vcc_lo, s6, v4
	v_add_co_ci_u32_e32 v5, vcc_lo, s7, v5, vcc_lo
	s_delay_alu instid0(VALU_DEP_2) | instskip(NEXT) | instid1(VALU_DEP_2)
	v_add_co_u32 v6, vcc_lo, v4, s2
	v_add_co_ci_u32_e32 v7, vcc_lo, s3, v5, vcc_lo
	v_dual_mov_b32 v5, v1 :: v_dual_mov_b32 v4, v0
	s_mov_b32 s2, 0
	.p2align	6
.LBB616_146:                            ; =>This Inner Loop Header: Depth=1
	s_delay_alu instid0(VALU_DEP_1) | instskip(NEXT) | instid1(VALU_DEP_2)
	v_lshlrev_b32_e32 v1, 3, v4
	v_lshlrev_b64 v[10:11], 3, v[4:5]
	v_dual_mov_b32 v5, v3 :: v_dual_mov_b32 v4, v2
	v_cmp_le_u64_e32 vcc_lo, v[13:14], v[2:3]
	v_add_nc_u32_e32 v2, 0x80, v2
	ds_load_b64 v[8:9], v1
	v_add_co_u32 v10, s0, v6, v10
	s_delay_alu instid0(VALU_DEP_1)
	v_add_co_ci_u32_e64 v11, s0, v7, v11, s0
	s_or_b32 s2, vcc_lo, s2
	s_waitcnt lgkmcnt(0)
	global_store_b64 v[10:11], v[8:9], off
	s_and_not1_b32 exec_lo, exec_lo, s2
	s_cbranch_execnz .LBB616_146
.LBB616_147:
	s_or_b32 exec_lo, exec_lo, s1
	v_cmp_eq_u32_e32 vcc_lo, 0, v0
	s_and_b32 s0, vcc_lo, s9
	s_delay_alu instid0(SALU_CYCLE_1)
	s_and_saveexec_b32 s1, s0
	s_cbranch_execz .LBB616_88
.LBB616_148:
	v_add_co_u32 v0, vcc_lo, v15, v13
	v_add_co_ci_u32_e32 v1, vcc_lo, v16, v14, vcc_lo
	v_mov_b32_e32 v2, 0
	s_delay_alu instid0(VALU_DEP_3) | instskip(NEXT) | instid1(VALU_DEP_3)
	v_add_co_u32 v0, vcc_lo, v0, s12
	v_add_co_ci_u32_e32 v1, vcc_lo, s13, v1, vcc_lo
	global_store_b64 v2, v[0:1], s[16:17]
	s_nop 0
	s_sendmsg sendmsg(MSG_DEALLOC_VGPRS)
	s_endpgm
	.section	.rodata,"a",@progbits
	.p2align	6, 0x0
	.amdhsa_kernel _ZN7rocprim17ROCPRIM_400000_NS6detail17trampoline_kernelINS0_14default_configENS1_25partition_config_selectorILNS1_17partition_subalgoE5ElNS0_10empty_typeEbEEZZNS1_14partition_implILS5_5ELb0ES3_mN6hipcub16HIPCUB_304000_NS21CountingInputIteratorIllEEPS6_NSA_22TransformInputIteratorIbN2at6native12_GLOBAL__N_19NonZeroOpIN3c107complexIfEEEEPKSL_lEENS0_5tupleIJPlS6_EEENSQ_IJSD_SD_EEES6_PiJS6_EEE10hipError_tPvRmT3_T4_T5_T6_T7_T9_mT8_P12ihipStream_tbDpT10_ENKUlT_T0_E_clISt17integral_constantIbLb1EES1D_IbLb0EEEEDaS19_S1A_EUlS19_E_NS1_11comp_targetILNS1_3genE9ELNS1_11target_archE1100ELNS1_3gpuE3ELNS1_3repE0EEENS1_30default_config_static_selectorELNS0_4arch9wavefront6targetE0EEEvT1_
		.amdhsa_group_segment_fixed_size 6160
		.amdhsa_private_segment_fixed_size 0
		.amdhsa_kernarg_size 120
		.amdhsa_user_sgpr_count 15
		.amdhsa_user_sgpr_dispatch_ptr 0
		.amdhsa_user_sgpr_queue_ptr 0
		.amdhsa_user_sgpr_kernarg_segment_ptr 1
		.amdhsa_user_sgpr_dispatch_id 0
		.amdhsa_user_sgpr_private_segment_size 0
		.amdhsa_wavefront_size32 1
		.amdhsa_uses_dynamic_stack 0
		.amdhsa_enable_private_segment 0
		.amdhsa_system_sgpr_workgroup_id_x 1
		.amdhsa_system_sgpr_workgroup_id_y 0
		.amdhsa_system_sgpr_workgroup_id_z 0
		.amdhsa_system_sgpr_workgroup_info 0
		.amdhsa_system_vgpr_workitem_id 0
		.amdhsa_next_free_vgpr 57
		.amdhsa_next_free_sgpr 23
		.amdhsa_reserve_vcc 1
		.amdhsa_float_round_mode_32 0
		.amdhsa_float_round_mode_16_64 0
		.amdhsa_float_denorm_mode_32 3
		.amdhsa_float_denorm_mode_16_64 3
		.amdhsa_dx10_clamp 1
		.amdhsa_ieee_mode 1
		.amdhsa_fp16_overflow 0
		.amdhsa_workgroup_processor_mode 1
		.amdhsa_memory_ordered 1
		.amdhsa_forward_progress 0
		.amdhsa_shared_vgpr_count 0
		.amdhsa_exception_fp_ieee_invalid_op 0
		.amdhsa_exception_fp_denorm_src 0
		.amdhsa_exception_fp_ieee_div_zero 0
		.amdhsa_exception_fp_ieee_overflow 0
		.amdhsa_exception_fp_ieee_underflow 0
		.amdhsa_exception_fp_ieee_inexact 0
		.amdhsa_exception_int_div_zero 0
	.end_amdhsa_kernel
	.section	.text._ZN7rocprim17ROCPRIM_400000_NS6detail17trampoline_kernelINS0_14default_configENS1_25partition_config_selectorILNS1_17partition_subalgoE5ElNS0_10empty_typeEbEEZZNS1_14partition_implILS5_5ELb0ES3_mN6hipcub16HIPCUB_304000_NS21CountingInputIteratorIllEEPS6_NSA_22TransformInputIteratorIbN2at6native12_GLOBAL__N_19NonZeroOpIN3c107complexIfEEEEPKSL_lEENS0_5tupleIJPlS6_EEENSQ_IJSD_SD_EEES6_PiJS6_EEE10hipError_tPvRmT3_T4_T5_T6_T7_T9_mT8_P12ihipStream_tbDpT10_ENKUlT_T0_E_clISt17integral_constantIbLb1EES1D_IbLb0EEEEDaS19_S1A_EUlS19_E_NS1_11comp_targetILNS1_3genE9ELNS1_11target_archE1100ELNS1_3gpuE3ELNS1_3repE0EEENS1_30default_config_static_selectorELNS0_4arch9wavefront6targetE0EEEvT1_,"axG",@progbits,_ZN7rocprim17ROCPRIM_400000_NS6detail17trampoline_kernelINS0_14default_configENS1_25partition_config_selectorILNS1_17partition_subalgoE5ElNS0_10empty_typeEbEEZZNS1_14partition_implILS5_5ELb0ES3_mN6hipcub16HIPCUB_304000_NS21CountingInputIteratorIllEEPS6_NSA_22TransformInputIteratorIbN2at6native12_GLOBAL__N_19NonZeroOpIN3c107complexIfEEEEPKSL_lEENS0_5tupleIJPlS6_EEENSQ_IJSD_SD_EEES6_PiJS6_EEE10hipError_tPvRmT3_T4_T5_T6_T7_T9_mT8_P12ihipStream_tbDpT10_ENKUlT_T0_E_clISt17integral_constantIbLb1EES1D_IbLb0EEEEDaS19_S1A_EUlS19_E_NS1_11comp_targetILNS1_3genE9ELNS1_11target_archE1100ELNS1_3gpuE3ELNS1_3repE0EEENS1_30default_config_static_selectorELNS0_4arch9wavefront6targetE0EEEvT1_,comdat
.Lfunc_end616:
	.size	_ZN7rocprim17ROCPRIM_400000_NS6detail17trampoline_kernelINS0_14default_configENS1_25partition_config_selectorILNS1_17partition_subalgoE5ElNS0_10empty_typeEbEEZZNS1_14partition_implILS5_5ELb0ES3_mN6hipcub16HIPCUB_304000_NS21CountingInputIteratorIllEEPS6_NSA_22TransformInputIteratorIbN2at6native12_GLOBAL__N_19NonZeroOpIN3c107complexIfEEEEPKSL_lEENS0_5tupleIJPlS6_EEENSQ_IJSD_SD_EEES6_PiJS6_EEE10hipError_tPvRmT3_T4_T5_T6_T7_T9_mT8_P12ihipStream_tbDpT10_ENKUlT_T0_E_clISt17integral_constantIbLb1EES1D_IbLb0EEEEDaS19_S1A_EUlS19_E_NS1_11comp_targetILNS1_3genE9ELNS1_11target_archE1100ELNS1_3gpuE3ELNS1_3repE0EEENS1_30default_config_static_selectorELNS0_4arch9wavefront6targetE0EEEvT1_, .Lfunc_end616-_ZN7rocprim17ROCPRIM_400000_NS6detail17trampoline_kernelINS0_14default_configENS1_25partition_config_selectorILNS1_17partition_subalgoE5ElNS0_10empty_typeEbEEZZNS1_14partition_implILS5_5ELb0ES3_mN6hipcub16HIPCUB_304000_NS21CountingInputIteratorIllEEPS6_NSA_22TransformInputIteratorIbN2at6native12_GLOBAL__N_19NonZeroOpIN3c107complexIfEEEEPKSL_lEENS0_5tupleIJPlS6_EEENSQ_IJSD_SD_EEES6_PiJS6_EEE10hipError_tPvRmT3_T4_T5_T6_T7_T9_mT8_P12ihipStream_tbDpT10_ENKUlT_T0_E_clISt17integral_constantIbLb1EES1D_IbLb0EEEEDaS19_S1A_EUlS19_E_NS1_11comp_targetILNS1_3genE9ELNS1_11target_archE1100ELNS1_3gpuE3ELNS1_3repE0EEENS1_30default_config_static_selectorELNS0_4arch9wavefront6targetE0EEEvT1_
                                        ; -- End function
	.section	.AMDGPU.csdata,"",@progbits
; Kernel info:
; codeLenInByte = 6708
; NumSgprs: 25
; NumVgprs: 57
; ScratchSize: 0
; MemoryBound: 0
; FloatMode: 240
; IeeeMode: 1
; LDSByteSize: 6160 bytes/workgroup (compile time only)
; SGPRBlocks: 3
; VGPRBlocks: 7
; NumSGPRsForWavesPerEU: 25
; NumVGPRsForWavesPerEU: 57
; Occupancy: 16
; WaveLimiterHint : 1
; COMPUTE_PGM_RSRC2:SCRATCH_EN: 0
; COMPUTE_PGM_RSRC2:USER_SGPR: 15
; COMPUTE_PGM_RSRC2:TRAP_HANDLER: 0
; COMPUTE_PGM_RSRC2:TGID_X_EN: 1
; COMPUTE_PGM_RSRC2:TGID_Y_EN: 0
; COMPUTE_PGM_RSRC2:TGID_Z_EN: 0
; COMPUTE_PGM_RSRC2:TIDIG_COMP_CNT: 0
	.section	.text._ZN7rocprim17ROCPRIM_400000_NS6detail17trampoline_kernelINS0_14default_configENS1_25partition_config_selectorILNS1_17partition_subalgoE5ElNS0_10empty_typeEbEEZZNS1_14partition_implILS5_5ELb0ES3_mN6hipcub16HIPCUB_304000_NS21CountingInputIteratorIllEEPS6_NSA_22TransformInputIteratorIbN2at6native12_GLOBAL__N_19NonZeroOpIN3c107complexIfEEEEPKSL_lEENS0_5tupleIJPlS6_EEENSQ_IJSD_SD_EEES6_PiJS6_EEE10hipError_tPvRmT3_T4_T5_T6_T7_T9_mT8_P12ihipStream_tbDpT10_ENKUlT_T0_E_clISt17integral_constantIbLb1EES1D_IbLb0EEEEDaS19_S1A_EUlS19_E_NS1_11comp_targetILNS1_3genE8ELNS1_11target_archE1030ELNS1_3gpuE2ELNS1_3repE0EEENS1_30default_config_static_selectorELNS0_4arch9wavefront6targetE0EEEvT1_,"axG",@progbits,_ZN7rocprim17ROCPRIM_400000_NS6detail17trampoline_kernelINS0_14default_configENS1_25partition_config_selectorILNS1_17partition_subalgoE5ElNS0_10empty_typeEbEEZZNS1_14partition_implILS5_5ELb0ES3_mN6hipcub16HIPCUB_304000_NS21CountingInputIteratorIllEEPS6_NSA_22TransformInputIteratorIbN2at6native12_GLOBAL__N_19NonZeroOpIN3c107complexIfEEEEPKSL_lEENS0_5tupleIJPlS6_EEENSQ_IJSD_SD_EEES6_PiJS6_EEE10hipError_tPvRmT3_T4_T5_T6_T7_T9_mT8_P12ihipStream_tbDpT10_ENKUlT_T0_E_clISt17integral_constantIbLb1EES1D_IbLb0EEEEDaS19_S1A_EUlS19_E_NS1_11comp_targetILNS1_3genE8ELNS1_11target_archE1030ELNS1_3gpuE2ELNS1_3repE0EEENS1_30default_config_static_selectorELNS0_4arch9wavefront6targetE0EEEvT1_,comdat
	.globl	_ZN7rocprim17ROCPRIM_400000_NS6detail17trampoline_kernelINS0_14default_configENS1_25partition_config_selectorILNS1_17partition_subalgoE5ElNS0_10empty_typeEbEEZZNS1_14partition_implILS5_5ELb0ES3_mN6hipcub16HIPCUB_304000_NS21CountingInputIteratorIllEEPS6_NSA_22TransformInputIteratorIbN2at6native12_GLOBAL__N_19NonZeroOpIN3c107complexIfEEEEPKSL_lEENS0_5tupleIJPlS6_EEENSQ_IJSD_SD_EEES6_PiJS6_EEE10hipError_tPvRmT3_T4_T5_T6_T7_T9_mT8_P12ihipStream_tbDpT10_ENKUlT_T0_E_clISt17integral_constantIbLb1EES1D_IbLb0EEEEDaS19_S1A_EUlS19_E_NS1_11comp_targetILNS1_3genE8ELNS1_11target_archE1030ELNS1_3gpuE2ELNS1_3repE0EEENS1_30default_config_static_selectorELNS0_4arch9wavefront6targetE0EEEvT1_ ; -- Begin function _ZN7rocprim17ROCPRIM_400000_NS6detail17trampoline_kernelINS0_14default_configENS1_25partition_config_selectorILNS1_17partition_subalgoE5ElNS0_10empty_typeEbEEZZNS1_14partition_implILS5_5ELb0ES3_mN6hipcub16HIPCUB_304000_NS21CountingInputIteratorIllEEPS6_NSA_22TransformInputIteratorIbN2at6native12_GLOBAL__N_19NonZeroOpIN3c107complexIfEEEEPKSL_lEENS0_5tupleIJPlS6_EEENSQ_IJSD_SD_EEES6_PiJS6_EEE10hipError_tPvRmT3_T4_T5_T6_T7_T9_mT8_P12ihipStream_tbDpT10_ENKUlT_T0_E_clISt17integral_constantIbLb1EES1D_IbLb0EEEEDaS19_S1A_EUlS19_E_NS1_11comp_targetILNS1_3genE8ELNS1_11target_archE1030ELNS1_3gpuE2ELNS1_3repE0EEENS1_30default_config_static_selectorELNS0_4arch9wavefront6targetE0EEEvT1_
	.p2align	8
	.type	_ZN7rocprim17ROCPRIM_400000_NS6detail17trampoline_kernelINS0_14default_configENS1_25partition_config_selectorILNS1_17partition_subalgoE5ElNS0_10empty_typeEbEEZZNS1_14partition_implILS5_5ELb0ES3_mN6hipcub16HIPCUB_304000_NS21CountingInputIteratorIllEEPS6_NSA_22TransformInputIteratorIbN2at6native12_GLOBAL__N_19NonZeroOpIN3c107complexIfEEEEPKSL_lEENS0_5tupleIJPlS6_EEENSQ_IJSD_SD_EEES6_PiJS6_EEE10hipError_tPvRmT3_T4_T5_T6_T7_T9_mT8_P12ihipStream_tbDpT10_ENKUlT_T0_E_clISt17integral_constantIbLb1EES1D_IbLb0EEEEDaS19_S1A_EUlS19_E_NS1_11comp_targetILNS1_3genE8ELNS1_11target_archE1030ELNS1_3gpuE2ELNS1_3repE0EEENS1_30default_config_static_selectorELNS0_4arch9wavefront6targetE0EEEvT1_,@function
_ZN7rocprim17ROCPRIM_400000_NS6detail17trampoline_kernelINS0_14default_configENS1_25partition_config_selectorILNS1_17partition_subalgoE5ElNS0_10empty_typeEbEEZZNS1_14partition_implILS5_5ELb0ES3_mN6hipcub16HIPCUB_304000_NS21CountingInputIteratorIllEEPS6_NSA_22TransformInputIteratorIbN2at6native12_GLOBAL__N_19NonZeroOpIN3c107complexIfEEEEPKSL_lEENS0_5tupleIJPlS6_EEENSQ_IJSD_SD_EEES6_PiJS6_EEE10hipError_tPvRmT3_T4_T5_T6_T7_T9_mT8_P12ihipStream_tbDpT10_ENKUlT_T0_E_clISt17integral_constantIbLb1EES1D_IbLb0EEEEDaS19_S1A_EUlS19_E_NS1_11comp_targetILNS1_3genE8ELNS1_11target_archE1030ELNS1_3gpuE2ELNS1_3repE0EEENS1_30default_config_static_selectorELNS0_4arch9wavefront6targetE0EEEvT1_: ; @_ZN7rocprim17ROCPRIM_400000_NS6detail17trampoline_kernelINS0_14default_configENS1_25partition_config_selectorILNS1_17partition_subalgoE5ElNS0_10empty_typeEbEEZZNS1_14partition_implILS5_5ELb0ES3_mN6hipcub16HIPCUB_304000_NS21CountingInputIteratorIllEEPS6_NSA_22TransformInputIteratorIbN2at6native12_GLOBAL__N_19NonZeroOpIN3c107complexIfEEEEPKSL_lEENS0_5tupleIJPlS6_EEENSQ_IJSD_SD_EEES6_PiJS6_EEE10hipError_tPvRmT3_T4_T5_T6_T7_T9_mT8_P12ihipStream_tbDpT10_ENKUlT_T0_E_clISt17integral_constantIbLb1EES1D_IbLb0EEEEDaS19_S1A_EUlS19_E_NS1_11comp_targetILNS1_3genE8ELNS1_11target_archE1030ELNS1_3gpuE2ELNS1_3repE0EEENS1_30default_config_static_selectorELNS0_4arch9wavefront6targetE0EEEvT1_
; %bb.0:
	.section	.rodata,"a",@progbits
	.p2align	6, 0x0
	.amdhsa_kernel _ZN7rocprim17ROCPRIM_400000_NS6detail17trampoline_kernelINS0_14default_configENS1_25partition_config_selectorILNS1_17partition_subalgoE5ElNS0_10empty_typeEbEEZZNS1_14partition_implILS5_5ELb0ES3_mN6hipcub16HIPCUB_304000_NS21CountingInputIteratorIllEEPS6_NSA_22TransformInputIteratorIbN2at6native12_GLOBAL__N_19NonZeroOpIN3c107complexIfEEEEPKSL_lEENS0_5tupleIJPlS6_EEENSQ_IJSD_SD_EEES6_PiJS6_EEE10hipError_tPvRmT3_T4_T5_T6_T7_T9_mT8_P12ihipStream_tbDpT10_ENKUlT_T0_E_clISt17integral_constantIbLb1EES1D_IbLb0EEEEDaS19_S1A_EUlS19_E_NS1_11comp_targetILNS1_3genE8ELNS1_11target_archE1030ELNS1_3gpuE2ELNS1_3repE0EEENS1_30default_config_static_selectorELNS0_4arch9wavefront6targetE0EEEvT1_
		.amdhsa_group_segment_fixed_size 0
		.amdhsa_private_segment_fixed_size 0
		.amdhsa_kernarg_size 120
		.amdhsa_user_sgpr_count 15
		.amdhsa_user_sgpr_dispatch_ptr 0
		.amdhsa_user_sgpr_queue_ptr 0
		.amdhsa_user_sgpr_kernarg_segment_ptr 1
		.amdhsa_user_sgpr_dispatch_id 0
		.amdhsa_user_sgpr_private_segment_size 0
		.amdhsa_wavefront_size32 1
		.amdhsa_uses_dynamic_stack 0
		.amdhsa_enable_private_segment 0
		.amdhsa_system_sgpr_workgroup_id_x 1
		.amdhsa_system_sgpr_workgroup_id_y 0
		.amdhsa_system_sgpr_workgroup_id_z 0
		.amdhsa_system_sgpr_workgroup_info 0
		.amdhsa_system_vgpr_workitem_id 0
		.amdhsa_next_free_vgpr 1
		.amdhsa_next_free_sgpr 1
		.amdhsa_reserve_vcc 0
		.amdhsa_float_round_mode_32 0
		.amdhsa_float_round_mode_16_64 0
		.amdhsa_float_denorm_mode_32 3
		.amdhsa_float_denorm_mode_16_64 3
		.amdhsa_dx10_clamp 1
		.amdhsa_ieee_mode 1
		.amdhsa_fp16_overflow 0
		.amdhsa_workgroup_processor_mode 1
		.amdhsa_memory_ordered 1
		.amdhsa_forward_progress 0
		.amdhsa_shared_vgpr_count 0
		.amdhsa_exception_fp_ieee_invalid_op 0
		.amdhsa_exception_fp_denorm_src 0
		.amdhsa_exception_fp_ieee_div_zero 0
		.amdhsa_exception_fp_ieee_overflow 0
		.amdhsa_exception_fp_ieee_underflow 0
		.amdhsa_exception_fp_ieee_inexact 0
		.amdhsa_exception_int_div_zero 0
	.end_amdhsa_kernel
	.section	.text._ZN7rocprim17ROCPRIM_400000_NS6detail17trampoline_kernelINS0_14default_configENS1_25partition_config_selectorILNS1_17partition_subalgoE5ElNS0_10empty_typeEbEEZZNS1_14partition_implILS5_5ELb0ES3_mN6hipcub16HIPCUB_304000_NS21CountingInputIteratorIllEEPS6_NSA_22TransformInputIteratorIbN2at6native12_GLOBAL__N_19NonZeroOpIN3c107complexIfEEEEPKSL_lEENS0_5tupleIJPlS6_EEENSQ_IJSD_SD_EEES6_PiJS6_EEE10hipError_tPvRmT3_T4_T5_T6_T7_T9_mT8_P12ihipStream_tbDpT10_ENKUlT_T0_E_clISt17integral_constantIbLb1EES1D_IbLb0EEEEDaS19_S1A_EUlS19_E_NS1_11comp_targetILNS1_3genE8ELNS1_11target_archE1030ELNS1_3gpuE2ELNS1_3repE0EEENS1_30default_config_static_selectorELNS0_4arch9wavefront6targetE0EEEvT1_,"axG",@progbits,_ZN7rocprim17ROCPRIM_400000_NS6detail17trampoline_kernelINS0_14default_configENS1_25partition_config_selectorILNS1_17partition_subalgoE5ElNS0_10empty_typeEbEEZZNS1_14partition_implILS5_5ELb0ES3_mN6hipcub16HIPCUB_304000_NS21CountingInputIteratorIllEEPS6_NSA_22TransformInputIteratorIbN2at6native12_GLOBAL__N_19NonZeroOpIN3c107complexIfEEEEPKSL_lEENS0_5tupleIJPlS6_EEENSQ_IJSD_SD_EEES6_PiJS6_EEE10hipError_tPvRmT3_T4_T5_T6_T7_T9_mT8_P12ihipStream_tbDpT10_ENKUlT_T0_E_clISt17integral_constantIbLb1EES1D_IbLb0EEEEDaS19_S1A_EUlS19_E_NS1_11comp_targetILNS1_3genE8ELNS1_11target_archE1030ELNS1_3gpuE2ELNS1_3repE0EEENS1_30default_config_static_selectorELNS0_4arch9wavefront6targetE0EEEvT1_,comdat
.Lfunc_end617:
	.size	_ZN7rocprim17ROCPRIM_400000_NS6detail17trampoline_kernelINS0_14default_configENS1_25partition_config_selectorILNS1_17partition_subalgoE5ElNS0_10empty_typeEbEEZZNS1_14partition_implILS5_5ELb0ES3_mN6hipcub16HIPCUB_304000_NS21CountingInputIteratorIllEEPS6_NSA_22TransformInputIteratorIbN2at6native12_GLOBAL__N_19NonZeroOpIN3c107complexIfEEEEPKSL_lEENS0_5tupleIJPlS6_EEENSQ_IJSD_SD_EEES6_PiJS6_EEE10hipError_tPvRmT3_T4_T5_T6_T7_T9_mT8_P12ihipStream_tbDpT10_ENKUlT_T0_E_clISt17integral_constantIbLb1EES1D_IbLb0EEEEDaS19_S1A_EUlS19_E_NS1_11comp_targetILNS1_3genE8ELNS1_11target_archE1030ELNS1_3gpuE2ELNS1_3repE0EEENS1_30default_config_static_selectorELNS0_4arch9wavefront6targetE0EEEvT1_, .Lfunc_end617-_ZN7rocprim17ROCPRIM_400000_NS6detail17trampoline_kernelINS0_14default_configENS1_25partition_config_selectorILNS1_17partition_subalgoE5ElNS0_10empty_typeEbEEZZNS1_14partition_implILS5_5ELb0ES3_mN6hipcub16HIPCUB_304000_NS21CountingInputIteratorIllEEPS6_NSA_22TransformInputIteratorIbN2at6native12_GLOBAL__N_19NonZeroOpIN3c107complexIfEEEEPKSL_lEENS0_5tupleIJPlS6_EEENSQ_IJSD_SD_EEES6_PiJS6_EEE10hipError_tPvRmT3_T4_T5_T6_T7_T9_mT8_P12ihipStream_tbDpT10_ENKUlT_T0_E_clISt17integral_constantIbLb1EES1D_IbLb0EEEEDaS19_S1A_EUlS19_E_NS1_11comp_targetILNS1_3genE8ELNS1_11target_archE1030ELNS1_3gpuE2ELNS1_3repE0EEENS1_30default_config_static_selectorELNS0_4arch9wavefront6targetE0EEEvT1_
                                        ; -- End function
	.section	.AMDGPU.csdata,"",@progbits
; Kernel info:
; codeLenInByte = 0
; NumSgprs: 0
; NumVgprs: 0
; ScratchSize: 0
; MemoryBound: 0
; FloatMode: 240
; IeeeMode: 1
; LDSByteSize: 0 bytes/workgroup (compile time only)
; SGPRBlocks: 0
; VGPRBlocks: 0
; NumSGPRsForWavesPerEU: 1
; NumVGPRsForWavesPerEU: 1
; Occupancy: 16
; WaveLimiterHint : 0
; COMPUTE_PGM_RSRC2:SCRATCH_EN: 0
; COMPUTE_PGM_RSRC2:USER_SGPR: 15
; COMPUTE_PGM_RSRC2:TRAP_HANDLER: 0
; COMPUTE_PGM_RSRC2:TGID_X_EN: 1
; COMPUTE_PGM_RSRC2:TGID_Y_EN: 0
; COMPUTE_PGM_RSRC2:TGID_Z_EN: 0
; COMPUTE_PGM_RSRC2:TIDIG_COMP_CNT: 0
	.section	.text._ZN7rocprim17ROCPRIM_400000_NS6detail17trampoline_kernelINS0_14default_configENS1_25partition_config_selectorILNS1_17partition_subalgoE5ElNS0_10empty_typeEbEEZZNS1_14partition_implILS5_5ELb0ES3_mN6hipcub16HIPCUB_304000_NS21CountingInputIteratorIllEEPS6_NSA_22TransformInputIteratorIbN2at6native12_GLOBAL__N_19NonZeroOpIN3c107complexIfEEEEPKSL_lEENS0_5tupleIJPlS6_EEENSQ_IJSD_SD_EEES6_PiJS6_EEE10hipError_tPvRmT3_T4_T5_T6_T7_T9_mT8_P12ihipStream_tbDpT10_ENKUlT_T0_E_clISt17integral_constantIbLb0EES1D_IbLb1EEEEDaS19_S1A_EUlS19_E_NS1_11comp_targetILNS1_3genE0ELNS1_11target_archE4294967295ELNS1_3gpuE0ELNS1_3repE0EEENS1_30default_config_static_selectorELNS0_4arch9wavefront6targetE0EEEvT1_,"axG",@progbits,_ZN7rocprim17ROCPRIM_400000_NS6detail17trampoline_kernelINS0_14default_configENS1_25partition_config_selectorILNS1_17partition_subalgoE5ElNS0_10empty_typeEbEEZZNS1_14partition_implILS5_5ELb0ES3_mN6hipcub16HIPCUB_304000_NS21CountingInputIteratorIllEEPS6_NSA_22TransformInputIteratorIbN2at6native12_GLOBAL__N_19NonZeroOpIN3c107complexIfEEEEPKSL_lEENS0_5tupleIJPlS6_EEENSQ_IJSD_SD_EEES6_PiJS6_EEE10hipError_tPvRmT3_T4_T5_T6_T7_T9_mT8_P12ihipStream_tbDpT10_ENKUlT_T0_E_clISt17integral_constantIbLb0EES1D_IbLb1EEEEDaS19_S1A_EUlS19_E_NS1_11comp_targetILNS1_3genE0ELNS1_11target_archE4294967295ELNS1_3gpuE0ELNS1_3repE0EEENS1_30default_config_static_selectorELNS0_4arch9wavefront6targetE0EEEvT1_,comdat
	.globl	_ZN7rocprim17ROCPRIM_400000_NS6detail17trampoline_kernelINS0_14default_configENS1_25partition_config_selectorILNS1_17partition_subalgoE5ElNS0_10empty_typeEbEEZZNS1_14partition_implILS5_5ELb0ES3_mN6hipcub16HIPCUB_304000_NS21CountingInputIteratorIllEEPS6_NSA_22TransformInputIteratorIbN2at6native12_GLOBAL__N_19NonZeroOpIN3c107complexIfEEEEPKSL_lEENS0_5tupleIJPlS6_EEENSQ_IJSD_SD_EEES6_PiJS6_EEE10hipError_tPvRmT3_T4_T5_T6_T7_T9_mT8_P12ihipStream_tbDpT10_ENKUlT_T0_E_clISt17integral_constantIbLb0EES1D_IbLb1EEEEDaS19_S1A_EUlS19_E_NS1_11comp_targetILNS1_3genE0ELNS1_11target_archE4294967295ELNS1_3gpuE0ELNS1_3repE0EEENS1_30default_config_static_selectorELNS0_4arch9wavefront6targetE0EEEvT1_ ; -- Begin function _ZN7rocprim17ROCPRIM_400000_NS6detail17trampoline_kernelINS0_14default_configENS1_25partition_config_selectorILNS1_17partition_subalgoE5ElNS0_10empty_typeEbEEZZNS1_14partition_implILS5_5ELb0ES3_mN6hipcub16HIPCUB_304000_NS21CountingInputIteratorIllEEPS6_NSA_22TransformInputIteratorIbN2at6native12_GLOBAL__N_19NonZeroOpIN3c107complexIfEEEEPKSL_lEENS0_5tupleIJPlS6_EEENSQ_IJSD_SD_EEES6_PiJS6_EEE10hipError_tPvRmT3_T4_T5_T6_T7_T9_mT8_P12ihipStream_tbDpT10_ENKUlT_T0_E_clISt17integral_constantIbLb0EES1D_IbLb1EEEEDaS19_S1A_EUlS19_E_NS1_11comp_targetILNS1_3genE0ELNS1_11target_archE4294967295ELNS1_3gpuE0ELNS1_3repE0EEENS1_30default_config_static_selectorELNS0_4arch9wavefront6targetE0EEEvT1_
	.p2align	8
	.type	_ZN7rocprim17ROCPRIM_400000_NS6detail17trampoline_kernelINS0_14default_configENS1_25partition_config_selectorILNS1_17partition_subalgoE5ElNS0_10empty_typeEbEEZZNS1_14partition_implILS5_5ELb0ES3_mN6hipcub16HIPCUB_304000_NS21CountingInputIteratorIllEEPS6_NSA_22TransformInputIteratorIbN2at6native12_GLOBAL__N_19NonZeroOpIN3c107complexIfEEEEPKSL_lEENS0_5tupleIJPlS6_EEENSQ_IJSD_SD_EEES6_PiJS6_EEE10hipError_tPvRmT3_T4_T5_T6_T7_T9_mT8_P12ihipStream_tbDpT10_ENKUlT_T0_E_clISt17integral_constantIbLb0EES1D_IbLb1EEEEDaS19_S1A_EUlS19_E_NS1_11comp_targetILNS1_3genE0ELNS1_11target_archE4294967295ELNS1_3gpuE0ELNS1_3repE0EEENS1_30default_config_static_selectorELNS0_4arch9wavefront6targetE0EEEvT1_,@function
_ZN7rocprim17ROCPRIM_400000_NS6detail17trampoline_kernelINS0_14default_configENS1_25partition_config_selectorILNS1_17partition_subalgoE5ElNS0_10empty_typeEbEEZZNS1_14partition_implILS5_5ELb0ES3_mN6hipcub16HIPCUB_304000_NS21CountingInputIteratorIllEEPS6_NSA_22TransformInputIteratorIbN2at6native12_GLOBAL__N_19NonZeroOpIN3c107complexIfEEEEPKSL_lEENS0_5tupleIJPlS6_EEENSQ_IJSD_SD_EEES6_PiJS6_EEE10hipError_tPvRmT3_T4_T5_T6_T7_T9_mT8_P12ihipStream_tbDpT10_ENKUlT_T0_E_clISt17integral_constantIbLb0EES1D_IbLb1EEEEDaS19_S1A_EUlS19_E_NS1_11comp_targetILNS1_3genE0ELNS1_11target_archE4294967295ELNS1_3gpuE0ELNS1_3repE0EEENS1_30default_config_static_selectorELNS0_4arch9wavefront6targetE0EEEvT1_: ; @_ZN7rocprim17ROCPRIM_400000_NS6detail17trampoline_kernelINS0_14default_configENS1_25partition_config_selectorILNS1_17partition_subalgoE5ElNS0_10empty_typeEbEEZZNS1_14partition_implILS5_5ELb0ES3_mN6hipcub16HIPCUB_304000_NS21CountingInputIteratorIllEEPS6_NSA_22TransformInputIteratorIbN2at6native12_GLOBAL__N_19NonZeroOpIN3c107complexIfEEEEPKSL_lEENS0_5tupleIJPlS6_EEENSQ_IJSD_SD_EEES6_PiJS6_EEE10hipError_tPvRmT3_T4_T5_T6_T7_T9_mT8_P12ihipStream_tbDpT10_ENKUlT_T0_E_clISt17integral_constantIbLb0EES1D_IbLb1EEEEDaS19_S1A_EUlS19_E_NS1_11comp_targetILNS1_3genE0ELNS1_11target_archE4294967295ELNS1_3gpuE0ELNS1_3repE0EEENS1_30default_config_static_selectorELNS0_4arch9wavefront6targetE0EEEvT1_
; %bb.0:
	.section	.rodata,"a",@progbits
	.p2align	6, 0x0
	.amdhsa_kernel _ZN7rocprim17ROCPRIM_400000_NS6detail17trampoline_kernelINS0_14default_configENS1_25partition_config_selectorILNS1_17partition_subalgoE5ElNS0_10empty_typeEbEEZZNS1_14partition_implILS5_5ELb0ES3_mN6hipcub16HIPCUB_304000_NS21CountingInputIteratorIllEEPS6_NSA_22TransformInputIteratorIbN2at6native12_GLOBAL__N_19NonZeroOpIN3c107complexIfEEEEPKSL_lEENS0_5tupleIJPlS6_EEENSQ_IJSD_SD_EEES6_PiJS6_EEE10hipError_tPvRmT3_T4_T5_T6_T7_T9_mT8_P12ihipStream_tbDpT10_ENKUlT_T0_E_clISt17integral_constantIbLb0EES1D_IbLb1EEEEDaS19_S1A_EUlS19_E_NS1_11comp_targetILNS1_3genE0ELNS1_11target_archE4294967295ELNS1_3gpuE0ELNS1_3repE0EEENS1_30default_config_static_selectorELNS0_4arch9wavefront6targetE0EEEvT1_
		.amdhsa_group_segment_fixed_size 0
		.amdhsa_private_segment_fixed_size 0
		.amdhsa_kernarg_size 136
		.amdhsa_user_sgpr_count 15
		.amdhsa_user_sgpr_dispatch_ptr 0
		.amdhsa_user_sgpr_queue_ptr 0
		.amdhsa_user_sgpr_kernarg_segment_ptr 1
		.amdhsa_user_sgpr_dispatch_id 0
		.amdhsa_user_sgpr_private_segment_size 0
		.amdhsa_wavefront_size32 1
		.amdhsa_uses_dynamic_stack 0
		.amdhsa_enable_private_segment 0
		.amdhsa_system_sgpr_workgroup_id_x 1
		.amdhsa_system_sgpr_workgroup_id_y 0
		.amdhsa_system_sgpr_workgroup_id_z 0
		.amdhsa_system_sgpr_workgroup_info 0
		.amdhsa_system_vgpr_workitem_id 0
		.amdhsa_next_free_vgpr 1
		.amdhsa_next_free_sgpr 1
		.amdhsa_reserve_vcc 0
		.amdhsa_float_round_mode_32 0
		.amdhsa_float_round_mode_16_64 0
		.amdhsa_float_denorm_mode_32 3
		.amdhsa_float_denorm_mode_16_64 3
		.amdhsa_dx10_clamp 1
		.amdhsa_ieee_mode 1
		.amdhsa_fp16_overflow 0
		.amdhsa_workgroup_processor_mode 1
		.amdhsa_memory_ordered 1
		.amdhsa_forward_progress 0
		.amdhsa_shared_vgpr_count 0
		.amdhsa_exception_fp_ieee_invalid_op 0
		.amdhsa_exception_fp_denorm_src 0
		.amdhsa_exception_fp_ieee_div_zero 0
		.amdhsa_exception_fp_ieee_overflow 0
		.amdhsa_exception_fp_ieee_underflow 0
		.amdhsa_exception_fp_ieee_inexact 0
		.amdhsa_exception_int_div_zero 0
	.end_amdhsa_kernel
	.section	.text._ZN7rocprim17ROCPRIM_400000_NS6detail17trampoline_kernelINS0_14default_configENS1_25partition_config_selectorILNS1_17partition_subalgoE5ElNS0_10empty_typeEbEEZZNS1_14partition_implILS5_5ELb0ES3_mN6hipcub16HIPCUB_304000_NS21CountingInputIteratorIllEEPS6_NSA_22TransformInputIteratorIbN2at6native12_GLOBAL__N_19NonZeroOpIN3c107complexIfEEEEPKSL_lEENS0_5tupleIJPlS6_EEENSQ_IJSD_SD_EEES6_PiJS6_EEE10hipError_tPvRmT3_T4_T5_T6_T7_T9_mT8_P12ihipStream_tbDpT10_ENKUlT_T0_E_clISt17integral_constantIbLb0EES1D_IbLb1EEEEDaS19_S1A_EUlS19_E_NS1_11comp_targetILNS1_3genE0ELNS1_11target_archE4294967295ELNS1_3gpuE0ELNS1_3repE0EEENS1_30default_config_static_selectorELNS0_4arch9wavefront6targetE0EEEvT1_,"axG",@progbits,_ZN7rocprim17ROCPRIM_400000_NS6detail17trampoline_kernelINS0_14default_configENS1_25partition_config_selectorILNS1_17partition_subalgoE5ElNS0_10empty_typeEbEEZZNS1_14partition_implILS5_5ELb0ES3_mN6hipcub16HIPCUB_304000_NS21CountingInputIteratorIllEEPS6_NSA_22TransformInputIteratorIbN2at6native12_GLOBAL__N_19NonZeroOpIN3c107complexIfEEEEPKSL_lEENS0_5tupleIJPlS6_EEENSQ_IJSD_SD_EEES6_PiJS6_EEE10hipError_tPvRmT3_T4_T5_T6_T7_T9_mT8_P12ihipStream_tbDpT10_ENKUlT_T0_E_clISt17integral_constantIbLb0EES1D_IbLb1EEEEDaS19_S1A_EUlS19_E_NS1_11comp_targetILNS1_3genE0ELNS1_11target_archE4294967295ELNS1_3gpuE0ELNS1_3repE0EEENS1_30default_config_static_selectorELNS0_4arch9wavefront6targetE0EEEvT1_,comdat
.Lfunc_end618:
	.size	_ZN7rocprim17ROCPRIM_400000_NS6detail17trampoline_kernelINS0_14default_configENS1_25partition_config_selectorILNS1_17partition_subalgoE5ElNS0_10empty_typeEbEEZZNS1_14partition_implILS5_5ELb0ES3_mN6hipcub16HIPCUB_304000_NS21CountingInputIteratorIllEEPS6_NSA_22TransformInputIteratorIbN2at6native12_GLOBAL__N_19NonZeroOpIN3c107complexIfEEEEPKSL_lEENS0_5tupleIJPlS6_EEENSQ_IJSD_SD_EEES6_PiJS6_EEE10hipError_tPvRmT3_T4_T5_T6_T7_T9_mT8_P12ihipStream_tbDpT10_ENKUlT_T0_E_clISt17integral_constantIbLb0EES1D_IbLb1EEEEDaS19_S1A_EUlS19_E_NS1_11comp_targetILNS1_3genE0ELNS1_11target_archE4294967295ELNS1_3gpuE0ELNS1_3repE0EEENS1_30default_config_static_selectorELNS0_4arch9wavefront6targetE0EEEvT1_, .Lfunc_end618-_ZN7rocprim17ROCPRIM_400000_NS6detail17trampoline_kernelINS0_14default_configENS1_25partition_config_selectorILNS1_17partition_subalgoE5ElNS0_10empty_typeEbEEZZNS1_14partition_implILS5_5ELb0ES3_mN6hipcub16HIPCUB_304000_NS21CountingInputIteratorIllEEPS6_NSA_22TransformInputIteratorIbN2at6native12_GLOBAL__N_19NonZeroOpIN3c107complexIfEEEEPKSL_lEENS0_5tupleIJPlS6_EEENSQ_IJSD_SD_EEES6_PiJS6_EEE10hipError_tPvRmT3_T4_T5_T6_T7_T9_mT8_P12ihipStream_tbDpT10_ENKUlT_T0_E_clISt17integral_constantIbLb0EES1D_IbLb1EEEEDaS19_S1A_EUlS19_E_NS1_11comp_targetILNS1_3genE0ELNS1_11target_archE4294967295ELNS1_3gpuE0ELNS1_3repE0EEENS1_30default_config_static_selectorELNS0_4arch9wavefront6targetE0EEEvT1_
                                        ; -- End function
	.section	.AMDGPU.csdata,"",@progbits
; Kernel info:
; codeLenInByte = 0
; NumSgprs: 0
; NumVgprs: 0
; ScratchSize: 0
; MemoryBound: 0
; FloatMode: 240
; IeeeMode: 1
; LDSByteSize: 0 bytes/workgroup (compile time only)
; SGPRBlocks: 0
; VGPRBlocks: 0
; NumSGPRsForWavesPerEU: 1
; NumVGPRsForWavesPerEU: 1
; Occupancy: 16
; WaveLimiterHint : 0
; COMPUTE_PGM_RSRC2:SCRATCH_EN: 0
; COMPUTE_PGM_RSRC2:USER_SGPR: 15
; COMPUTE_PGM_RSRC2:TRAP_HANDLER: 0
; COMPUTE_PGM_RSRC2:TGID_X_EN: 1
; COMPUTE_PGM_RSRC2:TGID_Y_EN: 0
; COMPUTE_PGM_RSRC2:TGID_Z_EN: 0
; COMPUTE_PGM_RSRC2:TIDIG_COMP_CNT: 0
	.section	.text._ZN7rocprim17ROCPRIM_400000_NS6detail17trampoline_kernelINS0_14default_configENS1_25partition_config_selectorILNS1_17partition_subalgoE5ElNS0_10empty_typeEbEEZZNS1_14partition_implILS5_5ELb0ES3_mN6hipcub16HIPCUB_304000_NS21CountingInputIteratorIllEEPS6_NSA_22TransformInputIteratorIbN2at6native12_GLOBAL__N_19NonZeroOpIN3c107complexIfEEEEPKSL_lEENS0_5tupleIJPlS6_EEENSQ_IJSD_SD_EEES6_PiJS6_EEE10hipError_tPvRmT3_T4_T5_T6_T7_T9_mT8_P12ihipStream_tbDpT10_ENKUlT_T0_E_clISt17integral_constantIbLb0EES1D_IbLb1EEEEDaS19_S1A_EUlS19_E_NS1_11comp_targetILNS1_3genE5ELNS1_11target_archE942ELNS1_3gpuE9ELNS1_3repE0EEENS1_30default_config_static_selectorELNS0_4arch9wavefront6targetE0EEEvT1_,"axG",@progbits,_ZN7rocprim17ROCPRIM_400000_NS6detail17trampoline_kernelINS0_14default_configENS1_25partition_config_selectorILNS1_17partition_subalgoE5ElNS0_10empty_typeEbEEZZNS1_14partition_implILS5_5ELb0ES3_mN6hipcub16HIPCUB_304000_NS21CountingInputIteratorIllEEPS6_NSA_22TransformInputIteratorIbN2at6native12_GLOBAL__N_19NonZeroOpIN3c107complexIfEEEEPKSL_lEENS0_5tupleIJPlS6_EEENSQ_IJSD_SD_EEES6_PiJS6_EEE10hipError_tPvRmT3_T4_T5_T6_T7_T9_mT8_P12ihipStream_tbDpT10_ENKUlT_T0_E_clISt17integral_constantIbLb0EES1D_IbLb1EEEEDaS19_S1A_EUlS19_E_NS1_11comp_targetILNS1_3genE5ELNS1_11target_archE942ELNS1_3gpuE9ELNS1_3repE0EEENS1_30default_config_static_selectorELNS0_4arch9wavefront6targetE0EEEvT1_,comdat
	.globl	_ZN7rocprim17ROCPRIM_400000_NS6detail17trampoline_kernelINS0_14default_configENS1_25partition_config_selectorILNS1_17partition_subalgoE5ElNS0_10empty_typeEbEEZZNS1_14partition_implILS5_5ELb0ES3_mN6hipcub16HIPCUB_304000_NS21CountingInputIteratorIllEEPS6_NSA_22TransformInputIteratorIbN2at6native12_GLOBAL__N_19NonZeroOpIN3c107complexIfEEEEPKSL_lEENS0_5tupleIJPlS6_EEENSQ_IJSD_SD_EEES6_PiJS6_EEE10hipError_tPvRmT3_T4_T5_T6_T7_T9_mT8_P12ihipStream_tbDpT10_ENKUlT_T0_E_clISt17integral_constantIbLb0EES1D_IbLb1EEEEDaS19_S1A_EUlS19_E_NS1_11comp_targetILNS1_3genE5ELNS1_11target_archE942ELNS1_3gpuE9ELNS1_3repE0EEENS1_30default_config_static_selectorELNS0_4arch9wavefront6targetE0EEEvT1_ ; -- Begin function _ZN7rocprim17ROCPRIM_400000_NS6detail17trampoline_kernelINS0_14default_configENS1_25partition_config_selectorILNS1_17partition_subalgoE5ElNS0_10empty_typeEbEEZZNS1_14partition_implILS5_5ELb0ES3_mN6hipcub16HIPCUB_304000_NS21CountingInputIteratorIllEEPS6_NSA_22TransformInputIteratorIbN2at6native12_GLOBAL__N_19NonZeroOpIN3c107complexIfEEEEPKSL_lEENS0_5tupleIJPlS6_EEENSQ_IJSD_SD_EEES6_PiJS6_EEE10hipError_tPvRmT3_T4_T5_T6_T7_T9_mT8_P12ihipStream_tbDpT10_ENKUlT_T0_E_clISt17integral_constantIbLb0EES1D_IbLb1EEEEDaS19_S1A_EUlS19_E_NS1_11comp_targetILNS1_3genE5ELNS1_11target_archE942ELNS1_3gpuE9ELNS1_3repE0EEENS1_30default_config_static_selectorELNS0_4arch9wavefront6targetE0EEEvT1_
	.p2align	8
	.type	_ZN7rocprim17ROCPRIM_400000_NS6detail17trampoline_kernelINS0_14default_configENS1_25partition_config_selectorILNS1_17partition_subalgoE5ElNS0_10empty_typeEbEEZZNS1_14partition_implILS5_5ELb0ES3_mN6hipcub16HIPCUB_304000_NS21CountingInputIteratorIllEEPS6_NSA_22TransformInputIteratorIbN2at6native12_GLOBAL__N_19NonZeroOpIN3c107complexIfEEEEPKSL_lEENS0_5tupleIJPlS6_EEENSQ_IJSD_SD_EEES6_PiJS6_EEE10hipError_tPvRmT3_T4_T5_T6_T7_T9_mT8_P12ihipStream_tbDpT10_ENKUlT_T0_E_clISt17integral_constantIbLb0EES1D_IbLb1EEEEDaS19_S1A_EUlS19_E_NS1_11comp_targetILNS1_3genE5ELNS1_11target_archE942ELNS1_3gpuE9ELNS1_3repE0EEENS1_30default_config_static_selectorELNS0_4arch9wavefront6targetE0EEEvT1_,@function
_ZN7rocprim17ROCPRIM_400000_NS6detail17trampoline_kernelINS0_14default_configENS1_25partition_config_selectorILNS1_17partition_subalgoE5ElNS0_10empty_typeEbEEZZNS1_14partition_implILS5_5ELb0ES3_mN6hipcub16HIPCUB_304000_NS21CountingInputIteratorIllEEPS6_NSA_22TransformInputIteratorIbN2at6native12_GLOBAL__N_19NonZeroOpIN3c107complexIfEEEEPKSL_lEENS0_5tupleIJPlS6_EEENSQ_IJSD_SD_EEES6_PiJS6_EEE10hipError_tPvRmT3_T4_T5_T6_T7_T9_mT8_P12ihipStream_tbDpT10_ENKUlT_T0_E_clISt17integral_constantIbLb0EES1D_IbLb1EEEEDaS19_S1A_EUlS19_E_NS1_11comp_targetILNS1_3genE5ELNS1_11target_archE942ELNS1_3gpuE9ELNS1_3repE0EEENS1_30default_config_static_selectorELNS0_4arch9wavefront6targetE0EEEvT1_: ; @_ZN7rocprim17ROCPRIM_400000_NS6detail17trampoline_kernelINS0_14default_configENS1_25partition_config_selectorILNS1_17partition_subalgoE5ElNS0_10empty_typeEbEEZZNS1_14partition_implILS5_5ELb0ES3_mN6hipcub16HIPCUB_304000_NS21CountingInputIteratorIllEEPS6_NSA_22TransformInputIteratorIbN2at6native12_GLOBAL__N_19NonZeroOpIN3c107complexIfEEEEPKSL_lEENS0_5tupleIJPlS6_EEENSQ_IJSD_SD_EEES6_PiJS6_EEE10hipError_tPvRmT3_T4_T5_T6_T7_T9_mT8_P12ihipStream_tbDpT10_ENKUlT_T0_E_clISt17integral_constantIbLb0EES1D_IbLb1EEEEDaS19_S1A_EUlS19_E_NS1_11comp_targetILNS1_3genE5ELNS1_11target_archE942ELNS1_3gpuE9ELNS1_3repE0EEENS1_30default_config_static_selectorELNS0_4arch9wavefront6targetE0EEEvT1_
; %bb.0:
	.section	.rodata,"a",@progbits
	.p2align	6, 0x0
	.amdhsa_kernel _ZN7rocprim17ROCPRIM_400000_NS6detail17trampoline_kernelINS0_14default_configENS1_25partition_config_selectorILNS1_17partition_subalgoE5ElNS0_10empty_typeEbEEZZNS1_14partition_implILS5_5ELb0ES3_mN6hipcub16HIPCUB_304000_NS21CountingInputIteratorIllEEPS6_NSA_22TransformInputIteratorIbN2at6native12_GLOBAL__N_19NonZeroOpIN3c107complexIfEEEEPKSL_lEENS0_5tupleIJPlS6_EEENSQ_IJSD_SD_EEES6_PiJS6_EEE10hipError_tPvRmT3_T4_T5_T6_T7_T9_mT8_P12ihipStream_tbDpT10_ENKUlT_T0_E_clISt17integral_constantIbLb0EES1D_IbLb1EEEEDaS19_S1A_EUlS19_E_NS1_11comp_targetILNS1_3genE5ELNS1_11target_archE942ELNS1_3gpuE9ELNS1_3repE0EEENS1_30default_config_static_selectorELNS0_4arch9wavefront6targetE0EEEvT1_
		.amdhsa_group_segment_fixed_size 0
		.amdhsa_private_segment_fixed_size 0
		.amdhsa_kernarg_size 136
		.amdhsa_user_sgpr_count 15
		.amdhsa_user_sgpr_dispatch_ptr 0
		.amdhsa_user_sgpr_queue_ptr 0
		.amdhsa_user_sgpr_kernarg_segment_ptr 1
		.amdhsa_user_sgpr_dispatch_id 0
		.amdhsa_user_sgpr_private_segment_size 0
		.amdhsa_wavefront_size32 1
		.amdhsa_uses_dynamic_stack 0
		.amdhsa_enable_private_segment 0
		.amdhsa_system_sgpr_workgroup_id_x 1
		.amdhsa_system_sgpr_workgroup_id_y 0
		.amdhsa_system_sgpr_workgroup_id_z 0
		.amdhsa_system_sgpr_workgroup_info 0
		.amdhsa_system_vgpr_workitem_id 0
		.amdhsa_next_free_vgpr 1
		.amdhsa_next_free_sgpr 1
		.amdhsa_reserve_vcc 0
		.amdhsa_float_round_mode_32 0
		.amdhsa_float_round_mode_16_64 0
		.amdhsa_float_denorm_mode_32 3
		.amdhsa_float_denorm_mode_16_64 3
		.amdhsa_dx10_clamp 1
		.amdhsa_ieee_mode 1
		.amdhsa_fp16_overflow 0
		.amdhsa_workgroup_processor_mode 1
		.amdhsa_memory_ordered 1
		.amdhsa_forward_progress 0
		.amdhsa_shared_vgpr_count 0
		.amdhsa_exception_fp_ieee_invalid_op 0
		.amdhsa_exception_fp_denorm_src 0
		.amdhsa_exception_fp_ieee_div_zero 0
		.amdhsa_exception_fp_ieee_overflow 0
		.amdhsa_exception_fp_ieee_underflow 0
		.amdhsa_exception_fp_ieee_inexact 0
		.amdhsa_exception_int_div_zero 0
	.end_amdhsa_kernel
	.section	.text._ZN7rocprim17ROCPRIM_400000_NS6detail17trampoline_kernelINS0_14default_configENS1_25partition_config_selectorILNS1_17partition_subalgoE5ElNS0_10empty_typeEbEEZZNS1_14partition_implILS5_5ELb0ES3_mN6hipcub16HIPCUB_304000_NS21CountingInputIteratorIllEEPS6_NSA_22TransformInputIteratorIbN2at6native12_GLOBAL__N_19NonZeroOpIN3c107complexIfEEEEPKSL_lEENS0_5tupleIJPlS6_EEENSQ_IJSD_SD_EEES6_PiJS6_EEE10hipError_tPvRmT3_T4_T5_T6_T7_T9_mT8_P12ihipStream_tbDpT10_ENKUlT_T0_E_clISt17integral_constantIbLb0EES1D_IbLb1EEEEDaS19_S1A_EUlS19_E_NS1_11comp_targetILNS1_3genE5ELNS1_11target_archE942ELNS1_3gpuE9ELNS1_3repE0EEENS1_30default_config_static_selectorELNS0_4arch9wavefront6targetE0EEEvT1_,"axG",@progbits,_ZN7rocprim17ROCPRIM_400000_NS6detail17trampoline_kernelINS0_14default_configENS1_25partition_config_selectorILNS1_17partition_subalgoE5ElNS0_10empty_typeEbEEZZNS1_14partition_implILS5_5ELb0ES3_mN6hipcub16HIPCUB_304000_NS21CountingInputIteratorIllEEPS6_NSA_22TransformInputIteratorIbN2at6native12_GLOBAL__N_19NonZeroOpIN3c107complexIfEEEEPKSL_lEENS0_5tupleIJPlS6_EEENSQ_IJSD_SD_EEES6_PiJS6_EEE10hipError_tPvRmT3_T4_T5_T6_T7_T9_mT8_P12ihipStream_tbDpT10_ENKUlT_T0_E_clISt17integral_constantIbLb0EES1D_IbLb1EEEEDaS19_S1A_EUlS19_E_NS1_11comp_targetILNS1_3genE5ELNS1_11target_archE942ELNS1_3gpuE9ELNS1_3repE0EEENS1_30default_config_static_selectorELNS0_4arch9wavefront6targetE0EEEvT1_,comdat
.Lfunc_end619:
	.size	_ZN7rocprim17ROCPRIM_400000_NS6detail17trampoline_kernelINS0_14default_configENS1_25partition_config_selectorILNS1_17partition_subalgoE5ElNS0_10empty_typeEbEEZZNS1_14partition_implILS5_5ELb0ES3_mN6hipcub16HIPCUB_304000_NS21CountingInputIteratorIllEEPS6_NSA_22TransformInputIteratorIbN2at6native12_GLOBAL__N_19NonZeroOpIN3c107complexIfEEEEPKSL_lEENS0_5tupleIJPlS6_EEENSQ_IJSD_SD_EEES6_PiJS6_EEE10hipError_tPvRmT3_T4_T5_T6_T7_T9_mT8_P12ihipStream_tbDpT10_ENKUlT_T0_E_clISt17integral_constantIbLb0EES1D_IbLb1EEEEDaS19_S1A_EUlS19_E_NS1_11comp_targetILNS1_3genE5ELNS1_11target_archE942ELNS1_3gpuE9ELNS1_3repE0EEENS1_30default_config_static_selectorELNS0_4arch9wavefront6targetE0EEEvT1_, .Lfunc_end619-_ZN7rocprim17ROCPRIM_400000_NS6detail17trampoline_kernelINS0_14default_configENS1_25partition_config_selectorILNS1_17partition_subalgoE5ElNS0_10empty_typeEbEEZZNS1_14partition_implILS5_5ELb0ES3_mN6hipcub16HIPCUB_304000_NS21CountingInputIteratorIllEEPS6_NSA_22TransformInputIteratorIbN2at6native12_GLOBAL__N_19NonZeroOpIN3c107complexIfEEEEPKSL_lEENS0_5tupleIJPlS6_EEENSQ_IJSD_SD_EEES6_PiJS6_EEE10hipError_tPvRmT3_T4_T5_T6_T7_T9_mT8_P12ihipStream_tbDpT10_ENKUlT_T0_E_clISt17integral_constantIbLb0EES1D_IbLb1EEEEDaS19_S1A_EUlS19_E_NS1_11comp_targetILNS1_3genE5ELNS1_11target_archE942ELNS1_3gpuE9ELNS1_3repE0EEENS1_30default_config_static_selectorELNS0_4arch9wavefront6targetE0EEEvT1_
                                        ; -- End function
	.section	.AMDGPU.csdata,"",@progbits
; Kernel info:
; codeLenInByte = 0
; NumSgprs: 0
; NumVgprs: 0
; ScratchSize: 0
; MemoryBound: 0
; FloatMode: 240
; IeeeMode: 1
; LDSByteSize: 0 bytes/workgroup (compile time only)
; SGPRBlocks: 0
; VGPRBlocks: 0
; NumSGPRsForWavesPerEU: 1
; NumVGPRsForWavesPerEU: 1
; Occupancy: 16
; WaveLimiterHint : 0
; COMPUTE_PGM_RSRC2:SCRATCH_EN: 0
; COMPUTE_PGM_RSRC2:USER_SGPR: 15
; COMPUTE_PGM_RSRC2:TRAP_HANDLER: 0
; COMPUTE_PGM_RSRC2:TGID_X_EN: 1
; COMPUTE_PGM_RSRC2:TGID_Y_EN: 0
; COMPUTE_PGM_RSRC2:TGID_Z_EN: 0
; COMPUTE_PGM_RSRC2:TIDIG_COMP_CNT: 0
	.section	.text._ZN7rocprim17ROCPRIM_400000_NS6detail17trampoline_kernelINS0_14default_configENS1_25partition_config_selectorILNS1_17partition_subalgoE5ElNS0_10empty_typeEbEEZZNS1_14partition_implILS5_5ELb0ES3_mN6hipcub16HIPCUB_304000_NS21CountingInputIteratorIllEEPS6_NSA_22TransformInputIteratorIbN2at6native12_GLOBAL__N_19NonZeroOpIN3c107complexIfEEEEPKSL_lEENS0_5tupleIJPlS6_EEENSQ_IJSD_SD_EEES6_PiJS6_EEE10hipError_tPvRmT3_T4_T5_T6_T7_T9_mT8_P12ihipStream_tbDpT10_ENKUlT_T0_E_clISt17integral_constantIbLb0EES1D_IbLb1EEEEDaS19_S1A_EUlS19_E_NS1_11comp_targetILNS1_3genE4ELNS1_11target_archE910ELNS1_3gpuE8ELNS1_3repE0EEENS1_30default_config_static_selectorELNS0_4arch9wavefront6targetE0EEEvT1_,"axG",@progbits,_ZN7rocprim17ROCPRIM_400000_NS6detail17trampoline_kernelINS0_14default_configENS1_25partition_config_selectorILNS1_17partition_subalgoE5ElNS0_10empty_typeEbEEZZNS1_14partition_implILS5_5ELb0ES3_mN6hipcub16HIPCUB_304000_NS21CountingInputIteratorIllEEPS6_NSA_22TransformInputIteratorIbN2at6native12_GLOBAL__N_19NonZeroOpIN3c107complexIfEEEEPKSL_lEENS0_5tupleIJPlS6_EEENSQ_IJSD_SD_EEES6_PiJS6_EEE10hipError_tPvRmT3_T4_T5_T6_T7_T9_mT8_P12ihipStream_tbDpT10_ENKUlT_T0_E_clISt17integral_constantIbLb0EES1D_IbLb1EEEEDaS19_S1A_EUlS19_E_NS1_11comp_targetILNS1_3genE4ELNS1_11target_archE910ELNS1_3gpuE8ELNS1_3repE0EEENS1_30default_config_static_selectorELNS0_4arch9wavefront6targetE0EEEvT1_,comdat
	.globl	_ZN7rocprim17ROCPRIM_400000_NS6detail17trampoline_kernelINS0_14default_configENS1_25partition_config_selectorILNS1_17partition_subalgoE5ElNS0_10empty_typeEbEEZZNS1_14partition_implILS5_5ELb0ES3_mN6hipcub16HIPCUB_304000_NS21CountingInputIteratorIllEEPS6_NSA_22TransformInputIteratorIbN2at6native12_GLOBAL__N_19NonZeroOpIN3c107complexIfEEEEPKSL_lEENS0_5tupleIJPlS6_EEENSQ_IJSD_SD_EEES6_PiJS6_EEE10hipError_tPvRmT3_T4_T5_T6_T7_T9_mT8_P12ihipStream_tbDpT10_ENKUlT_T0_E_clISt17integral_constantIbLb0EES1D_IbLb1EEEEDaS19_S1A_EUlS19_E_NS1_11comp_targetILNS1_3genE4ELNS1_11target_archE910ELNS1_3gpuE8ELNS1_3repE0EEENS1_30default_config_static_selectorELNS0_4arch9wavefront6targetE0EEEvT1_ ; -- Begin function _ZN7rocprim17ROCPRIM_400000_NS6detail17trampoline_kernelINS0_14default_configENS1_25partition_config_selectorILNS1_17partition_subalgoE5ElNS0_10empty_typeEbEEZZNS1_14partition_implILS5_5ELb0ES3_mN6hipcub16HIPCUB_304000_NS21CountingInputIteratorIllEEPS6_NSA_22TransformInputIteratorIbN2at6native12_GLOBAL__N_19NonZeroOpIN3c107complexIfEEEEPKSL_lEENS0_5tupleIJPlS6_EEENSQ_IJSD_SD_EEES6_PiJS6_EEE10hipError_tPvRmT3_T4_T5_T6_T7_T9_mT8_P12ihipStream_tbDpT10_ENKUlT_T0_E_clISt17integral_constantIbLb0EES1D_IbLb1EEEEDaS19_S1A_EUlS19_E_NS1_11comp_targetILNS1_3genE4ELNS1_11target_archE910ELNS1_3gpuE8ELNS1_3repE0EEENS1_30default_config_static_selectorELNS0_4arch9wavefront6targetE0EEEvT1_
	.p2align	8
	.type	_ZN7rocprim17ROCPRIM_400000_NS6detail17trampoline_kernelINS0_14default_configENS1_25partition_config_selectorILNS1_17partition_subalgoE5ElNS0_10empty_typeEbEEZZNS1_14partition_implILS5_5ELb0ES3_mN6hipcub16HIPCUB_304000_NS21CountingInputIteratorIllEEPS6_NSA_22TransformInputIteratorIbN2at6native12_GLOBAL__N_19NonZeroOpIN3c107complexIfEEEEPKSL_lEENS0_5tupleIJPlS6_EEENSQ_IJSD_SD_EEES6_PiJS6_EEE10hipError_tPvRmT3_T4_T5_T6_T7_T9_mT8_P12ihipStream_tbDpT10_ENKUlT_T0_E_clISt17integral_constantIbLb0EES1D_IbLb1EEEEDaS19_S1A_EUlS19_E_NS1_11comp_targetILNS1_3genE4ELNS1_11target_archE910ELNS1_3gpuE8ELNS1_3repE0EEENS1_30default_config_static_selectorELNS0_4arch9wavefront6targetE0EEEvT1_,@function
_ZN7rocprim17ROCPRIM_400000_NS6detail17trampoline_kernelINS0_14default_configENS1_25partition_config_selectorILNS1_17partition_subalgoE5ElNS0_10empty_typeEbEEZZNS1_14partition_implILS5_5ELb0ES3_mN6hipcub16HIPCUB_304000_NS21CountingInputIteratorIllEEPS6_NSA_22TransformInputIteratorIbN2at6native12_GLOBAL__N_19NonZeroOpIN3c107complexIfEEEEPKSL_lEENS0_5tupleIJPlS6_EEENSQ_IJSD_SD_EEES6_PiJS6_EEE10hipError_tPvRmT3_T4_T5_T6_T7_T9_mT8_P12ihipStream_tbDpT10_ENKUlT_T0_E_clISt17integral_constantIbLb0EES1D_IbLb1EEEEDaS19_S1A_EUlS19_E_NS1_11comp_targetILNS1_3genE4ELNS1_11target_archE910ELNS1_3gpuE8ELNS1_3repE0EEENS1_30default_config_static_selectorELNS0_4arch9wavefront6targetE0EEEvT1_: ; @_ZN7rocprim17ROCPRIM_400000_NS6detail17trampoline_kernelINS0_14default_configENS1_25partition_config_selectorILNS1_17partition_subalgoE5ElNS0_10empty_typeEbEEZZNS1_14partition_implILS5_5ELb0ES3_mN6hipcub16HIPCUB_304000_NS21CountingInputIteratorIllEEPS6_NSA_22TransformInputIteratorIbN2at6native12_GLOBAL__N_19NonZeroOpIN3c107complexIfEEEEPKSL_lEENS0_5tupleIJPlS6_EEENSQ_IJSD_SD_EEES6_PiJS6_EEE10hipError_tPvRmT3_T4_T5_T6_T7_T9_mT8_P12ihipStream_tbDpT10_ENKUlT_T0_E_clISt17integral_constantIbLb0EES1D_IbLb1EEEEDaS19_S1A_EUlS19_E_NS1_11comp_targetILNS1_3genE4ELNS1_11target_archE910ELNS1_3gpuE8ELNS1_3repE0EEENS1_30default_config_static_selectorELNS0_4arch9wavefront6targetE0EEEvT1_
; %bb.0:
	.section	.rodata,"a",@progbits
	.p2align	6, 0x0
	.amdhsa_kernel _ZN7rocprim17ROCPRIM_400000_NS6detail17trampoline_kernelINS0_14default_configENS1_25partition_config_selectorILNS1_17partition_subalgoE5ElNS0_10empty_typeEbEEZZNS1_14partition_implILS5_5ELb0ES3_mN6hipcub16HIPCUB_304000_NS21CountingInputIteratorIllEEPS6_NSA_22TransformInputIteratorIbN2at6native12_GLOBAL__N_19NonZeroOpIN3c107complexIfEEEEPKSL_lEENS0_5tupleIJPlS6_EEENSQ_IJSD_SD_EEES6_PiJS6_EEE10hipError_tPvRmT3_T4_T5_T6_T7_T9_mT8_P12ihipStream_tbDpT10_ENKUlT_T0_E_clISt17integral_constantIbLb0EES1D_IbLb1EEEEDaS19_S1A_EUlS19_E_NS1_11comp_targetILNS1_3genE4ELNS1_11target_archE910ELNS1_3gpuE8ELNS1_3repE0EEENS1_30default_config_static_selectorELNS0_4arch9wavefront6targetE0EEEvT1_
		.amdhsa_group_segment_fixed_size 0
		.amdhsa_private_segment_fixed_size 0
		.amdhsa_kernarg_size 136
		.amdhsa_user_sgpr_count 15
		.amdhsa_user_sgpr_dispatch_ptr 0
		.amdhsa_user_sgpr_queue_ptr 0
		.amdhsa_user_sgpr_kernarg_segment_ptr 1
		.amdhsa_user_sgpr_dispatch_id 0
		.amdhsa_user_sgpr_private_segment_size 0
		.amdhsa_wavefront_size32 1
		.amdhsa_uses_dynamic_stack 0
		.amdhsa_enable_private_segment 0
		.amdhsa_system_sgpr_workgroup_id_x 1
		.amdhsa_system_sgpr_workgroup_id_y 0
		.amdhsa_system_sgpr_workgroup_id_z 0
		.amdhsa_system_sgpr_workgroup_info 0
		.amdhsa_system_vgpr_workitem_id 0
		.amdhsa_next_free_vgpr 1
		.amdhsa_next_free_sgpr 1
		.amdhsa_reserve_vcc 0
		.amdhsa_float_round_mode_32 0
		.amdhsa_float_round_mode_16_64 0
		.amdhsa_float_denorm_mode_32 3
		.amdhsa_float_denorm_mode_16_64 3
		.amdhsa_dx10_clamp 1
		.amdhsa_ieee_mode 1
		.amdhsa_fp16_overflow 0
		.amdhsa_workgroup_processor_mode 1
		.amdhsa_memory_ordered 1
		.amdhsa_forward_progress 0
		.amdhsa_shared_vgpr_count 0
		.amdhsa_exception_fp_ieee_invalid_op 0
		.amdhsa_exception_fp_denorm_src 0
		.amdhsa_exception_fp_ieee_div_zero 0
		.amdhsa_exception_fp_ieee_overflow 0
		.amdhsa_exception_fp_ieee_underflow 0
		.amdhsa_exception_fp_ieee_inexact 0
		.amdhsa_exception_int_div_zero 0
	.end_amdhsa_kernel
	.section	.text._ZN7rocprim17ROCPRIM_400000_NS6detail17trampoline_kernelINS0_14default_configENS1_25partition_config_selectorILNS1_17partition_subalgoE5ElNS0_10empty_typeEbEEZZNS1_14partition_implILS5_5ELb0ES3_mN6hipcub16HIPCUB_304000_NS21CountingInputIteratorIllEEPS6_NSA_22TransformInputIteratorIbN2at6native12_GLOBAL__N_19NonZeroOpIN3c107complexIfEEEEPKSL_lEENS0_5tupleIJPlS6_EEENSQ_IJSD_SD_EEES6_PiJS6_EEE10hipError_tPvRmT3_T4_T5_T6_T7_T9_mT8_P12ihipStream_tbDpT10_ENKUlT_T0_E_clISt17integral_constantIbLb0EES1D_IbLb1EEEEDaS19_S1A_EUlS19_E_NS1_11comp_targetILNS1_3genE4ELNS1_11target_archE910ELNS1_3gpuE8ELNS1_3repE0EEENS1_30default_config_static_selectorELNS0_4arch9wavefront6targetE0EEEvT1_,"axG",@progbits,_ZN7rocprim17ROCPRIM_400000_NS6detail17trampoline_kernelINS0_14default_configENS1_25partition_config_selectorILNS1_17partition_subalgoE5ElNS0_10empty_typeEbEEZZNS1_14partition_implILS5_5ELb0ES3_mN6hipcub16HIPCUB_304000_NS21CountingInputIteratorIllEEPS6_NSA_22TransformInputIteratorIbN2at6native12_GLOBAL__N_19NonZeroOpIN3c107complexIfEEEEPKSL_lEENS0_5tupleIJPlS6_EEENSQ_IJSD_SD_EEES6_PiJS6_EEE10hipError_tPvRmT3_T4_T5_T6_T7_T9_mT8_P12ihipStream_tbDpT10_ENKUlT_T0_E_clISt17integral_constantIbLb0EES1D_IbLb1EEEEDaS19_S1A_EUlS19_E_NS1_11comp_targetILNS1_3genE4ELNS1_11target_archE910ELNS1_3gpuE8ELNS1_3repE0EEENS1_30default_config_static_selectorELNS0_4arch9wavefront6targetE0EEEvT1_,comdat
.Lfunc_end620:
	.size	_ZN7rocprim17ROCPRIM_400000_NS6detail17trampoline_kernelINS0_14default_configENS1_25partition_config_selectorILNS1_17partition_subalgoE5ElNS0_10empty_typeEbEEZZNS1_14partition_implILS5_5ELb0ES3_mN6hipcub16HIPCUB_304000_NS21CountingInputIteratorIllEEPS6_NSA_22TransformInputIteratorIbN2at6native12_GLOBAL__N_19NonZeroOpIN3c107complexIfEEEEPKSL_lEENS0_5tupleIJPlS6_EEENSQ_IJSD_SD_EEES6_PiJS6_EEE10hipError_tPvRmT3_T4_T5_T6_T7_T9_mT8_P12ihipStream_tbDpT10_ENKUlT_T0_E_clISt17integral_constantIbLb0EES1D_IbLb1EEEEDaS19_S1A_EUlS19_E_NS1_11comp_targetILNS1_3genE4ELNS1_11target_archE910ELNS1_3gpuE8ELNS1_3repE0EEENS1_30default_config_static_selectorELNS0_4arch9wavefront6targetE0EEEvT1_, .Lfunc_end620-_ZN7rocprim17ROCPRIM_400000_NS6detail17trampoline_kernelINS0_14default_configENS1_25partition_config_selectorILNS1_17partition_subalgoE5ElNS0_10empty_typeEbEEZZNS1_14partition_implILS5_5ELb0ES3_mN6hipcub16HIPCUB_304000_NS21CountingInputIteratorIllEEPS6_NSA_22TransformInputIteratorIbN2at6native12_GLOBAL__N_19NonZeroOpIN3c107complexIfEEEEPKSL_lEENS0_5tupleIJPlS6_EEENSQ_IJSD_SD_EEES6_PiJS6_EEE10hipError_tPvRmT3_T4_T5_T6_T7_T9_mT8_P12ihipStream_tbDpT10_ENKUlT_T0_E_clISt17integral_constantIbLb0EES1D_IbLb1EEEEDaS19_S1A_EUlS19_E_NS1_11comp_targetILNS1_3genE4ELNS1_11target_archE910ELNS1_3gpuE8ELNS1_3repE0EEENS1_30default_config_static_selectorELNS0_4arch9wavefront6targetE0EEEvT1_
                                        ; -- End function
	.section	.AMDGPU.csdata,"",@progbits
; Kernel info:
; codeLenInByte = 0
; NumSgprs: 0
; NumVgprs: 0
; ScratchSize: 0
; MemoryBound: 0
; FloatMode: 240
; IeeeMode: 1
; LDSByteSize: 0 bytes/workgroup (compile time only)
; SGPRBlocks: 0
; VGPRBlocks: 0
; NumSGPRsForWavesPerEU: 1
; NumVGPRsForWavesPerEU: 1
; Occupancy: 15
; WaveLimiterHint : 0
; COMPUTE_PGM_RSRC2:SCRATCH_EN: 0
; COMPUTE_PGM_RSRC2:USER_SGPR: 15
; COMPUTE_PGM_RSRC2:TRAP_HANDLER: 0
; COMPUTE_PGM_RSRC2:TGID_X_EN: 1
; COMPUTE_PGM_RSRC2:TGID_Y_EN: 0
; COMPUTE_PGM_RSRC2:TGID_Z_EN: 0
; COMPUTE_PGM_RSRC2:TIDIG_COMP_CNT: 0
	.section	.text._ZN7rocprim17ROCPRIM_400000_NS6detail17trampoline_kernelINS0_14default_configENS1_25partition_config_selectorILNS1_17partition_subalgoE5ElNS0_10empty_typeEbEEZZNS1_14partition_implILS5_5ELb0ES3_mN6hipcub16HIPCUB_304000_NS21CountingInputIteratorIllEEPS6_NSA_22TransformInputIteratorIbN2at6native12_GLOBAL__N_19NonZeroOpIN3c107complexIfEEEEPKSL_lEENS0_5tupleIJPlS6_EEENSQ_IJSD_SD_EEES6_PiJS6_EEE10hipError_tPvRmT3_T4_T5_T6_T7_T9_mT8_P12ihipStream_tbDpT10_ENKUlT_T0_E_clISt17integral_constantIbLb0EES1D_IbLb1EEEEDaS19_S1A_EUlS19_E_NS1_11comp_targetILNS1_3genE3ELNS1_11target_archE908ELNS1_3gpuE7ELNS1_3repE0EEENS1_30default_config_static_selectorELNS0_4arch9wavefront6targetE0EEEvT1_,"axG",@progbits,_ZN7rocprim17ROCPRIM_400000_NS6detail17trampoline_kernelINS0_14default_configENS1_25partition_config_selectorILNS1_17partition_subalgoE5ElNS0_10empty_typeEbEEZZNS1_14partition_implILS5_5ELb0ES3_mN6hipcub16HIPCUB_304000_NS21CountingInputIteratorIllEEPS6_NSA_22TransformInputIteratorIbN2at6native12_GLOBAL__N_19NonZeroOpIN3c107complexIfEEEEPKSL_lEENS0_5tupleIJPlS6_EEENSQ_IJSD_SD_EEES6_PiJS6_EEE10hipError_tPvRmT3_T4_T5_T6_T7_T9_mT8_P12ihipStream_tbDpT10_ENKUlT_T0_E_clISt17integral_constantIbLb0EES1D_IbLb1EEEEDaS19_S1A_EUlS19_E_NS1_11comp_targetILNS1_3genE3ELNS1_11target_archE908ELNS1_3gpuE7ELNS1_3repE0EEENS1_30default_config_static_selectorELNS0_4arch9wavefront6targetE0EEEvT1_,comdat
	.globl	_ZN7rocprim17ROCPRIM_400000_NS6detail17trampoline_kernelINS0_14default_configENS1_25partition_config_selectorILNS1_17partition_subalgoE5ElNS0_10empty_typeEbEEZZNS1_14partition_implILS5_5ELb0ES3_mN6hipcub16HIPCUB_304000_NS21CountingInputIteratorIllEEPS6_NSA_22TransformInputIteratorIbN2at6native12_GLOBAL__N_19NonZeroOpIN3c107complexIfEEEEPKSL_lEENS0_5tupleIJPlS6_EEENSQ_IJSD_SD_EEES6_PiJS6_EEE10hipError_tPvRmT3_T4_T5_T6_T7_T9_mT8_P12ihipStream_tbDpT10_ENKUlT_T0_E_clISt17integral_constantIbLb0EES1D_IbLb1EEEEDaS19_S1A_EUlS19_E_NS1_11comp_targetILNS1_3genE3ELNS1_11target_archE908ELNS1_3gpuE7ELNS1_3repE0EEENS1_30default_config_static_selectorELNS0_4arch9wavefront6targetE0EEEvT1_ ; -- Begin function _ZN7rocprim17ROCPRIM_400000_NS6detail17trampoline_kernelINS0_14default_configENS1_25partition_config_selectorILNS1_17partition_subalgoE5ElNS0_10empty_typeEbEEZZNS1_14partition_implILS5_5ELb0ES3_mN6hipcub16HIPCUB_304000_NS21CountingInputIteratorIllEEPS6_NSA_22TransformInputIteratorIbN2at6native12_GLOBAL__N_19NonZeroOpIN3c107complexIfEEEEPKSL_lEENS0_5tupleIJPlS6_EEENSQ_IJSD_SD_EEES6_PiJS6_EEE10hipError_tPvRmT3_T4_T5_T6_T7_T9_mT8_P12ihipStream_tbDpT10_ENKUlT_T0_E_clISt17integral_constantIbLb0EES1D_IbLb1EEEEDaS19_S1A_EUlS19_E_NS1_11comp_targetILNS1_3genE3ELNS1_11target_archE908ELNS1_3gpuE7ELNS1_3repE0EEENS1_30default_config_static_selectorELNS0_4arch9wavefront6targetE0EEEvT1_
	.p2align	8
	.type	_ZN7rocprim17ROCPRIM_400000_NS6detail17trampoline_kernelINS0_14default_configENS1_25partition_config_selectorILNS1_17partition_subalgoE5ElNS0_10empty_typeEbEEZZNS1_14partition_implILS5_5ELb0ES3_mN6hipcub16HIPCUB_304000_NS21CountingInputIteratorIllEEPS6_NSA_22TransformInputIteratorIbN2at6native12_GLOBAL__N_19NonZeroOpIN3c107complexIfEEEEPKSL_lEENS0_5tupleIJPlS6_EEENSQ_IJSD_SD_EEES6_PiJS6_EEE10hipError_tPvRmT3_T4_T5_T6_T7_T9_mT8_P12ihipStream_tbDpT10_ENKUlT_T0_E_clISt17integral_constantIbLb0EES1D_IbLb1EEEEDaS19_S1A_EUlS19_E_NS1_11comp_targetILNS1_3genE3ELNS1_11target_archE908ELNS1_3gpuE7ELNS1_3repE0EEENS1_30default_config_static_selectorELNS0_4arch9wavefront6targetE0EEEvT1_,@function
_ZN7rocprim17ROCPRIM_400000_NS6detail17trampoline_kernelINS0_14default_configENS1_25partition_config_selectorILNS1_17partition_subalgoE5ElNS0_10empty_typeEbEEZZNS1_14partition_implILS5_5ELb0ES3_mN6hipcub16HIPCUB_304000_NS21CountingInputIteratorIllEEPS6_NSA_22TransformInputIteratorIbN2at6native12_GLOBAL__N_19NonZeroOpIN3c107complexIfEEEEPKSL_lEENS0_5tupleIJPlS6_EEENSQ_IJSD_SD_EEES6_PiJS6_EEE10hipError_tPvRmT3_T4_T5_T6_T7_T9_mT8_P12ihipStream_tbDpT10_ENKUlT_T0_E_clISt17integral_constantIbLb0EES1D_IbLb1EEEEDaS19_S1A_EUlS19_E_NS1_11comp_targetILNS1_3genE3ELNS1_11target_archE908ELNS1_3gpuE7ELNS1_3repE0EEENS1_30default_config_static_selectorELNS0_4arch9wavefront6targetE0EEEvT1_: ; @_ZN7rocprim17ROCPRIM_400000_NS6detail17trampoline_kernelINS0_14default_configENS1_25partition_config_selectorILNS1_17partition_subalgoE5ElNS0_10empty_typeEbEEZZNS1_14partition_implILS5_5ELb0ES3_mN6hipcub16HIPCUB_304000_NS21CountingInputIteratorIllEEPS6_NSA_22TransformInputIteratorIbN2at6native12_GLOBAL__N_19NonZeroOpIN3c107complexIfEEEEPKSL_lEENS0_5tupleIJPlS6_EEENSQ_IJSD_SD_EEES6_PiJS6_EEE10hipError_tPvRmT3_T4_T5_T6_T7_T9_mT8_P12ihipStream_tbDpT10_ENKUlT_T0_E_clISt17integral_constantIbLb0EES1D_IbLb1EEEEDaS19_S1A_EUlS19_E_NS1_11comp_targetILNS1_3genE3ELNS1_11target_archE908ELNS1_3gpuE7ELNS1_3repE0EEENS1_30default_config_static_selectorELNS0_4arch9wavefront6targetE0EEEvT1_
; %bb.0:
	.section	.rodata,"a",@progbits
	.p2align	6, 0x0
	.amdhsa_kernel _ZN7rocprim17ROCPRIM_400000_NS6detail17trampoline_kernelINS0_14default_configENS1_25partition_config_selectorILNS1_17partition_subalgoE5ElNS0_10empty_typeEbEEZZNS1_14partition_implILS5_5ELb0ES3_mN6hipcub16HIPCUB_304000_NS21CountingInputIteratorIllEEPS6_NSA_22TransformInputIteratorIbN2at6native12_GLOBAL__N_19NonZeroOpIN3c107complexIfEEEEPKSL_lEENS0_5tupleIJPlS6_EEENSQ_IJSD_SD_EEES6_PiJS6_EEE10hipError_tPvRmT3_T4_T5_T6_T7_T9_mT8_P12ihipStream_tbDpT10_ENKUlT_T0_E_clISt17integral_constantIbLb0EES1D_IbLb1EEEEDaS19_S1A_EUlS19_E_NS1_11comp_targetILNS1_3genE3ELNS1_11target_archE908ELNS1_3gpuE7ELNS1_3repE0EEENS1_30default_config_static_selectorELNS0_4arch9wavefront6targetE0EEEvT1_
		.amdhsa_group_segment_fixed_size 0
		.amdhsa_private_segment_fixed_size 0
		.amdhsa_kernarg_size 136
		.amdhsa_user_sgpr_count 15
		.amdhsa_user_sgpr_dispatch_ptr 0
		.amdhsa_user_sgpr_queue_ptr 0
		.amdhsa_user_sgpr_kernarg_segment_ptr 1
		.amdhsa_user_sgpr_dispatch_id 0
		.amdhsa_user_sgpr_private_segment_size 0
		.amdhsa_wavefront_size32 1
		.amdhsa_uses_dynamic_stack 0
		.amdhsa_enable_private_segment 0
		.amdhsa_system_sgpr_workgroup_id_x 1
		.amdhsa_system_sgpr_workgroup_id_y 0
		.amdhsa_system_sgpr_workgroup_id_z 0
		.amdhsa_system_sgpr_workgroup_info 0
		.amdhsa_system_vgpr_workitem_id 0
		.amdhsa_next_free_vgpr 1
		.amdhsa_next_free_sgpr 1
		.amdhsa_reserve_vcc 0
		.amdhsa_float_round_mode_32 0
		.amdhsa_float_round_mode_16_64 0
		.amdhsa_float_denorm_mode_32 3
		.amdhsa_float_denorm_mode_16_64 3
		.amdhsa_dx10_clamp 1
		.amdhsa_ieee_mode 1
		.amdhsa_fp16_overflow 0
		.amdhsa_workgroup_processor_mode 1
		.amdhsa_memory_ordered 1
		.amdhsa_forward_progress 0
		.amdhsa_shared_vgpr_count 0
		.amdhsa_exception_fp_ieee_invalid_op 0
		.amdhsa_exception_fp_denorm_src 0
		.amdhsa_exception_fp_ieee_div_zero 0
		.amdhsa_exception_fp_ieee_overflow 0
		.amdhsa_exception_fp_ieee_underflow 0
		.amdhsa_exception_fp_ieee_inexact 0
		.amdhsa_exception_int_div_zero 0
	.end_amdhsa_kernel
	.section	.text._ZN7rocprim17ROCPRIM_400000_NS6detail17trampoline_kernelINS0_14default_configENS1_25partition_config_selectorILNS1_17partition_subalgoE5ElNS0_10empty_typeEbEEZZNS1_14partition_implILS5_5ELb0ES3_mN6hipcub16HIPCUB_304000_NS21CountingInputIteratorIllEEPS6_NSA_22TransformInputIteratorIbN2at6native12_GLOBAL__N_19NonZeroOpIN3c107complexIfEEEEPKSL_lEENS0_5tupleIJPlS6_EEENSQ_IJSD_SD_EEES6_PiJS6_EEE10hipError_tPvRmT3_T4_T5_T6_T7_T9_mT8_P12ihipStream_tbDpT10_ENKUlT_T0_E_clISt17integral_constantIbLb0EES1D_IbLb1EEEEDaS19_S1A_EUlS19_E_NS1_11comp_targetILNS1_3genE3ELNS1_11target_archE908ELNS1_3gpuE7ELNS1_3repE0EEENS1_30default_config_static_selectorELNS0_4arch9wavefront6targetE0EEEvT1_,"axG",@progbits,_ZN7rocprim17ROCPRIM_400000_NS6detail17trampoline_kernelINS0_14default_configENS1_25partition_config_selectorILNS1_17partition_subalgoE5ElNS0_10empty_typeEbEEZZNS1_14partition_implILS5_5ELb0ES3_mN6hipcub16HIPCUB_304000_NS21CountingInputIteratorIllEEPS6_NSA_22TransformInputIteratorIbN2at6native12_GLOBAL__N_19NonZeroOpIN3c107complexIfEEEEPKSL_lEENS0_5tupleIJPlS6_EEENSQ_IJSD_SD_EEES6_PiJS6_EEE10hipError_tPvRmT3_T4_T5_T6_T7_T9_mT8_P12ihipStream_tbDpT10_ENKUlT_T0_E_clISt17integral_constantIbLb0EES1D_IbLb1EEEEDaS19_S1A_EUlS19_E_NS1_11comp_targetILNS1_3genE3ELNS1_11target_archE908ELNS1_3gpuE7ELNS1_3repE0EEENS1_30default_config_static_selectorELNS0_4arch9wavefront6targetE0EEEvT1_,comdat
.Lfunc_end621:
	.size	_ZN7rocprim17ROCPRIM_400000_NS6detail17trampoline_kernelINS0_14default_configENS1_25partition_config_selectorILNS1_17partition_subalgoE5ElNS0_10empty_typeEbEEZZNS1_14partition_implILS5_5ELb0ES3_mN6hipcub16HIPCUB_304000_NS21CountingInputIteratorIllEEPS6_NSA_22TransformInputIteratorIbN2at6native12_GLOBAL__N_19NonZeroOpIN3c107complexIfEEEEPKSL_lEENS0_5tupleIJPlS6_EEENSQ_IJSD_SD_EEES6_PiJS6_EEE10hipError_tPvRmT3_T4_T5_T6_T7_T9_mT8_P12ihipStream_tbDpT10_ENKUlT_T0_E_clISt17integral_constantIbLb0EES1D_IbLb1EEEEDaS19_S1A_EUlS19_E_NS1_11comp_targetILNS1_3genE3ELNS1_11target_archE908ELNS1_3gpuE7ELNS1_3repE0EEENS1_30default_config_static_selectorELNS0_4arch9wavefront6targetE0EEEvT1_, .Lfunc_end621-_ZN7rocprim17ROCPRIM_400000_NS6detail17trampoline_kernelINS0_14default_configENS1_25partition_config_selectorILNS1_17partition_subalgoE5ElNS0_10empty_typeEbEEZZNS1_14partition_implILS5_5ELb0ES3_mN6hipcub16HIPCUB_304000_NS21CountingInputIteratorIllEEPS6_NSA_22TransformInputIteratorIbN2at6native12_GLOBAL__N_19NonZeroOpIN3c107complexIfEEEEPKSL_lEENS0_5tupleIJPlS6_EEENSQ_IJSD_SD_EEES6_PiJS6_EEE10hipError_tPvRmT3_T4_T5_T6_T7_T9_mT8_P12ihipStream_tbDpT10_ENKUlT_T0_E_clISt17integral_constantIbLb0EES1D_IbLb1EEEEDaS19_S1A_EUlS19_E_NS1_11comp_targetILNS1_3genE3ELNS1_11target_archE908ELNS1_3gpuE7ELNS1_3repE0EEENS1_30default_config_static_selectorELNS0_4arch9wavefront6targetE0EEEvT1_
                                        ; -- End function
	.section	.AMDGPU.csdata,"",@progbits
; Kernel info:
; codeLenInByte = 0
; NumSgprs: 0
; NumVgprs: 0
; ScratchSize: 0
; MemoryBound: 0
; FloatMode: 240
; IeeeMode: 1
; LDSByteSize: 0 bytes/workgroup (compile time only)
; SGPRBlocks: 0
; VGPRBlocks: 0
; NumSGPRsForWavesPerEU: 1
; NumVGPRsForWavesPerEU: 1
; Occupancy: 16
; WaveLimiterHint : 0
; COMPUTE_PGM_RSRC2:SCRATCH_EN: 0
; COMPUTE_PGM_RSRC2:USER_SGPR: 15
; COMPUTE_PGM_RSRC2:TRAP_HANDLER: 0
; COMPUTE_PGM_RSRC2:TGID_X_EN: 1
; COMPUTE_PGM_RSRC2:TGID_Y_EN: 0
; COMPUTE_PGM_RSRC2:TGID_Z_EN: 0
; COMPUTE_PGM_RSRC2:TIDIG_COMP_CNT: 0
	.section	.text._ZN7rocprim17ROCPRIM_400000_NS6detail17trampoline_kernelINS0_14default_configENS1_25partition_config_selectorILNS1_17partition_subalgoE5ElNS0_10empty_typeEbEEZZNS1_14partition_implILS5_5ELb0ES3_mN6hipcub16HIPCUB_304000_NS21CountingInputIteratorIllEEPS6_NSA_22TransformInputIteratorIbN2at6native12_GLOBAL__N_19NonZeroOpIN3c107complexIfEEEEPKSL_lEENS0_5tupleIJPlS6_EEENSQ_IJSD_SD_EEES6_PiJS6_EEE10hipError_tPvRmT3_T4_T5_T6_T7_T9_mT8_P12ihipStream_tbDpT10_ENKUlT_T0_E_clISt17integral_constantIbLb0EES1D_IbLb1EEEEDaS19_S1A_EUlS19_E_NS1_11comp_targetILNS1_3genE2ELNS1_11target_archE906ELNS1_3gpuE6ELNS1_3repE0EEENS1_30default_config_static_selectorELNS0_4arch9wavefront6targetE0EEEvT1_,"axG",@progbits,_ZN7rocprim17ROCPRIM_400000_NS6detail17trampoline_kernelINS0_14default_configENS1_25partition_config_selectorILNS1_17partition_subalgoE5ElNS0_10empty_typeEbEEZZNS1_14partition_implILS5_5ELb0ES3_mN6hipcub16HIPCUB_304000_NS21CountingInputIteratorIllEEPS6_NSA_22TransformInputIteratorIbN2at6native12_GLOBAL__N_19NonZeroOpIN3c107complexIfEEEEPKSL_lEENS0_5tupleIJPlS6_EEENSQ_IJSD_SD_EEES6_PiJS6_EEE10hipError_tPvRmT3_T4_T5_T6_T7_T9_mT8_P12ihipStream_tbDpT10_ENKUlT_T0_E_clISt17integral_constantIbLb0EES1D_IbLb1EEEEDaS19_S1A_EUlS19_E_NS1_11comp_targetILNS1_3genE2ELNS1_11target_archE906ELNS1_3gpuE6ELNS1_3repE0EEENS1_30default_config_static_selectorELNS0_4arch9wavefront6targetE0EEEvT1_,comdat
	.globl	_ZN7rocprim17ROCPRIM_400000_NS6detail17trampoline_kernelINS0_14default_configENS1_25partition_config_selectorILNS1_17partition_subalgoE5ElNS0_10empty_typeEbEEZZNS1_14partition_implILS5_5ELb0ES3_mN6hipcub16HIPCUB_304000_NS21CountingInputIteratorIllEEPS6_NSA_22TransformInputIteratorIbN2at6native12_GLOBAL__N_19NonZeroOpIN3c107complexIfEEEEPKSL_lEENS0_5tupleIJPlS6_EEENSQ_IJSD_SD_EEES6_PiJS6_EEE10hipError_tPvRmT3_T4_T5_T6_T7_T9_mT8_P12ihipStream_tbDpT10_ENKUlT_T0_E_clISt17integral_constantIbLb0EES1D_IbLb1EEEEDaS19_S1A_EUlS19_E_NS1_11comp_targetILNS1_3genE2ELNS1_11target_archE906ELNS1_3gpuE6ELNS1_3repE0EEENS1_30default_config_static_selectorELNS0_4arch9wavefront6targetE0EEEvT1_ ; -- Begin function _ZN7rocprim17ROCPRIM_400000_NS6detail17trampoline_kernelINS0_14default_configENS1_25partition_config_selectorILNS1_17partition_subalgoE5ElNS0_10empty_typeEbEEZZNS1_14partition_implILS5_5ELb0ES3_mN6hipcub16HIPCUB_304000_NS21CountingInputIteratorIllEEPS6_NSA_22TransformInputIteratorIbN2at6native12_GLOBAL__N_19NonZeroOpIN3c107complexIfEEEEPKSL_lEENS0_5tupleIJPlS6_EEENSQ_IJSD_SD_EEES6_PiJS6_EEE10hipError_tPvRmT3_T4_T5_T6_T7_T9_mT8_P12ihipStream_tbDpT10_ENKUlT_T0_E_clISt17integral_constantIbLb0EES1D_IbLb1EEEEDaS19_S1A_EUlS19_E_NS1_11comp_targetILNS1_3genE2ELNS1_11target_archE906ELNS1_3gpuE6ELNS1_3repE0EEENS1_30default_config_static_selectorELNS0_4arch9wavefront6targetE0EEEvT1_
	.p2align	8
	.type	_ZN7rocprim17ROCPRIM_400000_NS6detail17trampoline_kernelINS0_14default_configENS1_25partition_config_selectorILNS1_17partition_subalgoE5ElNS0_10empty_typeEbEEZZNS1_14partition_implILS5_5ELb0ES3_mN6hipcub16HIPCUB_304000_NS21CountingInputIteratorIllEEPS6_NSA_22TransformInputIteratorIbN2at6native12_GLOBAL__N_19NonZeroOpIN3c107complexIfEEEEPKSL_lEENS0_5tupleIJPlS6_EEENSQ_IJSD_SD_EEES6_PiJS6_EEE10hipError_tPvRmT3_T4_T5_T6_T7_T9_mT8_P12ihipStream_tbDpT10_ENKUlT_T0_E_clISt17integral_constantIbLb0EES1D_IbLb1EEEEDaS19_S1A_EUlS19_E_NS1_11comp_targetILNS1_3genE2ELNS1_11target_archE906ELNS1_3gpuE6ELNS1_3repE0EEENS1_30default_config_static_selectorELNS0_4arch9wavefront6targetE0EEEvT1_,@function
_ZN7rocprim17ROCPRIM_400000_NS6detail17trampoline_kernelINS0_14default_configENS1_25partition_config_selectorILNS1_17partition_subalgoE5ElNS0_10empty_typeEbEEZZNS1_14partition_implILS5_5ELb0ES3_mN6hipcub16HIPCUB_304000_NS21CountingInputIteratorIllEEPS6_NSA_22TransformInputIteratorIbN2at6native12_GLOBAL__N_19NonZeroOpIN3c107complexIfEEEEPKSL_lEENS0_5tupleIJPlS6_EEENSQ_IJSD_SD_EEES6_PiJS6_EEE10hipError_tPvRmT3_T4_T5_T6_T7_T9_mT8_P12ihipStream_tbDpT10_ENKUlT_T0_E_clISt17integral_constantIbLb0EES1D_IbLb1EEEEDaS19_S1A_EUlS19_E_NS1_11comp_targetILNS1_3genE2ELNS1_11target_archE906ELNS1_3gpuE6ELNS1_3repE0EEENS1_30default_config_static_selectorELNS0_4arch9wavefront6targetE0EEEvT1_: ; @_ZN7rocprim17ROCPRIM_400000_NS6detail17trampoline_kernelINS0_14default_configENS1_25partition_config_selectorILNS1_17partition_subalgoE5ElNS0_10empty_typeEbEEZZNS1_14partition_implILS5_5ELb0ES3_mN6hipcub16HIPCUB_304000_NS21CountingInputIteratorIllEEPS6_NSA_22TransformInputIteratorIbN2at6native12_GLOBAL__N_19NonZeroOpIN3c107complexIfEEEEPKSL_lEENS0_5tupleIJPlS6_EEENSQ_IJSD_SD_EEES6_PiJS6_EEE10hipError_tPvRmT3_T4_T5_T6_T7_T9_mT8_P12ihipStream_tbDpT10_ENKUlT_T0_E_clISt17integral_constantIbLb0EES1D_IbLb1EEEEDaS19_S1A_EUlS19_E_NS1_11comp_targetILNS1_3genE2ELNS1_11target_archE906ELNS1_3gpuE6ELNS1_3repE0EEENS1_30default_config_static_selectorELNS0_4arch9wavefront6targetE0EEEvT1_
; %bb.0:
	.section	.rodata,"a",@progbits
	.p2align	6, 0x0
	.amdhsa_kernel _ZN7rocprim17ROCPRIM_400000_NS6detail17trampoline_kernelINS0_14default_configENS1_25partition_config_selectorILNS1_17partition_subalgoE5ElNS0_10empty_typeEbEEZZNS1_14partition_implILS5_5ELb0ES3_mN6hipcub16HIPCUB_304000_NS21CountingInputIteratorIllEEPS6_NSA_22TransformInputIteratorIbN2at6native12_GLOBAL__N_19NonZeroOpIN3c107complexIfEEEEPKSL_lEENS0_5tupleIJPlS6_EEENSQ_IJSD_SD_EEES6_PiJS6_EEE10hipError_tPvRmT3_T4_T5_T6_T7_T9_mT8_P12ihipStream_tbDpT10_ENKUlT_T0_E_clISt17integral_constantIbLb0EES1D_IbLb1EEEEDaS19_S1A_EUlS19_E_NS1_11comp_targetILNS1_3genE2ELNS1_11target_archE906ELNS1_3gpuE6ELNS1_3repE0EEENS1_30default_config_static_selectorELNS0_4arch9wavefront6targetE0EEEvT1_
		.amdhsa_group_segment_fixed_size 0
		.amdhsa_private_segment_fixed_size 0
		.amdhsa_kernarg_size 136
		.amdhsa_user_sgpr_count 15
		.amdhsa_user_sgpr_dispatch_ptr 0
		.amdhsa_user_sgpr_queue_ptr 0
		.amdhsa_user_sgpr_kernarg_segment_ptr 1
		.amdhsa_user_sgpr_dispatch_id 0
		.amdhsa_user_sgpr_private_segment_size 0
		.amdhsa_wavefront_size32 1
		.amdhsa_uses_dynamic_stack 0
		.amdhsa_enable_private_segment 0
		.amdhsa_system_sgpr_workgroup_id_x 1
		.amdhsa_system_sgpr_workgroup_id_y 0
		.amdhsa_system_sgpr_workgroup_id_z 0
		.amdhsa_system_sgpr_workgroup_info 0
		.amdhsa_system_vgpr_workitem_id 0
		.amdhsa_next_free_vgpr 1
		.amdhsa_next_free_sgpr 1
		.amdhsa_reserve_vcc 0
		.amdhsa_float_round_mode_32 0
		.amdhsa_float_round_mode_16_64 0
		.amdhsa_float_denorm_mode_32 3
		.amdhsa_float_denorm_mode_16_64 3
		.amdhsa_dx10_clamp 1
		.amdhsa_ieee_mode 1
		.amdhsa_fp16_overflow 0
		.amdhsa_workgroup_processor_mode 1
		.amdhsa_memory_ordered 1
		.amdhsa_forward_progress 0
		.amdhsa_shared_vgpr_count 0
		.amdhsa_exception_fp_ieee_invalid_op 0
		.amdhsa_exception_fp_denorm_src 0
		.amdhsa_exception_fp_ieee_div_zero 0
		.amdhsa_exception_fp_ieee_overflow 0
		.amdhsa_exception_fp_ieee_underflow 0
		.amdhsa_exception_fp_ieee_inexact 0
		.amdhsa_exception_int_div_zero 0
	.end_amdhsa_kernel
	.section	.text._ZN7rocprim17ROCPRIM_400000_NS6detail17trampoline_kernelINS0_14default_configENS1_25partition_config_selectorILNS1_17partition_subalgoE5ElNS0_10empty_typeEbEEZZNS1_14partition_implILS5_5ELb0ES3_mN6hipcub16HIPCUB_304000_NS21CountingInputIteratorIllEEPS6_NSA_22TransformInputIteratorIbN2at6native12_GLOBAL__N_19NonZeroOpIN3c107complexIfEEEEPKSL_lEENS0_5tupleIJPlS6_EEENSQ_IJSD_SD_EEES6_PiJS6_EEE10hipError_tPvRmT3_T4_T5_T6_T7_T9_mT8_P12ihipStream_tbDpT10_ENKUlT_T0_E_clISt17integral_constantIbLb0EES1D_IbLb1EEEEDaS19_S1A_EUlS19_E_NS1_11comp_targetILNS1_3genE2ELNS1_11target_archE906ELNS1_3gpuE6ELNS1_3repE0EEENS1_30default_config_static_selectorELNS0_4arch9wavefront6targetE0EEEvT1_,"axG",@progbits,_ZN7rocprim17ROCPRIM_400000_NS6detail17trampoline_kernelINS0_14default_configENS1_25partition_config_selectorILNS1_17partition_subalgoE5ElNS0_10empty_typeEbEEZZNS1_14partition_implILS5_5ELb0ES3_mN6hipcub16HIPCUB_304000_NS21CountingInputIteratorIllEEPS6_NSA_22TransformInputIteratorIbN2at6native12_GLOBAL__N_19NonZeroOpIN3c107complexIfEEEEPKSL_lEENS0_5tupleIJPlS6_EEENSQ_IJSD_SD_EEES6_PiJS6_EEE10hipError_tPvRmT3_T4_T5_T6_T7_T9_mT8_P12ihipStream_tbDpT10_ENKUlT_T0_E_clISt17integral_constantIbLb0EES1D_IbLb1EEEEDaS19_S1A_EUlS19_E_NS1_11comp_targetILNS1_3genE2ELNS1_11target_archE906ELNS1_3gpuE6ELNS1_3repE0EEENS1_30default_config_static_selectorELNS0_4arch9wavefront6targetE0EEEvT1_,comdat
.Lfunc_end622:
	.size	_ZN7rocprim17ROCPRIM_400000_NS6detail17trampoline_kernelINS0_14default_configENS1_25partition_config_selectorILNS1_17partition_subalgoE5ElNS0_10empty_typeEbEEZZNS1_14partition_implILS5_5ELb0ES3_mN6hipcub16HIPCUB_304000_NS21CountingInputIteratorIllEEPS6_NSA_22TransformInputIteratorIbN2at6native12_GLOBAL__N_19NonZeroOpIN3c107complexIfEEEEPKSL_lEENS0_5tupleIJPlS6_EEENSQ_IJSD_SD_EEES6_PiJS6_EEE10hipError_tPvRmT3_T4_T5_T6_T7_T9_mT8_P12ihipStream_tbDpT10_ENKUlT_T0_E_clISt17integral_constantIbLb0EES1D_IbLb1EEEEDaS19_S1A_EUlS19_E_NS1_11comp_targetILNS1_3genE2ELNS1_11target_archE906ELNS1_3gpuE6ELNS1_3repE0EEENS1_30default_config_static_selectorELNS0_4arch9wavefront6targetE0EEEvT1_, .Lfunc_end622-_ZN7rocprim17ROCPRIM_400000_NS6detail17trampoline_kernelINS0_14default_configENS1_25partition_config_selectorILNS1_17partition_subalgoE5ElNS0_10empty_typeEbEEZZNS1_14partition_implILS5_5ELb0ES3_mN6hipcub16HIPCUB_304000_NS21CountingInputIteratorIllEEPS6_NSA_22TransformInputIteratorIbN2at6native12_GLOBAL__N_19NonZeroOpIN3c107complexIfEEEEPKSL_lEENS0_5tupleIJPlS6_EEENSQ_IJSD_SD_EEES6_PiJS6_EEE10hipError_tPvRmT3_T4_T5_T6_T7_T9_mT8_P12ihipStream_tbDpT10_ENKUlT_T0_E_clISt17integral_constantIbLb0EES1D_IbLb1EEEEDaS19_S1A_EUlS19_E_NS1_11comp_targetILNS1_3genE2ELNS1_11target_archE906ELNS1_3gpuE6ELNS1_3repE0EEENS1_30default_config_static_selectorELNS0_4arch9wavefront6targetE0EEEvT1_
                                        ; -- End function
	.section	.AMDGPU.csdata,"",@progbits
; Kernel info:
; codeLenInByte = 0
; NumSgprs: 0
; NumVgprs: 0
; ScratchSize: 0
; MemoryBound: 0
; FloatMode: 240
; IeeeMode: 1
; LDSByteSize: 0 bytes/workgroup (compile time only)
; SGPRBlocks: 0
; VGPRBlocks: 0
; NumSGPRsForWavesPerEU: 1
; NumVGPRsForWavesPerEU: 1
; Occupancy: 16
; WaveLimiterHint : 0
; COMPUTE_PGM_RSRC2:SCRATCH_EN: 0
; COMPUTE_PGM_RSRC2:USER_SGPR: 15
; COMPUTE_PGM_RSRC2:TRAP_HANDLER: 0
; COMPUTE_PGM_RSRC2:TGID_X_EN: 1
; COMPUTE_PGM_RSRC2:TGID_Y_EN: 0
; COMPUTE_PGM_RSRC2:TGID_Z_EN: 0
; COMPUTE_PGM_RSRC2:TIDIG_COMP_CNT: 0
	.section	.text._ZN7rocprim17ROCPRIM_400000_NS6detail17trampoline_kernelINS0_14default_configENS1_25partition_config_selectorILNS1_17partition_subalgoE5ElNS0_10empty_typeEbEEZZNS1_14partition_implILS5_5ELb0ES3_mN6hipcub16HIPCUB_304000_NS21CountingInputIteratorIllEEPS6_NSA_22TransformInputIteratorIbN2at6native12_GLOBAL__N_19NonZeroOpIN3c107complexIfEEEEPKSL_lEENS0_5tupleIJPlS6_EEENSQ_IJSD_SD_EEES6_PiJS6_EEE10hipError_tPvRmT3_T4_T5_T6_T7_T9_mT8_P12ihipStream_tbDpT10_ENKUlT_T0_E_clISt17integral_constantIbLb0EES1D_IbLb1EEEEDaS19_S1A_EUlS19_E_NS1_11comp_targetILNS1_3genE10ELNS1_11target_archE1200ELNS1_3gpuE4ELNS1_3repE0EEENS1_30default_config_static_selectorELNS0_4arch9wavefront6targetE0EEEvT1_,"axG",@progbits,_ZN7rocprim17ROCPRIM_400000_NS6detail17trampoline_kernelINS0_14default_configENS1_25partition_config_selectorILNS1_17partition_subalgoE5ElNS0_10empty_typeEbEEZZNS1_14partition_implILS5_5ELb0ES3_mN6hipcub16HIPCUB_304000_NS21CountingInputIteratorIllEEPS6_NSA_22TransformInputIteratorIbN2at6native12_GLOBAL__N_19NonZeroOpIN3c107complexIfEEEEPKSL_lEENS0_5tupleIJPlS6_EEENSQ_IJSD_SD_EEES6_PiJS6_EEE10hipError_tPvRmT3_T4_T5_T6_T7_T9_mT8_P12ihipStream_tbDpT10_ENKUlT_T0_E_clISt17integral_constantIbLb0EES1D_IbLb1EEEEDaS19_S1A_EUlS19_E_NS1_11comp_targetILNS1_3genE10ELNS1_11target_archE1200ELNS1_3gpuE4ELNS1_3repE0EEENS1_30default_config_static_selectorELNS0_4arch9wavefront6targetE0EEEvT1_,comdat
	.globl	_ZN7rocprim17ROCPRIM_400000_NS6detail17trampoline_kernelINS0_14default_configENS1_25partition_config_selectorILNS1_17partition_subalgoE5ElNS0_10empty_typeEbEEZZNS1_14partition_implILS5_5ELb0ES3_mN6hipcub16HIPCUB_304000_NS21CountingInputIteratorIllEEPS6_NSA_22TransformInputIteratorIbN2at6native12_GLOBAL__N_19NonZeroOpIN3c107complexIfEEEEPKSL_lEENS0_5tupleIJPlS6_EEENSQ_IJSD_SD_EEES6_PiJS6_EEE10hipError_tPvRmT3_T4_T5_T6_T7_T9_mT8_P12ihipStream_tbDpT10_ENKUlT_T0_E_clISt17integral_constantIbLb0EES1D_IbLb1EEEEDaS19_S1A_EUlS19_E_NS1_11comp_targetILNS1_3genE10ELNS1_11target_archE1200ELNS1_3gpuE4ELNS1_3repE0EEENS1_30default_config_static_selectorELNS0_4arch9wavefront6targetE0EEEvT1_ ; -- Begin function _ZN7rocprim17ROCPRIM_400000_NS6detail17trampoline_kernelINS0_14default_configENS1_25partition_config_selectorILNS1_17partition_subalgoE5ElNS0_10empty_typeEbEEZZNS1_14partition_implILS5_5ELb0ES3_mN6hipcub16HIPCUB_304000_NS21CountingInputIteratorIllEEPS6_NSA_22TransformInputIteratorIbN2at6native12_GLOBAL__N_19NonZeroOpIN3c107complexIfEEEEPKSL_lEENS0_5tupleIJPlS6_EEENSQ_IJSD_SD_EEES6_PiJS6_EEE10hipError_tPvRmT3_T4_T5_T6_T7_T9_mT8_P12ihipStream_tbDpT10_ENKUlT_T0_E_clISt17integral_constantIbLb0EES1D_IbLb1EEEEDaS19_S1A_EUlS19_E_NS1_11comp_targetILNS1_3genE10ELNS1_11target_archE1200ELNS1_3gpuE4ELNS1_3repE0EEENS1_30default_config_static_selectorELNS0_4arch9wavefront6targetE0EEEvT1_
	.p2align	8
	.type	_ZN7rocprim17ROCPRIM_400000_NS6detail17trampoline_kernelINS0_14default_configENS1_25partition_config_selectorILNS1_17partition_subalgoE5ElNS0_10empty_typeEbEEZZNS1_14partition_implILS5_5ELb0ES3_mN6hipcub16HIPCUB_304000_NS21CountingInputIteratorIllEEPS6_NSA_22TransformInputIteratorIbN2at6native12_GLOBAL__N_19NonZeroOpIN3c107complexIfEEEEPKSL_lEENS0_5tupleIJPlS6_EEENSQ_IJSD_SD_EEES6_PiJS6_EEE10hipError_tPvRmT3_T4_T5_T6_T7_T9_mT8_P12ihipStream_tbDpT10_ENKUlT_T0_E_clISt17integral_constantIbLb0EES1D_IbLb1EEEEDaS19_S1A_EUlS19_E_NS1_11comp_targetILNS1_3genE10ELNS1_11target_archE1200ELNS1_3gpuE4ELNS1_3repE0EEENS1_30default_config_static_selectorELNS0_4arch9wavefront6targetE0EEEvT1_,@function
_ZN7rocprim17ROCPRIM_400000_NS6detail17trampoline_kernelINS0_14default_configENS1_25partition_config_selectorILNS1_17partition_subalgoE5ElNS0_10empty_typeEbEEZZNS1_14partition_implILS5_5ELb0ES3_mN6hipcub16HIPCUB_304000_NS21CountingInputIteratorIllEEPS6_NSA_22TransformInputIteratorIbN2at6native12_GLOBAL__N_19NonZeroOpIN3c107complexIfEEEEPKSL_lEENS0_5tupleIJPlS6_EEENSQ_IJSD_SD_EEES6_PiJS6_EEE10hipError_tPvRmT3_T4_T5_T6_T7_T9_mT8_P12ihipStream_tbDpT10_ENKUlT_T0_E_clISt17integral_constantIbLb0EES1D_IbLb1EEEEDaS19_S1A_EUlS19_E_NS1_11comp_targetILNS1_3genE10ELNS1_11target_archE1200ELNS1_3gpuE4ELNS1_3repE0EEENS1_30default_config_static_selectorELNS0_4arch9wavefront6targetE0EEEvT1_: ; @_ZN7rocprim17ROCPRIM_400000_NS6detail17trampoline_kernelINS0_14default_configENS1_25partition_config_selectorILNS1_17partition_subalgoE5ElNS0_10empty_typeEbEEZZNS1_14partition_implILS5_5ELb0ES3_mN6hipcub16HIPCUB_304000_NS21CountingInputIteratorIllEEPS6_NSA_22TransformInputIteratorIbN2at6native12_GLOBAL__N_19NonZeroOpIN3c107complexIfEEEEPKSL_lEENS0_5tupleIJPlS6_EEENSQ_IJSD_SD_EEES6_PiJS6_EEE10hipError_tPvRmT3_T4_T5_T6_T7_T9_mT8_P12ihipStream_tbDpT10_ENKUlT_T0_E_clISt17integral_constantIbLb0EES1D_IbLb1EEEEDaS19_S1A_EUlS19_E_NS1_11comp_targetILNS1_3genE10ELNS1_11target_archE1200ELNS1_3gpuE4ELNS1_3repE0EEENS1_30default_config_static_selectorELNS0_4arch9wavefront6targetE0EEEvT1_
; %bb.0:
	.section	.rodata,"a",@progbits
	.p2align	6, 0x0
	.amdhsa_kernel _ZN7rocprim17ROCPRIM_400000_NS6detail17trampoline_kernelINS0_14default_configENS1_25partition_config_selectorILNS1_17partition_subalgoE5ElNS0_10empty_typeEbEEZZNS1_14partition_implILS5_5ELb0ES3_mN6hipcub16HIPCUB_304000_NS21CountingInputIteratorIllEEPS6_NSA_22TransformInputIteratorIbN2at6native12_GLOBAL__N_19NonZeroOpIN3c107complexIfEEEEPKSL_lEENS0_5tupleIJPlS6_EEENSQ_IJSD_SD_EEES6_PiJS6_EEE10hipError_tPvRmT3_T4_T5_T6_T7_T9_mT8_P12ihipStream_tbDpT10_ENKUlT_T0_E_clISt17integral_constantIbLb0EES1D_IbLb1EEEEDaS19_S1A_EUlS19_E_NS1_11comp_targetILNS1_3genE10ELNS1_11target_archE1200ELNS1_3gpuE4ELNS1_3repE0EEENS1_30default_config_static_selectorELNS0_4arch9wavefront6targetE0EEEvT1_
		.amdhsa_group_segment_fixed_size 0
		.amdhsa_private_segment_fixed_size 0
		.amdhsa_kernarg_size 136
		.amdhsa_user_sgpr_count 15
		.amdhsa_user_sgpr_dispatch_ptr 0
		.amdhsa_user_sgpr_queue_ptr 0
		.amdhsa_user_sgpr_kernarg_segment_ptr 1
		.amdhsa_user_sgpr_dispatch_id 0
		.amdhsa_user_sgpr_private_segment_size 0
		.amdhsa_wavefront_size32 1
		.amdhsa_uses_dynamic_stack 0
		.amdhsa_enable_private_segment 0
		.amdhsa_system_sgpr_workgroup_id_x 1
		.amdhsa_system_sgpr_workgroup_id_y 0
		.amdhsa_system_sgpr_workgroup_id_z 0
		.amdhsa_system_sgpr_workgroup_info 0
		.amdhsa_system_vgpr_workitem_id 0
		.amdhsa_next_free_vgpr 1
		.amdhsa_next_free_sgpr 1
		.amdhsa_reserve_vcc 0
		.amdhsa_float_round_mode_32 0
		.amdhsa_float_round_mode_16_64 0
		.amdhsa_float_denorm_mode_32 3
		.amdhsa_float_denorm_mode_16_64 3
		.amdhsa_dx10_clamp 1
		.amdhsa_ieee_mode 1
		.amdhsa_fp16_overflow 0
		.amdhsa_workgroup_processor_mode 1
		.amdhsa_memory_ordered 1
		.amdhsa_forward_progress 0
		.amdhsa_shared_vgpr_count 0
		.amdhsa_exception_fp_ieee_invalid_op 0
		.amdhsa_exception_fp_denorm_src 0
		.amdhsa_exception_fp_ieee_div_zero 0
		.amdhsa_exception_fp_ieee_overflow 0
		.amdhsa_exception_fp_ieee_underflow 0
		.amdhsa_exception_fp_ieee_inexact 0
		.amdhsa_exception_int_div_zero 0
	.end_amdhsa_kernel
	.section	.text._ZN7rocprim17ROCPRIM_400000_NS6detail17trampoline_kernelINS0_14default_configENS1_25partition_config_selectorILNS1_17partition_subalgoE5ElNS0_10empty_typeEbEEZZNS1_14partition_implILS5_5ELb0ES3_mN6hipcub16HIPCUB_304000_NS21CountingInputIteratorIllEEPS6_NSA_22TransformInputIteratorIbN2at6native12_GLOBAL__N_19NonZeroOpIN3c107complexIfEEEEPKSL_lEENS0_5tupleIJPlS6_EEENSQ_IJSD_SD_EEES6_PiJS6_EEE10hipError_tPvRmT3_T4_T5_T6_T7_T9_mT8_P12ihipStream_tbDpT10_ENKUlT_T0_E_clISt17integral_constantIbLb0EES1D_IbLb1EEEEDaS19_S1A_EUlS19_E_NS1_11comp_targetILNS1_3genE10ELNS1_11target_archE1200ELNS1_3gpuE4ELNS1_3repE0EEENS1_30default_config_static_selectorELNS0_4arch9wavefront6targetE0EEEvT1_,"axG",@progbits,_ZN7rocprim17ROCPRIM_400000_NS6detail17trampoline_kernelINS0_14default_configENS1_25partition_config_selectorILNS1_17partition_subalgoE5ElNS0_10empty_typeEbEEZZNS1_14partition_implILS5_5ELb0ES3_mN6hipcub16HIPCUB_304000_NS21CountingInputIteratorIllEEPS6_NSA_22TransformInputIteratorIbN2at6native12_GLOBAL__N_19NonZeroOpIN3c107complexIfEEEEPKSL_lEENS0_5tupleIJPlS6_EEENSQ_IJSD_SD_EEES6_PiJS6_EEE10hipError_tPvRmT3_T4_T5_T6_T7_T9_mT8_P12ihipStream_tbDpT10_ENKUlT_T0_E_clISt17integral_constantIbLb0EES1D_IbLb1EEEEDaS19_S1A_EUlS19_E_NS1_11comp_targetILNS1_3genE10ELNS1_11target_archE1200ELNS1_3gpuE4ELNS1_3repE0EEENS1_30default_config_static_selectorELNS0_4arch9wavefront6targetE0EEEvT1_,comdat
.Lfunc_end623:
	.size	_ZN7rocprim17ROCPRIM_400000_NS6detail17trampoline_kernelINS0_14default_configENS1_25partition_config_selectorILNS1_17partition_subalgoE5ElNS0_10empty_typeEbEEZZNS1_14partition_implILS5_5ELb0ES3_mN6hipcub16HIPCUB_304000_NS21CountingInputIteratorIllEEPS6_NSA_22TransformInputIteratorIbN2at6native12_GLOBAL__N_19NonZeroOpIN3c107complexIfEEEEPKSL_lEENS0_5tupleIJPlS6_EEENSQ_IJSD_SD_EEES6_PiJS6_EEE10hipError_tPvRmT3_T4_T5_T6_T7_T9_mT8_P12ihipStream_tbDpT10_ENKUlT_T0_E_clISt17integral_constantIbLb0EES1D_IbLb1EEEEDaS19_S1A_EUlS19_E_NS1_11comp_targetILNS1_3genE10ELNS1_11target_archE1200ELNS1_3gpuE4ELNS1_3repE0EEENS1_30default_config_static_selectorELNS0_4arch9wavefront6targetE0EEEvT1_, .Lfunc_end623-_ZN7rocprim17ROCPRIM_400000_NS6detail17trampoline_kernelINS0_14default_configENS1_25partition_config_selectorILNS1_17partition_subalgoE5ElNS0_10empty_typeEbEEZZNS1_14partition_implILS5_5ELb0ES3_mN6hipcub16HIPCUB_304000_NS21CountingInputIteratorIllEEPS6_NSA_22TransformInputIteratorIbN2at6native12_GLOBAL__N_19NonZeroOpIN3c107complexIfEEEEPKSL_lEENS0_5tupleIJPlS6_EEENSQ_IJSD_SD_EEES6_PiJS6_EEE10hipError_tPvRmT3_T4_T5_T6_T7_T9_mT8_P12ihipStream_tbDpT10_ENKUlT_T0_E_clISt17integral_constantIbLb0EES1D_IbLb1EEEEDaS19_S1A_EUlS19_E_NS1_11comp_targetILNS1_3genE10ELNS1_11target_archE1200ELNS1_3gpuE4ELNS1_3repE0EEENS1_30default_config_static_selectorELNS0_4arch9wavefront6targetE0EEEvT1_
                                        ; -- End function
	.section	.AMDGPU.csdata,"",@progbits
; Kernel info:
; codeLenInByte = 0
; NumSgprs: 0
; NumVgprs: 0
; ScratchSize: 0
; MemoryBound: 0
; FloatMode: 240
; IeeeMode: 1
; LDSByteSize: 0 bytes/workgroup (compile time only)
; SGPRBlocks: 0
; VGPRBlocks: 0
; NumSGPRsForWavesPerEU: 1
; NumVGPRsForWavesPerEU: 1
; Occupancy: 16
; WaveLimiterHint : 0
; COMPUTE_PGM_RSRC2:SCRATCH_EN: 0
; COMPUTE_PGM_RSRC2:USER_SGPR: 15
; COMPUTE_PGM_RSRC2:TRAP_HANDLER: 0
; COMPUTE_PGM_RSRC2:TGID_X_EN: 1
; COMPUTE_PGM_RSRC2:TGID_Y_EN: 0
; COMPUTE_PGM_RSRC2:TGID_Z_EN: 0
; COMPUTE_PGM_RSRC2:TIDIG_COMP_CNT: 0
	.section	.text._ZN7rocprim17ROCPRIM_400000_NS6detail17trampoline_kernelINS0_14default_configENS1_25partition_config_selectorILNS1_17partition_subalgoE5ElNS0_10empty_typeEbEEZZNS1_14partition_implILS5_5ELb0ES3_mN6hipcub16HIPCUB_304000_NS21CountingInputIteratorIllEEPS6_NSA_22TransformInputIteratorIbN2at6native12_GLOBAL__N_19NonZeroOpIN3c107complexIfEEEEPKSL_lEENS0_5tupleIJPlS6_EEENSQ_IJSD_SD_EEES6_PiJS6_EEE10hipError_tPvRmT3_T4_T5_T6_T7_T9_mT8_P12ihipStream_tbDpT10_ENKUlT_T0_E_clISt17integral_constantIbLb0EES1D_IbLb1EEEEDaS19_S1A_EUlS19_E_NS1_11comp_targetILNS1_3genE9ELNS1_11target_archE1100ELNS1_3gpuE3ELNS1_3repE0EEENS1_30default_config_static_selectorELNS0_4arch9wavefront6targetE0EEEvT1_,"axG",@progbits,_ZN7rocprim17ROCPRIM_400000_NS6detail17trampoline_kernelINS0_14default_configENS1_25partition_config_selectorILNS1_17partition_subalgoE5ElNS0_10empty_typeEbEEZZNS1_14partition_implILS5_5ELb0ES3_mN6hipcub16HIPCUB_304000_NS21CountingInputIteratorIllEEPS6_NSA_22TransformInputIteratorIbN2at6native12_GLOBAL__N_19NonZeroOpIN3c107complexIfEEEEPKSL_lEENS0_5tupleIJPlS6_EEENSQ_IJSD_SD_EEES6_PiJS6_EEE10hipError_tPvRmT3_T4_T5_T6_T7_T9_mT8_P12ihipStream_tbDpT10_ENKUlT_T0_E_clISt17integral_constantIbLb0EES1D_IbLb1EEEEDaS19_S1A_EUlS19_E_NS1_11comp_targetILNS1_3genE9ELNS1_11target_archE1100ELNS1_3gpuE3ELNS1_3repE0EEENS1_30default_config_static_selectorELNS0_4arch9wavefront6targetE0EEEvT1_,comdat
	.globl	_ZN7rocprim17ROCPRIM_400000_NS6detail17trampoline_kernelINS0_14default_configENS1_25partition_config_selectorILNS1_17partition_subalgoE5ElNS0_10empty_typeEbEEZZNS1_14partition_implILS5_5ELb0ES3_mN6hipcub16HIPCUB_304000_NS21CountingInputIteratorIllEEPS6_NSA_22TransformInputIteratorIbN2at6native12_GLOBAL__N_19NonZeroOpIN3c107complexIfEEEEPKSL_lEENS0_5tupleIJPlS6_EEENSQ_IJSD_SD_EEES6_PiJS6_EEE10hipError_tPvRmT3_T4_T5_T6_T7_T9_mT8_P12ihipStream_tbDpT10_ENKUlT_T0_E_clISt17integral_constantIbLb0EES1D_IbLb1EEEEDaS19_S1A_EUlS19_E_NS1_11comp_targetILNS1_3genE9ELNS1_11target_archE1100ELNS1_3gpuE3ELNS1_3repE0EEENS1_30default_config_static_selectorELNS0_4arch9wavefront6targetE0EEEvT1_ ; -- Begin function _ZN7rocprim17ROCPRIM_400000_NS6detail17trampoline_kernelINS0_14default_configENS1_25partition_config_selectorILNS1_17partition_subalgoE5ElNS0_10empty_typeEbEEZZNS1_14partition_implILS5_5ELb0ES3_mN6hipcub16HIPCUB_304000_NS21CountingInputIteratorIllEEPS6_NSA_22TransformInputIteratorIbN2at6native12_GLOBAL__N_19NonZeroOpIN3c107complexIfEEEEPKSL_lEENS0_5tupleIJPlS6_EEENSQ_IJSD_SD_EEES6_PiJS6_EEE10hipError_tPvRmT3_T4_T5_T6_T7_T9_mT8_P12ihipStream_tbDpT10_ENKUlT_T0_E_clISt17integral_constantIbLb0EES1D_IbLb1EEEEDaS19_S1A_EUlS19_E_NS1_11comp_targetILNS1_3genE9ELNS1_11target_archE1100ELNS1_3gpuE3ELNS1_3repE0EEENS1_30default_config_static_selectorELNS0_4arch9wavefront6targetE0EEEvT1_
	.p2align	8
	.type	_ZN7rocprim17ROCPRIM_400000_NS6detail17trampoline_kernelINS0_14default_configENS1_25partition_config_selectorILNS1_17partition_subalgoE5ElNS0_10empty_typeEbEEZZNS1_14partition_implILS5_5ELb0ES3_mN6hipcub16HIPCUB_304000_NS21CountingInputIteratorIllEEPS6_NSA_22TransformInputIteratorIbN2at6native12_GLOBAL__N_19NonZeroOpIN3c107complexIfEEEEPKSL_lEENS0_5tupleIJPlS6_EEENSQ_IJSD_SD_EEES6_PiJS6_EEE10hipError_tPvRmT3_T4_T5_T6_T7_T9_mT8_P12ihipStream_tbDpT10_ENKUlT_T0_E_clISt17integral_constantIbLb0EES1D_IbLb1EEEEDaS19_S1A_EUlS19_E_NS1_11comp_targetILNS1_3genE9ELNS1_11target_archE1100ELNS1_3gpuE3ELNS1_3repE0EEENS1_30default_config_static_selectorELNS0_4arch9wavefront6targetE0EEEvT1_,@function
_ZN7rocprim17ROCPRIM_400000_NS6detail17trampoline_kernelINS0_14default_configENS1_25partition_config_selectorILNS1_17partition_subalgoE5ElNS0_10empty_typeEbEEZZNS1_14partition_implILS5_5ELb0ES3_mN6hipcub16HIPCUB_304000_NS21CountingInputIteratorIllEEPS6_NSA_22TransformInputIteratorIbN2at6native12_GLOBAL__N_19NonZeroOpIN3c107complexIfEEEEPKSL_lEENS0_5tupleIJPlS6_EEENSQ_IJSD_SD_EEES6_PiJS6_EEE10hipError_tPvRmT3_T4_T5_T6_T7_T9_mT8_P12ihipStream_tbDpT10_ENKUlT_T0_E_clISt17integral_constantIbLb0EES1D_IbLb1EEEEDaS19_S1A_EUlS19_E_NS1_11comp_targetILNS1_3genE9ELNS1_11target_archE1100ELNS1_3gpuE3ELNS1_3repE0EEENS1_30default_config_static_selectorELNS0_4arch9wavefront6targetE0EEEvT1_: ; @_ZN7rocprim17ROCPRIM_400000_NS6detail17trampoline_kernelINS0_14default_configENS1_25partition_config_selectorILNS1_17partition_subalgoE5ElNS0_10empty_typeEbEEZZNS1_14partition_implILS5_5ELb0ES3_mN6hipcub16HIPCUB_304000_NS21CountingInputIteratorIllEEPS6_NSA_22TransformInputIteratorIbN2at6native12_GLOBAL__N_19NonZeroOpIN3c107complexIfEEEEPKSL_lEENS0_5tupleIJPlS6_EEENSQ_IJSD_SD_EEES6_PiJS6_EEE10hipError_tPvRmT3_T4_T5_T6_T7_T9_mT8_P12ihipStream_tbDpT10_ENKUlT_T0_E_clISt17integral_constantIbLb0EES1D_IbLb1EEEEDaS19_S1A_EUlS19_E_NS1_11comp_targetILNS1_3genE9ELNS1_11target_archE1100ELNS1_3gpuE3ELNS1_3repE0EEENS1_30default_config_static_selectorELNS0_4arch9wavefront6targetE0EEEvT1_
; %bb.0:
	s_clause 0x4
	s_load_b64 s[4:5], s[0:1], 0x20
	s_load_b64 s[16:17], s[0:1], 0x30
	;; [unrolled: 1-line block ×3, first 2 shown]
	s_load_b128 s[8:11], s[0:1], 0x48
	s_load_b64 s[18:19], s[0:1], 0x68
	v_cmp_eq_u32_e64 s2, 0, v0
	s_delay_alu instid0(VALU_DEP_1)
	s_and_saveexec_b32 s3, s2
	s_cbranch_execz .LBB624_4
; %bb.1:
	s_mov_b32 s7, exec_lo
	s_mov_b32 s6, exec_lo
	v_mbcnt_lo_u32_b32 v1, s7, 0
                                        ; implicit-def: $vgpr2
	s_delay_alu instid0(VALU_DEP_1)
	v_cmpx_eq_u32_e32 0, v1
	s_cbranch_execz .LBB624_3
; %bb.2:
	s_load_b64 s[12:13], s[0:1], 0x78
	s_bcnt1_i32_b32 s7, s7
	s_delay_alu instid0(SALU_CYCLE_1)
	v_dual_mov_b32 v2, 0 :: v_dual_mov_b32 v3, s7
	s_waitcnt lgkmcnt(0)
	global_atomic_add_u32 v2, v2, v3, s[12:13] glc
.LBB624_3:
	s_or_b32 exec_lo, exec_lo, s6
	s_waitcnt vmcnt(0)
	v_readfirstlane_b32 s6, v2
	s_delay_alu instid0(VALU_DEP_1)
	v_dual_mov_b32 v2, 0 :: v_dual_add_nc_u32 v1, s6, v1
	ds_store_b32 v2, v1
.LBB624_4:
	s_or_b32 exec_lo, exec_lo, s3
	v_mov_b32_e32 v1, 0
	s_clause 0x1
	s_load_b128 s[12:15], s[0:1], 0x8
	s_load_b32 s0, s[0:1], 0x70
	s_waitcnt lgkmcnt(0)
	s_barrier
	buffer_gl0_inv
	ds_load_b32 v3, v1
	s_waitcnt lgkmcnt(0)
	s_barrier
	buffer_gl0_inv
	global_load_b64 v[1:2], v1, s[10:11]
	s_add_u32 s3, s14, s12
	s_mul_i32 s24, s0, 0x300
	s_addc_u32 s6, s15, s13
	s_add_i32 s7, s0, -1
	s_add_u32 s0, s14, s24
	v_readfirstlane_b32 s23, v3
	s_addc_u32 s1, s15, 0
	s_delay_alu instid0(SALU_CYCLE_1) | instskip(NEXT) | instid1(VALU_DEP_2)
	v_cmp_ge_u64_e64 s0, s[0:1], s[20:21]
	s_cmp_eq_u32 s23, s7
	s_mov_b32 s7, -1
	s_cselect_b32 s21, -1, 0
	s_delay_alu instid0(VALU_DEP_1) | instid1(SALU_CYCLE_1)
	s_and_b32 s1, s0, s21
	s_mul_i32 s0, s23, 0x300
	s_xor_b32 s22, s1, -1
	s_mov_b32 s1, 0
	s_and_b32 vcc_lo, exec_lo, s22
	s_waitcnt vmcnt(0)
	v_readfirstlane_b32 s10, v1
	v_readfirstlane_b32 s11, v2
	s_cbranch_vccz .LBB624_6
; %bb.5:
	s_add_u32 s7, s0, s3
	s_addc_u32 s12, 0, s6
	v_add_co_u32 v1, s7, s7, v0
	s_delay_alu instid0(VALU_DEP_1) | instskip(SKIP_1) | instid1(VALU_DEP_3)
	v_add_co_ci_u32_e64 v2, null, s12, 0, s7
	v_lshlrev_b32_e32 v13, 3, v0
	v_add_co_u32 v3, vcc_lo, 0x80, v1
	s_delay_alu instid0(VALU_DEP_3)
	v_add_co_ci_u32_e32 v4, vcc_lo, 0, v2, vcc_lo
	v_add_co_u32 v5, vcc_lo, 0x100, v1
	v_add_co_ci_u32_e32 v6, vcc_lo, 0, v2, vcc_lo
	v_add_co_u32 v7, vcc_lo, 0x180, v1
	;; [unrolled: 2-line block ×4, first 2 shown]
	v_add_co_ci_u32_e32 v12, vcc_lo, 0, v2, vcc_lo
	ds_store_2addr_stride64_b64 v13, v[1:2], v[3:4] offset1:2
	ds_store_2addr_stride64_b64 v13, v[5:6], v[7:8] offset0:4 offset1:6
	ds_store_2addr_stride64_b64 v13, v[9:10], v[11:12] offset0:8 offset1:10
	s_waitcnt lgkmcnt(0)
	s_mov_b32 s7, s1
	s_barrier
.LBB624_6:
	v_or_b32_e32 v17, 0x100, v0
	v_or_b32_e32 v16, 0x180, v0
	;; [unrolled: 1-line block ×4, first 2 shown]
	s_and_not1_b32 vcc_lo, exec_lo, s7
	s_cbranch_vccnz .LBB624_8
; %bb.7:
	v_or_b32_e32 v3, 0x80, v0
	s_add_u32 s3, s3, s0
	s_addc_u32 s6, s6, 0
	v_add_co_u32 v1, s7, s3, v0
	s_delay_alu instid0(VALU_DEP_1) | instskip(SKIP_1) | instid1(VALU_DEP_1)
	v_add_co_ci_u32_e64 v2, null, s6, 0, s7
	v_add_co_u32 v3, s7, s3, v3
	v_add_co_ci_u32_e64 v4, null, s6, 0, s7
	v_add_co_u32 v5, s7, s3, v17
	s_delay_alu instid0(VALU_DEP_1) | instskip(SKIP_1) | instid1(VALU_DEP_1)
	v_add_co_ci_u32_e64 v6, null, s6, 0, s7
	v_add_co_u32 v7, s7, s3, v16
	v_add_co_ci_u32_e64 v8, null, s6, 0, s7
	v_add_co_u32 v9, s7, s3, v14
	v_lshlrev_b32_e32 v15, 3, v0
	v_add_co_u32 v11, s3, s3, v13
	v_add_co_ci_u32_e64 v10, null, s6, 0, s7
	v_add_co_ci_u32_e64 v12, null, s6, 0, s3
	ds_store_2addr_stride64_b64 v15, v[1:2], v[3:4] offset1:2
	ds_store_2addr_stride64_b64 v15, v[5:6], v[7:8] offset0:4 offset1:6
	ds_store_2addr_stride64_b64 v15, v[9:10], v[11:12] offset0:8 offset1:10
	s_waitcnt lgkmcnt(0)
	s_barrier
.LBB624_8:
	v_mul_u32_u24_e32 v1, 6, v0
	buffer_gl0_inv
	s_lshl_b64 s[6:7], s[14:15], 3
	s_mov_b32 s15, -1
	s_add_u32 s3, s4, s6
	v_lshlrev_b32_e32 v15, 3, v1
	s_addc_u32 s4, s5, s7
	s_lshl_b64 s[0:1], s[0:1], 3
	ds_load_b128 v[9:12], v15
	ds_load_b128 v[5:8], v15 offset:16
	ds_load_b128 v[1:4], v15 offset:32
	s_add_u32 s12, s3, s0
	s_addc_u32 s13, s4, s1
	s_and_b32 vcc_lo, exec_lo, s22
	s_waitcnt lgkmcnt(0)
	s_barrier
	buffer_gl0_inv
	s_cbranch_vccz .LBB624_10
; %bb.9:
	v_lshlrev_b32_e32 v24, 3, v0
	s_mov_b32 s15, 0
	s_clause 0x1
	global_load_b64 v[18:19], v24, s[12:13]
	global_load_b64 v[20:21], v24, s[12:13] offset:1024
	v_add_co_u32 v26, s0, s12, v24
	s_delay_alu instid0(VALU_DEP_1)
	v_add_co_ci_u32_e64 v27, null, s13, 0, s0
	s_clause 0x1
	global_load_b64 v[22:23], v24, s[12:13] offset:2048
	global_load_b64 v[24:25], v24, s[12:13] offset:3072
	v_add_co_u32 v26, vcc_lo, 0x1000, v26
	v_add_co_ci_u32_e32 v27, vcc_lo, 0, v27, vcc_lo
	s_clause 0x1
	global_load_b64 v[28:29], v[26:27], off
	global_load_b64 v[26:27], v[26:27], off offset:1024
	s_waitcnt vmcnt(5)
	v_cmp_neq_f32_e32 vcc_lo, 0, v18
	v_cmp_neq_f32_e64 s0, 0, v19
	s_waitcnt vmcnt(4)
	v_cmp_neq_f32_e64 s1, 0, v20
	v_cmp_neq_f32_e64 s3, 0, v21
	s_waitcnt vmcnt(3)
	v_cmp_neq_f32_e64 s4, 0, v22
	v_cmp_neq_f32_e64 s5, 0, v23
	s_or_b32 s0, vcc_lo, s0
	s_waitcnt vmcnt(2)
	v_cmp_neq_f32_e64 s6, 0, v24
	v_cndmask_b32_e64 v18, 0, 1, s0
	s_or_b32 s0, s1, s3
	v_cmp_neq_f32_e64 s7, 0, v25
	v_cndmask_b32_e64 v19, 0, 1, s0
	s_or_b32 s0, s4, s5
	s_waitcnt vmcnt(1)
	v_cmp_neq_f32_e32 vcc_lo, 0, v28
	v_cndmask_b32_e64 v20, 0, 1, s0
	v_cmp_neq_f32_e64 s0, 0, v29
	s_waitcnt vmcnt(0)
	v_cmp_neq_f32_e64 s1, 0, v26
	v_cmp_neq_f32_e64 s3, 0, v27
	s_or_b32 s4, s6, s7
	s_or_b32 s0, vcc_lo, s0
	v_cndmask_b32_e64 v21, 0, 1, s4
	v_cndmask_b32_e64 v22, 0, 1, s0
	s_or_b32 s0, s1, s3
	s_delay_alu instid0(SALU_CYCLE_1)
	v_cndmask_b32_e64 v23, 0, 1, s0
	ds_store_b8 v0, v18
	ds_store_b8 v0, v19 offset:128
	ds_store_b8 v0, v20 offset:256
	;; [unrolled: 1-line block ×5, first 2 shown]
	s_waitcnt lgkmcnt(0)
	s_barrier
.LBB624_10:
	s_and_not1_b32 vcc_lo, exec_lo, s15
	s_cbranch_vccnz .LBB624_24
; %bb.11:
	s_add_i32 s24, s24, s14
	v_dual_mov_b32 v18, 0 :: v_dual_mov_b32 v19, 0
	s_sub_i32 s1, s20, s24
	s_mov_b32 s3, exec_lo
	s_addk_i32 s1, 0x300
	s_delay_alu instid0(SALU_CYCLE_1)
	v_cmpx_gt_u32_e64 s1, v0
	s_cbranch_execz .LBB624_13
; %bb.12:
	v_lshlrev_b32_e32 v19, 3, v0
	global_load_b64 v[19:20], v19, s[12:13]
	s_waitcnt vmcnt(0)
	v_cmp_neq_f32_e32 vcc_lo, 0, v19
	v_cmp_neq_f32_e64 s0, 0, v20
	s_delay_alu instid0(VALU_DEP_1) | instskip(NEXT) | instid1(SALU_CYCLE_1)
	s_or_b32 s0, vcc_lo, s0
	v_cndmask_b32_e64 v19, 0, 1, s0
.LBB624_13:
	s_or_b32 exec_lo, exec_lo, s3
	v_or_b32_e32 v20, 0x80, v0
	s_mov_b32 s3, exec_lo
	s_delay_alu instid0(VALU_DEP_1)
	v_cmpx_gt_u32_e64 s1, v20
	s_cbranch_execz .LBB624_15
; %bb.14:
	v_lshlrev_b32_e32 v18, 3, v0
	global_load_b64 v[20:21], v18, s[12:13] offset:1024
	s_waitcnt vmcnt(0)
	v_cmp_neq_f32_e32 vcc_lo, 0, v20
	v_cmp_neq_f32_e64 s0, 0, v21
	s_delay_alu instid0(VALU_DEP_1) | instskip(NEXT) | instid1(SALU_CYCLE_1)
	s_or_b32 s0, vcc_lo, s0
	v_cndmask_b32_e64 v18, 0, 1, s0
.LBB624_15:
	s_or_b32 exec_lo, exec_lo, s3
	v_cmp_gt_u32_e32 vcc_lo, s1, v17
	v_dual_mov_b32 v17, 0 :: v_dual_mov_b32 v20, 0
	s_and_saveexec_b32 s3, vcc_lo
	s_cbranch_execz .LBB624_17
; %bb.16:
	v_lshlrev_b32_e32 v20, 3, v0
	global_load_b64 v[20:21], v20, s[12:13] offset:2048
	s_waitcnt vmcnt(0)
	v_cmp_neq_f32_e32 vcc_lo, 0, v20
	v_cmp_neq_f32_e64 s0, 0, v21
	s_delay_alu instid0(VALU_DEP_1) | instskip(NEXT) | instid1(SALU_CYCLE_1)
	s_or_b32 s0, vcc_lo, s0
	v_cndmask_b32_e64 v20, 0, 1, s0
.LBB624_17:
	s_or_b32 exec_lo, exec_lo, s3
	s_delay_alu instid0(SALU_CYCLE_1)
	s_mov_b32 s3, exec_lo
	v_cmpx_gt_u32_e64 s1, v16
	s_cbranch_execz .LBB624_19
; %bb.18:
	v_lshlrev_b32_e32 v16, 3, v0
	global_load_b64 v[16:17], v16, s[12:13] offset:3072
	s_waitcnt vmcnt(0)
	v_cmp_neq_f32_e32 vcc_lo, 0, v16
	v_cmp_neq_f32_e64 s0, 0, v17
	s_delay_alu instid0(VALU_DEP_1) | instskip(NEXT) | instid1(SALU_CYCLE_1)
	s_or_b32 s0, vcc_lo, s0
	v_cndmask_b32_e64 v17, 0, 1, s0
.LBB624_19:
	s_or_b32 exec_lo, exec_lo, s3
	v_dual_mov_b32 v16, 0 :: v_dual_mov_b32 v21, 0
	s_mov_b32 s3, exec_lo
	v_cmpx_gt_u32_e64 s1, v14
	s_cbranch_execz .LBB624_21
; %bb.20:
	v_lshlrev_b32_e32 v14, 3, v14
	global_load_b64 v[21:22], v14, s[12:13]
	s_waitcnt vmcnt(0)
	v_cmp_neq_f32_e32 vcc_lo, 0, v21
	v_cmp_neq_f32_e64 s0, 0, v22
	s_delay_alu instid0(VALU_DEP_1) | instskip(NEXT) | instid1(SALU_CYCLE_1)
	s_or_b32 s0, vcc_lo, s0
	v_cndmask_b32_e64 v21, 0, 1, s0
.LBB624_21:
	s_or_b32 exec_lo, exec_lo, s3
	v_cmp_gt_u32_e32 vcc_lo, s1, v13
	s_and_saveexec_b32 s1, vcc_lo
	s_cbranch_execz .LBB624_23
; %bb.22:
	v_lshlrev_b32_e32 v13, 3, v13
	global_load_b64 v[13:14], v13, s[12:13]
	s_waitcnt vmcnt(0)
	v_cmp_neq_f32_e32 vcc_lo, 0, v13
	v_cmp_neq_f32_e64 s0, 0, v14
	s_delay_alu instid0(VALU_DEP_1) | instskip(NEXT) | instid1(SALU_CYCLE_1)
	s_or_b32 s0, vcc_lo, s0
	v_cndmask_b32_e64 v16, 0, 1, s0
.LBB624_23:
	s_or_b32 exec_lo, exec_lo, s1
	ds_store_b8 v0, v19
	ds_store_b8 v0, v18 offset:128
	ds_store_b8 v0, v20 offset:256
	;; [unrolled: 1-line block ×5, first 2 shown]
	s_waitcnt lgkmcnt(0)
	s_barrier
.LBB624_24:
	v_mad_i32_i24 v43, 0xffffffd6, v0, v15
	buffer_gl0_inv
	v_mbcnt_lo_u32_b32 v42, -1, 0
	s_cmp_lg_u32 s23, 0
	s_mov_b32 s1, -1
	ds_load_u16 v36, v43
	ds_load_u16 v33, v43 offset:2
	ds_load_u16 v31, v43 offset:4
	v_mov_b32_e32 v14, 0
	v_and_b32_e32 v44, 15, v42
	s_waitcnt lgkmcnt(0)
	s_barrier
	buffer_gl0_inv
	v_and_b32_e32 v41, 0xff, v36
	v_lshrrev_b16 v34, 8, v36
	v_lshrrev_b16 v35, 8, v33
	v_and_b32_e32 v39, 0xff, v33
	v_lshrrev_b16 v32, 8, v31
	v_and_b32_e32 v37, 0xff, v31
	v_and_b32_e32 v40, 0xffff, v34
	;; [unrolled: 1-line block ×3, first 2 shown]
	s_delay_alu instid0(VALU_DEP_4) | instskip(NEXT) | instid1(VALU_DEP_3)
	v_and_b32_e32 v16, 0xffff, v32
	v_add_co_u32 v13, s0, v40, v41
	s_delay_alu instid0(VALU_DEP_1) | instskip(SKIP_1) | instid1(VALU_DEP_3)
	v_add_co_ci_u32_e64 v15, null, 0, 0, s0
	v_cmp_ne_u32_e64 s0, 0, v44
	v_add_co_u32 v13, vcc_lo, v13, v39
	s_delay_alu instid0(VALU_DEP_3) | instskip(NEXT) | instid1(VALU_DEP_2)
	v_add_co_ci_u32_e32 v15, vcc_lo, 0, v15, vcc_lo
	v_add_co_u32 v13, vcc_lo, v13, v38
	s_delay_alu instid0(VALU_DEP_2) | instskip(NEXT) | instid1(VALU_DEP_2)
	v_add_co_ci_u32_e32 v15, vcc_lo, 0, v15, vcc_lo
	v_add_co_u32 v13, vcc_lo, v13, v37
	s_delay_alu instid0(VALU_DEP_2) | instskip(NEXT) | instid1(VALU_DEP_2)
	v_add_co_ci_u32_e32 v15, vcc_lo, 0, v15, vcc_lo
	v_add_co_u32 v21, vcc_lo, v13, v16
	s_delay_alu instid0(VALU_DEP_2)
	v_add_co_ci_u32_e32 v22, vcc_lo, 0, v15, vcc_lo
	s_cbranch_scc0 .LBB624_88
; %bb.25:
	s_delay_alu instid0(VALU_DEP_2)
	v_mov_b32_e32 v15, v21
	v_mov_b32_dpp v13, v21 row_shr:1 row_mask:0xf bank_mask:0xf
	v_mov_b32_dpp v18, v14 row_shr:1 row_mask:0xf bank_mask:0xf
	v_dual_mov_b32 v17, v21 :: v_dual_mov_b32 v16, v22
	s_and_saveexec_b32 s1, s0
; %bb.26:
	s_delay_alu instid0(VALU_DEP_3) | instskip(SKIP_1) | instid1(VALU_DEP_2)
	v_add_co_u32 v17, vcc_lo, v21, v13
	v_add_co_ci_u32_e32 v14, vcc_lo, 0, v22, vcc_lo
	v_add_co_u32 v13, vcc_lo, 0, v17
	s_delay_alu instid0(VALU_DEP_2) | instskip(NEXT) | instid1(VALU_DEP_1)
	v_add_co_ci_u32_e32 v14, vcc_lo, v18, v14, vcc_lo
	v_dual_mov_b32 v16, v14 :: v_dual_mov_b32 v15, v13
; %bb.27:
	s_or_b32 exec_lo, exec_lo, s1
	v_mov_b32_dpp v13, v17 row_shr:2 row_mask:0xf bank_mask:0xf
	v_mov_b32_dpp v18, v14 row_shr:2 row_mask:0xf bank_mask:0xf
	s_mov_b32 s1, exec_lo
	v_cmpx_lt_u32_e32 1, v44
; %bb.28:
	s_delay_alu instid0(VALU_DEP_3) | instskip(SKIP_1) | instid1(VALU_DEP_2)
	v_add_co_u32 v17, vcc_lo, v15, v13
	v_add_co_ci_u32_e32 v14, vcc_lo, 0, v16, vcc_lo
	v_add_co_u32 v13, vcc_lo, 0, v17
	s_delay_alu instid0(VALU_DEP_2) | instskip(NEXT) | instid1(VALU_DEP_1)
	v_add_co_ci_u32_e32 v14, vcc_lo, v18, v14, vcc_lo
	v_dual_mov_b32 v16, v14 :: v_dual_mov_b32 v15, v13
; %bb.29:
	s_or_b32 exec_lo, exec_lo, s1
	v_mov_b32_dpp v13, v17 row_shr:4 row_mask:0xf bank_mask:0xf
	v_mov_b32_dpp v18, v14 row_shr:4 row_mask:0xf bank_mask:0xf
	s_mov_b32 s1, exec_lo
	v_cmpx_lt_u32_e32 3, v44
	;; [unrolled: 14-line block ×3, first 2 shown]
; %bb.32:
	s_delay_alu instid0(VALU_DEP_3) | instskip(SKIP_1) | instid1(VALU_DEP_2)
	v_add_co_u32 v17, vcc_lo, v15, v18
	v_add_co_ci_u32_e32 v14, vcc_lo, 0, v16, vcc_lo
	v_add_co_u32 v15, vcc_lo, 0, v17
	s_delay_alu instid0(VALU_DEP_2) | instskip(NEXT) | instid1(VALU_DEP_1)
	v_add_co_ci_u32_e32 v16, vcc_lo, v13, v14, vcc_lo
	v_mov_b32_e32 v14, v16
; %bb.33:
	s_or_b32 exec_lo, exec_lo, s1
	ds_swizzle_b32 v13, v17 offset:swizzle(BROADCAST,32,15)
	ds_swizzle_b32 v18, v14 offset:swizzle(BROADCAST,32,15)
	v_and_b32_e32 v19, 16, v42
	s_mov_b32 s1, exec_lo
	s_delay_alu instid0(VALU_DEP_1)
	v_cmpx_ne_u32_e32 0, v19
	s_cbranch_execz .LBB624_35
; %bb.34:
	s_waitcnt lgkmcnt(1)
	v_add_co_u32 v17, vcc_lo, v15, v13
	v_add_co_ci_u32_e32 v14, vcc_lo, 0, v16, vcc_lo
	s_delay_alu instid0(VALU_DEP_2) | instskip(SKIP_1) | instid1(VALU_DEP_2)
	v_add_co_u32 v13, vcc_lo, 0, v17
	s_waitcnt lgkmcnt(0)
	v_add_co_ci_u32_e32 v14, vcc_lo, v18, v14, vcc_lo
	s_delay_alu instid0(VALU_DEP_1)
	v_dual_mov_b32 v16, v14 :: v_dual_mov_b32 v15, v13
.LBB624_35:
	s_or_b32 exec_lo, exec_lo, s1
	s_waitcnt lgkmcnt(0)
	v_or_b32_e32 v18, 31, v0
	v_lshrrev_b32_e32 v13, 5, v0
	s_mov_b32 s1, exec_lo
	s_delay_alu instid0(VALU_DEP_2)
	v_cmpx_eq_u32_e64 v18, v0
	s_cbranch_execz .LBB624_37
; %bb.36:
	s_delay_alu instid0(VALU_DEP_2)
	v_lshlrev_b32_e32 v18, 3, v13
	ds_store_b64 v18, v[15:16]
.LBB624_37:
	s_or_b32 exec_lo, exec_lo, s1
	s_delay_alu instid0(SALU_CYCLE_1)
	s_mov_b32 s1, exec_lo
	s_waitcnt lgkmcnt(0)
	s_barrier
	buffer_gl0_inv
	v_cmpx_gt_u32_e32 4, v0
	s_cbranch_execz .LBB624_43
; %bb.38:
	v_lshlrev_b32_e32 v18, 3, v0
	s_mov_b32 s3, exec_lo
	ds_load_b64 v[15:16], v18
	s_waitcnt lgkmcnt(0)
	v_dual_mov_b32 v20, v15 :: v_dual_and_b32 v19, 3, v42
	v_mov_b32_dpp v24, v15 row_shr:1 row_mask:0xf bank_mask:0xf
	v_mov_b32_dpp v23, v16 row_shr:1 row_mask:0xf bank_mask:0xf
	s_delay_alu instid0(VALU_DEP_3)
	v_cmpx_ne_u32_e32 0, v19
; %bb.39:
	s_delay_alu instid0(VALU_DEP_3) | instskip(SKIP_1) | instid1(VALU_DEP_2)
	v_add_co_u32 v20, vcc_lo, v15, v24
	v_add_co_ci_u32_e32 v16, vcc_lo, 0, v16, vcc_lo
	v_add_co_u32 v15, vcc_lo, 0, v20
	s_delay_alu instid0(VALU_DEP_2)
	v_add_co_ci_u32_e32 v16, vcc_lo, v23, v16, vcc_lo
; %bb.40:
	s_or_b32 exec_lo, exec_lo, s3
	v_mov_b32_dpp v23, v20 row_shr:2 row_mask:0xf bank_mask:0xf
	s_delay_alu instid0(VALU_DEP_2)
	v_mov_b32_dpp v20, v16 row_shr:2 row_mask:0xf bank_mask:0xf
	s_mov_b32 s3, exec_lo
	v_cmpx_lt_u32_e32 1, v19
; %bb.41:
	s_delay_alu instid0(VALU_DEP_3) | instskip(SKIP_1) | instid1(VALU_DEP_2)
	v_add_co_u32 v15, vcc_lo, v15, v23
	v_add_co_ci_u32_e32 v16, vcc_lo, 0, v16, vcc_lo
	v_add_co_u32 v15, vcc_lo, v15, 0
	s_delay_alu instid0(VALU_DEP_2)
	v_add_co_ci_u32_e32 v16, vcc_lo, v16, v20, vcc_lo
; %bb.42:
	s_or_b32 exec_lo, exec_lo, s3
	ds_store_b64 v18, v[15:16]
.LBB624_43:
	s_or_b32 exec_lo, exec_lo, s1
	v_cmp_gt_u32_e32 vcc_lo, 32, v0
	s_mov_b32 s3, exec_lo
	s_waitcnt lgkmcnt(0)
	s_barrier
	buffer_gl0_inv
                                        ; implicit-def: $vgpr23_vgpr24
	v_cmpx_lt_u32_e32 31, v0
	s_cbranch_execz .LBB624_45
; %bb.44:
	v_lshl_add_u32 v13, v13, 3, -8
	ds_load_b64 v[23:24], v13
	s_waitcnt lgkmcnt(0)
	v_add_co_u32 v17, s1, v17, v23
	s_delay_alu instid0(VALU_DEP_1)
	v_add_co_ci_u32_e64 v14, s1, v14, v24, s1
.LBB624_45:
	s_or_b32 exec_lo, exec_lo, s3
	v_add_nc_u32_e32 v13, -1, v42
	s_delay_alu instid0(VALU_DEP_1) | instskip(NEXT) | instid1(VALU_DEP_1)
	v_cmp_gt_i32_e64 s1, 0, v13
	v_cndmask_b32_e64 v13, v13, v42, s1
	v_cmp_eq_u32_e64 s1, 0, v42
	s_delay_alu instid0(VALU_DEP_2)
	v_lshlrev_b32_e32 v13, 2, v13
	ds_bpermute_b32 v29, v13, v17
	ds_bpermute_b32 v30, v13, v14
	s_and_saveexec_b32 s3, vcc_lo
	s_cbranch_execz .LBB624_83
; %bb.46:
	v_mov_b32_e32 v16, 0
	ds_load_b64 v[13:14], v16 offset:24
	s_and_saveexec_b32 s4, s1
	s_cbranch_execz .LBB624_48
; %bb.47:
	s_add_i32 s6, s23, 32
	s_mov_b32 s7, 0
	s_delay_alu instid0(SALU_CYCLE_1) | instskip(NEXT) | instid1(SALU_CYCLE_1)
	s_lshl_b64 s[6:7], s[6:7], 4
	s_add_u32 s6, s18, s6
	s_addc_u32 s7, s19, s7
	s_delay_alu instid0(SALU_CYCLE_1)
	v_dual_mov_b32 v15, 1 :: v_dual_mov_b32 v18, s7
	v_mov_b32_e32 v17, s6
	s_waitcnt lgkmcnt(0)
	;;#ASMSTART
	global_store_dwordx4 v[17:18], v[13:16] off	
s_waitcnt vmcnt(0)
	;;#ASMEND
.LBB624_48:
	s_or_b32 exec_lo, exec_lo, s4
	v_xad_u32 v25, v42, -1, s23
	s_mov_b32 s5, 0
	s_mov_b32 s4, exec_lo
	s_delay_alu instid0(VALU_DEP_1) | instskip(NEXT) | instid1(VALU_DEP_1)
	v_add_nc_u32_e32 v15, 32, v25
	v_lshlrev_b64 v[15:16], 4, v[15:16]
	s_delay_alu instid0(VALU_DEP_1) | instskip(NEXT) | instid1(VALU_DEP_2)
	v_add_co_u32 v15, vcc_lo, s18, v15
	v_add_co_ci_u32_e32 v16, vcc_lo, s19, v16, vcc_lo
	;;#ASMSTART
	global_load_dwordx4 v[17:20], v[15:16] off glc	
s_waitcnt vmcnt(0)
	;;#ASMEND
	v_and_b32_e32 v20, 0xff, v18
	v_and_b32_e32 v26, 0xff00, v18
	v_or3_b32 v17, v17, 0, 0
	v_and_b32_e32 v27, 0xff000000, v18
	v_and_b32_e32 v18, 0xff0000, v18
	s_delay_alu instid0(VALU_DEP_4) | instskip(SKIP_2) | instid1(VALU_DEP_3)
	v_or3_b32 v20, 0, v20, v26
	v_and_b32_e32 v26, 0xff, v19
	v_or3_b32 v17, v17, 0, 0
	v_or3_b32 v18, v20, v18, v27
	s_delay_alu instid0(VALU_DEP_3)
	v_cmpx_eq_u16_e32 0, v26
	s_cbranch_execz .LBB624_51
.LBB624_49:                             ; =>This Inner Loop Header: Depth=1
	;;#ASMSTART
	global_load_dwordx4 v[17:20], v[15:16] off glc	
s_waitcnt vmcnt(0)
	;;#ASMEND
	v_and_b32_e32 v20, 0xff, v19
	s_delay_alu instid0(VALU_DEP_1) | instskip(SKIP_1) | instid1(SALU_CYCLE_1)
	v_cmp_ne_u16_e32 vcc_lo, 0, v20
	s_or_b32 s5, vcc_lo, s5
	s_and_not1_b32 exec_lo, exec_lo, s5
	s_cbranch_execnz .LBB624_49
; %bb.50:
	s_or_b32 exec_lo, exec_lo, s5
.LBB624_51:
	s_delay_alu instid0(SALU_CYCLE_1)
	s_or_b32 exec_lo, exec_lo, s4
	v_cmp_ne_u32_e32 vcc_lo, 31, v42
	v_and_b32_e32 v16, 0xff, v19
	v_lshlrev_b32_e64 v46, v42, -1
	s_mov_b32 s4, exec_lo
	v_add_co_ci_u32_e32 v15, vcc_lo, 0, v42, vcc_lo
	s_delay_alu instid0(VALU_DEP_3) | instskip(NEXT) | instid1(VALU_DEP_2)
	v_cmp_eq_u16_e32 vcc_lo, 2, v16
	v_dual_mov_b32 v16, v17 :: v_dual_lshlrev_b32 v45, 2, v15
	v_and_or_b32 v15, vcc_lo, v46, 0x80000000
	ds_bpermute_b32 v26, v45, v17
	ds_bpermute_b32 v20, v45, v18
	v_ctz_i32_b32_e32 v15, v15
	s_delay_alu instid0(VALU_DEP_1)
	v_cmpx_lt_u32_e64 v42, v15
	s_cbranch_execz .LBB624_53
; %bb.52:
	s_waitcnt lgkmcnt(1)
	v_add_co_u32 v16, vcc_lo, v17, v26
	v_add_co_ci_u32_e32 v18, vcc_lo, 0, v18, vcc_lo
	s_delay_alu instid0(VALU_DEP_2) | instskip(SKIP_1) | instid1(VALU_DEP_2)
	v_add_co_u32 v17, vcc_lo, 0, v16
	s_waitcnt lgkmcnt(0)
	v_add_co_ci_u32_e32 v18, vcc_lo, v20, v18, vcc_lo
.LBB624_53:
	s_or_b32 exec_lo, exec_lo, s4
	v_cmp_gt_u32_e32 vcc_lo, 30, v42
	v_add_nc_u32_e32 v48, 2, v42
	s_mov_b32 s4, exec_lo
	s_waitcnt lgkmcnt(0)
	v_cndmask_b32_e64 v20, 0, 1, vcc_lo
	s_delay_alu instid0(VALU_DEP_1) | instskip(NEXT) | instid1(VALU_DEP_1)
	v_lshlrev_b32_e32 v20, 1, v20
	v_add_lshl_u32 v47, v20, v42, 2
	ds_bpermute_b32 v26, v47, v16
	ds_bpermute_b32 v20, v47, v18
	v_cmpx_le_u32_e64 v48, v15
	s_cbranch_execz .LBB624_55
; %bb.54:
	s_waitcnt lgkmcnt(1)
	v_add_co_u32 v16, vcc_lo, v17, v26
	v_add_co_ci_u32_e32 v18, vcc_lo, 0, v18, vcc_lo
	s_delay_alu instid0(VALU_DEP_2) | instskip(SKIP_1) | instid1(VALU_DEP_2)
	v_add_co_u32 v17, vcc_lo, 0, v16
	s_waitcnt lgkmcnt(0)
	v_add_co_ci_u32_e32 v18, vcc_lo, v20, v18, vcc_lo
.LBB624_55:
	s_or_b32 exec_lo, exec_lo, s4
	v_cmp_gt_u32_e32 vcc_lo, 28, v42
	v_add_nc_u32_e32 v50, 4, v42
	s_mov_b32 s4, exec_lo
	s_waitcnt lgkmcnt(0)
	v_cndmask_b32_e64 v20, 0, 1, vcc_lo
	s_delay_alu instid0(VALU_DEP_1) | instskip(NEXT) | instid1(VALU_DEP_1)
	v_lshlrev_b32_e32 v20, 2, v20
	v_add_lshl_u32 v49, v20, v42, 2
	ds_bpermute_b32 v26, v49, v16
	ds_bpermute_b32 v20, v49, v18
	v_cmpx_le_u32_e64 v50, v15
	;; [unrolled: 22-line block ×4, first 2 shown]
	s_cbranch_execz .LBB624_61
; %bb.60:
	s_waitcnt lgkmcnt(1)
	v_add_co_u32 v15, vcc_lo, v17, v20
	v_add_co_ci_u32_e32 v18, vcc_lo, 0, v18, vcc_lo
	s_delay_alu instid0(VALU_DEP_2) | instskip(SKIP_1) | instid1(VALU_DEP_2)
	v_add_co_u32 v17, vcc_lo, v15, 0
	s_waitcnt lgkmcnt(0)
	v_add_co_ci_u32_e32 v18, vcc_lo, v18, v16, vcc_lo
.LBB624_61:
	s_or_b32 exec_lo, exec_lo, s4
	v_mov_b32_e32 v26, 0
	s_branch .LBB624_63
.LBB624_62:                             ;   in Loop: Header=BB624_63 Depth=1
	s_or_b32 exec_lo, exec_lo, s4
	v_add_co_u32 v17, vcc_lo, v17, v15
	v_subrev_nc_u32_e32 v25, 32, v25
	v_add_co_ci_u32_e32 v18, vcc_lo, v18, v16, vcc_lo
.LBB624_63:                             ; =>This Loop Header: Depth=1
                                        ;     Child Loop BB624_66 Depth 2
	v_and_b32_e32 v15, 0xff, v19
	s_delay_alu instid0(VALU_DEP_1) | instskip(SKIP_2) | instid1(VALU_DEP_1)
	v_cmp_ne_u16_e32 vcc_lo, 2, v15
	v_cndmask_b32_e64 v15, 0, 1, vcc_lo
	;;#ASMSTART
	;;#ASMEND
	v_cmp_ne_u32_e32 vcc_lo, 0, v15
	s_waitcnt lgkmcnt(0)
	v_dual_mov_b32 v15, v17 :: v_dual_mov_b32 v16, v18
	s_cmp_lg_u32 vcc_lo, exec_lo
	s_cbranch_scc1 .LBB624_78
; %bb.64:                               ;   in Loop: Header=BB624_63 Depth=1
	v_lshlrev_b64 v[17:18], 4, v[25:26]
	s_mov_b32 s4, exec_lo
	s_delay_alu instid0(VALU_DEP_1) | instskip(NEXT) | instid1(VALU_DEP_2)
	v_add_co_u32 v27, vcc_lo, s18, v17
	v_add_co_ci_u32_e32 v28, vcc_lo, s19, v18, vcc_lo
	;;#ASMSTART
	global_load_dwordx4 v[17:20], v[27:28] off glc	
s_waitcnt vmcnt(0)
	;;#ASMEND
	v_and_b32_e32 v20, 0xff, v18
	v_and_b32_e32 v55, 0xff00, v18
	v_or3_b32 v17, v17, 0, 0
	v_and_b32_e32 v56, 0xff000000, v18
	v_and_b32_e32 v18, 0xff0000, v18
	s_delay_alu instid0(VALU_DEP_4) | instskip(SKIP_2) | instid1(VALU_DEP_3)
	v_or3_b32 v20, 0, v20, v55
	v_and_b32_e32 v55, 0xff, v19
	v_or3_b32 v17, v17, 0, 0
	v_or3_b32 v18, v20, v18, v56
	s_delay_alu instid0(VALU_DEP_3)
	v_cmpx_eq_u16_e32 0, v55
	s_cbranch_execz .LBB624_68
; %bb.65:                               ;   in Loop: Header=BB624_63 Depth=1
	s_mov_b32 s5, 0
.LBB624_66:                             ;   Parent Loop BB624_63 Depth=1
                                        ; =>  This Inner Loop Header: Depth=2
	;;#ASMSTART
	global_load_dwordx4 v[17:20], v[27:28] off glc	
s_waitcnt vmcnt(0)
	;;#ASMEND
	v_and_b32_e32 v20, 0xff, v19
	s_delay_alu instid0(VALU_DEP_1) | instskip(SKIP_1) | instid1(SALU_CYCLE_1)
	v_cmp_ne_u16_e32 vcc_lo, 0, v20
	s_or_b32 s5, vcc_lo, s5
	s_and_not1_b32 exec_lo, exec_lo, s5
	s_cbranch_execnz .LBB624_66
; %bb.67:                               ;   in Loop: Header=BB624_63 Depth=1
	s_or_b32 exec_lo, exec_lo, s5
.LBB624_68:                             ;   in Loop: Header=BB624_63 Depth=1
	s_delay_alu instid0(SALU_CYCLE_1)
	s_or_b32 exec_lo, exec_lo, s4
	v_dual_mov_b32 v27, v17 :: v_dual_and_b32 v20, 0xff, v19
	ds_bpermute_b32 v55, v45, v17
	ds_bpermute_b32 v28, v45, v18
	s_mov_b32 s4, exec_lo
	v_cmp_eq_u16_e32 vcc_lo, 2, v20
	v_and_or_b32 v20, vcc_lo, v46, 0x80000000
	s_delay_alu instid0(VALU_DEP_1) | instskip(NEXT) | instid1(VALU_DEP_1)
	v_ctz_i32_b32_e32 v20, v20
	v_cmpx_lt_u32_e64 v42, v20
	s_cbranch_execz .LBB624_70
; %bb.69:                               ;   in Loop: Header=BB624_63 Depth=1
	s_waitcnt lgkmcnt(1)
	v_add_co_u32 v27, vcc_lo, v17, v55
	v_add_co_ci_u32_e32 v18, vcc_lo, 0, v18, vcc_lo
	s_delay_alu instid0(VALU_DEP_2) | instskip(SKIP_1) | instid1(VALU_DEP_2)
	v_add_co_u32 v17, vcc_lo, 0, v27
	s_waitcnt lgkmcnt(0)
	v_add_co_ci_u32_e32 v18, vcc_lo, v28, v18, vcc_lo
.LBB624_70:                             ;   in Loop: Header=BB624_63 Depth=1
	s_or_b32 exec_lo, exec_lo, s4
	s_waitcnt lgkmcnt(1)
	ds_bpermute_b32 v55, v47, v27
	s_waitcnt lgkmcnt(1)
	ds_bpermute_b32 v28, v47, v18
	s_mov_b32 s4, exec_lo
	v_cmpx_le_u32_e64 v48, v20
	s_cbranch_execz .LBB624_72
; %bb.71:                               ;   in Loop: Header=BB624_63 Depth=1
	s_waitcnt lgkmcnt(1)
	v_add_co_u32 v27, vcc_lo, v17, v55
	v_add_co_ci_u32_e32 v18, vcc_lo, 0, v18, vcc_lo
	s_delay_alu instid0(VALU_DEP_2) | instskip(SKIP_1) | instid1(VALU_DEP_2)
	v_add_co_u32 v17, vcc_lo, 0, v27
	s_waitcnt lgkmcnt(0)
	v_add_co_ci_u32_e32 v18, vcc_lo, v28, v18, vcc_lo
.LBB624_72:                             ;   in Loop: Header=BB624_63 Depth=1
	s_or_b32 exec_lo, exec_lo, s4
	s_waitcnt lgkmcnt(1)
	ds_bpermute_b32 v55, v49, v27
	s_waitcnt lgkmcnt(1)
	ds_bpermute_b32 v28, v49, v18
	s_mov_b32 s4, exec_lo
	v_cmpx_le_u32_e64 v50, v20
	;; [unrolled: 17-line block ×3, first 2 shown]
	s_cbranch_execz .LBB624_76
; %bb.75:                               ;   in Loop: Header=BB624_63 Depth=1
	s_waitcnt lgkmcnt(1)
	v_add_co_u32 v27, vcc_lo, v17, v55
	v_add_co_ci_u32_e32 v18, vcc_lo, 0, v18, vcc_lo
	s_delay_alu instid0(VALU_DEP_2) | instskip(SKIP_1) | instid1(VALU_DEP_2)
	v_add_co_u32 v17, vcc_lo, 0, v27
	s_waitcnt lgkmcnt(0)
	v_add_co_ci_u32_e32 v18, vcc_lo, v28, v18, vcc_lo
.LBB624_76:                             ;   in Loop: Header=BB624_63 Depth=1
	s_or_b32 exec_lo, exec_lo, s4
	s_waitcnt lgkmcnt(0)
	ds_bpermute_b32 v28, v53, v27
	ds_bpermute_b32 v27, v53, v18
	s_mov_b32 s4, exec_lo
	v_cmpx_le_u32_e64 v54, v20
	s_cbranch_execz .LBB624_62
; %bb.77:                               ;   in Loop: Header=BB624_63 Depth=1
	s_waitcnt lgkmcnt(1)
	v_add_co_u32 v17, vcc_lo, v17, v28
	v_add_co_ci_u32_e32 v18, vcc_lo, 0, v18, vcc_lo
	s_delay_alu instid0(VALU_DEP_2) | instskip(SKIP_1) | instid1(VALU_DEP_2)
	v_add_co_u32 v17, vcc_lo, v17, 0
	s_waitcnt lgkmcnt(0)
	v_add_co_ci_u32_e32 v18, vcc_lo, v18, v27, vcc_lo
	s_branch .LBB624_62
.LBB624_78:                             ;   in Loop: Header=BB624_63 Depth=1
                                        ; implicit-def: $vgpr17_vgpr18
	s_cbranch_execz .LBB624_63
; %bb.79:
	s_and_saveexec_b32 s4, s1
	s_cbranch_execz .LBB624_81
; %bb.80:
	s_add_i32 s6, s23, 32
	s_mov_b32 s7, 0
	v_add_co_u32 v17, vcc_lo, v15, v13
	s_lshl_b64 s[6:7], s[6:7], 4
	v_dual_mov_b32 v19, 2 :: v_dual_mov_b32 v20, 0
	s_add_u32 s6, s18, s6
	s_addc_u32 s7, s19, s7
	v_add_co_ci_u32_e32 v18, vcc_lo, v16, v14, vcc_lo
	v_dual_mov_b32 v26, s7 :: v_dual_mov_b32 v25, s6
	;;#ASMSTART
	global_store_dwordx4 v[25:26], v[17:20] off	
s_waitcnt vmcnt(0)
	;;#ASMEND
	ds_store_b128 v20, v[13:16] offset:6144
.LBB624_81:
	s_or_b32 exec_lo, exec_lo, s4
	s_delay_alu instid0(SALU_CYCLE_1)
	s_and_b32 exec_lo, exec_lo, s2
	s_cbranch_execz .LBB624_83
; %bb.82:
	v_mov_b32_e32 v13, 0
	ds_store_b64 v13, v[15:16] offset:24
.LBB624_83:
	s_or_b32 exec_lo, exec_lo, s3
	v_mov_b32_e32 v15, 0
	s_waitcnt lgkmcnt(0)
	s_barrier
	buffer_gl0_inv
	v_cndmask_b32_e64 v16, v29, v23, s1
	ds_load_b64 v[13:14], v15 offset:24
	v_cndmask_b32_e64 v17, v30, v24, s1
	s_waitcnt lgkmcnt(0)
	s_barrier
	v_cndmask_b32_e64 v16, v16, 0, s2
	buffer_gl0_inv
	v_cndmask_b32_e64 v17, v17, 0, s2
	v_add_co_u32 v29, vcc_lo, v13, v16
	s_delay_alu instid0(VALU_DEP_2) | instskip(SKIP_3) | instid1(VALU_DEP_2)
	v_add_co_ci_u32_e32 v30, vcc_lo, v14, v17, vcc_lo
	ds_load_b128 v[13:16], v15 offset:6144
	v_add_co_u32 v27, vcc_lo, v29, v41
	v_add_co_ci_u32_e32 v28, vcc_lo, 0, v30, vcc_lo
	v_add_co_u32 v25, vcc_lo, v27, v40
	s_delay_alu instid0(VALU_DEP_2) | instskip(NEXT) | instid1(VALU_DEP_2)
	v_add_co_ci_u32_e32 v26, vcc_lo, 0, v28, vcc_lo
	v_add_co_u32 v23, vcc_lo, v25, v39
	s_delay_alu instid0(VALU_DEP_2) | instskip(NEXT) | instid1(VALU_DEP_2)
	;; [unrolled: 3-line block ×3, first 2 shown]
	v_add_co_ci_u32_e32 v20, vcc_lo, 0, v24, vcc_lo
	v_add_co_u32 v17, vcc_lo, v19, v37
	s_delay_alu instid0(VALU_DEP_2)
	v_add_co_ci_u32_e32 v18, vcc_lo, 0, v20, vcc_lo
.LBB624_84:
	s_waitcnt lgkmcnt(0)
	v_cmp_gt_u64_e32 vcc_lo, 0x81, v[13:14]
	s_mov_b32 s0, -1
	s_cbranch_vccnz .LBB624_112
.LBB624_85:
	s_and_b32 vcc_lo, exec_lo, s0
	s_cbranch_vccnz .LBB624_131
.LBB624_86:
	s_and_b32 s0, s2, s21
	s_delay_alu instid0(SALU_CYCLE_1)
	s_and_saveexec_b32 s1, s0
	s_cbranch_execnz .LBB624_147
.LBB624_87:
	s_nop 0
	s_sendmsg sendmsg(MSG_DEALLOC_VGPRS)
	s_endpgm
.LBB624_88:
                                        ; kill: def $vgpr13_vgpr14 killed $sgpr0_sgpr1 killed $exec
                                        ; implicit-def: $vgpr17_vgpr18
                                        ; implicit-def: $vgpr19_vgpr20
                                        ; implicit-def: $vgpr23_vgpr24
                                        ; implicit-def: $vgpr25_vgpr26
                                        ; implicit-def: $vgpr27_vgpr28
                                        ; implicit-def: $vgpr29_vgpr30
                                        ; implicit-def: $vgpr15_vgpr16
	s_and_b32 vcc_lo, exec_lo, s1
	s_cbranch_vccz .LBB624_84
; %bb.89:
	s_waitcnt lgkmcnt(0)
	v_dual_mov_b32 v14, 0 :: v_dual_mov_b32 v15, v21
	v_mov_b32_dpp v16, v21 row_shr:1 row_mask:0xf bank_mask:0xf
	s_delay_alu instid0(VALU_DEP_2)
	v_mov_b32_dpp v13, v14 row_shr:1 row_mask:0xf bank_mask:0xf
	s_and_saveexec_b32 s1, s0
; %bb.90:
	s_delay_alu instid0(VALU_DEP_2) | instskip(SKIP_1) | instid1(VALU_DEP_2)
	v_add_co_u32 v15, vcc_lo, v21, v16
	v_add_co_ci_u32_e32 v14, vcc_lo, 0, v22, vcc_lo
	v_add_co_u32 v21, vcc_lo, 0, v15
	s_delay_alu instid0(VALU_DEP_2) | instskip(NEXT) | instid1(VALU_DEP_1)
	v_add_co_ci_u32_e32 v22, vcc_lo, v13, v14, vcc_lo
	v_mov_b32_e32 v14, v22
; %bb.91:
	s_or_b32 exec_lo, exec_lo, s1
	v_mov_b32_dpp v13, v15 row_shr:2 row_mask:0xf bank_mask:0xf
	s_delay_alu instid0(VALU_DEP_2)
	v_mov_b32_dpp v16, v14 row_shr:2 row_mask:0xf bank_mask:0xf
	s_mov_b32 s0, exec_lo
	v_cmpx_lt_u32_e32 1, v44
; %bb.92:
	s_delay_alu instid0(VALU_DEP_3) | instskip(SKIP_1) | instid1(VALU_DEP_2)
	v_add_co_u32 v15, vcc_lo, v21, v13
	v_add_co_ci_u32_e32 v14, vcc_lo, 0, v22, vcc_lo
	v_add_co_u32 v13, vcc_lo, 0, v15
	s_delay_alu instid0(VALU_DEP_2) | instskip(NEXT) | instid1(VALU_DEP_1)
	v_add_co_ci_u32_e32 v14, vcc_lo, v16, v14, vcc_lo
	v_dual_mov_b32 v22, v14 :: v_dual_mov_b32 v21, v13
; %bb.93:
	s_or_b32 exec_lo, exec_lo, s0
	v_mov_b32_dpp v13, v15 row_shr:4 row_mask:0xf bank_mask:0xf
	v_mov_b32_dpp v16, v14 row_shr:4 row_mask:0xf bank_mask:0xf
	s_mov_b32 s0, exec_lo
	v_cmpx_lt_u32_e32 3, v44
; %bb.94:
	s_delay_alu instid0(VALU_DEP_3) | instskip(SKIP_1) | instid1(VALU_DEP_2)
	v_add_co_u32 v15, vcc_lo, v21, v13
	v_add_co_ci_u32_e32 v14, vcc_lo, 0, v22, vcc_lo
	v_add_co_u32 v13, vcc_lo, 0, v15
	s_delay_alu instid0(VALU_DEP_2) | instskip(NEXT) | instid1(VALU_DEP_1)
	v_add_co_ci_u32_e32 v14, vcc_lo, v16, v14, vcc_lo
	v_dual_mov_b32 v22, v14 :: v_dual_mov_b32 v21, v13
; %bb.95:
	s_or_b32 exec_lo, exec_lo, s0
	v_mov_b32_dpp v16, v15 row_shr:8 row_mask:0xf bank_mask:0xf
	v_mov_b32_dpp v13, v14 row_shr:8 row_mask:0xf bank_mask:0xf
	s_mov_b32 s0, exec_lo
	v_cmpx_lt_u32_e32 7, v44
; %bb.96:
	s_delay_alu instid0(VALU_DEP_3) | instskip(SKIP_1) | instid1(VALU_DEP_2)
	v_add_co_u32 v15, vcc_lo, v21, v16
	v_add_co_ci_u32_e32 v14, vcc_lo, 0, v22, vcc_lo
	v_add_co_u32 v21, vcc_lo, 0, v15
	s_delay_alu instid0(VALU_DEP_2) | instskip(NEXT) | instid1(VALU_DEP_1)
	v_add_co_ci_u32_e32 v22, vcc_lo, v13, v14, vcc_lo
	v_mov_b32_e32 v14, v22
; %bb.97:
	s_or_b32 exec_lo, exec_lo, s0
	ds_swizzle_b32 v15, v15 offset:swizzle(BROADCAST,32,15)
	ds_swizzle_b32 v13, v14 offset:swizzle(BROADCAST,32,15)
	v_and_b32_e32 v14, 16, v42
	s_mov_b32 s0, exec_lo
	s_delay_alu instid0(VALU_DEP_1)
	v_cmpx_ne_u32_e32 0, v14
	s_cbranch_execz .LBB624_99
; %bb.98:
	s_waitcnt lgkmcnt(1)
	v_add_co_u32 v14, vcc_lo, v21, v15
	v_add_co_ci_u32_e32 v15, vcc_lo, 0, v22, vcc_lo
	s_delay_alu instid0(VALU_DEP_2) | instskip(SKIP_1) | instid1(VALU_DEP_2)
	v_add_co_u32 v21, vcc_lo, v14, 0
	s_waitcnt lgkmcnt(0)
	v_add_co_ci_u32_e32 v22, vcc_lo, v15, v13, vcc_lo
.LBB624_99:
	s_or_b32 exec_lo, exec_lo, s0
	s_waitcnt lgkmcnt(0)
	v_or_b32_e32 v13, 31, v0
	v_lshrrev_b32_e32 v15, 5, v0
	s_mov_b32 s0, exec_lo
	s_delay_alu instid0(VALU_DEP_2)
	v_cmpx_eq_u32_e64 v13, v0
	s_cbranch_execz .LBB624_101
; %bb.100:
	s_delay_alu instid0(VALU_DEP_2)
	v_lshlrev_b32_e32 v13, 3, v15
	ds_store_b64 v13, v[21:22]
.LBB624_101:
	s_or_b32 exec_lo, exec_lo, s0
	s_delay_alu instid0(SALU_CYCLE_1)
	s_mov_b32 s0, exec_lo
	s_waitcnt lgkmcnt(0)
	s_barrier
	buffer_gl0_inv
	v_cmpx_gt_u32_e32 4, v0
	s_cbranch_execz .LBB624_107
; %bb.102:
	v_lshlrev_b32_e32 v13, 1, v0
	s_mov_b32 s1, exec_lo
	s_delay_alu instid0(VALU_DEP_1)
	v_add_nc_u32_e32 v16, v43, v13
	ds_load_b64 v[13:14], v16
	s_waitcnt lgkmcnt(0)
	v_dual_mov_b32 v18, v13 :: v_dual_and_b32 v17, 3, v42
	v_mov_b32_dpp v20, v13 row_shr:1 row_mask:0xf bank_mask:0xf
	v_mov_b32_dpp v19, v14 row_shr:1 row_mask:0xf bank_mask:0xf
	s_delay_alu instid0(VALU_DEP_3)
	v_cmpx_ne_u32_e32 0, v17
; %bb.103:
	s_delay_alu instid0(VALU_DEP_3) | instskip(SKIP_1) | instid1(VALU_DEP_2)
	v_add_co_u32 v18, vcc_lo, v13, v20
	v_add_co_ci_u32_e32 v14, vcc_lo, 0, v14, vcc_lo
	v_add_co_u32 v13, vcc_lo, 0, v18
	s_delay_alu instid0(VALU_DEP_2)
	v_add_co_ci_u32_e32 v14, vcc_lo, v19, v14, vcc_lo
; %bb.104:
	s_or_b32 exec_lo, exec_lo, s1
	v_mov_b32_dpp v19, v18 row_shr:2 row_mask:0xf bank_mask:0xf
	s_delay_alu instid0(VALU_DEP_2)
	v_mov_b32_dpp v18, v14 row_shr:2 row_mask:0xf bank_mask:0xf
	s_mov_b32 s1, exec_lo
	v_cmpx_lt_u32_e32 1, v17
; %bb.105:
	s_delay_alu instid0(VALU_DEP_3) | instskip(SKIP_1) | instid1(VALU_DEP_2)
	v_add_co_u32 v13, vcc_lo, v13, v19
	v_add_co_ci_u32_e32 v14, vcc_lo, 0, v14, vcc_lo
	v_add_co_u32 v13, vcc_lo, v13, 0
	s_delay_alu instid0(VALU_DEP_2)
	v_add_co_ci_u32_e32 v14, vcc_lo, v14, v18, vcc_lo
; %bb.106:
	s_or_b32 exec_lo, exec_lo, s1
	ds_store_b64 v16, v[13:14]
.LBB624_107:
	s_or_b32 exec_lo, exec_lo, s0
	v_mov_b32_e32 v17, 0
	v_mov_b32_e32 v18, 0
	s_mov_b32 s0, exec_lo
	s_waitcnt lgkmcnt(0)
	s_barrier
	buffer_gl0_inv
	v_cmpx_lt_u32_e32 31, v0
	s_cbranch_execz .LBB624_109
; %bb.108:
	v_lshl_add_u32 v13, v15, 3, -8
	ds_load_b64 v[17:18], v13
.LBB624_109:
	s_or_b32 exec_lo, exec_lo, s0
	v_dual_mov_b32 v16, 0 :: v_dual_add_nc_u32 v13, -1, v42
	s_delay_alu instid0(VALU_DEP_1) | instskip(SKIP_4) | instid1(VALU_DEP_3)
	v_cmp_gt_i32_e32 vcc_lo, 0, v13
	v_cndmask_b32_e32 v13, v13, v42, vcc_lo
	s_waitcnt lgkmcnt(0)
	v_add_co_u32 v14, vcc_lo, v17, v21
	v_add_co_ci_u32_e32 v15, vcc_lo, v18, v22, vcc_lo
	v_lshlrev_b32_e32 v13, 2, v13
	ds_bpermute_b32 v19, v13, v14
	ds_bpermute_b32 v20, v13, v15
	ds_load_b64 v[13:14], v16 offset:24
	s_and_saveexec_b32 s0, s2
	s_cbranch_execz .LBB624_111
; %bb.110:
	s_add_u32 s4, s18, 0x200
	s_addc_u32 s5, s19, 0
	s_delay_alu instid0(SALU_CYCLE_1)
	v_dual_mov_b32 v15, 2 :: v_dual_mov_b32 v22, s5
	v_mov_b32_e32 v21, s4
	s_waitcnt lgkmcnt(0)
	;;#ASMSTART
	global_store_dwordx4 v[21:22], v[13:16] off	
s_waitcnt vmcnt(0)
	;;#ASMEND
.LBB624_111:
	s_or_b32 exec_lo, exec_lo, s0
	v_cmp_eq_u32_e32 vcc_lo, 0, v42
	s_waitcnt lgkmcnt(0)
	s_barrier
	buffer_gl0_inv
	v_dual_cndmask_b32 v15, v19, v17 :: v_dual_cndmask_b32 v16, v20, v18
	s_delay_alu instid0(VALU_DEP_1) | instskip(NEXT) | instid1(VALU_DEP_2)
	v_cndmask_b32_e64 v29, v15, 0, s2
	v_cndmask_b32_e64 v30, v16, 0, s2
	v_mov_b32_e32 v15, 0
	v_mov_b32_e32 v16, 0
	s_delay_alu instid0(VALU_DEP_4) | instskip(NEXT) | instid1(VALU_DEP_4)
	v_add_co_u32 v27, vcc_lo, v29, v41
	v_add_co_ci_u32_e32 v28, vcc_lo, 0, v30, vcc_lo
	s_delay_alu instid0(VALU_DEP_2) | instskip(NEXT) | instid1(VALU_DEP_2)
	v_add_co_u32 v25, vcc_lo, v27, v40
	v_add_co_ci_u32_e32 v26, vcc_lo, 0, v28, vcc_lo
	s_delay_alu instid0(VALU_DEP_2) | instskip(NEXT) | instid1(VALU_DEP_2)
	;; [unrolled: 3-line block ×4, first 2 shown]
	v_add_co_u32 v17, vcc_lo, v19, v37
	v_add_co_ci_u32_e32 v18, vcc_lo, 0, v20, vcc_lo
	v_cmp_gt_u64_e32 vcc_lo, 0x81, v[13:14]
	s_mov_b32 s0, -1
	s_cbranch_vccz .LBB624_85
.LBB624_112:
	v_add_co_u32 v21, vcc_lo, v15, v13
	v_add_co_ci_u32_e32 v22, vcc_lo, v16, v14, vcc_lo
	s_delay_alu instid0(VALU_DEP_1) | instskip(SKIP_1) | instid1(SALU_CYCLE_1)
	v_cmp_lt_u64_e32 vcc_lo, v[29:30], v[21:22]
	s_or_b32 s1, s22, vcc_lo
	s_and_saveexec_b32 s0, s1
	s_cbranch_execz .LBB624_115
; %bb.113:
	v_and_b32_e32 v37, 1, v36
	s_delay_alu instid0(VALU_DEP_1)
	v_cmp_eq_u32_e32 vcc_lo, 1, v37
	s_and_b32 exec_lo, exec_lo, vcc_lo
	s_cbranch_execz .LBB624_115
; %bb.114:
	v_lshlrev_b64 v[37:38], 3, v[29:30]
	s_lshl_b64 s[4:5], s[10:11], 3
	s_delay_alu instid0(SALU_CYCLE_1) | instskip(SKIP_1) | instid1(VALU_DEP_1)
	s_add_u32 s1, s16, s4
	s_addc_u32 s3, s17, s5
	v_add_co_u32 v37, vcc_lo, s1, v37
	s_delay_alu instid0(VALU_DEP_2)
	v_add_co_ci_u32_e32 v38, vcc_lo, s3, v38, vcc_lo
	global_store_b64 v[37:38], v[9:10], off
.LBB624_115:
	s_or_b32 exec_lo, exec_lo, s0
	v_cmp_lt_u64_e32 vcc_lo, v[27:28], v[21:22]
	s_or_b32 s1, s22, vcc_lo
	s_delay_alu instid0(SALU_CYCLE_1)
	s_and_saveexec_b32 s0, s1
	s_cbranch_execz .LBB624_118
; %bb.116:
	v_and_b32_e32 v30, 1, v34
	s_delay_alu instid0(VALU_DEP_1)
	v_cmp_eq_u32_e32 vcc_lo, 1, v30
	s_and_b32 exec_lo, exec_lo, vcc_lo
	s_cbranch_execz .LBB624_118
; %bb.117:
	v_lshlrev_b64 v[37:38], 3, v[27:28]
	s_lshl_b64 s[4:5], s[10:11], 3
	s_delay_alu instid0(SALU_CYCLE_1) | instskip(SKIP_1) | instid1(VALU_DEP_1)
	s_add_u32 s1, s16, s4
	s_addc_u32 s3, s17, s5
	v_add_co_u32 v37, vcc_lo, s1, v37
	s_delay_alu instid0(VALU_DEP_2)
	v_add_co_ci_u32_e32 v38, vcc_lo, s3, v38, vcc_lo
	global_store_b64 v[37:38], v[11:12], off
.LBB624_118:
	s_or_b32 exec_lo, exec_lo, s0
	v_cmp_lt_u64_e32 vcc_lo, v[25:26], v[21:22]
	s_or_b32 s1, s22, vcc_lo
	s_delay_alu instid0(SALU_CYCLE_1)
	s_and_saveexec_b32 s0, s1
	s_cbranch_execz .LBB624_121
; %bb.119:
	v_and_b32_e32 v28, 1, v33
	s_delay_alu instid0(VALU_DEP_1)
	v_cmp_eq_u32_e32 vcc_lo, 1, v28
	s_and_b32 exec_lo, exec_lo, vcc_lo
	s_cbranch_execz .LBB624_121
; %bb.120:
	v_lshlrev_b64 v[37:38], 3, v[25:26]
	s_lshl_b64 s[4:5], s[10:11], 3
	s_delay_alu instid0(SALU_CYCLE_1) | instskip(SKIP_1) | instid1(VALU_DEP_1)
	s_add_u32 s1, s16, s4
	s_addc_u32 s3, s17, s5
	v_add_co_u32 v37, vcc_lo, s1, v37
	s_delay_alu instid0(VALU_DEP_2)
	v_add_co_ci_u32_e32 v38, vcc_lo, s3, v38, vcc_lo
	global_store_b64 v[37:38], v[5:6], off
.LBB624_121:
	s_or_b32 exec_lo, exec_lo, s0
	v_cmp_lt_u64_e32 vcc_lo, v[23:24], v[21:22]
	s_or_b32 s1, s22, vcc_lo
	s_delay_alu instid0(SALU_CYCLE_1)
	s_and_saveexec_b32 s0, s1
	s_cbranch_execz .LBB624_124
; %bb.122:
	v_and_b32_e32 v26, 1, v35
	s_delay_alu instid0(VALU_DEP_1)
	v_cmp_eq_u32_e32 vcc_lo, 1, v26
	s_and_b32 exec_lo, exec_lo, vcc_lo
	s_cbranch_execz .LBB624_124
; %bb.123:
	v_lshlrev_b64 v[37:38], 3, v[23:24]
	s_lshl_b64 s[4:5], s[10:11], 3
	s_delay_alu instid0(SALU_CYCLE_1) | instskip(SKIP_1) | instid1(VALU_DEP_1)
	s_add_u32 s1, s16, s4
	s_addc_u32 s3, s17, s5
	v_add_co_u32 v37, vcc_lo, s1, v37
	s_delay_alu instid0(VALU_DEP_2)
	v_add_co_ci_u32_e32 v38, vcc_lo, s3, v38, vcc_lo
	global_store_b64 v[37:38], v[7:8], off
.LBB624_124:
	s_or_b32 exec_lo, exec_lo, s0
	v_cmp_lt_u64_e32 vcc_lo, v[19:20], v[21:22]
	s_or_b32 s1, s22, vcc_lo
	s_delay_alu instid0(SALU_CYCLE_1)
	s_and_saveexec_b32 s0, s1
	s_cbranch_execz .LBB624_127
; %bb.125:
	v_and_b32_e32 v24, 1, v31
	s_delay_alu instid0(VALU_DEP_1)
	v_cmp_eq_u32_e32 vcc_lo, 1, v24
	s_and_b32 exec_lo, exec_lo, vcc_lo
	s_cbranch_execz .LBB624_127
; %bb.126:
	v_lshlrev_b64 v[37:38], 3, v[19:20]
	s_lshl_b64 s[4:5], s[10:11], 3
	s_delay_alu instid0(SALU_CYCLE_1) | instskip(SKIP_1) | instid1(VALU_DEP_1)
	s_add_u32 s1, s16, s4
	s_addc_u32 s3, s17, s5
	v_add_co_u32 v37, vcc_lo, s1, v37
	s_delay_alu instid0(VALU_DEP_2)
	v_add_co_ci_u32_e32 v38, vcc_lo, s3, v38, vcc_lo
	global_store_b64 v[37:38], v[1:2], off
.LBB624_127:
	s_or_b32 exec_lo, exec_lo, s0
	v_cmp_lt_u64_e32 vcc_lo, v[17:18], v[21:22]
	s_or_b32 s1, s22, vcc_lo
	s_delay_alu instid0(SALU_CYCLE_1)
	s_and_saveexec_b32 s0, s1
	s_cbranch_execz .LBB624_130
; %bb.128:
	v_and_b32_e32 v20, 1, v32
	s_delay_alu instid0(VALU_DEP_1)
	v_cmp_eq_u32_e32 vcc_lo, 1, v20
	s_and_b32 exec_lo, exec_lo, vcc_lo
	s_cbranch_execz .LBB624_130
; %bb.129:
	v_lshlrev_b64 v[20:21], 3, v[17:18]
	s_lshl_b64 s[4:5], s[10:11], 3
	s_delay_alu instid0(SALU_CYCLE_1) | instskip(SKIP_1) | instid1(VALU_DEP_1)
	s_add_u32 s1, s16, s4
	s_addc_u32 s3, s17, s5
	v_add_co_u32 v20, vcc_lo, s1, v20
	s_delay_alu instid0(VALU_DEP_2)
	v_add_co_ci_u32_e32 v21, vcc_lo, s3, v21, vcc_lo
	global_store_b64 v[20:21], v[3:4], off
.LBB624_130:
	s_or_b32 exec_lo, exec_lo, s0
	s_branch .LBB624_86
.LBB624_131:
	v_and_b32_e32 v18, 1, v36
	s_mov_b32 s0, exec_lo
	s_delay_alu instid0(VALU_DEP_1)
	v_cmpx_eq_u32_e32 1, v18
	s_cbranch_execz .LBB624_133
; %bb.132:
	v_sub_nc_u32_e32 v18, v29, v15
	s_delay_alu instid0(VALU_DEP_1)
	v_lshlrev_b32_e32 v18, 3, v18
	ds_store_b64 v18, v[9:10]
.LBB624_133:
	s_or_b32 exec_lo, exec_lo, s0
	v_and_b32_e32 v9, 1, v34
	s_mov_b32 s0, exec_lo
	s_delay_alu instid0(VALU_DEP_1)
	v_cmpx_eq_u32_e32 1, v9
	s_cbranch_execz .LBB624_135
; %bb.134:
	v_sub_nc_u32_e32 v9, v27, v15
	s_delay_alu instid0(VALU_DEP_1)
	v_lshlrev_b32_e32 v9, 3, v9
	ds_store_b64 v9, v[11:12]
.LBB624_135:
	s_or_b32 exec_lo, exec_lo, s0
	v_and_b32_e32 v9, 1, v33
	s_mov_b32 s0, exec_lo
	s_delay_alu instid0(VALU_DEP_1)
	v_cmpx_eq_u32_e32 1, v9
	s_cbranch_execz .LBB624_137
; %bb.136:
	v_sub_nc_u32_e32 v9, v25, v15
	s_delay_alu instid0(VALU_DEP_1)
	v_lshlrev_b32_e32 v9, 3, v9
	ds_store_b64 v9, v[5:6]
.LBB624_137:
	s_or_b32 exec_lo, exec_lo, s0
	v_and_b32_e32 v5, 1, v35
	s_mov_b32 s0, exec_lo
	s_delay_alu instid0(VALU_DEP_1)
	v_cmpx_eq_u32_e32 1, v5
	s_cbranch_execz .LBB624_139
; %bb.138:
	v_sub_nc_u32_e32 v5, v23, v15
	s_delay_alu instid0(VALU_DEP_1)
	v_lshlrev_b32_e32 v5, 3, v5
	ds_store_b64 v5, v[7:8]
.LBB624_139:
	s_or_b32 exec_lo, exec_lo, s0
	v_and_b32_e32 v5, 1, v31
	s_mov_b32 s0, exec_lo
	s_delay_alu instid0(VALU_DEP_1)
	v_cmpx_eq_u32_e32 1, v5
	s_cbranch_execz .LBB624_141
; %bb.140:
	v_sub_nc_u32_e32 v5, v19, v15
	s_delay_alu instid0(VALU_DEP_1)
	v_lshlrev_b32_e32 v5, 3, v5
	ds_store_b64 v5, v[1:2]
.LBB624_141:
	s_or_b32 exec_lo, exec_lo, s0
	v_and_b32_e32 v1, 1, v32
	s_mov_b32 s0, exec_lo
	s_delay_alu instid0(VALU_DEP_1)
	v_cmpx_eq_u32_e32 1, v1
	s_cbranch_execz .LBB624_143
; %bb.142:
	v_sub_nc_u32_e32 v1, v17, v15
	s_delay_alu instid0(VALU_DEP_1)
	v_lshlrev_b32_e32 v1, 3, v1
	ds_store_b64 v1, v[3:4]
.LBB624_143:
	s_or_b32 exec_lo, exec_lo, s0
	v_mov_b32_e32 v1, 0
	s_mov_b32 s1, exec_lo
	s_waitcnt lgkmcnt(0)
	s_waitcnt_vscnt null, 0x0
	s_barrier
	buffer_gl0_inv
	v_cmpx_gt_u64_e64 v[13:14], v[0:1]
	s_cbranch_execz .LBB624_146
; %bb.144:
	v_lshlrev_b64 v[4:5], 3, v[15:16]
	s_lshl_b64 s[4:5], s[10:11], 3
	v_dual_mov_b32 v3, v1 :: v_dual_mov_b32 v2, v0
	v_or_b32_e32 v0, 0x80, v0
	s_mov_b32 s3, 0
	s_delay_alu instid0(VALU_DEP_3) | instskip(SKIP_1) | instid1(VALU_DEP_2)
	v_add_co_u32 v4, vcc_lo, s16, v4
	v_add_co_ci_u32_e32 v5, vcc_lo, s17, v5, vcc_lo
	v_add_co_u32 v4, vcc_lo, v4, s4
	s_delay_alu instid0(VALU_DEP_2)
	v_add_co_ci_u32_e32 v5, vcc_lo, s5, v5, vcc_lo
	.p2align	6
.LBB624_145:                            ; =>This Inner Loop Header: Depth=1
	v_lshlrev_b32_e32 v6, 3, v2
	v_lshlrev_b64 v[8:9], 3, v[2:3]
	v_mov_b32_e32 v3, v1
	v_cmp_le_u64_e32 vcc_lo, v[13:14], v[0:1]
	v_mov_b32_e32 v2, v0
	ds_load_b64 v[6:7], v6
	v_add_nc_u32_e32 v0, 0x80, v0
	v_add_co_u32 v8, s0, v4, v8
	s_delay_alu instid0(VALU_DEP_1)
	v_add_co_ci_u32_e64 v9, s0, v5, v9, s0
	s_or_b32 s3, vcc_lo, s3
	s_waitcnt lgkmcnt(0)
	global_store_b64 v[8:9], v[6:7], off
	s_and_not1_b32 exec_lo, exec_lo, s3
	s_cbranch_execnz .LBB624_145
.LBB624_146:
	s_or_b32 exec_lo, exec_lo, s1
	s_and_b32 s0, s2, s21
	s_delay_alu instid0(SALU_CYCLE_1)
	s_and_saveexec_b32 s1, s0
	s_cbranch_execz .LBB624_87
.LBB624_147:
	v_add_co_u32 v0, vcc_lo, v15, v13
	v_add_co_ci_u32_e32 v1, vcc_lo, v16, v14, vcc_lo
	v_mov_b32_e32 v2, 0
	s_delay_alu instid0(VALU_DEP_3) | instskip(NEXT) | instid1(VALU_DEP_3)
	v_add_co_u32 v0, vcc_lo, v0, s10
	v_add_co_ci_u32_e32 v1, vcc_lo, s11, v1, vcc_lo
	global_store_b64 v2, v[0:1], s[8:9]
	s_nop 0
	s_sendmsg sendmsg(MSG_DEALLOC_VGPRS)
	s_endpgm
	.section	.rodata,"a",@progbits
	.p2align	6, 0x0
	.amdhsa_kernel _ZN7rocprim17ROCPRIM_400000_NS6detail17trampoline_kernelINS0_14default_configENS1_25partition_config_selectorILNS1_17partition_subalgoE5ElNS0_10empty_typeEbEEZZNS1_14partition_implILS5_5ELb0ES3_mN6hipcub16HIPCUB_304000_NS21CountingInputIteratorIllEEPS6_NSA_22TransformInputIteratorIbN2at6native12_GLOBAL__N_19NonZeroOpIN3c107complexIfEEEEPKSL_lEENS0_5tupleIJPlS6_EEENSQ_IJSD_SD_EEES6_PiJS6_EEE10hipError_tPvRmT3_T4_T5_T6_T7_T9_mT8_P12ihipStream_tbDpT10_ENKUlT_T0_E_clISt17integral_constantIbLb0EES1D_IbLb1EEEEDaS19_S1A_EUlS19_E_NS1_11comp_targetILNS1_3genE9ELNS1_11target_archE1100ELNS1_3gpuE3ELNS1_3repE0EEENS1_30default_config_static_selectorELNS0_4arch9wavefront6targetE0EEEvT1_
		.amdhsa_group_segment_fixed_size 6160
		.amdhsa_private_segment_fixed_size 0
		.amdhsa_kernarg_size 136
		.amdhsa_user_sgpr_count 15
		.amdhsa_user_sgpr_dispatch_ptr 0
		.amdhsa_user_sgpr_queue_ptr 0
		.amdhsa_user_sgpr_kernarg_segment_ptr 1
		.amdhsa_user_sgpr_dispatch_id 0
		.amdhsa_user_sgpr_private_segment_size 0
		.amdhsa_wavefront_size32 1
		.amdhsa_uses_dynamic_stack 0
		.amdhsa_enable_private_segment 0
		.amdhsa_system_sgpr_workgroup_id_x 1
		.amdhsa_system_sgpr_workgroup_id_y 0
		.amdhsa_system_sgpr_workgroup_id_z 0
		.amdhsa_system_sgpr_workgroup_info 0
		.amdhsa_system_vgpr_workitem_id 0
		.amdhsa_next_free_vgpr 57
		.amdhsa_next_free_sgpr 25
		.amdhsa_reserve_vcc 1
		.amdhsa_float_round_mode_32 0
		.amdhsa_float_round_mode_16_64 0
		.amdhsa_float_denorm_mode_32 3
		.amdhsa_float_denorm_mode_16_64 3
		.amdhsa_dx10_clamp 1
		.amdhsa_ieee_mode 1
		.amdhsa_fp16_overflow 0
		.amdhsa_workgroup_processor_mode 1
		.amdhsa_memory_ordered 1
		.amdhsa_forward_progress 0
		.amdhsa_shared_vgpr_count 0
		.amdhsa_exception_fp_ieee_invalid_op 0
		.amdhsa_exception_fp_denorm_src 0
		.amdhsa_exception_fp_ieee_div_zero 0
		.amdhsa_exception_fp_ieee_overflow 0
		.amdhsa_exception_fp_ieee_underflow 0
		.amdhsa_exception_fp_ieee_inexact 0
		.amdhsa_exception_int_div_zero 0
	.end_amdhsa_kernel
	.section	.text._ZN7rocprim17ROCPRIM_400000_NS6detail17trampoline_kernelINS0_14default_configENS1_25partition_config_selectorILNS1_17partition_subalgoE5ElNS0_10empty_typeEbEEZZNS1_14partition_implILS5_5ELb0ES3_mN6hipcub16HIPCUB_304000_NS21CountingInputIteratorIllEEPS6_NSA_22TransformInputIteratorIbN2at6native12_GLOBAL__N_19NonZeroOpIN3c107complexIfEEEEPKSL_lEENS0_5tupleIJPlS6_EEENSQ_IJSD_SD_EEES6_PiJS6_EEE10hipError_tPvRmT3_T4_T5_T6_T7_T9_mT8_P12ihipStream_tbDpT10_ENKUlT_T0_E_clISt17integral_constantIbLb0EES1D_IbLb1EEEEDaS19_S1A_EUlS19_E_NS1_11comp_targetILNS1_3genE9ELNS1_11target_archE1100ELNS1_3gpuE3ELNS1_3repE0EEENS1_30default_config_static_selectorELNS0_4arch9wavefront6targetE0EEEvT1_,"axG",@progbits,_ZN7rocprim17ROCPRIM_400000_NS6detail17trampoline_kernelINS0_14default_configENS1_25partition_config_selectorILNS1_17partition_subalgoE5ElNS0_10empty_typeEbEEZZNS1_14partition_implILS5_5ELb0ES3_mN6hipcub16HIPCUB_304000_NS21CountingInputIteratorIllEEPS6_NSA_22TransformInputIteratorIbN2at6native12_GLOBAL__N_19NonZeroOpIN3c107complexIfEEEEPKSL_lEENS0_5tupleIJPlS6_EEENSQ_IJSD_SD_EEES6_PiJS6_EEE10hipError_tPvRmT3_T4_T5_T6_T7_T9_mT8_P12ihipStream_tbDpT10_ENKUlT_T0_E_clISt17integral_constantIbLb0EES1D_IbLb1EEEEDaS19_S1A_EUlS19_E_NS1_11comp_targetILNS1_3genE9ELNS1_11target_archE1100ELNS1_3gpuE3ELNS1_3repE0EEENS1_30default_config_static_selectorELNS0_4arch9wavefront6targetE0EEEvT1_,comdat
.Lfunc_end624:
	.size	_ZN7rocprim17ROCPRIM_400000_NS6detail17trampoline_kernelINS0_14default_configENS1_25partition_config_selectorILNS1_17partition_subalgoE5ElNS0_10empty_typeEbEEZZNS1_14partition_implILS5_5ELb0ES3_mN6hipcub16HIPCUB_304000_NS21CountingInputIteratorIllEEPS6_NSA_22TransformInputIteratorIbN2at6native12_GLOBAL__N_19NonZeroOpIN3c107complexIfEEEEPKSL_lEENS0_5tupleIJPlS6_EEENSQ_IJSD_SD_EEES6_PiJS6_EEE10hipError_tPvRmT3_T4_T5_T6_T7_T9_mT8_P12ihipStream_tbDpT10_ENKUlT_T0_E_clISt17integral_constantIbLb0EES1D_IbLb1EEEEDaS19_S1A_EUlS19_E_NS1_11comp_targetILNS1_3genE9ELNS1_11target_archE1100ELNS1_3gpuE3ELNS1_3repE0EEENS1_30default_config_static_selectorELNS0_4arch9wavefront6targetE0EEEvT1_, .Lfunc_end624-_ZN7rocprim17ROCPRIM_400000_NS6detail17trampoline_kernelINS0_14default_configENS1_25partition_config_selectorILNS1_17partition_subalgoE5ElNS0_10empty_typeEbEEZZNS1_14partition_implILS5_5ELb0ES3_mN6hipcub16HIPCUB_304000_NS21CountingInputIteratorIllEEPS6_NSA_22TransformInputIteratorIbN2at6native12_GLOBAL__N_19NonZeroOpIN3c107complexIfEEEEPKSL_lEENS0_5tupleIJPlS6_EEENSQ_IJSD_SD_EEES6_PiJS6_EEE10hipError_tPvRmT3_T4_T5_T6_T7_T9_mT8_P12ihipStream_tbDpT10_ENKUlT_T0_E_clISt17integral_constantIbLb0EES1D_IbLb1EEEEDaS19_S1A_EUlS19_E_NS1_11comp_targetILNS1_3genE9ELNS1_11target_archE1100ELNS1_3gpuE3ELNS1_3repE0EEENS1_30default_config_static_selectorELNS0_4arch9wavefront6targetE0EEEvT1_
                                        ; -- End function
	.section	.AMDGPU.csdata,"",@progbits
; Kernel info:
; codeLenInByte = 6740
; NumSgprs: 27
; NumVgprs: 57
; ScratchSize: 0
; MemoryBound: 0
; FloatMode: 240
; IeeeMode: 1
; LDSByteSize: 6160 bytes/workgroup (compile time only)
; SGPRBlocks: 3
; VGPRBlocks: 7
; NumSGPRsForWavesPerEU: 27
; NumVGPRsForWavesPerEU: 57
; Occupancy: 16
; WaveLimiterHint : 1
; COMPUTE_PGM_RSRC2:SCRATCH_EN: 0
; COMPUTE_PGM_RSRC2:USER_SGPR: 15
; COMPUTE_PGM_RSRC2:TRAP_HANDLER: 0
; COMPUTE_PGM_RSRC2:TGID_X_EN: 1
; COMPUTE_PGM_RSRC2:TGID_Y_EN: 0
; COMPUTE_PGM_RSRC2:TGID_Z_EN: 0
; COMPUTE_PGM_RSRC2:TIDIG_COMP_CNT: 0
	.section	.text._ZN7rocprim17ROCPRIM_400000_NS6detail17trampoline_kernelINS0_14default_configENS1_25partition_config_selectorILNS1_17partition_subalgoE5ElNS0_10empty_typeEbEEZZNS1_14partition_implILS5_5ELb0ES3_mN6hipcub16HIPCUB_304000_NS21CountingInputIteratorIllEEPS6_NSA_22TransformInputIteratorIbN2at6native12_GLOBAL__N_19NonZeroOpIN3c107complexIfEEEEPKSL_lEENS0_5tupleIJPlS6_EEENSQ_IJSD_SD_EEES6_PiJS6_EEE10hipError_tPvRmT3_T4_T5_T6_T7_T9_mT8_P12ihipStream_tbDpT10_ENKUlT_T0_E_clISt17integral_constantIbLb0EES1D_IbLb1EEEEDaS19_S1A_EUlS19_E_NS1_11comp_targetILNS1_3genE8ELNS1_11target_archE1030ELNS1_3gpuE2ELNS1_3repE0EEENS1_30default_config_static_selectorELNS0_4arch9wavefront6targetE0EEEvT1_,"axG",@progbits,_ZN7rocprim17ROCPRIM_400000_NS6detail17trampoline_kernelINS0_14default_configENS1_25partition_config_selectorILNS1_17partition_subalgoE5ElNS0_10empty_typeEbEEZZNS1_14partition_implILS5_5ELb0ES3_mN6hipcub16HIPCUB_304000_NS21CountingInputIteratorIllEEPS6_NSA_22TransformInputIteratorIbN2at6native12_GLOBAL__N_19NonZeroOpIN3c107complexIfEEEEPKSL_lEENS0_5tupleIJPlS6_EEENSQ_IJSD_SD_EEES6_PiJS6_EEE10hipError_tPvRmT3_T4_T5_T6_T7_T9_mT8_P12ihipStream_tbDpT10_ENKUlT_T0_E_clISt17integral_constantIbLb0EES1D_IbLb1EEEEDaS19_S1A_EUlS19_E_NS1_11comp_targetILNS1_3genE8ELNS1_11target_archE1030ELNS1_3gpuE2ELNS1_3repE0EEENS1_30default_config_static_selectorELNS0_4arch9wavefront6targetE0EEEvT1_,comdat
	.globl	_ZN7rocprim17ROCPRIM_400000_NS6detail17trampoline_kernelINS0_14default_configENS1_25partition_config_selectorILNS1_17partition_subalgoE5ElNS0_10empty_typeEbEEZZNS1_14partition_implILS5_5ELb0ES3_mN6hipcub16HIPCUB_304000_NS21CountingInputIteratorIllEEPS6_NSA_22TransformInputIteratorIbN2at6native12_GLOBAL__N_19NonZeroOpIN3c107complexIfEEEEPKSL_lEENS0_5tupleIJPlS6_EEENSQ_IJSD_SD_EEES6_PiJS6_EEE10hipError_tPvRmT3_T4_T5_T6_T7_T9_mT8_P12ihipStream_tbDpT10_ENKUlT_T0_E_clISt17integral_constantIbLb0EES1D_IbLb1EEEEDaS19_S1A_EUlS19_E_NS1_11comp_targetILNS1_3genE8ELNS1_11target_archE1030ELNS1_3gpuE2ELNS1_3repE0EEENS1_30default_config_static_selectorELNS0_4arch9wavefront6targetE0EEEvT1_ ; -- Begin function _ZN7rocprim17ROCPRIM_400000_NS6detail17trampoline_kernelINS0_14default_configENS1_25partition_config_selectorILNS1_17partition_subalgoE5ElNS0_10empty_typeEbEEZZNS1_14partition_implILS5_5ELb0ES3_mN6hipcub16HIPCUB_304000_NS21CountingInputIteratorIllEEPS6_NSA_22TransformInputIteratorIbN2at6native12_GLOBAL__N_19NonZeroOpIN3c107complexIfEEEEPKSL_lEENS0_5tupleIJPlS6_EEENSQ_IJSD_SD_EEES6_PiJS6_EEE10hipError_tPvRmT3_T4_T5_T6_T7_T9_mT8_P12ihipStream_tbDpT10_ENKUlT_T0_E_clISt17integral_constantIbLb0EES1D_IbLb1EEEEDaS19_S1A_EUlS19_E_NS1_11comp_targetILNS1_3genE8ELNS1_11target_archE1030ELNS1_3gpuE2ELNS1_3repE0EEENS1_30default_config_static_selectorELNS0_4arch9wavefront6targetE0EEEvT1_
	.p2align	8
	.type	_ZN7rocprim17ROCPRIM_400000_NS6detail17trampoline_kernelINS0_14default_configENS1_25partition_config_selectorILNS1_17partition_subalgoE5ElNS0_10empty_typeEbEEZZNS1_14partition_implILS5_5ELb0ES3_mN6hipcub16HIPCUB_304000_NS21CountingInputIteratorIllEEPS6_NSA_22TransformInputIteratorIbN2at6native12_GLOBAL__N_19NonZeroOpIN3c107complexIfEEEEPKSL_lEENS0_5tupleIJPlS6_EEENSQ_IJSD_SD_EEES6_PiJS6_EEE10hipError_tPvRmT3_T4_T5_T6_T7_T9_mT8_P12ihipStream_tbDpT10_ENKUlT_T0_E_clISt17integral_constantIbLb0EES1D_IbLb1EEEEDaS19_S1A_EUlS19_E_NS1_11comp_targetILNS1_3genE8ELNS1_11target_archE1030ELNS1_3gpuE2ELNS1_3repE0EEENS1_30default_config_static_selectorELNS0_4arch9wavefront6targetE0EEEvT1_,@function
_ZN7rocprim17ROCPRIM_400000_NS6detail17trampoline_kernelINS0_14default_configENS1_25partition_config_selectorILNS1_17partition_subalgoE5ElNS0_10empty_typeEbEEZZNS1_14partition_implILS5_5ELb0ES3_mN6hipcub16HIPCUB_304000_NS21CountingInputIteratorIllEEPS6_NSA_22TransformInputIteratorIbN2at6native12_GLOBAL__N_19NonZeroOpIN3c107complexIfEEEEPKSL_lEENS0_5tupleIJPlS6_EEENSQ_IJSD_SD_EEES6_PiJS6_EEE10hipError_tPvRmT3_T4_T5_T6_T7_T9_mT8_P12ihipStream_tbDpT10_ENKUlT_T0_E_clISt17integral_constantIbLb0EES1D_IbLb1EEEEDaS19_S1A_EUlS19_E_NS1_11comp_targetILNS1_3genE8ELNS1_11target_archE1030ELNS1_3gpuE2ELNS1_3repE0EEENS1_30default_config_static_selectorELNS0_4arch9wavefront6targetE0EEEvT1_: ; @_ZN7rocprim17ROCPRIM_400000_NS6detail17trampoline_kernelINS0_14default_configENS1_25partition_config_selectorILNS1_17partition_subalgoE5ElNS0_10empty_typeEbEEZZNS1_14partition_implILS5_5ELb0ES3_mN6hipcub16HIPCUB_304000_NS21CountingInputIteratorIllEEPS6_NSA_22TransformInputIteratorIbN2at6native12_GLOBAL__N_19NonZeroOpIN3c107complexIfEEEEPKSL_lEENS0_5tupleIJPlS6_EEENSQ_IJSD_SD_EEES6_PiJS6_EEE10hipError_tPvRmT3_T4_T5_T6_T7_T9_mT8_P12ihipStream_tbDpT10_ENKUlT_T0_E_clISt17integral_constantIbLb0EES1D_IbLb1EEEEDaS19_S1A_EUlS19_E_NS1_11comp_targetILNS1_3genE8ELNS1_11target_archE1030ELNS1_3gpuE2ELNS1_3repE0EEENS1_30default_config_static_selectorELNS0_4arch9wavefront6targetE0EEEvT1_
; %bb.0:
	.section	.rodata,"a",@progbits
	.p2align	6, 0x0
	.amdhsa_kernel _ZN7rocprim17ROCPRIM_400000_NS6detail17trampoline_kernelINS0_14default_configENS1_25partition_config_selectorILNS1_17partition_subalgoE5ElNS0_10empty_typeEbEEZZNS1_14partition_implILS5_5ELb0ES3_mN6hipcub16HIPCUB_304000_NS21CountingInputIteratorIllEEPS6_NSA_22TransformInputIteratorIbN2at6native12_GLOBAL__N_19NonZeroOpIN3c107complexIfEEEEPKSL_lEENS0_5tupleIJPlS6_EEENSQ_IJSD_SD_EEES6_PiJS6_EEE10hipError_tPvRmT3_T4_T5_T6_T7_T9_mT8_P12ihipStream_tbDpT10_ENKUlT_T0_E_clISt17integral_constantIbLb0EES1D_IbLb1EEEEDaS19_S1A_EUlS19_E_NS1_11comp_targetILNS1_3genE8ELNS1_11target_archE1030ELNS1_3gpuE2ELNS1_3repE0EEENS1_30default_config_static_selectorELNS0_4arch9wavefront6targetE0EEEvT1_
		.amdhsa_group_segment_fixed_size 0
		.amdhsa_private_segment_fixed_size 0
		.amdhsa_kernarg_size 136
		.amdhsa_user_sgpr_count 15
		.amdhsa_user_sgpr_dispatch_ptr 0
		.amdhsa_user_sgpr_queue_ptr 0
		.amdhsa_user_sgpr_kernarg_segment_ptr 1
		.amdhsa_user_sgpr_dispatch_id 0
		.amdhsa_user_sgpr_private_segment_size 0
		.amdhsa_wavefront_size32 1
		.amdhsa_uses_dynamic_stack 0
		.amdhsa_enable_private_segment 0
		.amdhsa_system_sgpr_workgroup_id_x 1
		.amdhsa_system_sgpr_workgroup_id_y 0
		.amdhsa_system_sgpr_workgroup_id_z 0
		.amdhsa_system_sgpr_workgroup_info 0
		.amdhsa_system_vgpr_workitem_id 0
		.amdhsa_next_free_vgpr 1
		.amdhsa_next_free_sgpr 1
		.amdhsa_reserve_vcc 0
		.amdhsa_float_round_mode_32 0
		.amdhsa_float_round_mode_16_64 0
		.amdhsa_float_denorm_mode_32 3
		.amdhsa_float_denorm_mode_16_64 3
		.amdhsa_dx10_clamp 1
		.amdhsa_ieee_mode 1
		.amdhsa_fp16_overflow 0
		.amdhsa_workgroup_processor_mode 1
		.amdhsa_memory_ordered 1
		.amdhsa_forward_progress 0
		.amdhsa_shared_vgpr_count 0
		.amdhsa_exception_fp_ieee_invalid_op 0
		.amdhsa_exception_fp_denorm_src 0
		.amdhsa_exception_fp_ieee_div_zero 0
		.amdhsa_exception_fp_ieee_overflow 0
		.amdhsa_exception_fp_ieee_underflow 0
		.amdhsa_exception_fp_ieee_inexact 0
		.amdhsa_exception_int_div_zero 0
	.end_amdhsa_kernel
	.section	.text._ZN7rocprim17ROCPRIM_400000_NS6detail17trampoline_kernelINS0_14default_configENS1_25partition_config_selectorILNS1_17partition_subalgoE5ElNS0_10empty_typeEbEEZZNS1_14partition_implILS5_5ELb0ES3_mN6hipcub16HIPCUB_304000_NS21CountingInputIteratorIllEEPS6_NSA_22TransformInputIteratorIbN2at6native12_GLOBAL__N_19NonZeroOpIN3c107complexIfEEEEPKSL_lEENS0_5tupleIJPlS6_EEENSQ_IJSD_SD_EEES6_PiJS6_EEE10hipError_tPvRmT3_T4_T5_T6_T7_T9_mT8_P12ihipStream_tbDpT10_ENKUlT_T0_E_clISt17integral_constantIbLb0EES1D_IbLb1EEEEDaS19_S1A_EUlS19_E_NS1_11comp_targetILNS1_3genE8ELNS1_11target_archE1030ELNS1_3gpuE2ELNS1_3repE0EEENS1_30default_config_static_selectorELNS0_4arch9wavefront6targetE0EEEvT1_,"axG",@progbits,_ZN7rocprim17ROCPRIM_400000_NS6detail17trampoline_kernelINS0_14default_configENS1_25partition_config_selectorILNS1_17partition_subalgoE5ElNS0_10empty_typeEbEEZZNS1_14partition_implILS5_5ELb0ES3_mN6hipcub16HIPCUB_304000_NS21CountingInputIteratorIllEEPS6_NSA_22TransformInputIteratorIbN2at6native12_GLOBAL__N_19NonZeroOpIN3c107complexIfEEEEPKSL_lEENS0_5tupleIJPlS6_EEENSQ_IJSD_SD_EEES6_PiJS6_EEE10hipError_tPvRmT3_T4_T5_T6_T7_T9_mT8_P12ihipStream_tbDpT10_ENKUlT_T0_E_clISt17integral_constantIbLb0EES1D_IbLb1EEEEDaS19_S1A_EUlS19_E_NS1_11comp_targetILNS1_3genE8ELNS1_11target_archE1030ELNS1_3gpuE2ELNS1_3repE0EEENS1_30default_config_static_selectorELNS0_4arch9wavefront6targetE0EEEvT1_,comdat
.Lfunc_end625:
	.size	_ZN7rocprim17ROCPRIM_400000_NS6detail17trampoline_kernelINS0_14default_configENS1_25partition_config_selectorILNS1_17partition_subalgoE5ElNS0_10empty_typeEbEEZZNS1_14partition_implILS5_5ELb0ES3_mN6hipcub16HIPCUB_304000_NS21CountingInputIteratorIllEEPS6_NSA_22TransformInputIteratorIbN2at6native12_GLOBAL__N_19NonZeroOpIN3c107complexIfEEEEPKSL_lEENS0_5tupleIJPlS6_EEENSQ_IJSD_SD_EEES6_PiJS6_EEE10hipError_tPvRmT3_T4_T5_T6_T7_T9_mT8_P12ihipStream_tbDpT10_ENKUlT_T0_E_clISt17integral_constantIbLb0EES1D_IbLb1EEEEDaS19_S1A_EUlS19_E_NS1_11comp_targetILNS1_3genE8ELNS1_11target_archE1030ELNS1_3gpuE2ELNS1_3repE0EEENS1_30default_config_static_selectorELNS0_4arch9wavefront6targetE0EEEvT1_, .Lfunc_end625-_ZN7rocprim17ROCPRIM_400000_NS6detail17trampoline_kernelINS0_14default_configENS1_25partition_config_selectorILNS1_17partition_subalgoE5ElNS0_10empty_typeEbEEZZNS1_14partition_implILS5_5ELb0ES3_mN6hipcub16HIPCUB_304000_NS21CountingInputIteratorIllEEPS6_NSA_22TransformInputIteratorIbN2at6native12_GLOBAL__N_19NonZeroOpIN3c107complexIfEEEEPKSL_lEENS0_5tupleIJPlS6_EEENSQ_IJSD_SD_EEES6_PiJS6_EEE10hipError_tPvRmT3_T4_T5_T6_T7_T9_mT8_P12ihipStream_tbDpT10_ENKUlT_T0_E_clISt17integral_constantIbLb0EES1D_IbLb1EEEEDaS19_S1A_EUlS19_E_NS1_11comp_targetILNS1_3genE8ELNS1_11target_archE1030ELNS1_3gpuE2ELNS1_3repE0EEENS1_30default_config_static_selectorELNS0_4arch9wavefront6targetE0EEEvT1_
                                        ; -- End function
	.section	.AMDGPU.csdata,"",@progbits
; Kernel info:
; codeLenInByte = 0
; NumSgprs: 0
; NumVgprs: 0
; ScratchSize: 0
; MemoryBound: 0
; FloatMode: 240
; IeeeMode: 1
; LDSByteSize: 0 bytes/workgroup (compile time only)
; SGPRBlocks: 0
; VGPRBlocks: 0
; NumSGPRsForWavesPerEU: 1
; NumVGPRsForWavesPerEU: 1
; Occupancy: 16
; WaveLimiterHint : 0
; COMPUTE_PGM_RSRC2:SCRATCH_EN: 0
; COMPUTE_PGM_RSRC2:USER_SGPR: 15
; COMPUTE_PGM_RSRC2:TRAP_HANDLER: 0
; COMPUTE_PGM_RSRC2:TGID_X_EN: 1
; COMPUTE_PGM_RSRC2:TGID_Y_EN: 0
; COMPUTE_PGM_RSRC2:TGID_Z_EN: 0
; COMPUTE_PGM_RSRC2:TIDIG_COMP_CNT: 0
	.section	.text._ZN7rocprim17ROCPRIM_400000_NS6detail17trampoline_kernelINS0_14default_configENS1_22reduce_config_selectorIiEEZNS1_11reduce_implILb1ES3_PiS7_iN6hipcub16HIPCUB_304000_NS6detail34convert_binary_result_type_wrapperINS9_3SumENS9_22TransformInputIteratorIbN2at6native12_GLOBAL__N_19NonZeroOpIN3c107complexINSI_4HalfEEEEEPKSL_lEEiEEEE10hipError_tPvRmT1_T2_T3_mT4_P12ihipStream_tbEUlT_E0_NS1_11comp_targetILNS1_3genE0ELNS1_11target_archE4294967295ELNS1_3gpuE0ELNS1_3repE0EEENS1_30default_config_static_selectorELNS0_4arch9wavefront6targetE0EEEvSU_,"axG",@progbits,_ZN7rocprim17ROCPRIM_400000_NS6detail17trampoline_kernelINS0_14default_configENS1_22reduce_config_selectorIiEEZNS1_11reduce_implILb1ES3_PiS7_iN6hipcub16HIPCUB_304000_NS6detail34convert_binary_result_type_wrapperINS9_3SumENS9_22TransformInputIteratorIbN2at6native12_GLOBAL__N_19NonZeroOpIN3c107complexINSI_4HalfEEEEEPKSL_lEEiEEEE10hipError_tPvRmT1_T2_T3_mT4_P12ihipStream_tbEUlT_E0_NS1_11comp_targetILNS1_3genE0ELNS1_11target_archE4294967295ELNS1_3gpuE0ELNS1_3repE0EEENS1_30default_config_static_selectorELNS0_4arch9wavefront6targetE0EEEvSU_,comdat
	.globl	_ZN7rocprim17ROCPRIM_400000_NS6detail17trampoline_kernelINS0_14default_configENS1_22reduce_config_selectorIiEEZNS1_11reduce_implILb1ES3_PiS7_iN6hipcub16HIPCUB_304000_NS6detail34convert_binary_result_type_wrapperINS9_3SumENS9_22TransformInputIteratorIbN2at6native12_GLOBAL__N_19NonZeroOpIN3c107complexINSI_4HalfEEEEEPKSL_lEEiEEEE10hipError_tPvRmT1_T2_T3_mT4_P12ihipStream_tbEUlT_E0_NS1_11comp_targetILNS1_3genE0ELNS1_11target_archE4294967295ELNS1_3gpuE0ELNS1_3repE0EEENS1_30default_config_static_selectorELNS0_4arch9wavefront6targetE0EEEvSU_ ; -- Begin function _ZN7rocprim17ROCPRIM_400000_NS6detail17trampoline_kernelINS0_14default_configENS1_22reduce_config_selectorIiEEZNS1_11reduce_implILb1ES3_PiS7_iN6hipcub16HIPCUB_304000_NS6detail34convert_binary_result_type_wrapperINS9_3SumENS9_22TransformInputIteratorIbN2at6native12_GLOBAL__N_19NonZeroOpIN3c107complexINSI_4HalfEEEEEPKSL_lEEiEEEE10hipError_tPvRmT1_T2_T3_mT4_P12ihipStream_tbEUlT_E0_NS1_11comp_targetILNS1_3genE0ELNS1_11target_archE4294967295ELNS1_3gpuE0ELNS1_3repE0EEENS1_30default_config_static_selectorELNS0_4arch9wavefront6targetE0EEEvSU_
	.p2align	8
	.type	_ZN7rocprim17ROCPRIM_400000_NS6detail17trampoline_kernelINS0_14default_configENS1_22reduce_config_selectorIiEEZNS1_11reduce_implILb1ES3_PiS7_iN6hipcub16HIPCUB_304000_NS6detail34convert_binary_result_type_wrapperINS9_3SumENS9_22TransformInputIteratorIbN2at6native12_GLOBAL__N_19NonZeroOpIN3c107complexINSI_4HalfEEEEEPKSL_lEEiEEEE10hipError_tPvRmT1_T2_T3_mT4_P12ihipStream_tbEUlT_E0_NS1_11comp_targetILNS1_3genE0ELNS1_11target_archE4294967295ELNS1_3gpuE0ELNS1_3repE0EEENS1_30default_config_static_selectorELNS0_4arch9wavefront6targetE0EEEvSU_,@function
_ZN7rocprim17ROCPRIM_400000_NS6detail17trampoline_kernelINS0_14default_configENS1_22reduce_config_selectorIiEEZNS1_11reduce_implILb1ES3_PiS7_iN6hipcub16HIPCUB_304000_NS6detail34convert_binary_result_type_wrapperINS9_3SumENS9_22TransformInputIteratorIbN2at6native12_GLOBAL__N_19NonZeroOpIN3c107complexINSI_4HalfEEEEEPKSL_lEEiEEEE10hipError_tPvRmT1_T2_T3_mT4_P12ihipStream_tbEUlT_E0_NS1_11comp_targetILNS1_3genE0ELNS1_11target_archE4294967295ELNS1_3gpuE0ELNS1_3repE0EEENS1_30default_config_static_selectorELNS0_4arch9wavefront6targetE0EEEvSU_: ; @_ZN7rocprim17ROCPRIM_400000_NS6detail17trampoline_kernelINS0_14default_configENS1_22reduce_config_selectorIiEEZNS1_11reduce_implILb1ES3_PiS7_iN6hipcub16HIPCUB_304000_NS6detail34convert_binary_result_type_wrapperINS9_3SumENS9_22TransformInputIteratorIbN2at6native12_GLOBAL__N_19NonZeroOpIN3c107complexINSI_4HalfEEEEEPKSL_lEEiEEEE10hipError_tPvRmT1_T2_T3_mT4_P12ihipStream_tbEUlT_E0_NS1_11comp_targetILNS1_3genE0ELNS1_11target_archE4294967295ELNS1_3gpuE0ELNS1_3repE0EEENS1_30default_config_static_selectorELNS0_4arch9wavefront6targetE0EEEvSU_
; %bb.0:
	.section	.rodata,"a",@progbits
	.p2align	6, 0x0
	.amdhsa_kernel _ZN7rocprim17ROCPRIM_400000_NS6detail17trampoline_kernelINS0_14default_configENS1_22reduce_config_selectorIiEEZNS1_11reduce_implILb1ES3_PiS7_iN6hipcub16HIPCUB_304000_NS6detail34convert_binary_result_type_wrapperINS9_3SumENS9_22TransformInputIteratorIbN2at6native12_GLOBAL__N_19NonZeroOpIN3c107complexINSI_4HalfEEEEEPKSL_lEEiEEEE10hipError_tPvRmT1_T2_T3_mT4_P12ihipStream_tbEUlT_E0_NS1_11comp_targetILNS1_3genE0ELNS1_11target_archE4294967295ELNS1_3gpuE0ELNS1_3repE0EEENS1_30default_config_static_selectorELNS0_4arch9wavefront6targetE0EEEvSU_
		.amdhsa_group_segment_fixed_size 0
		.amdhsa_private_segment_fixed_size 0
		.amdhsa_kernarg_size 56
		.amdhsa_user_sgpr_count 15
		.amdhsa_user_sgpr_dispatch_ptr 0
		.amdhsa_user_sgpr_queue_ptr 0
		.amdhsa_user_sgpr_kernarg_segment_ptr 1
		.amdhsa_user_sgpr_dispatch_id 0
		.amdhsa_user_sgpr_private_segment_size 0
		.amdhsa_wavefront_size32 1
		.amdhsa_uses_dynamic_stack 0
		.amdhsa_enable_private_segment 0
		.amdhsa_system_sgpr_workgroup_id_x 1
		.amdhsa_system_sgpr_workgroup_id_y 0
		.amdhsa_system_sgpr_workgroup_id_z 0
		.amdhsa_system_sgpr_workgroup_info 0
		.amdhsa_system_vgpr_workitem_id 0
		.amdhsa_next_free_vgpr 1
		.amdhsa_next_free_sgpr 1
		.amdhsa_reserve_vcc 0
		.amdhsa_float_round_mode_32 0
		.amdhsa_float_round_mode_16_64 0
		.amdhsa_float_denorm_mode_32 3
		.amdhsa_float_denorm_mode_16_64 3
		.amdhsa_dx10_clamp 1
		.amdhsa_ieee_mode 1
		.amdhsa_fp16_overflow 0
		.amdhsa_workgroup_processor_mode 1
		.amdhsa_memory_ordered 1
		.amdhsa_forward_progress 0
		.amdhsa_shared_vgpr_count 0
		.amdhsa_exception_fp_ieee_invalid_op 0
		.amdhsa_exception_fp_denorm_src 0
		.amdhsa_exception_fp_ieee_div_zero 0
		.amdhsa_exception_fp_ieee_overflow 0
		.amdhsa_exception_fp_ieee_underflow 0
		.amdhsa_exception_fp_ieee_inexact 0
		.amdhsa_exception_int_div_zero 0
	.end_amdhsa_kernel
	.section	.text._ZN7rocprim17ROCPRIM_400000_NS6detail17trampoline_kernelINS0_14default_configENS1_22reduce_config_selectorIiEEZNS1_11reduce_implILb1ES3_PiS7_iN6hipcub16HIPCUB_304000_NS6detail34convert_binary_result_type_wrapperINS9_3SumENS9_22TransformInputIteratorIbN2at6native12_GLOBAL__N_19NonZeroOpIN3c107complexINSI_4HalfEEEEEPKSL_lEEiEEEE10hipError_tPvRmT1_T2_T3_mT4_P12ihipStream_tbEUlT_E0_NS1_11comp_targetILNS1_3genE0ELNS1_11target_archE4294967295ELNS1_3gpuE0ELNS1_3repE0EEENS1_30default_config_static_selectorELNS0_4arch9wavefront6targetE0EEEvSU_,"axG",@progbits,_ZN7rocprim17ROCPRIM_400000_NS6detail17trampoline_kernelINS0_14default_configENS1_22reduce_config_selectorIiEEZNS1_11reduce_implILb1ES3_PiS7_iN6hipcub16HIPCUB_304000_NS6detail34convert_binary_result_type_wrapperINS9_3SumENS9_22TransformInputIteratorIbN2at6native12_GLOBAL__N_19NonZeroOpIN3c107complexINSI_4HalfEEEEEPKSL_lEEiEEEE10hipError_tPvRmT1_T2_T3_mT4_P12ihipStream_tbEUlT_E0_NS1_11comp_targetILNS1_3genE0ELNS1_11target_archE4294967295ELNS1_3gpuE0ELNS1_3repE0EEENS1_30default_config_static_selectorELNS0_4arch9wavefront6targetE0EEEvSU_,comdat
.Lfunc_end626:
	.size	_ZN7rocprim17ROCPRIM_400000_NS6detail17trampoline_kernelINS0_14default_configENS1_22reduce_config_selectorIiEEZNS1_11reduce_implILb1ES3_PiS7_iN6hipcub16HIPCUB_304000_NS6detail34convert_binary_result_type_wrapperINS9_3SumENS9_22TransformInputIteratorIbN2at6native12_GLOBAL__N_19NonZeroOpIN3c107complexINSI_4HalfEEEEEPKSL_lEEiEEEE10hipError_tPvRmT1_T2_T3_mT4_P12ihipStream_tbEUlT_E0_NS1_11comp_targetILNS1_3genE0ELNS1_11target_archE4294967295ELNS1_3gpuE0ELNS1_3repE0EEENS1_30default_config_static_selectorELNS0_4arch9wavefront6targetE0EEEvSU_, .Lfunc_end626-_ZN7rocprim17ROCPRIM_400000_NS6detail17trampoline_kernelINS0_14default_configENS1_22reduce_config_selectorIiEEZNS1_11reduce_implILb1ES3_PiS7_iN6hipcub16HIPCUB_304000_NS6detail34convert_binary_result_type_wrapperINS9_3SumENS9_22TransformInputIteratorIbN2at6native12_GLOBAL__N_19NonZeroOpIN3c107complexINSI_4HalfEEEEEPKSL_lEEiEEEE10hipError_tPvRmT1_T2_T3_mT4_P12ihipStream_tbEUlT_E0_NS1_11comp_targetILNS1_3genE0ELNS1_11target_archE4294967295ELNS1_3gpuE0ELNS1_3repE0EEENS1_30default_config_static_selectorELNS0_4arch9wavefront6targetE0EEEvSU_
                                        ; -- End function
	.section	.AMDGPU.csdata,"",@progbits
; Kernel info:
; codeLenInByte = 0
; NumSgprs: 0
; NumVgprs: 0
; ScratchSize: 0
; MemoryBound: 0
; FloatMode: 240
; IeeeMode: 1
; LDSByteSize: 0 bytes/workgroup (compile time only)
; SGPRBlocks: 0
; VGPRBlocks: 0
; NumSGPRsForWavesPerEU: 1
; NumVGPRsForWavesPerEU: 1
; Occupancy: 16
; WaveLimiterHint : 0
; COMPUTE_PGM_RSRC2:SCRATCH_EN: 0
; COMPUTE_PGM_RSRC2:USER_SGPR: 15
; COMPUTE_PGM_RSRC2:TRAP_HANDLER: 0
; COMPUTE_PGM_RSRC2:TGID_X_EN: 1
; COMPUTE_PGM_RSRC2:TGID_Y_EN: 0
; COMPUTE_PGM_RSRC2:TGID_Z_EN: 0
; COMPUTE_PGM_RSRC2:TIDIG_COMP_CNT: 0
	.section	.text._ZN7rocprim17ROCPRIM_400000_NS6detail17trampoline_kernelINS0_14default_configENS1_22reduce_config_selectorIiEEZNS1_11reduce_implILb1ES3_PiS7_iN6hipcub16HIPCUB_304000_NS6detail34convert_binary_result_type_wrapperINS9_3SumENS9_22TransformInputIteratorIbN2at6native12_GLOBAL__N_19NonZeroOpIN3c107complexINSI_4HalfEEEEEPKSL_lEEiEEEE10hipError_tPvRmT1_T2_T3_mT4_P12ihipStream_tbEUlT_E0_NS1_11comp_targetILNS1_3genE5ELNS1_11target_archE942ELNS1_3gpuE9ELNS1_3repE0EEENS1_30default_config_static_selectorELNS0_4arch9wavefront6targetE0EEEvSU_,"axG",@progbits,_ZN7rocprim17ROCPRIM_400000_NS6detail17trampoline_kernelINS0_14default_configENS1_22reduce_config_selectorIiEEZNS1_11reduce_implILb1ES3_PiS7_iN6hipcub16HIPCUB_304000_NS6detail34convert_binary_result_type_wrapperINS9_3SumENS9_22TransformInputIteratorIbN2at6native12_GLOBAL__N_19NonZeroOpIN3c107complexINSI_4HalfEEEEEPKSL_lEEiEEEE10hipError_tPvRmT1_T2_T3_mT4_P12ihipStream_tbEUlT_E0_NS1_11comp_targetILNS1_3genE5ELNS1_11target_archE942ELNS1_3gpuE9ELNS1_3repE0EEENS1_30default_config_static_selectorELNS0_4arch9wavefront6targetE0EEEvSU_,comdat
	.globl	_ZN7rocprim17ROCPRIM_400000_NS6detail17trampoline_kernelINS0_14default_configENS1_22reduce_config_selectorIiEEZNS1_11reduce_implILb1ES3_PiS7_iN6hipcub16HIPCUB_304000_NS6detail34convert_binary_result_type_wrapperINS9_3SumENS9_22TransformInputIteratorIbN2at6native12_GLOBAL__N_19NonZeroOpIN3c107complexINSI_4HalfEEEEEPKSL_lEEiEEEE10hipError_tPvRmT1_T2_T3_mT4_P12ihipStream_tbEUlT_E0_NS1_11comp_targetILNS1_3genE5ELNS1_11target_archE942ELNS1_3gpuE9ELNS1_3repE0EEENS1_30default_config_static_selectorELNS0_4arch9wavefront6targetE0EEEvSU_ ; -- Begin function _ZN7rocprim17ROCPRIM_400000_NS6detail17trampoline_kernelINS0_14default_configENS1_22reduce_config_selectorIiEEZNS1_11reduce_implILb1ES3_PiS7_iN6hipcub16HIPCUB_304000_NS6detail34convert_binary_result_type_wrapperINS9_3SumENS9_22TransformInputIteratorIbN2at6native12_GLOBAL__N_19NonZeroOpIN3c107complexINSI_4HalfEEEEEPKSL_lEEiEEEE10hipError_tPvRmT1_T2_T3_mT4_P12ihipStream_tbEUlT_E0_NS1_11comp_targetILNS1_3genE5ELNS1_11target_archE942ELNS1_3gpuE9ELNS1_3repE0EEENS1_30default_config_static_selectorELNS0_4arch9wavefront6targetE0EEEvSU_
	.p2align	8
	.type	_ZN7rocprim17ROCPRIM_400000_NS6detail17trampoline_kernelINS0_14default_configENS1_22reduce_config_selectorIiEEZNS1_11reduce_implILb1ES3_PiS7_iN6hipcub16HIPCUB_304000_NS6detail34convert_binary_result_type_wrapperINS9_3SumENS9_22TransformInputIteratorIbN2at6native12_GLOBAL__N_19NonZeroOpIN3c107complexINSI_4HalfEEEEEPKSL_lEEiEEEE10hipError_tPvRmT1_T2_T3_mT4_P12ihipStream_tbEUlT_E0_NS1_11comp_targetILNS1_3genE5ELNS1_11target_archE942ELNS1_3gpuE9ELNS1_3repE0EEENS1_30default_config_static_selectorELNS0_4arch9wavefront6targetE0EEEvSU_,@function
_ZN7rocprim17ROCPRIM_400000_NS6detail17trampoline_kernelINS0_14default_configENS1_22reduce_config_selectorIiEEZNS1_11reduce_implILb1ES3_PiS7_iN6hipcub16HIPCUB_304000_NS6detail34convert_binary_result_type_wrapperINS9_3SumENS9_22TransformInputIteratorIbN2at6native12_GLOBAL__N_19NonZeroOpIN3c107complexINSI_4HalfEEEEEPKSL_lEEiEEEE10hipError_tPvRmT1_T2_T3_mT4_P12ihipStream_tbEUlT_E0_NS1_11comp_targetILNS1_3genE5ELNS1_11target_archE942ELNS1_3gpuE9ELNS1_3repE0EEENS1_30default_config_static_selectorELNS0_4arch9wavefront6targetE0EEEvSU_: ; @_ZN7rocprim17ROCPRIM_400000_NS6detail17trampoline_kernelINS0_14default_configENS1_22reduce_config_selectorIiEEZNS1_11reduce_implILb1ES3_PiS7_iN6hipcub16HIPCUB_304000_NS6detail34convert_binary_result_type_wrapperINS9_3SumENS9_22TransformInputIteratorIbN2at6native12_GLOBAL__N_19NonZeroOpIN3c107complexINSI_4HalfEEEEEPKSL_lEEiEEEE10hipError_tPvRmT1_T2_T3_mT4_P12ihipStream_tbEUlT_E0_NS1_11comp_targetILNS1_3genE5ELNS1_11target_archE942ELNS1_3gpuE9ELNS1_3repE0EEENS1_30default_config_static_selectorELNS0_4arch9wavefront6targetE0EEEvSU_
; %bb.0:
	.section	.rodata,"a",@progbits
	.p2align	6, 0x0
	.amdhsa_kernel _ZN7rocprim17ROCPRIM_400000_NS6detail17trampoline_kernelINS0_14default_configENS1_22reduce_config_selectorIiEEZNS1_11reduce_implILb1ES3_PiS7_iN6hipcub16HIPCUB_304000_NS6detail34convert_binary_result_type_wrapperINS9_3SumENS9_22TransformInputIteratorIbN2at6native12_GLOBAL__N_19NonZeroOpIN3c107complexINSI_4HalfEEEEEPKSL_lEEiEEEE10hipError_tPvRmT1_T2_T3_mT4_P12ihipStream_tbEUlT_E0_NS1_11comp_targetILNS1_3genE5ELNS1_11target_archE942ELNS1_3gpuE9ELNS1_3repE0EEENS1_30default_config_static_selectorELNS0_4arch9wavefront6targetE0EEEvSU_
		.amdhsa_group_segment_fixed_size 0
		.amdhsa_private_segment_fixed_size 0
		.amdhsa_kernarg_size 56
		.amdhsa_user_sgpr_count 15
		.amdhsa_user_sgpr_dispatch_ptr 0
		.amdhsa_user_sgpr_queue_ptr 0
		.amdhsa_user_sgpr_kernarg_segment_ptr 1
		.amdhsa_user_sgpr_dispatch_id 0
		.amdhsa_user_sgpr_private_segment_size 0
		.amdhsa_wavefront_size32 1
		.amdhsa_uses_dynamic_stack 0
		.amdhsa_enable_private_segment 0
		.amdhsa_system_sgpr_workgroup_id_x 1
		.amdhsa_system_sgpr_workgroup_id_y 0
		.amdhsa_system_sgpr_workgroup_id_z 0
		.amdhsa_system_sgpr_workgroup_info 0
		.amdhsa_system_vgpr_workitem_id 0
		.amdhsa_next_free_vgpr 1
		.amdhsa_next_free_sgpr 1
		.amdhsa_reserve_vcc 0
		.amdhsa_float_round_mode_32 0
		.amdhsa_float_round_mode_16_64 0
		.amdhsa_float_denorm_mode_32 3
		.amdhsa_float_denorm_mode_16_64 3
		.amdhsa_dx10_clamp 1
		.amdhsa_ieee_mode 1
		.amdhsa_fp16_overflow 0
		.amdhsa_workgroup_processor_mode 1
		.amdhsa_memory_ordered 1
		.amdhsa_forward_progress 0
		.amdhsa_shared_vgpr_count 0
		.amdhsa_exception_fp_ieee_invalid_op 0
		.amdhsa_exception_fp_denorm_src 0
		.amdhsa_exception_fp_ieee_div_zero 0
		.amdhsa_exception_fp_ieee_overflow 0
		.amdhsa_exception_fp_ieee_underflow 0
		.amdhsa_exception_fp_ieee_inexact 0
		.amdhsa_exception_int_div_zero 0
	.end_amdhsa_kernel
	.section	.text._ZN7rocprim17ROCPRIM_400000_NS6detail17trampoline_kernelINS0_14default_configENS1_22reduce_config_selectorIiEEZNS1_11reduce_implILb1ES3_PiS7_iN6hipcub16HIPCUB_304000_NS6detail34convert_binary_result_type_wrapperINS9_3SumENS9_22TransformInputIteratorIbN2at6native12_GLOBAL__N_19NonZeroOpIN3c107complexINSI_4HalfEEEEEPKSL_lEEiEEEE10hipError_tPvRmT1_T2_T3_mT4_P12ihipStream_tbEUlT_E0_NS1_11comp_targetILNS1_3genE5ELNS1_11target_archE942ELNS1_3gpuE9ELNS1_3repE0EEENS1_30default_config_static_selectorELNS0_4arch9wavefront6targetE0EEEvSU_,"axG",@progbits,_ZN7rocprim17ROCPRIM_400000_NS6detail17trampoline_kernelINS0_14default_configENS1_22reduce_config_selectorIiEEZNS1_11reduce_implILb1ES3_PiS7_iN6hipcub16HIPCUB_304000_NS6detail34convert_binary_result_type_wrapperINS9_3SumENS9_22TransformInputIteratorIbN2at6native12_GLOBAL__N_19NonZeroOpIN3c107complexINSI_4HalfEEEEEPKSL_lEEiEEEE10hipError_tPvRmT1_T2_T3_mT4_P12ihipStream_tbEUlT_E0_NS1_11comp_targetILNS1_3genE5ELNS1_11target_archE942ELNS1_3gpuE9ELNS1_3repE0EEENS1_30default_config_static_selectorELNS0_4arch9wavefront6targetE0EEEvSU_,comdat
.Lfunc_end627:
	.size	_ZN7rocprim17ROCPRIM_400000_NS6detail17trampoline_kernelINS0_14default_configENS1_22reduce_config_selectorIiEEZNS1_11reduce_implILb1ES3_PiS7_iN6hipcub16HIPCUB_304000_NS6detail34convert_binary_result_type_wrapperINS9_3SumENS9_22TransformInputIteratorIbN2at6native12_GLOBAL__N_19NonZeroOpIN3c107complexINSI_4HalfEEEEEPKSL_lEEiEEEE10hipError_tPvRmT1_T2_T3_mT4_P12ihipStream_tbEUlT_E0_NS1_11comp_targetILNS1_3genE5ELNS1_11target_archE942ELNS1_3gpuE9ELNS1_3repE0EEENS1_30default_config_static_selectorELNS0_4arch9wavefront6targetE0EEEvSU_, .Lfunc_end627-_ZN7rocprim17ROCPRIM_400000_NS6detail17trampoline_kernelINS0_14default_configENS1_22reduce_config_selectorIiEEZNS1_11reduce_implILb1ES3_PiS7_iN6hipcub16HIPCUB_304000_NS6detail34convert_binary_result_type_wrapperINS9_3SumENS9_22TransformInputIteratorIbN2at6native12_GLOBAL__N_19NonZeroOpIN3c107complexINSI_4HalfEEEEEPKSL_lEEiEEEE10hipError_tPvRmT1_T2_T3_mT4_P12ihipStream_tbEUlT_E0_NS1_11comp_targetILNS1_3genE5ELNS1_11target_archE942ELNS1_3gpuE9ELNS1_3repE0EEENS1_30default_config_static_selectorELNS0_4arch9wavefront6targetE0EEEvSU_
                                        ; -- End function
	.section	.AMDGPU.csdata,"",@progbits
; Kernel info:
; codeLenInByte = 0
; NumSgprs: 0
; NumVgprs: 0
; ScratchSize: 0
; MemoryBound: 0
; FloatMode: 240
; IeeeMode: 1
; LDSByteSize: 0 bytes/workgroup (compile time only)
; SGPRBlocks: 0
; VGPRBlocks: 0
; NumSGPRsForWavesPerEU: 1
; NumVGPRsForWavesPerEU: 1
; Occupancy: 16
; WaveLimiterHint : 0
; COMPUTE_PGM_RSRC2:SCRATCH_EN: 0
; COMPUTE_PGM_RSRC2:USER_SGPR: 15
; COMPUTE_PGM_RSRC2:TRAP_HANDLER: 0
; COMPUTE_PGM_RSRC2:TGID_X_EN: 1
; COMPUTE_PGM_RSRC2:TGID_Y_EN: 0
; COMPUTE_PGM_RSRC2:TGID_Z_EN: 0
; COMPUTE_PGM_RSRC2:TIDIG_COMP_CNT: 0
	.section	.text._ZN7rocprim17ROCPRIM_400000_NS6detail17trampoline_kernelINS0_14default_configENS1_22reduce_config_selectorIiEEZNS1_11reduce_implILb1ES3_PiS7_iN6hipcub16HIPCUB_304000_NS6detail34convert_binary_result_type_wrapperINS9_3SumENS9_22TransformInputIteratorIbN2at6native12_GLOBAL__N_19NonZeroOpIN3c107complexINSI_4HalfEEEEEPKSL_lEEiEEEE10hipError_tPvRmT1_T2_T3_mT4_P12ihipStream_tbEUlT_E0_NS1_11comp_targetILNS1_3genE4ELNS1_11target_archE910ELNS1_3gpuE8ELNS1_3repE0EEENS1_30default_config_static_selectorELNS0_4arch9wavefront6targetE0EEEvSU_,"axG",@progbits,_ZN7rocprim17ROCPRIM_400000_NS6detail17trampoline_kernelINS0_14default_configENS1_22reduce_config_selectorIiEEZNS1_11reduce_implILb1ES3_PiS7_iN6hipcub16HIPCUB_304000_NS6detail34convert_binary_result_type_wrapperINS9_3SumENS9_22TransformInputIteratorIbN2at6native12_GLOBAL__N_19NonZeroOpIN3c107complexINSI_4HalfEEEEEPKSL_lEEiEEEE10hipError_tPvRmT1_T2_T3_mT4_P12ihipStream_tbEUlT_E0_NS1_11comp_targetILNS1_3genE4ELNS1_11target_archE910ELNS1_3gpuE8ELNS1_3repE0EEENS1_30default_config_static_selectorELNS0_4arch9wavefront6targetE0EEEvSU_,comdat
	.globl	_ZN7rocprim17ROCPRIM_400000_NS6detail17trampoline_kernelINS0_14default_configENS1_22reduce_config_selectorIiEEZNS1_11reduce_implILb1ES3_PiS7_iN6hipcub16HIPCUB_304000_NS6detail34convert_binary_result_type_wrapperINS9_3SumENS9_22TransformInputIteratorIbN2at6native12_GLOBAL__N_19NonZeroOpIN3c107complexINSI_4HalfEEEEEPKSL_lEEiEEEE10hipError_tPvRmT1_T2_T3_mT4_P12ihipStream_tbEUlT_E0_NS1_11comp_targetILNS1_3genE4ELNS1_11target_archE910ELNS1_3gpuE8ELNS1_3repE0EEENS1_30default_config_static_selectorELNS0_4arch9wavefront6targetE0EEEvSU_ ; -- Begin function _ZN7rocprim17ROCPRIM_400000_NS6detail17trampoline_kernelINS0_14default_configENS1_22reduce_config_selectorIiEEZNS1_11reduce_implILb1ES3_PiS7_iN6hipcub16HIPCUB_304000_NS6detail34convert_binary_result_type_wrapperINS9_3SumENS9_22TransformInputIteratorIbN2at6native12_GLOBAL__N_19NonZeroOpIN3c107complexINSI_4HalfEEEEEPKSL_lEEiEEEE10hipError_tPvRmT1_T2_T3_mT4_P12ihipStream_tbEUlT_E0_NS1_11comp_targetILNS1_3genE4ELNS1_11target_archE910ELNS1_3gpuE8ELNS1_3repE0EEENS1_30default_config_static_selectorELNS0_4arch9wavefront6targetE0EEEvSU_
	.p2align	8
	.type	_ZN7rocprim17ROCPRIM_400000_NS6detail17trampoline_kernelINS0_14default_configENS1_22reduce_config_selectorIiEEZNS1_11reduce_implILb1ES3_PiS7_iN6hipcub16HIPCUB_304000_NS6detail34convert_binary_result_type_wrapperINS9_3SumENS9_22TransformInputIteratorIbN2at6native12_GLOBAL__N_19NonZeroOpIN3c107complexINSI_4HalfEEEEEPKSL_lEEiEEEE10hipError_tPvRmT1_T2_T3_mT4_P12ihipStream_tbEUlT_E0_NS1_11comp_targetILNS1_3genE4ELNS1_11target_archE910ELNS1_3gpuE8ELNS1_3repE0EEENS1_30default_config_static_selectorELNS0_4arch9wavefront6targetE0EEEvSU_,@function
_ZN7rocprim17ROCPRIM_400000_NS6detail17trampoline_kernelINS0_14default_configENS1_22reduce_config_selectorIiEEZNS1_11reduce_implILb1ES3_PiS7_iN6hipcub16HIPCUB_304000_NS6detail34convert_binary_result_type_wrapperINS9_3SumENS9_22TransformInputIteratorIbN2at6native12_GLOBAL__N_19NonZeroOpIN3c107complexINSI_4HalfEEEEEPKSL_lEEiEEEE10hipError_tPvRmT1_T2_T3_mT4_P12ihipStream_tbEUlT_E0_NS1_11comp_targetILNS1_3genE4ELNS1_11target_archE910ELNS1_3gpuE8ELNS1_3repE0EEENS1_30default_config_static_selectorELNS0_4arch9wavefront6targetE0EEEvSU_: ; @_ZN7rocprim17ROCPRIM_400000_NS6detail17trampoline_kernelINS0_14default_configENS1_22reduce_config_selectorIiEEZNS1_11reduce_implILb1ES3_PiS7_iN6hipcub16HIPCUB_304000_NS6detail34convert_binary_result_type_wrapperINS9_3SumENS9_22TransformInputIteratorIbN2at6native12_GLOBAL__N_19NonZeroOpIN3c107complexINSI_4HalfEEEEEPKSL_lEEiEEEE10hipError_tPvRmT1_T2_T3_mT4_P12ihipStream_tbEUlT_E0_NS1_11comp_targetILNS1_3genE4ELNS1_11target_archE910ELNS1_3gpuE8ELNS1_3repE0EEENS1_30default_config_static_selectorELNS0_4arch9wavefront6targetE0EEEvSU_
; %bb.0:
	.section	.rodata,"a",@progbits
	.p2align	6, 0x0
	.amdhsa_kernel _ZN7rocprim17ROCPRIM_400000_NS6detail17trampoline_kernelINS0_14default_configENS1_22reduce_config_selectorIiEEZNS1_11reduce_implILb1ES3_PiS7_iN6hipcub16HIPCUB_304000_NS6detail34convert_binary_result_type_wrapperINS9_3SumENS9_22TransformInputIteratorIbN2at6native12_GLOBAL__N_19NonZeroOpIN3c107complexINSI_4HalfEEEEEPKSL_lEEiEEEE10hipError_tPvRmT1_T2_T3_mT4_P12ihipStream_tbEUlT_E0_NS1_11comp_targetILNS1_3genE4ELNS1_11target_archE910ELNS1_3gpuE8ELNS1_3repE0EEENS1_30default_config_static_selectorELNS0_4arch9wavefront6targetE0EEEvSU_
		.amdhsa_group_segment_fixed_size 0
		.amdhsa_private_segment_fixed_size 0
		.amdhsa_kernarg_size 56
		.amdhsa_user_sgpr_count 15
		.amdhsa_user_sgpr_dispatch_ptr 0
		.amdhsa_user_sgpr_queue_ptr 0
		.amdhsa_user_sgpr_kernarg_segment_ptr 1
		.amdhsa_user_sgpr_dispatch_id 0
		.amdhsa_user_sgpr_private_segment_size 0
		.amdhsa_wavefront_size32 1
		.amdhsa_uses_dynamic_stack 0
		.amdhsa_enable_private_segment 0
		.amdhsa_system_sgpr_workgroup_id_x 1
		.amdhsa_system_sgpr_workgroup_id_y 0
		.amdhsa_system_sgpr_workgroup_id_z 0
		.amdhsa_system_sgpr_workgroup_info 0
		.amdhsa_system_vgpr_workitem_id 0
		.amdhsa_next_free_vgpr 1
		.amdhsa_next_free_sgpr 1
		.amdhsa_reserve_vcc 0
		.amdhsa_float_round_mode_32 0
		.amdhsa_float_round_mode_16_64 0
		.amdhsa_float_denorm_mode_32 3
		.amdhsa_float_denorm_mode_16_64 3
		.amdhsa_dx10_clamp 1
		.amdhsa_ieee_mode 1
		.amdhsa_fp16_overflow 0
		.amdhsa_workgroup_processor_mode 1
		.amdhsa_memory_ordered 1
		.amdhsa_forward_progress 0
		.amdhsa_shared_vgpr_count 0
		.amdhsa_exception_fp_ieee_invalid_op 0
		.amdhsa_exception_fp_denorm_src 0
		.amdhsa_exception_fp_ieee_div_zero 0
		.amdhsa_exception_fp_ieee_overflow 0
		.amdhsa_exception_fp_ieee_underflow 0
		.amdhsa_exception_fp_ieee_inexact 0
		.amdhsa_exception_int_div_zero 0
	.end_amdhsa_kernel
	.section	.text._ZN7rocprim17ROCPRIM_400000_NS6detail17trampoline_kernelINS0_14default_configENS1_22reduce_config_selectorIiEEZNS1_11reduce_implILb1ES3_PiS7_iN6hipcub16HIPCUB_304000_NS6detail34convert_binary_result_type_wrapperINS9_3SumENS9_22TransformInputIteratorIbN2at6native12_GLOBAL__N_19NonZeroOpIN3c107complexINSI_4HalfEEEEEPKSL_lEEiEEEE10hipError_tPvRmT1_T2_T3_mT4_P12ihipStream_tbEUlT_E0_NS1_11comp_targetILNS1_3genE4ELNS1_11target_archE910ELNS1_3gpuE8ELNS1_3repE0EEENS1_30default_config_static_selectorELNS0_4arch9wavefront6targetE0EEEvSU_,"axG",@progbits,_ZN7rocprim17ROCPRIM_400000_NS6detail17trampoline_kernelINS0_14default_configENS1_22reduce_config_selectorIiEEZNS1_11reduce_implILb1ES3_PiS7_iN6hipcub16HIPCUB_304000_NS6detail34convert_binary_result_type_wrapperINS9_3SumENS9_22TransformInputIteratorIbN2at6native12_GLOBAL__N_19NonZeroOpIN3c107complexINSI_4HalfEEEEEPKSL_lEEiEEEE10hipError_tPvRmT1_T2_T3_mT4_P12ihipStream_tbEUlT_E0_NS1_11comp_targetILNS1_3genE4ELNS1_11target_archE910ELNS1_3gpuE8ELNS1_3repE0EEENS1_30default_config_static_selectorELNS0_4arch9wavefront6targetE0EEEvSU_,comdat
.Lfunc_end628:
	.size	_ZN7rocprim17ROCPRIM_400000_NS6detail17trampoline_kernelINS0_14default_configENS1_22reduce_config_selectorIiEEZNS1_11reduce_implILb1ES3_PiS7_iN6hipcub16HIPCUB_304000_NS6detail34convert_binary_result_type_wrapperINS9_3SumENS9_22TransformInputIteratorIbN2at6native12_GLOBAL__N_19NonZeroOpIN3c107complexINSI_4HalfEEEEEPKSL_lEEiEEEE10hipError_tPvRmT1_T2_T3_mT4_P12ihipStream_tbEUlT_E0_NS1_11comp_targetILNS1_3genE4ELNS1_11target_archE910ELNS1_3gpuE8ELNS1_3repE0EEENS1_30default_config_static_selectorELNS0_4arch9wavefront6targetE0EEEvSU_, .Lfunc_end628-_ZN7rocprim17ROCPRIM_400000_NS6detail17trampoline_kernelINS0_14default_configENS1_22reduce_config_selectorIiEEZNS1_11reduce_implILb1ES3_PiS7_iN6hipcub16HIPCUB_304000_NS6detail34convert_binary_result_type_wrapperINS9_3SumENS9_22TransformInputIteratorIbN2at6native12_GLOBAL__N_19NonZeroOpIN3c107complexINSI_4HalfEEEEEPKSL_lEEiEEEE10hipError_tPvRmT1_T2_T3_mT4_P12ihipStream_tbEUlT_E0_NS1_11comp_targetILNS1_3genE4ELNS1_11target_archE910ELNS1_3gpuE8ELNS1_3repE0EEENS1_30default_config_static_selectorELNS0_4arch9wavefront6targetE0EEEvSU_
                                        ; -- End function
	.section	.AMDGPU.csdata,"",@progbits
; Kernel info:
; codeLenInByte = 0
; NumSgprs: 0
; NumVgprs: 0
; ScratchSize: 0
; MemoryBound: 0
; FloatMode: 240
; IeeeMode: 1
; LDSByteSize: 0 bytes/workgroup (compile time only)
; SGPRBlocks: 0
; VGPRBlocks: 0
; NumSGPRsForWavesPerEU: 1
; NumVGPRsForWavesPerEU: 1
; Occupancy: 16
; WaveLimiterHint : 0
; COMPUTE_PGM_RSRC2:SCRATCH_EN: 0
; COMPUTE_PGM_RSRC2:USER_SGPR: 15
; COMPUTE_PGM_RSRC2:TRAP_HANDLER: 0
; COMPUTE_PGM_RSRC2:TGID_X_EN: 1
; COMPUTE_PGM_RSRC2:TGID_Y_EN: 0
; COMPUTE_PGM_RSRC2:TGID_Z_EN: 0
; COMPUTE_PGM_RSRC2:TIDIG_COMP_CNT: 0
	.section	.text._ZN7rocprim17ROCPRIM_400000_NS6detail17trampoline_kernelINS0_14default_configENS1_22reduce_config_selectorIiEEZNS1_11reduce_implILb1ES3_PiS7_iN6hipcub16HIPCUB_304000_NS6detail34convert_binary_result_type_wrapperINS9_3SumENS9_22TransformInputIteratorIbN2at6native12_GLOBAL__N_19NonZeroOpIN3c107complexINSI_4HalfEEEEEPKSL_lEEiEEEE10hipError_tPvRmT1_T2_T3_mT4_P12ihipStream_tbEUlT_E0_NS1_11comp_targetILNS1_3genE3ELNS1_11target_archE908ELNS1_3gpuE7ELNS1_3repE0EEENS1_30default_config_static_selectorELNS0_4arch9wavefront6targetE0EEEvSU_,"axG",@progbits,_ZN7rocprim17ROCPRIM_400000_NS6detail17trampoline_kernelINS0_14default_configENS1_22reduce_config_selectorIiEEZNS1_11reduce_implILb1ES3_PiS7_iN6hipcub16HIPCUB_304000_NS6detail34convert_binary_result_type_wrapperINS9_3SumENS9_22TransformInputIteratorIbN2at6native12_GLOBAL__N_19NonZeroOpIN3c107complexINSI_4HalfEEEEEPKSL_lEEiEEEE10hipError_tPvRmT1_T2_T3_mT4_P12ihipStream_tbEUlT_E0_NS1_11comp_targetILNS1_3genE3ELNS1_11target_archE908ELNS1_3gpuE7ELNS1_3repE0EEENS1_30default_config_static_selectorELNS0_4arch9wavefront6targetE0EEEvSU_,comdat
	.globl	_ZN7rocprim17ROCPRIM_400000_NS6detail17trampoline_kernelINS0_14default_configENS1_22reduce_config_selectorIiEEZNS1_11reduce_implILb1ES3_PiS7_iN6hipcub16HIPCUB_304000_NS6detail34convert_binary_result_type_wrapperINS9_3SumENS9_22TransformInputIteratorIbN2at6native12_GLOBAL__N_19NonZeroOpIN3c107complexINSI_4HalfEEEEEPKSL_lEEiEEEE10hipError_tPvRmT1_T2_T3_mT4_P12ihipStream_tbEUlT_E0_NS1_11comp_targetILNS1_3genE3ELNS1_11target_archE908ELNS1_3gpuE7ELNS1_3repE0EEENS1_30default_config_static_selectorELNS0_4arch9wavefront6targetE0EEEvSU_ ; -- Begin function _ZN7rocprim17ROCPRIM_400000_NS6detail17trampoline_kernelINS0_14default_configENS1_22reduce_config_selectorIiEEZNS1_11reduce_implILb1ES3_PiS7_iN6hipcub16HIPCUB_304000_NS6detail34convert_binary_result_type_wrapperINS9_3SumENS9_22TransformInputIteratorIbN2at6native12_GLOBAL__N_19NonZeroOpIN3c107complexINSI_4HalfEEEEEPKSL_lEEiEEEE10hipError_tPvRmT1_T2_T3_mT4_P12ihipStream_tbEUlT_E0_NS1_11comp_targetILNS1_3genE3ELNS1_11target_archE908ELNS1_3gpuE7ELNS1_3repE0EEENS1_30default_config_static_selectorELNS0_4arch9wavefront6targetE0EEEvSU_
	.p2align	8
	.type	_ZN7rocprim17ROCPRIM_400000_NS6detail17trampoline_kernelINS0_14default_configENS1_22reduce_config_selectorIiEEZNS1_11reduce_implILb1ES3_PiS7_iN6hipcub16HIPCUB_304000_NS6detail34convert_binary_result_type_wrapperINS9_3SumENS9_22TransformInputIteratorIbN2at6native12_GLOBAL__N_19NonZeroOpIN3c107complexINSI_4HalfEEEEEPKSL_lEEiEEEE10hipError_tPvRmT1_T2_T3_mT4_P12ihipStream_tbEUlT_E0_NS1_11comp_targetILNS1_3genE3ELNS1_11target_archE908ELNS1_3gpuE7ELNS1_3repE0EEENS1_30default_config_static_selectorELNS0_4arch9wavefront6targetE0EEEvSU_,@function
_ZN7rocprim17ROCPRIM_400000_NS6detail17trampoline_kernelINS0_14default_configENS1_22reduce_config_selectorIiEEZNS1_11reduce_implILb1ES3_PiS7_iN6hipcub16HIPCUB_304000_NS6detail34convert_binary_result_type_wrapperINS9_3SumENS9_22TransformInputIteratorIbN2at6native12_GLOBAL__N_19NonZeroOpIN3c107complexINSI_4HalfEEEEEPKSL_lEEiEEEE10hipError_tPvRmT1_T2_T3_mT4_P12ihipStream_tbEUlT_E0_NS1_11comp_targetILNS1_3genE3ELNS1_11target_archE908ELNS1_3gpuE7ELNS1_3repE0EEENS1_30default_config_static_selectorELNS0_4arch9wavefront6targetE0EEEvSU_: ; @_ZN7rocprim17ROCPRIM_400000_NS6detail17trampoline_kernelINS0_14default_configENS1_22reduce_config_selectorIiEEZNS1_11reduce_implILb1ES3_PiS7_iN6hipcub16HIPCUB_304000_NS6detail34convert_binary_result_type_wrapperINS9_3SumENS9_22TransformInputIteratorIbN2at6native12_GLOBAL__N_19NonZeroOpIN3c107complexINSI_4HalfEEEEEPKSL_lEEiEEEE10hipError_tPvRmT1_T2_T3_mT4_P12ihipStream_tbEUlT_E0_NS1_11comp_targetILNS1_3genE3ELNS1_11target_archE908ELNS1_3gpuE7ELNS1_3repE0EEENS1_30default_config_static_selectorELNS0_4arch9wavefront6targetE0EEEvSU_
; %bb.0:
	.section	.rodata,"a",@progbits
	.p2align	6, 0x0
	.amdhsa_kernel _ZN7rocprim17ROCPRIM_400000_NS6detail17trampoline_kernelINS0_14default_configENS1_22reduce_config_selectorIiEEZNS1_11reduce_implILb1ES3_PiS7_iN6hipcub16HIPCUB_304000_NS6detail34convert_binary_result_type_wrapperINS9_3SumENS9_22TransformInputIteratorIbN2at6native12_GLOBAL__N_19NonZeroOpIN3c107complexINSI_4HalfEEEEEPKSL_lEEiEEEE10hipError_tPvRmT1_T2_T3_mT4_P12ihipStream_tbEUlT_E0_NS1_11comp_targetILNS1_3genE3ELNS1_11target_archE908ELNS1_3gpuE7ELNS1_3repE0EEENS1_30default_config_static_selectorELNS0_4arch9wavefront6targetE0EEEvSU_
		.amdhsa_group_segment_fixed_size 0
		.amdhsa_private_segment_fixed_size 0
		.amdhsa_kernarg_size 56
		.amdhsa_user_sgpr_count 15
		.amdhsa_user_sgpr_dispatch_ptr 0
		.amdhsa_user_sgpr_queue_ptr 0
		.amdhsa_user_sgpr_kernarg_segment_ptr 1
		.amdhsa_user_sgpr_dispatch_id 0
		.amdhsa_user_sgpr_private_segment_size 0
		.amdhsa_wavefront_size32 1
		.amdhsa_uses_dynamic_stack 0
		.amdhsa_enable_private_segment 0
		.amdhsa_system_sgpr_workgroup_id_x 1
		.amdhsa_system_sgpr_workgroup_id_y 0
		.amdhsa_system_sgpr_workgroup_id_z 0
		.amdhsa_system_sgpr_workgroup_info 0
		.amdhsa_system_vgpr_workitem_id 0
		.amdhsa_next_free_vgpr 1
		.amdhsa_next_free_sgpr 1
		.amdhsa_reserve_vcc 0
		.amdhsa_float_round_mode_32 0
		.amdhsa_float_round_mode_16_64 0
		.amdhsa_float_denorm_mode_32 3
		.amdhsa_float_denorm_mode_16_64 3
		.amdhsa_dx10_clamp 1
		.amdhsa_ieee_mode 1
		.amdhsa_fp16_overflow 0
		.amdhsa_workgroup_processor_mode 1
		.amdhsa_memory_ordered 1
		.amdhsa_forward_progress 0
		.amdhsa_shared_vgpr_count 0
		.amdhsa_exception_fp_ieee_invalid_op 0
		.amdhsa_exception_fp_denorm_src 0
		.amdhsa_exception_fp_ieee_div_zero 0
		.amdhsa_exception_fp_ieee_overflow 0
		.amdhsa_exception_fp_ieee_underflow 0
		.amdhsa_exception_fp_ieee_inexact 0
		.amdhsa_exception_int_div_zero 0
	.end_amdhsa_kernel
	.section	.text._ZN7rocprim17ROCPRIM_400000_NS6detail17trampoline_kernelINS0_14default_configENS1_22reduce_config_selectorIiEEZNS1_11reduce_implILb1ES3_PiS7_iN6hipcub16HIPCUB_304000_NS6detail34convert_binary_result_type_wrapperINS9_3SumENS9_22TransformInputIteratorIbN2at6native12_GLOBAL__N_19NonZeroOpIN3c107complexINSI_4HalfEEEEEPKSL_lEEiEEEE10hipError_tPvRmT1_T2_T3_mT4_P12ihipStream_tbEUlT_E0_NS1_11comp_targetILNS1_3genE3ELNS1_11target_archE908ELNS1_3gpuE7ELNS1_3repE0EEENS1_30default_config_static_selectorELNS0_4arch9wavefront6targetE0EEEvSU_,"axG",@progbits,_ZN7rocprim17ROCPRIM_400000_NS6detail17trampoline_kernelINS0_14default_configENS1_22reduce_config_selectorIiEEZNS1_11reduce_implILb1ES3_PiS7_iN6hipcub16HIPCUB_304000_NS6detail34convert_binary_result_type_wrapperINS9_3SumENS9_22TransformInputIteratorIbN2at6native12_GLOBAL__N_19NonZeroOpIN3c107complexINSI_4HalfEEEEEPKSL_lEEiEEEE10hipError_tPvRmT1_T2_T3_mT4_P12ihipStream_tbEUlT_E0_NS1_11comp_targetILNS1_3genE3ELNS1_11target_archE908ELNS1_3gpuE7ELNS1_3repE0EEENS1_30default_config_static_selectorELNS0_4arch9wavefront6targetE0EEEvSU_,comdat
.Lfunc_end629:
	.size	_ZN7rocprim17ROCPRIM_400000_NS6detail17trampoline_kernelINS0_14default_configENS1_22reduce_config_selectorIiEEZNS1_11reduce_implILb1ES3_PiS7_iN6hipcub16HIPCUB_304000_NS6detail34convert_binary_result_type_wrapperINS9_3SumENS9_22TransformInputIteratorIbN2at6native12_GLOBAL__N_19NonZeroOpIN3c107complexINSI_4HalfEEEEEPKSL_lEEiEEEE10hipError_tPvRmT1_T2_T3_mT4_P12ihipStream_tbEUlT_E0_NS1_11comp_targetILNS1_3genE3ELNS1_11target_archE908ELNS1_3gpuE7ELNS1_3repE0EEENS1_30default_config_static_selectorELNS0_4arch9wavefront6targetE0EEEvSU_, .Lfunc_end629-_ZN7rocprim17ROCPRIM_400000_NS6detail17trampoline_kernelINS0_14default_configENS1_22reduce_config_selectorIiEEZNS1_11reduce_implILb1ES3_PiS7_iN6hipcub16HIPCUB_304000_NS6detail34convert_binary_result_type_wrapperINS9_3SumENS9_22TransformInputIteratorIbN2at6native12_GLOBAL__N_19NonZeroOpIN3c107complexINSI_4HalfEEEEEPKSL_lEEiEEEE10hipError_tPvRmT1_T2_T3_mT4_P12ihipStream_tbEUlT_E0_NS1_11comp_targetILNS1_3genE3ELNS1_11target_archE908ELNS1_3gpuE7ELNS1_3repE0EEENS1_30default_config_static_selectorELNS0_4arch9wavefront6targetE0EEEvSU_
                                        ; -- End function
	.section	.AMDGPU.csdata,"",@progbits
; Kernel info:
; codeLenInByte = 0
; NumSgprs: 0
; NumVgprs: 0
; ScratchSize: 0
; MemoryBound: 0
; FloatMode: 240
; IeeeMode: 1
; LDSByteSize: 0 bytes/workgroup (compile time only)
; SGPRBlocks: 0
; VGPRBlocks: 0
; NumSGPRsForWavesPerEU: 1
; NumVGPRsForWavesPerEU: 1
; Occupancy: 16
; WaveLimiterHint : 0
; COMPUTE_PGM_RSRC2:SCRATCH_EN: 0
; COMPUTE_PGM_RSRC2:USER_SGPR: 15
; COMPUTE_PGM_RSRC2:TRAP_HANDLER: 0
; COMPUTE_PGM_RSRC2:TGID_X_EN: 1
; COMPUTE_PGM_RSRC2:TGID_Y_EN: 0
; COMPUTE_PGM_RSRC2:TGID_Z_EN: 0
; COMPUTE_PGM_RSRC2:TIDIG_COMP_CNT: 0
	.section	.text._ZN7rocprim17ROCPRIM_400000_NS6detail17trampoline_kernelINS0_14default_configENS1_22reduce_config_selectorIiEEZNS1_11reduce_implILb1ES3_PiS7_iN6hipcub16HIPCUB_304000_NS6detail34convert_binary_result_type_wrapperINS9_3SumENS9_22TransformInputIteratorIbN2at6native12_GLOBAL__N_19NonZeroOpIN3c107complexINSI_4HalfEEEEEPKSL_lEEiEEEE10hipError_tPvRmT1_T2_T3_mT4_P12ihipStream_tbEUlT_E0_NS1_11comp_targetILNS1_3genE2ELNS1_11target_archE906ELNS1_3gpuE6ELNS1_3repE0EEENS1_30default_config_static_selectorELNS0_4arch9wavefront6targetE0EEEvSU_,"axG",@progbits,_ZN7rocprim17ROCPRIM_400000_NS6detail17trampoline_kernelINS0_14default_configENS1_22reduce_config_selectorIiEEZNS1_11reduce_implILb1ES3_PiS7_iN6hipcub16HIPCUB_304000_NS6detail34convert_binary_result_type_wrapperINS9_3SumENS9_22TransformInputIteratorIbN2at6native12_GLOBAL__N_19NonZeroOpIN3c107complexINSI_4HalfEEEEEPKSL_lEEiEEEE10hipError_tPvRmT1_T2_T3_mT4_P12ihipStream_tbEUlT_E0_NS1_11comp_targetILNS1_3genE2ELNS1_11target_archE906ELNS1_3gpuE6ELNS1_3repE0EEENS1_30default_config_static_selectorELNS0_4arch9wavefront6targetE0EEEvSU_,comdat
	.globl	_ZN7rocprim17ROCPRIM_400000_NS6detail17trampoline_kernelINS0_14default_configENS1_22reduce_config_selectorIiEEZNS1_11reduce_implILb1ES3_PiS7_iN6hipcub16HIPCUB_304000_NS6detail34convert_binary_result_type_wrapperINS9_3SumENS9_22TransformInputIteratorIbN2at6native12_GLOBAL__N_19NonZeroOpIN3c107complexINSI_4HalfEEEEEPKSL_lEEiEEEE10hipError_tPvRmT1_T2_T3_mT4_P12ihipStream_tbEUlT_E0_NS1_11comp_targetILNS1_3genE2ELNS1_11target_archE906ELNS1_3gpuE6ELNS1_3repE0EEENS1_30default_config_static_selectorELNS0_4arch9wavefront6targetE0EEEvSU_ ; -- Begin function _ZN7rocprim17ROCPRIM_400000_NS6detail17trampoline_kernelINS0_14default_configENS1_22reduce_config_selectorIiEEZNS1_11reduce_implILb1ES3_PiS7_iN6hipcub16HIPCUB_304000_NS6detail34convert_binary_result_type_wrapperINS9_3SumENS9_22TransformInputIteratorIbN2at6native12_GLOBAL__N_19NonZeroOpIN3c107complexINSI_4HalfEEEEEPKSL_lEEiEEEE10hipError_tPvRmT1_T2_T3_mT4_P12ihipStream_tbEUlT_E0_NS1_11comp_targetILNS1_3genE2ELNS1_11target_archE906ELNS1_3gpuE6ELNS1_3repE0EEENS1_30default_config_static_selectorELNS0_4arch9wavefront6targetE0EEEvSU_
	.p2align	8
	.type	_ZN7rocprim17ROCPRIM_400000_NS6detail17trampoline_kernelINS0_14default_configENS1_22reduce_config_selectorIiEEZNS1_11reduce_implILb1ES3_PiS7_iN6hipcub16HIPCUB_304000_NS6detail34convert_binary_result_type_wrapperINS9_3SumENS9_22TransformInputIteratorIbN2at6native12_GLOBAL__N_19NonZeroOpIN3c107complexINSI_4HalfEEEEEPKSL_lEEiEEEE10hipError_tPvRmT1_T2_T3_mT4_P12ihipStream_tbEUlT_E0_NS1_11comp_targetILNS1_3genE2ELNS1_11target_archE906ELNS1_3gpuE6ELNS1_3repE0EEENS1_30default_config_static_selectorELNS0_4arch9wavefront6targetE0EEEvSU_,@function
_ZN7rocprim17ROCPRIM_400000_NS6detail17trampoline_kernelINS0_14default_configENS1_22reduce_config_selectorIiEEZNS1_11reduce_implILb1ES3_PiS7_iN6hipcub16HIPCUB_304000_NS6detail34convert_binary_result_type_wrapperINS9_3SumENS9_22TransformInputIteratorIbN2at6native12_GLOBAL__N_19NonZeroOpIN3c107complexINSI_4HalfEEEEEPKSL_lEEiEEEE10hipError_tPvRmT1_T2_T3_mT4_P12ihipStream_tbEUlT_E0_NS1_11comp_targetILNS1_3genE2ELNS1_11target_archE906ELNS1_3gpuE6ELNS1_3repE0EEENS1_30default_config_static_selectorELNS0_4arch9wavefront6targetE0EEEvSU_: ; @_ZN7rocprim17ROCPRIM_400000_NS6detail17trampoline_kernelINS0_14default_configENS1_22reduce_config_selectorIiEEZNS1_11reduce_implILb1ES3_PiS7_iN6hipcub16HIPCUB_304000_NS6detail34convert_binary_result_type_wrapperINS9_3SumENS9_22TransformInputIteratorIbN2at6native12_GLOBAL__N_19NonZeroOpIN3c107complexINSI_4HalfEEEEEPKSL_lEEiEEEE10hipError_tPvRmT1_T2_T3_mT4_P12ihipStream_tbEUlT_E0_NS1_11comp_targetILNS1_3genE2ELNS1_11target_archE906ELNS1_3gpuE6ELNS1_3repE0EEENS1_30default_config_static_selectorELNS0_4arch9wavefront6targetE0EEEvSU_
; %bb.0:
	.section	.rodata,"a",@progbits
	.p2align	6, 0x0
	.amdhsa_kernel _ZN7rocprim17ROCPRIM_400000_NS6detail17trampoline_kernelINS0_14default_configENS1_22reduce_config_selectorIiEEZNS1_11reduce_implILb1ES3_PiS7_iN6hipcub16HIPCUB_304000_NS6detail34convert_binary_result_type_wrapperINS9_3SumENS9_22TransformInputIteratorIbN2at6native12_GLOBAL__N_19NonZeroOpIN3c107complexINSI_4HalfEEEEEPKSL_lEEiEEEE10hipError_tPvRmT1_T2_T3_mT4_P12ihipStream_tbEUlT_E0_NS1_11comp_targetILNS1_3genE2ELNS1_11target_archE906ELNS1_3gpuE6ELNS1_3repE0EEENS1_30default_config_static_selectorELNS0_4arch9wavefront6targetE0EEEvSU_
		.amdhsa_group_segment_fixed_size 0
		.amdhsa_private_segment_fixed_size 0
		.amdhsa_kernarg_size 56
		.amdhsa_user_sgpr_count 15
		.amdhsa_user_sgpr_dispatch_ptr 0
		.amdhsa_user_sgpr_queue_ptr 0
		.amdhsa_user_sgpr_kernarg_segment_ptr 1
		.amdhsa_user_sgpr_dispatch_id 0
		.amdhsa_user_sgpr_private_segment_size 0
		.amdhsa_wavefront_size32 1
		.amdhsa_uses_dynamic_stack 0
		.amdhsa_enable_private_segment 0
		.amdhsa_system_sgpr_workgroup_id_x 1
		.amdhsa_system_sgpr_workgroup_id_y 0
		.amdhsa_system_sgpr_workgroup_id_z 0
		.amdhsa_system_sgpr_workgroup_info 0
		.amdhsa_system_vgpr_workitem_id 0
		.amdhsa_next_free_vgpr 1
		.amdhsa_next_free_sgpr 1
		.amdhsa_reserve_vcc 0
		.amdhsa_float_round_mode_32 0
		.amdhsa_float_round_mode_16_64 0
		.amdhsa_float_denorm_mode_32 3
		.amdhsa_float_denorm_mode_16_64 3
		.amdhsa_dx10_clamp 1
		.amdhsa_ieee_mode 1
		.amdhsa_fp16_overflow 0
		.amdhsa_workgroup_processor_mode 1
		.amdhsa_memory_ordered 1
		.amdhsa_forward_progress 0
		.amdhsa_shared_vgpr_count 0
		.amdhsa_exception_fp_ieee_invalid_op 0
		.amdhsa_exception_fp_denorm_src 0
		.amdhsa_exception_fp_ieee_div_zero 0
		.amdhsa_exception_fp_ieee_overflow 0
		.amdhsa_exception_fp_ieee_underflow 0
		.amdhsa_exception_fp_ieee_inexact 0
		.amdhsa_exception_int_div_zero 0
	.end_amdhsa_kernel
	.section	.text._ZN7rocprim17ROCPRIM_400000_NS6detail17trampoline_kernelINS0_14default_configENS1_22reduce_config_selectorIiEEZNS1_11reduce_implILb1ES3_PiS7_iN6hipcub16HIPCUB_304000_NS6detail34convert_binary_result_type_wrapperINS9_3SumENS9_22TransformInputIteratorIbN2at6native12_GLOBAL__N_19NonZeroOpIN3c107complexINSI_4HalfEEEEEPKSL_lEEiEEEE10hipError_tPvRmT1_T2_T3_mT4_P12ihipStream_tbEUlT_E0_NS1_11comp_targetILNS1_3genE2ELNS1_11target_archE906ELNS1_3gpuE6ELNS1_3repE0EEENS1_30default_config_static_selectorELNS0_4arch9wavefront6targetE0EEEvSU_,"axG",@progbits,_ZN7rocprim17ROCPRIM_400000_NS6detail17trampoline_kernelINS0_14default_configENS1_22reduce_config_selectorIiEEZNS1_11reduce_implILb1ES3_PiS7_iN6hipcub16HIPCUB_304000_NS6detail34convert_binary_result_type_wrapperINS9_3SumENS9_22TransformInputIteratorIbN2at6native12_GLOBAL__N_19NonZeroOpIN3c107complexINSI_4HalfEEEEEPKSL_lEEiEEEE10hipError_tPvRmT1_T2_T3_mT4_P12ihipStream_tbEUlT_E0_NS1_11comp_targetILNS1_3genE2ELNS1_11target_archE906ELNS1_3gpuE6ELNS1_3repE0EEENS1_30default_config_static_selectorELNS0_4arch9wavefront6targetE0EEEvSU_,comdat
.Lfunc_end630:
	.size	_ZN7rocprim17ROCPRIM_400000_NS6detail17trampoline_kernelINS0_14default_configENS1_22reduce_config_selectorIiEEZNS1_11reduce_implILb1ES3_PiS7_iN6hipcub16HIPCUB_304000_NS6detail34convert_binary_result_type_wrapperINS9_3SumENS9_22TransformInputIteratorIbN2at6native12_GLOBAL__N_19NonZeroOpIN3c107complexINSI_4HalfEEEEEPKSL_lEEiEEEE10hipError_tPvRmT1_T2_T3_mT4_P12ihipStream_tbEUlT_E0_NS1_11comp_targetILNS1_3genE2ELNS1_11target_archE906ELNS1_3gpuE6ELNS1_3repE0EEENS1_30default_config_static_selectorELNS0_4arch9wavefront6targetE0EEEvSU_, .Lfunc_end630-_ZN7rocprim17ROCPRIM_400000_NS6detail17trampoline_kernelINS0_14default_configENS1_22reduce_config_selectorIiEEZNS1_11reduce_implILb1ES3_PiS7_iN6hipcub16HIPCUB_304000_NS6detail34convert_binary_result_type_wrapperINS9_3SumENS9_22TransformInputIteratorIbN2at6native12_GLOBAL__N_19NonZeroOpIN3c107complexINSI_4HalfEEEEEPKSL_lEEiEEEE10hipError_tPvRmT1_T2_T3_mT4_P12ihipStream_tbEUlT_E0_NS1_11comp_targetILNS1_3genE2ELNS1_11target_archE906ELNS1_3gpuE6ELNS1_3repE0EEENS1_30default_config_static_selectorELNS0_4arch9wavefront6targetE0EEEvSU_
                                        ; -- End function
	.section	.AMDGPU.csdata,"",@progbits
; Kernel info:
; codeLenInByte = 0
; NumSgprs: 0
; NumVgprs: 0
; ScratchSize: 0
; MemoryBound: 0
; FloatMode: 240
; IeeeMode: 1
; LDSByteSize: 0 bytes/workgroup (compile time only)
; SGPRBlocks: 0
; VGPRBlocks: 0
; NumSGPRsForWavesPerEU: 1
; NumVGPRsForWavesPerEU: 1
; Occupancy: 16
; WaveLimiterHint : 0
; COMPUTE_PGM_RSRC2:SCRATCH_EN: 0
; COMPUTE_PGM_RSRC2:USER_SGPR: 15
; COMPUTE_PGM_RSRC2:TRAP_HANDLER: 0
; COMPUTE_PGM_RSRC2:TGID_X_EN: 1
; COMPUTE_PGM_RSRC2:TGID_Y_EN: 0
; COMPUTE_PGM_RSRC2:TGID_Z_EN: 0
; COMPUTE_PGM_RSRC2:TIDIG_COMP_CNT: 0
	.section	.text._ZN7rocprim17ROCPRIM_400000_NS6detail17trampoline_kernelINS0_14default_configENS1_22reduce_config_selectorIiEEZNS1_11reduce_implILb1ES3_PiS7_iN6hipcub16HIPCUB_304000_NS6detail34convert_binary_result_type_wrapperINS9_3SumENS9_22TransformInputIteratorIbN2at6native12_GLOBAL__N_19NonZeroOpIN3c107complexINSI_4HalfEEEEEPKSL_lEEiEEEE10hipError_tPvRmT1_T2_T3_mT4_P12ihipStream_tbEUlT_E0_NS1_11comp_targetILNS1_3genE10ELNS1_11target_archE1201ELNS1_3gpuE5ELNS1_3repE0EEENS1_30default_config_static_selectorELNS0_4arch9wavefront6targetE0EEEvSU_,"axG",@progbits,_ZN7rocprim17ROCPRIM_400000_NS6detail17trampoline_kernelINS0_14default_configENS1_22reduce_config_selectorIiEEZNS1_11reduce_implILb1ES3_PiS7_iN6hipcub16HIPCUB_304000_NS6detail34convert_binary_result_type_wrapperINS9_3SumENS9_22TransformInputIteratorIbN2at6native12_GLOBAL__N_19NonZeroOpIN3c107complexINSI_4HalfEEEEEPKSL_lEEiEEEE10hipError_tPvRmT1_T2_T3_mT4_P12ihipStream_tbEUlT_E0_NS1_11comp_targetILNS1_3genE10ELNS1_11target_archE1201ELNS1_3gpuE5ELNS1_3repE0EEENS1_30default_config_static_selectorELNS0_4arch9wavefront6targetE0EEEvSU_,comdat
	.globl	_ZN7rocprim17ROCPRIM_400000_NS6detail17trampoline_kernelINS0_14default_configENS1_22reduce_config_selectorIiEEZNS1_11reduce_implILb1ES3_PiS7_iN6hipcub16HIPCUB_304000_NS6detail34convert_binary_result_type_wrapperINS9_3SumENS9_22TransformInputIteratorIbN2at6native12_GLOBAL__N_19NonZeroOpIN3c107complexINSI_4HalfEEEEEPKSL_lEEiEEEE10hipError_tPvRmT1_T2_T3_mT4_P12ihipStream_tbEUlT_E0_NS1_11comp_targetILNS1_3genE10ELNS1_11target_archE1201ELNS1_3gpuE5ELNS1_3repE0EEENS1_30default_config_static_selectorELNS0_4arch9wavefront6targetE0EEEvSU_ ; -- Begin function _ZN7rocprim17ROCPRIM_400000_NS6detail17trampoline_kernelINS0_14default_configENS1_22reduce_config_selectorIiEEZNS1_11reduce_implILb1ES3_PiS7_iN6hipcub16HIPCUB_304000_NS6detail34convert_binary_result_type_wrapperINS9_3SumENS9_22TransformInputIteratorIbN2at6native12_GLOBAL__N_19NonZeroOpIN3c107complexINSI_4HalfEEEEEPKSL_lEEiEEEE10hipError_tPvRmT1_T2_T3_mT4_P12ihipStream_tbEUlT_E0_NS1_11comp_targetILNS1_3genE10ELNS1_11target_archE1201ELNS1_3gpuE5ELNS1_3repE0EEENS1_30default_config_static_selectorELNS0_4arch9wavefront6targetE0EEEvSU_
	.p2align	8
	.type	_ZN7rocprim17ROCPRIM_400000_NS6detail17trampoline_kernelINS0_14default_configENS1_22reduce_config_selectorIiEEZNS1_11reduce_implILb1ES3_PiS7_iN6hipcub16HIPCUB_304000_NS6detail34convert_binary_result_type_wrapperINS9_3SumENS9_22TransformInputIteratorIbN2at6native12_GLOBAL__N_19NonZeroOpIN3c107complexINSI_4HalfEEEEEPKSL_lEEiEEEE10hipError_tPvRmT1_T2_T3_mT4_P12ihipStream_tbEUlT_E0_NS1_11comp_targetILNS1_3genE10ELNS1_11target_archE1201ELNS1_3gpuE5ELNS1_3repE0EEENS1_30default_config_static_selectorELNS0_4arch9wavefront6targetE0EEEvSU_,@function
_ZN7rocprim17ROCPRIM_400000_NS6detail17trampoline_kernelINS0_14default_configENS1_22reduce_config_selectorIiEEZNS1_11reduce_implILb1ES3_PiS7_iN6hipcub16HIPCUB_304000_NS6detail34convert_binary_result_type_wrapperINS9_3SumENS9_22TransformInputIteratorIbN2at6native12_GLOBAL__N_19NonZeroOpIN3c107complexINSI_4HalfEEEEEPKSL_lEEiEEEE10hipError_tPvRmT1_T2_T3_mT4_P12ihipStream_tbEUlT_E0_NS1_11comp_targetILNS1_3genE10ELNS1_11target_archE1201ELNS1_3gpuE5ELNS1_3repE0EEENS1_30default_config_static_selectorELNS0_4arch9wavefront6targetE0EEEvSU_: ; @_ZN7rocprim17ROCPRIM_400000_NS6detail17trampoline_kernelINS0_14default_configENS1_22reduce_config_selectorIiEEZNS1_11reduce_implILb1ES3_PiS7_iN6hipcub16HIPCUB_304000_NS6detail34convert_binary_result_type_wrapperINS9_3SumENS9_22TransformInputIteratorIbN2at6native12_GLOBAL__N_19NonZeroOpIN3c107complexINSI_4HalfEEEEEPKSL_lEEiEEEE10hipError_tPvRmT1_T2_T3_mT4_P12ihipStream_tbEUlT_E0_NS1_11comp_targetILNS1_3genE10ELNS1_11target_archE1201ELNS1_3gpuE5ELNS1_3repE0EEENS1_30default_config_static_selectorELNS0_4arch9wavefront6targetE0EEEvSU_
; %bb.0:
	.section	.rodata,"a",@progbits
	.p2align	6, 0x0
	.amdhsa_kernel _ZN7rocprim17ROCPRIM_400000_NS6detail17trampoline_kernelINS0_14default_configENS1_22reduce_config_selectorIiEEZNS1_11reduce_implILb1ES3_PiS7_iN6hipcub16HIPCUB_304000_NS6detail34convert_binary_result_type_wrapperINS9_3SumENS9_22TransformInputIteratorIbN2at6native12_GLOBAL__N_19NonZeroOpIN3c107complexINSI_4HalfEEEEEPKSL_lEEiEEEE10hipError_tPvRmT1_T2_T3_mT4_P12ihipStream_tbEUlT_E0_NS1_11comp_targetILNS1_3genE10ELNS1_11target_archE1201ELNS1_3gpuE5ELNS1_3repE0EEENS1_30default_config_static_selectorELNS0_4arch9wavefront6targetE0EEEvSU_
		.amdhsa_group_segment_fixed_size 0
		.amdhsa_private_segment_fixed_size 0
		.amdhsa_kernarg_size 56
		.amdhsa_user_sgpr_count 15
		.amdhsa_user_sgpr_dispatch_ptr 0
		.amdhsa_user_sgpr_queue_ptr 0
		.amdhsa_user_sgpr_kernarg_segment_ptr 1
		.amdhsa_user_sgpr_dispatch_id 0
		.amdhsa_user_sgpr_private_segment_size 0
		.amdhsa_wavefront_size32 1
		.amdhsa_uses_dynamic_stack 0
		.amdhsa_enable_private_segment 0
		.amdhsa_system_sgpr_workgroup_id_x 1
		.amdhsa_system_sgpr_workgroup_id_y 0
		.amdhsa_system_sgpr_workgroup_id_z 0
		.amdhsa_system_sgpr_workgroup_info 0
		.amdhsa_system_vgpr_workitem_id 0
		.amdhsa_next_free_vgpr 1
		.amdhsa_next_free_sgpr 1
		.amdhsa_reserve_vcc 0
		.amdhsa_float_round_mode_32 0
		.amdhsa_float_round_mode_16_64 0
		.amdhsa_float_denorm_mode_32 3
		.amdhsa_float_denorm_mode_16_64 3
		.amdhsa_dx10_clamp 1
		.amdhsa_ieee_mode 1
		.amdhsa_fp16_overflow 0
		.amdhsa_workgroup_processor_mode 1
		.amdhsa_memory_ordered 1
		.amdhsa_forward_progress 0
		.amdhsa_shared_vgpr_count 0
		.amdhsa_exception_fp_ieee_invalid_op 0
		.amdhsa_exception_fp_denorm_src 0
		.amdhsa_exception_fp_ieee_div_zero 0
		.amdhsa_exception_fp_ieee_overflow 0
		.amdhsa_exception_fp_ieee_underflow 0
		.amdhsa_exception_fp_ieee_inexact 0
		.amdhsa_exception_int_div_zero 0
	.end_amdhsa_kernel
	.section	.text._ZN7rocprim17ROCPRIM_400000_NS6detail17trampoline_kernelINS0_14default_configENS1_22reduce_config_selectorIiEEZNS1_11reduce_implILb1ES3_PiS7_iN6hipcub16HIPCUB_304000_NS6detail34convert_binary_result_type_wrapperINS9_3SumENS9_22TransformInputIteratorIbN2at6native12_GLOBAL__N_19NonZeroOpIN3c107complexINSI_4HalfEEEEEPKSL_lEEiEEEE10hipError_tPvRmT1_T2_T3_mT4_P12ihipStream_tbEUlT_E0_NS1_11comp_targetILNS1_3genE10ELNS1_11target_archE1201ELNS1_3gpuE5ELNS1_3repE0EEENS1_30default_config_static_selectorELNS0_4arch9wavefront6targetE0EEEvSU_,"axG",@progbits,_ZN7rocprim17ROCPRIM_400000_NS6detail17trampoline_kernelINS0_14default_configENS1_22reduce_config_selectorIiEEZNS1_11reduce_implILb1ES3_PiS7_iN6hipcub16HIPCUB_304000_NS6detail34convert_binary_result_type_wrapperINS9_3SumENS9_22TransformInputIteratorIbN2at6native12_GLOBAL__N_19NonZeroOpIN3c107complexINSI_4HalfEEEEEPKSL_lEEiEEEE10hipError_tPvRmT1_T2_T3_mT4_P12ihipStream_tbEUlT_E0_NS1_11comp_targetILNS1_3genE10ELNS1_11target_archE1201ELNS1_3gpuE5ELNS1_3repE0EEENS1_30default_config_static_selectorELNS0_4arch9wavefront6targetE0EEEvSU_,comdat
.Lfunc_end631:
	.size	_ZN7rocprim17ROCPRIM_400000_NS6detail17trampoline_kernelINS0_14default_configENS1_22reduce_config_selectorIiEEZNS1_11reduce_implILb1ES3_PiS7_iN6hipcub16HIPCUB_304000_NS6detail34convert_binary_result_type_wrapperINS9_3SumENS9_22TransformInputIteratorIbN2at6native12_GLOBAL__N_19NonZeroOpIN3c107complexINSI_4HalfEEEEEPKSL_lEEiEEEE10hipError_tPvRmT1_T2_T3_mT4_P12ihipStream_tbEUlT_E0_NS1_11comp_targetILNS1_3genE10ELNS1_11target_archE1201ELNS1_3gpuE5ELNS1_3repE0EEENS1_30default_config_static_selectorELNS0_4arch9wavefront6targetE0EEEvSU_, .Lfunc_end631-_ZN7rocprim17ROCPRIM_400000_NS6detail17trampoline_kernelINS0_14default_configENS1_22reduce_config_selectorIiEEZNS1_11reduce_implILb1ES3_PiS7_iN6hipcub16HIPCUB_304000_NS6detail34convert_binary_result_type_wrapperINS9_3SumENS9_22TransformInputIteratorIbN2at6native12_GLOBAL__N_19NonZeroOpIN3c107complexINSI_4HalfEEEEEPKSL_lEEiEEEE10hipError_tPvRmT1_T2_T3_mT4_P12ihipStream_tbEUlT_E0_NS1_11comp_targetILNS1_3genE10ELNS1_11target_archE1201ELNS1_3gpuE5ELNS1_3repE0EEENS1_30default_config_static_selectorELNS0_4arch9wavefront6targetE0EEEvSU_
                                        ; -- End function
	.section	.AMDGPU.csdata,"",@progbits
; Kernel info:
; codeLenInByte = 0
; NumSgprs: 0
; NumVgprs: 0
; ScratchSize: 0
; MemoryBound: 0
; FloatMode: 240
; IeeeMode: 1
; LDSByteSize: 0 bytes/workgroup (compile time only)
; SGPRBlocks: 0
; VGPRBlocks: 0
; NumSGPRsForWavesPerEU: 1
; NumVGPRsForWavesPerEU: 1
; Occupancy: 16
; WaveLimiterHint : 0
; COMPUTE_PGM_RSRC2:SCRATCH_EN: 0
; COMPUTE_PGM_RSRC2:USER_SGPR: 15
; COMPUTE_PGM_RSRC2:TRAP_HANDLER: 0
; COMPUTE_PGM_RSRC2:TGID_X_EN: 1
; COMPUTE_PGM_RSRC2:TGID_Y_EN: 0
; COMPUTE_PGM_RSRC2:TGID_Z_EN: 0
; COMPUTE_PGM_RSRC2:TIDIG_COMP_CNT: 0
	.section	.text._ZN7rocprim17ROCPRIM_400000_NS6detail17trampoline_kernelINS0_14default_configENS1_22reduce_config_selectorIiEEZNS1_11reduce_implILb1ES3_PiS7_iN6hipcub16HIPCUB_304000_NS6detail34convert_binary_result_type_wrapperINS9_3SumENS9_22TransformInputIteratorIbN2at6native12_GLOBAL__N_19NonZeroOpIN3c107complexINSI_4HalfEEEEEPKSL_lEEiEEEE10hipError_tPvRmT1_T2_T3_mT4_P12ihipStream_tbEUlT_E0_NS1_11comp_targetILNS1_3genE10ELNS1_11target_archE1200ELNS1_3gpuE4ELNS1_3repE0EEENS1_30default_config_static_selectorELNS0_4arch9wavefront6targetE0EEEvSU_,"axG",@progbits,_ZN7rocprim17ROCPRIM_400000_NS6detail17trampoline_kernelINS0_14default_configENS1_22reduce_config_selectorIiEEZNS1_11reduce_implILb1ES3_PiS7_iN6hipcub16HIPCUB_304000_NS6detail34convert_binary_result_type_wrapperINS9_3SumENS9_22TransformInputIteratorIbN2at6native12_GLOBAL__N_19NonZeroOpIN3c107complexINSI_4HalfEEEEEPKSL_lEEiEEEE10hipError_tPvRmT1_T2_T3_mT4_P12ihipStream_tbEUlT_E0_NS1_11comp_targetILNS1_3genE10ELNS1_11target_archE1200ELNS1_3gpuE4ELNS1_3repE0EEENS1_30default_config_static_selectorELNS0_4arch9wavefront6targetE0EEEvSU_,comdat
	.globl	_ZN7rocprim17ROCPRIM_400000_NS6detail17trampoline_kernelINS0_14default_configENS1_22reduce_config_selectorIiEEZNS1_11reduce_implILb1ES3_PiS7_iN6hipcub16HIPCUB_304000_NS6detail34convert_binary_result_type_wrapperINS9_3SumENS9_22TransformInputIteratorIbN2at6native12_GLOBAL__N_19NonZeroOpIN3c107complexINSI_4HalfEEEEEPKSL_lEEiEEEE10hipError_tPvRmT1_T2_T3_mT4_P12ihipStream_tbEUlT_E0_NS1_11comp_targetILNS1_3genE10ELNS1_11target_archE1200ELNS1_3gpuE4ELNS1_3repE0EEENS1_30default_config_static_selectorELNS0_4arch9wavefront6targetE0EEEvSU_ ; -- Begin function _ZN7rocprim17ROCPRIM_400000_NS6detail17trampoline_kernelINS0_14default_configENS1_22reduce_config_selectorIiEEZNS1_11reduce_implILb1ES3_PiS7_iN6hipcub16HIPCUB_304000_NS6detail34convert_binary_result_type_wrapperINS9_3SumENS9_22TransformInputIteratorIbN2at6native12_GLOBAL__N_19NonZeroOpIN3c107complexINSI_4HalfEEEEEPKSL_lEEiEEEE10hipError_tPvRmT1_T2_T3_mT4_P12ihipStream_tbEUlT_E0_NS1_11comp_targetILNS1_3genE10ELNS1_11target_archE1200ELNS1_3gpuE4ELNS1_3repE0EEENS1_30default_config_static_selectorELNS0_4arch9wavefront6targetE0EEEvSU_
	.p2align	8
	.type	_ZN7rocprim17ROCPRIM_400000_NS6detail17trampoline_kernelINS0_14default_configENS1_22reduce_config_selectorIiEEZNS1_11reduce_implILb1ES3_PiS7_iN6hipcub16HIPCUB_304000_NS6detail34convert_binary_result_type_wrapperINS9_3SumENS9_22TransformInputIteratorIbN2at6native12_GLOBAL__N_19NonZeroOpIN3c107complexINSI_4HalfEEEEEPKSL_lEEiEEEE10hipError_tPvRmT1_T2_T3_mT4_P12ihipStream_tbEUlT_E0_NS1_11comp_targetILNS1_3genE10ELNS1_11target_archE1200ELNS1_3gpuE4ELNS1_3repE0EEENS1_30default_config_static_selectorELNS0_4arch9wavefront6targetE0EEEvSU_,@function
_ZN7rocprim17ROCPRIM_400000_NS6detail17trampoline_kernelINS0_14default_configENS1_22reduce_config_selectorIiEEZNS1_11reduce_implILb1ES3_PiS7_iN6hipcub16HIPCUB_304000_NS6detail34convert_binary_result_type_wrapperINS9_3SumENS9_22TransformInputIteratorIbN2at6native12_GLOBAL__N_19NonZeroOpIN3c107complexINSI_4HalfEEEEEPKSL_lEEiEEEE10hipError_tPvRmT1_T2_T3_mT4_P12ihipStream_tbEUlT_E0_NS1_11comp_targetILNS1_3genE10ELNS1_11target_archE1200ELNS1_3gpuE4ELNS1_3repE0EEENS1_30default_config_static_selectorELNS0_4arch9wavefront6targetE0EEEvSU_: ; @_ZN7rocprim17ROCPRIM_400000_NS6detail17trampoline_kernelINS0_14default_configENS1_22reduce_config_selectorIiEEZNS1_11reduce_implILb1ES3_PiS7_iN6hipcub16HIPCUB_304000_NS6detail34convert_binary_result_type_wrapperINS9_3SumENS9_22TransformInputIteratorIbN2at6native12_GLOBAL__N_19NonZeroOpIN3c107complexINSI_4HalfEEEEEPKSL_lEEiEEEE10hipError_tPvRmT1_T2_T3_mT4_P12ihipStream_tbEUlT_E0_NS1_11comp_targetILNS1_3genE10ELNS1_11target_archE1200ELNS1_3gpuE4ELNS1_3repE0EEENS1_30default_config_static_selectorELNS0_4arch9wavefront6targetE0EEEvSU_
; %bb.0:
	.section	.rodata,"a",@progbits
	.p2align	6, 0x0
	.amdhsa_kernel _ZN7rocprim17ROCPRIM_400000_NS6detail17trampoline_kernelINS0_14default_configENS1_22reduce_config_selectorIiEEZNS1_11reduce_implILb1ES3_PiS7_iN6hipcub16HIPCUB_304000_NS6detail34convert_binary_result_type_wrapperINS9_3SumENS9_22TransformInputIteratorIbN2at6native12_GLOBAL__N_19NonZeroOpIN3c107complexINSI_4HalfEEEEEPKSL_lEEiEEEE10hipError_tPvRmT1_T2_T3_mT4_P12ihipStream_tbEUlT_E0_NS1_11comp_targetILNS1_3genE10ELNS1_11target_archE1200ELNS1_3gpuE4ELNS1_3repE0EEENS1_30default_config_static_selectorELNS0_4arch9wavefront6targetE0EEEvSU_
		.amdhsa_group_segment_fixed_size 0
		.amdhsa_private_segment_fixed_size 0
		.amdhsa_kernarg_size 56
		.amdhsa_user_sgpr_count 15
		.amdhsa_user_sgpr_dispatch_ptr 0
		.amdhsa_user_sgpr_queue_ptr 0
		.amdhsa_user_sgpr_kernarg_segment_ptr 1
		.amdhsa_user_sgpr_dispatch_id 0
		.amdhsa_user_sgpr_private_segment_size 0
		.amdhsa_wavefront_size32 1
		.amdhsa_uses_dynamic_stack 0
		.amdhsa_enable_private_segment 0
		.amdhsa_system_sgpr_workgroup_id_x 1
		.amdhsa_system_sgpr_workgroup_id_y 0
		.amdhsa_system_sgpr_workgroup_id_z 0
		.amdhsa_system_sgpr_workgroup_info 0
		.amdhsa_system_vgpr_workitem_id 0
		.amdhsa_next_free_vgpr 1
		.amdhsa_next_free_sgpr 1
		.amdhsa_reserve_vcc 0
		.amdhsa_float_round_mode_32 0
		.amdhsa_float_round_mode_16_64 0
		.amdhsa_float_denorm_mode_32 3
		.amdhsa_float_denorm_mode_16_64 3
		.amdhsa_dx10_clamp 1
		.amdhsa_ieee_mode 1
		.amdhsa_fp16_overflow 0
		.amdhsa_workgroup_processor_mode 1
		.amdhsa_memory_ordered 1
		.amdhsa_forward_progress 0
		.amdhsa_shared_vgpr_count 0
		.amdhsa_exception_fp_ieee_invalid_op 0
		.amdhsa_exception_fp_denorm_src 0
		.amdhsa_exception_fp_ieee_div_zero 0
		.amdhsa_exception_fp_ieee_overflow 0
		.amdhsa_exception_fp_ieee_underflow 0
		.amdhsa_exception_fp_ieee_inexact 0
		.amdhsa_exception_int_div_zero 0
	.end_amdhsa_kernel
	.section	.text._ZN7rocprim17ROCPRIM_400000_NS6detail17trampoline_kernelINS0_14default_configENS1_22reduce_config_selectorIiEEZNS1_11reduce_implILb1ES3_PiS7_iN6hipcub16HIPCUB_304000_NS6detail34convert_binary_result_type_wrapperINS9_3SumENS9_22TransformInputIteratorIbN2at6native12_GLOBAL__N_19NonZeroOpIN3c107complexINSI_4HalfEEEEEPKSL_lEEiEEEE10hipError_tPvRmT1_T2_T3_mT4_P12ihipStream_tbEUlT_E0_NS1_11comp_targetILNS1_3genE10ELNS1_11target_archE1200ELNS1_3gpuE4ELNS1_3repE0EEENS1_30default_config_static_selectorELNS0_4arch9wavefront6targetE0EEEvSU_,"axG",@progbits,_ZN7rocprim17ROCPRIM_400000_NS6detail17trampoline_kernelINS0_14default_configENS1_22reduce_config_selectorIiEEZNS1_11reduce_implILb1ES3_PiS7_iN6hipcub16HIPCUB_304000_NS6detail34convert_binary_result_type_wrapperINS9_3SumENS9_22TransformInputIteratorIbN2at6native12_GLOBAL__N_19NonZeroOpIN3c107complexINSI_4HalfEEEEEPKSL_lEEiEEEE10hipError_tPvRmT1_T2_T3_mT4_P12ihipStream_tbEUlT_E0_NS1_11comp_targetILNS1_3genE10ELNS1_11target_archE1200ELNS1_3gpuE4ELNS1_3repE0EEENS1_30default_config_static_selectorELNS0_4arch9wavefront6targetE0EEEvSU_,comdat
.Lfunc_end632:
	.size	_ZN7rocprim17ROCPRIM_400000_NS6detail17trampoline_kernelINS0_14default_configENS1_22reduce_config_selectorIiEEZNS1_11reduce_implILb1ES3_PiS7_iN6hipcub16HIPCUB_304000_NS6detail34convert_binary_result_type_wrapperINS9_3SumENS9_22TransformInputIteratorIbN2at6native12_GLOBAL__N_19NonZeroOpIN3c107complexINSI_4HalfEEEEEPKSL_lEEiEEEE10hipError_tPvRmT1_T2_T3_mT4_P12ihipStream_tbEUlT_E0_NS1_11comp_targetILNS1_3genE10ELNS1_11target_archE1200ELNS1_3gpuE4ELNS1_3repE0EEENS1_30default_config_static_selectorELNS0_4arch9wavefront6targetE0EEEvSU_, .Lfunc_end632-_ZN7rocprim17ROCPRIM_400000_NS6detail17trampoline_kernelINS0_14default_configENS1_22reduce_config_selectorIiEEZNS1_11reduce_implILb1ES3_PiS7_iN6hipcub16HIPCUB_304000_NS6detail34convert_binary_result_type_wrapperINS9_3SumENS9_22TransformInputIteratorIbN2at6native12_GLOBAL__N_19NonZeroOpIN3c107complexINSI_4HalfEEEEEPKSL_lEEiEEEE10hipError_tPvRmT1_T2_T3_mT4_P12ihipStream_tbEUlT_E0_NS1_11comp_targetILNS1_3genE10ELNS1_11target_archE1200ELNS1_3gpuE4ELNS1_3repE0EEENS1_30default_config_static_selectorELNS0_4arch9wavefront6targetE0EEEvSU_
                                        ; -- End function
	.section	.AMDGPU.csdata,"",@progbits
; Kernel info:
; codeLenInByte = 0
; NumSgprs: 0
; NumVgprs: 0
; ScratchSize: 0
; MemoryBound: 0
; FloatMode: 240
; IeeeMode: 1
; LDSByteSize: 0 bytes/workgroup (compile time only)
; SGPRBlocks: 0
; VGPRBlocks: 0
; NumSGPRsForWavesPerEU: 1
; NumVGPRsForWavesPerEU: 1
; Occupancy: 16
; WaveLimiterHint : 0
; COMPUTE_PGM_RSRC2:SCRATCH_EN: 0
; COMPUTE_PGM_RSRC2:USER_SGPR: 15
; COMPUTE_PGM_RSRC2:TRAP_HANDLER: 0
; COMPUTE_PGM_RSRC2:TGID_X_EN: 1
; COMPUTE_PGM_RSRC2:TGID_Y_EN: 0
; COMPUTE_PGM_RSRC2:TGID_Z_EN: 0
; COMPUTE_PGM_RSRC2:TIDIG_COMP_CNT: 0
	.section	.text._ZN7rocprim17ROCPRIM_400000_NS6detail17trampoline_kernelINS0_14default_configENS1_22reduce_config_selectorIiEEZNS1_11reduce_implILb1ES3_PiS7_iN6hipcub16HIPCUB_304000_NS6detail34convert_binary_result_type_wrapperINS9_3SumENS9_22TransformInputIteratorIbN2at6native12_GLOBAL__N_19NonZeroOpIN3c107complexINSI_4HalfEEEEEPKSL_lEEiEEEE10hipError_tPvRmT1_T2_T3_mT4_P12ihipStream_tbEUlT_E0_NS1_11comp_targetILNS1_3genE9ELNS1_11target_archE1100ELNS1_3gpuE3ELNS1_3repE0EEENS1_30default_config_static_selectorELNS0_4arch9wavefront6targetE0EEEvSU_,"axG",@progbits,_ZN7rocprim17ROCPRIM_400000_NS6detail17trampoline_kernelINS0_14default_configENS1_22reduce_config_selectorIiEEZNS1_11reduce_implILb1ES3_PiS7_iN6hipcub16HIPCUB_304000_NS6detail34convert_binary_result_type_wrapperINS9_3SumENS9_22TransformInputIteratorIbN2at6native12_GLOBAL__N_19NonZeroOpIN3c107complexINSI_4HalfEEEEEPKSL_lEEiEEEE10hipError_tPvRmT1_T2_T3_mT4_P12ihipStream_tbEUlT_E0_NS1_11comp_targetILNS1_3genE9ELNS1_11target_archE1100ELNS1_3gpuE3ELNS1_3repE0EEENS1_30default_config_static_selectorELNS0_4arch9wavefront6targetE0EEEvSU_,comdat
	.globl	_ZN7rocprim17ROCPRIM_400000_NS6detail17trampoline_kernelINS0_14default_configENS1_22reduce_config_selectorIiEEZNS1_11reduce_implILb1ES3_PiS7_iN6hipcub16HIPCUB_304000_NS6detail34convert_binary_result_type_wrapperINS9_3SumENS9_22TransformInputIteratorIbN2at6native12_GLOBAL__N_19NonZeroOpIN3c107complexINSI_4HalfEEEEEPKSL_lEEiEEEE10hipError_tPvRmT1_T2_T3_mT4_P12ihipStream_tbEUlT_E0_NS1_11comp_targetILNS1_3genE9ELNS1_11target_archE1100ELNS1_3gpuE3ELNS1_3repE0EEENS1_30default_config_static_selectorELNS0_4arch9wavefront6targetE0EEEvSU_ ; -- Begin function _ZN7rocprim17ROCPRIM_400000_NS6detail17trampoline_kernelINS0_14default_configENS1_22reduce_config_selectorIiEEZNS1_11reduce_implILb1ES3_PiS7_iN6hipcub16HIPCUB_304000_NS6detail34convert_binary_result_type_wrapperINS9_3SumENS9_22TransformInputIteratorIbN2at6native12_GLOBAL__N_19NonZeroOpIN3c107complexINSI_4HalfEEEEEPKSL_lEEiEEEE10hipError_tPvRmT1_T2_T3_mT4_P12ihipStream_tbEUlT_E0_NS1_11comp_targetILNS1_3genE9ELNS1_11target_archE1100ELNS1_3gpuE3ELNS1_3repE0EEENS1_30default_config_static_selectorELNS0_4arch9wavefront6targetE0EEEvSU_
	.p2align	8
	.type	_ZN7rocprim17ROCPRIM_400000_NS6detail17trampoline_kernelINS0_14default_configENS1_22reduce_config_selectorIiEEZNS1_11reduce_implILb1ES3_PiS7_iN6hipcub16HIPCUB_304000_NS6detail34convert_binary_result_type_wrapperINS9_3SumENS9_22TransformInputIteratorIbN2at6native12_GLOBAL__N_19NonZeroOpIN3c107complexINSI_4HalfEEEEEPKSL_lEEiEEEE10hipError_tPvRmT1_T2_T3_mT4_P12ihipStream_tbEUlT_E0_NS1_11comp_targetILNS1_3genE9ELNS1_11target_archE1100ELNS1_3gpuE3ELNS1_3repE0EEENS1_30default_config_static_selectorELNS0_4arch9wavefront6targetE0EEEvSU_,@function
_ZN7rocprim17ROCPRIM_400000_NS6detail17trampoline_kernelINS0_14default_configENS1_22reduce_config_selectorIiEEZNS1_11reduce_implILb1ES3_PiS7_iN6hipcub16HIPCUB_304000_NS6detail34convert_binary_result_type_wrapperINS9_3SumENS9_22TransformInputIteratorIbN2at6native12_GLOBAL__N_19NonZeroOpIN3c107complexINSI_4HalfEEEEEPKSL_lEEiEEEE10hipError_tPvRmT1_T2_T3_mT4_P12ihipStream_tbEUlT_E0_NS1_11comp_targetILNS1_3genE9ELNS1_11target_archE1100ELNS1_3gpuE3ELNS1_3repE0EEENS1_30default_config_static_selectorELNS0_4arch9wavefront6targetE0EEEvSU_: ; @_ZN7rocprim17ROCPRIM_400000_NS6detail17trampoline_kernelINS0_14default_configENS1_22reduce_config_selectorIiEEZNS1_11reduce_implILb1ES3_PiS7_iN6hipcub16HIPCUB_304000_NS6detail34convert_binary_result_type_wrapperINS9_3SumENS9_22TransformInputIteratorIbN2at6native12_GLOBAL__N_19NonZeroOpIN3c107complexINSI_4HalfEEEEEPKSL_lEEiEEEE10hipError_tPvRmT1_T2_T3_mT4_P12ihipStream_tbEUlT_E0_NS1_11comp_targetILNS1_3genE9ELNS1_11target_archE1100ELNS1_3gpuE3ELNS1_3repE0EEENS1_30default_config_static_selectorELNS0_4arch9wavefront6targetE0EEEvSU_
; %bb.0:
	s_mov_b32 s16, s15
	s_clause 0x1
	s_load_b256 s[4:11], s[0:1], 0x0
	s_load_b128 s[12:15], s[0:1], 0x20
	s_mov_b32 s3, 0
	v_lshlrev_b32_e32 v10, 2, v0
	v_mbcnt_lo_u32_b32 v9, -1, 0
	s_mov_b32 s17, s3
	s_waitcnt lgkmcnt(0)
	s_lshl_b64 s[6:7], s[6:7], 2
	s_delay_alu instid0(SALU_CYCLE_1) | instskip(SKIP_4) | instid1(SALU_CYCLE_1)
	s_add_u32 s18, s4, s6
	s_addc_u32 s19, s5, s7
	s_lshl_b32 s2, s16, 11
	s_lshr_b64 s[6:7], s[8:9], 11
	s_lshl_b64 s[4:5], s[2:3], 2
	s_add_u32 s18, s18, s4
	s_addc_u32 s19, s19, s5
	s_cmp_lg_u64 s[6:7], s[16:17]
	s_cbranch_scc0 .LBB633_6
; %bb.1:
	v_add_co_u32 v1, s3, s18, v10
	s_clause 0x1
	global_load_b32 v3, v10, s[18:19]
	global_load_b32 v4, v10, s[18:19] offset:1024
	v_add_co_ci_u32_e64 v2, null, s19, 0, s3
	v_add_co_u32 v1, vcc_lo, 0x1000, v1
	s_mov_b32 s3, exec_lo
	s_delay_alu instid0(VALU_DEP_2)
	v_add_co_ci_u32_e32 v2, vcc_lo, 0, v2, vcc_lo
	s_clause 0x5
	global_load_b32 v5, v10, s[18:19] offset:2048
	global_load_b32 v6, v10, s[18:19] offset:3072
	global_load_b32 v7, v[1:2], off
	global_load_b32 v8, v[1:2], off offset:1024
	global_load_b32 v11, v[1:2], off offset:2048
	;; [unrolled: 1-line block ×3, first 2 shown]
	s_waitcnt vmcnt(6)
	v_dual_mov_b32 v3, 0 :: v_dual_add_nc_u32 v2, v4, v3
	s_waitcnt vmcnt(4)
	s_delay_alu instid0(VALU_DEP_1) | instskip(SKIP_1) | instid1(VALU_DEP_1)
	v_add3_u32 v2, v2, v5, v6
	s_waitcnt vmcnt(2)
	v_add3_u32 v2, v2, v7, v8
	s_waitcnt vmcnt(0)
	s_delay_alu instid0(VALU_DEP_1) | instskip(NEXT) | instid1(VALU_DEP_1)
	v_add3_u32 v1, v2, v11, v1
	v_mov_b32_dpp v2, v1 quad_perm:[1,0,3,2] row_mask:0xf bank_mask:0xf
	s_delay_alu instid0(VALU_DEP_1) | instskip(NEXT) | instid1(VALU_DEP_1)
	v_add_nc_u32_e32 v1, v2, v1
	v_mov_b32_dpp v2, v1 quad_perm:[2,3,0,1] row_mask:0xf bank_mask:0xf
	s_delay_alu instid0(VALU_DEP_1) | instskip(NEXT) | instid1(VALU_DEP_1)
	v_add_nc_u32_e32 v1, v1, v2
	v_mov_b32_dpp v2, v1 row_ror:4 row_mask:0xf bank_mask:0xf
	s_delay_alu instid0(VALU_DEP_1) | instskip(NEXT) | instid1(VALU_DEP_1)
	v_add_nc_u32_e32 v1, v1, v2
	v_mov_b32_dpp v2, v1 row_ror:8 row_mask:0xf bank_mask:0xf
	s_delay_alu instid0(VALU_DEP_1)
	v_add_nc_u32_e32 v1, v1, v2
	ds_swizzle_b32 v2, v1 offset:swizzle(BROADCAST,32,15)
	s_waitcnt lgkmcnt(0)
	v_add_nc_u32_e32 v1, v1, v2
	ds_bpermute_b32 v1, v3, v1 offset:124
	v_cmpx_eq_u32_e32 0, v9
	s_cbranch_execz .LBB633_3
; %bb.2:
	v_lshrrev_b32_e32 v2, 3, v0
	s_delay_alu instid0(VALU_DEP_1)
	v_and_b32_e32 v2, 28, v2
	s_waitcnt lgkmcnt(0)
	ds_store_b32 v2, v1
.LBB633_3:
	s_or_b32 exec_lo, exec_lo, s3
	s_delay_alu instid0(SALU_CYCLE_1)
	s_mov_b32 s3, exec_lo
	s_waitcnt lgkmcnt(0)
	s_barrier
	buffer_gl0_inv
	v_cmpx_gt_u32_e32 32, v0
	s_cbranch_execz .LBB633_5
; %bb.4:
	v_and_b32_e32 v1, 7, v9
	s_delay_alu instid0(VALU_DEP_1) | instskip(SKIP_4) | instid1(VALU_DEP_2)
	v_lshlrev_b32_e32 v2, 2, v1
	v_cmp_ne_u32_e32 vcc_lo, 7, v1
	ds_load_b32 v2, v2
	v_add_co_ci_u32_e32 v3, vcc_lo, 0, v9, vcc_lo
	v_cmp_gt_u32_e32 vcc_lo, 6, v1
	v_lshlrev_b32_e32 v3, 2, v3
	v_cndmask_b32_e64 v4, 0, 1, vcc_lo
	v_cmp_gt_u32_e32 vcc_lo, 4, v1
	s_delay_alu instid0(VALU_DEP_2) | instskip(SKIP_1) | instid1(VALU_DEP_2)
	v_lshlrev_b32_e32 v4, 1, v4
	v_cndmask_b32_e64 v1, 0, 1, vcc_lo
	v_add_lshl_u32 v4, v4, v9, 2
	s_delay_alu instid0(VALU_DEP_2)
	v_lshlrev_b32_e32 v1, 2, v1
	s_waitcnt lgkmcnt(0)
	ds_bpermute_b32 v3, v3, v2
	v_add_lshl_u32 v1, v1, v9, 2
	s_waitcnt lgkmcnt(0)
	v_add_nc_u32_e32 v2, v3, v2
	ds_bpermute_b32 v3, v4, v2
	s_waitcnt lgkmcnt(0)
	v_add_nc_u32_e32 v2, v3, v2
	ds_bpermute_b32 v1, v1, v2
	s_waitcnt lgkmcnt(0)
	v_add_nc_u32_e32 v1, v1, v2
.LBB633_5:
	s_or_b32 exec_lo, exec_lo, s3
	s_branch .LBB633_28
.LBB633_6:
                                        ; implicit-def: $vgpr1
	s_cbranch_execz .LBB633_28
; %bb.7:
	s_sub_i32 s20, s8, s2
	s_mov_b32 s2, exec_lo
                                        ; implicit-def: $vgpr1_vgpr2_vgpr3_vgpr4_vgpr5_vgpr6_vgpr7_vgpr8
	v_cmpx_gt_u32_e64 s20, v0
	s_cbranch_execz .LBB633_9
; %bb.8:
	global_load_b32 v1, v10, s[18:19]
.LBB633_9:
	s_or_b32 exec_lo, exec_lo, s2
	v_or_b32_e32 v11, 0x100, v0
	s_delay_alu instid0(VALU_DEP_1)
	v_cmp_gt_u32_e32 vcc_lo, s20, v11
	s_and_saveexec_b32 s2, vcc_lo
	s_cbranch_execz .LBB633_11
; %bb.10:
	global_load_b32 v2, v10, s[18:19] offset:1024
.LBB633_11:
	s_or_b32 exec_lo, exec_lo, s2
	v_or_b32_e32 v11, 0x200, v0
	s_delay_alu instid0(VALU_DEP_1) | instskip(NEXT) | instid1(VALU_DEP_1)
	v_cmp_gt_u32_e64 s2, s20, v11
	s_and_saveexec_b32 s3, s2
	s_cbranch_execz .LBB633_13
; %bb.12:
	global_load_b32 v3, v10, s[18:19] offset:2048
.LBB633_13:
	s_or_b32 exec_lo, exec_lo, s3
	v_or_b32_e32 v11, 0x300, v0
	s_delay_alu instid0(VALU_DEP_1) | instskip(NEXT) | instid1(VALU_DEP_1)
	v_cmp_gt_u32_e64 s3, s20, v11
	s_and_saveexec_b32 s4, s3
	;; [unrolled: 9-line block ×3, first 2 shown]
	s_cbranch_execz .LBB633_17
; %bb.16:
	v_lshlrev_b32_e32 v5, 2, v10
	global_load_b32 v5, v5, s[18:19]
.LBB633_17:
	s_or_b32 exec_lo, exec_lo, s5
	v_or_b32_e32 v10, 0x500, v0
	s_delay_alu instid0(VALU_DEP_1) | instskip(NEXT) | instid1(VALU_DEP_1)
	v_cmp_gt_u32_e64 s5, s20, v10
	s_and_saveexec_b32 s6, s5
	s_cbranch_execz .LBB633_19
; %bb.18:
	v_lshlrev_b32_e32 v6, 2, v10
	global_load_b32 v6, v6, s[18:19]
.LBB633_19:
	s_or_b32 exec_lo, exec_lo, s6
	v_or_b32_e32 v10, 0x600, v0
	s_delay_alu instid0(VALU_DEP_1) | instskip(NEXT) | instid1(VALU_DEP_1)
	v_cmp_gt_u32_e64 s6, s20, v10
	s_and_saveexec_b32 s7, s6
	;; [unrolled: 10-line block ×3, first 2 shown]
	s_cbranch_execz .LBB633_23
; %bb.22:
	v_lshlrev_b32_e32 v8, 2, v10
	global_load_b32 v8, v8, s[18:19]
.LBB633_23:
	s_or_b32 exec_lo, exec_lo, s21
	s_waitcnt vmcnt(0)
	v_cndmask_b32_e32 v2, 0, v2, vcc_lo
	v_cndmask_b32_e64 v3, 0, v3, s2
	v_cndmask_b32_e64 v4, 0, v4, s3
	v_cmp_ne_u32_e32 vcc_lo, 31, v9
	s_min_u32 s2, s20, 0x100
	v_add_nc_u32_e32 v1, v2, v1
	v_cndmask_b32_e64 v2, 0, v5, s4
	v_cndmask_b32_e64 v5, 0, v6, s5
	v_cndmask_b32_e64 v6, 0, v7, s6
	s_mov_b32 s3, exec_lo
	v_add3_u32 v1, v1, v3, v4
	v_cndmask_b32_e64 v3, 0, v8, s7
	v_add_co_ci_u32_e32 v4, vcc_lo, 0, v9, vcc_lo
	v_cmp_gt_u32_e32 vcc_lo, 30, v9
	s_delay_alu instid0(VALU_DEP_4) | instskip(NEXT) | instid1(VALU_DEP_3)
	v_add3_u32 v1, v1, v2, v5
	v_lshlrev_b32_e32 v2, 2, v4
	v_add_nc_u32_e32 v4, 1, v9
	v_cndmask_b32_e64 v5, 0, 1, vcc_lo
	s_delay_alu instid0(VALU_DEP_4) | instskip(SKIP_1) | instid1(VALU_DEP_3)
	v_add3_u32 v1, v1, v6, v3
	v_and_b32_e32 v3, 0xe0, v0
	v_lshlrev_b32_e32 v5, 1, v5
	ds_bpermute_b32 v2, v2, v1
	v_sub_nc_u32_e64 v3, s2, v3 clamp
	s_delay_alu instid0(VALU_DEP_1) | instskip(SKIP_4) | instid1(VALU_DEP_2)
	v_cmp_lt_u32_e32 vcc_lo, v4, v3
	v_add_lshl_u32 v4, v5, v9, 2
	s_waitcnt lgkmcnt(0)
	v_dual_cndmask_b32 v2, 0, v2 :: v_dual_add_nc_u32 v5, 2, v9
	v_cmp_gt_u32_e32 vcc_lo, 28, v9
	v_add_nc_u32_e32 v1, v1, v2
	ds_bpermute_b32 v2, v4, v1
	v_cndmask_b32_e64 v4, 0, 1, vcc_lo
	v_cmp_lt_u32_e32 vcc_lo, v5, v3
	v_add_nc_u32_e32 v5, 4, v9
	s_delay_alu instid0(VALU_DEP_3) | instskip(NEXT) | instid1(VALU_DEP_1)
	v_lshlrev_b32_e32 v4, 2, v4
	v_add_lshl_u32 v4, v4, v9, 2
	s_waitcnt lgkmcnt(0)
	v_cndmask_b32_e32 v2, 0, v2, vcc_lo
	v_cmp_gt_u32_e32 vcc_lo, 24, v9
	s_delay_alu instid0(VALU_DEP_2) | instskip(SKIP_4) | instid1(VALU_DEP_3)
	v_add_nc_u32_e32 v1, v1, v2
	ds_bpermute_b32 v2, v4, v1
	v_cndmask_b32_e64 v4, 0, 1, vcc_lo
	v_cmp_lt_u32_e32 vcc_lo, v5, v3
	v_add_nc_u32_e32 v5, 8, v9
	v_lshlrev_b32_e32 v4, 3, v4
	s_delay_alu instid0(VALU_DEP_1) | instskip(SKIP_3) | instid1(VALU_DEP_2)
	v_add_lshl_u32 v4, v4, v9, 2
	s_waitcnt lgkmcnt(0)
	v_cndmask_b32_e32 v2, 0, v2, vcc_lo
	v_cmp_gt_u32_e32 vcc_lo, 16, v9
	v_add_nc_u32_e32 v1, v1, v2
	ds_bpermute_b32 v2, v4, v1
	v_cndmask_b32_e64 v4, 0, 1, vcc_lo
	v_cmp_lt_u32_e32 vcc_lo, v5, v3
	s_delay_alu instid0(VALU_DEP_2) | instskip(NEXT) | instid1(VALU_DEP_1)
	v_lshlrev_b32_e32 v4, 4, v4
	v_add_lshl_u32 v4, v4, v9, 2
	s_waitcnt lgkmcnt(0)
	v_cndmask_b32_e32 v2, 0, v2, vcc_lo
	s_delay_alu instid0(VALU_DEP_1) | instskip(SKIP_2) | instid1(VALU_DEP_1)
	v_add_nc_u32_e32 v1, v1, v2
	ds_bpermute_b32 v2, v4, v1
	v_add_nc_u32_e32 v4, 16, v9
	v_cmp_lt_u32_e32 vcc_lo, v4, v3
	s_waitcnt lgkmcnt(0)
	v_cndmask_b32_e32 v2, 0, v2, vcc_lo
	s_delay_alu instid0(VALU_DEP_1)
	v_add_nc_u32_e32 v1, v1, v2
	v_cmpx_eq_u32_e32 0, v9
	s_cbranch_execz .LBB633_25
; %bb.24:
	v_lshrrev_b32_e32 v2, 3, v0
	s_delay_alu instid0(VALU_DEP_1)
	v_and_b32_e32 v2, 28, v2
	ds_store_b32 v2, v1 offset:32
.LBB633_25:
	s_or_b32 exec_lo, exec_lo, s3
	s_delay_alu instid0(SALU_CYCLE_1)
	s_mov_b32 s3, exec_lo
	s_waitcnt lgkmcnt(0)
	s_barrier
	buffer_gl0_inv
	v_cmpx_gt_u32_e32 8, v0
	s_cbranch_execz .LBB633_27
; %bb.26:
	v_lshlrev_b32_e32 v1, 2, v9
	v_and_b32_e32 v2, 7, v9
	s_add_i32 s2, s2, 31
	s_delay_alu instid0(SALU_CYCLE_1)
	s_lshr_b32 s2, s2, 5
	ds_load_b32 v1, v1 offset:32
	v_cmp_ne_u32_e32 vcc_lo, 7, v2
	v_add_nc_u32_e32 v5, 1, v2
	v_add_co_ci_u32_e32 v3, vcc_lo, 0, v9, vcc_lo
	v_cmp_gt_u32_e32 vcc_lo, 6, v2
	s_delay_alu instid0(VALU_DEP_2) | instskip(SKIP_2) | instid1(VALU_DEP_2)
	v_lshlrev_b32_e32 v3, 2, v3
	v_cndmask_b32_e64 v4, 0, 1, vcc_lo
	v_cmp_gt_u32_e32 vcc_lo, s2, v5
	v_lshlrev_b32_e32 v4, 1, v4
	s_waitcnt lgkmcnt(0)
	ds_bpermute_b32 v3, v3, v1
	v_add_lshl_u32 v4, v4, v9, 2
	s_waitcnt lgkmcnt(0)
	v_cndmask_b32_e32 v3, 0, v3, vcc_lo
	v_cmp_gt_u32_e32 vcc_lo, 4, v2
	s_delay_alu instid0(VALU_DEP_2) | instskip(SKIP_4) | instid1(VALU_DEP_2)
	v_add_nc_u32_e32 v1, v3, v1
	v_cndmask_b32_e64 v5, 0, 1, vcc_lo
	ds_bpermute_b32 v3, v4, v1
	v_add_nc_u32_e32 v4, 2, v2
	v_add_nc_u32_e32 v2, 4, v2
	v_cmp_gt_u32_e32 vcc_lo, s2, v4
	s_waitcnt lgkmcnt(0)
	v_dual_cndmask_b32 v3, 0, v3 :: v_dual_lshlrev_b32 v4, 2, v5
	s_delay_alu instid0(VALU_DEP_3) | instskip(NEXT) | instid1(VALU_DEP_2)
	v_cmp_gt_u32_e32 vcc_lo, s2, v2
	v_add_nc_u32_e32 v1, v1, v3
	s_delay_alu instid0(VALU_DEP_3) | instskip(SKIP_3) | instid1(VALU_DEP_1)
	v_add_lshl_u32 v3, v4, v9, 2
	ds_bpermute_b32 v3, v3, v1
	s_waitcnt lgkmcnt(0)
	v_cndmask_b32_e32 v2, 0, v3, vcc_lo
	v_add_nc_u32_e32 v1, v1, v2
.LBB633_27:
	s_or_b32 exec_lo, exec_lo, s3
.LBB633_28:
	s_load_b32 s0, s[0:1], 0x30
	s_mov_b32 s1, exec_lo
	v_cmpx_eq_u32_e32 0, v0
	s_cbranch_execz .LBB633_30
; %bb.29:
	s_mul_i32 s1, s14, s13
	s_mul_hi_u32 s2, s14, s12
	s_mul_i32 s3, s15, s12
	s_add_i32 s1, s2, s1
	s_mul_i32 s2, s14, s12
	s_add_i32 s3, s1, s3
	s_delay_alu instid0(SALU_CYCLE_1) | instskip(NEXT) | instid1(SALU_CYCLE_1)
	s_lshl_b64 s[2:3], s[2:3], 2
	s_add_u32 s2, s10, s2
	s_addc_u32 s3, s11, s3
	s_cmp_eq_u64 s[8:9], 0
	s_cselect_b32 s1, -1, 0
	s_waitcnt lgkmcnt(0)
	v_cndmask_b32_e64 v0, v1, s0, s1
	s_lshl_b64 s[0:1], s[16:17], 2
	v_mov_b32_e32 v1, 0
	s_add_u32 s0, s2, s0
	s_addc_u32 s1, s3, s1
	global_store_b32 v1, v0, s[0:1]
.LBB633_30:
	s_nop 0
	s_sendmsg sendmsg(MSG_DEALLOC_VGPRS)
	s_endpgm
	.section	.rodata,"a",@progbits
	.p2align	6, 0x0
	.amdhsa_kernel _ZN7rocprim17ROCPRIM_400000_NS6detail17trampoline_kernelINS0_14default_configENS1_22reduce_config_selectorIiEEZNS1_11reduce_implILb1ES3_PiS7_iN6hipcub16HIPCUB_304000_NS6detail34convert_binary_result_type_wrapperINS9_3SumENS9_22TransformInputIteratorIbN2at6native12_GLOBAL__N_19NonZeroOpIN3c107complexINSI_4HalfEEEEEPKSL_lEEiEEEE10hipError_tPvRmT1_T2_T3_mT4_P12ihipStream_tbEUlT_E0_NS1_11comp_targetILNS1_3genE9ELNS1_11target_archE1100ELNS1_3gpuE3ELNS1_3repE0EEENS1_30default_config_static_selectorELNS0_4arch9wavefront6targetE0EEEvSU_
		.amdhsa_group_segment_fixed_size 64
		.amdhsa_private_segment_fixed_size 0
		.amdhsa_kernarg_size 56
		.amdhsa_user_sgpr_count 15
		.amdhsa_user_sgpr_dispatch_ptr 0
		.amdhsa_user_sgpr_queue_ptr 0
		.amdhsa_user_sgpr_kernarg_segment_ptr 1
		.amdhsa_user_sgpr_dispatch_id 0
		.amdhsa_user_sgpr_private_segment_size 0
		.amdhsa_wavefront_size32 1
		.amdhsa_uses_dynamic_stack 0
		.amdhsa_enable_private_segment 0
		.amdhsa_system_sgpr_workgroup_id_x 1
		.amdhsa_system_sgpr_workgroup_id_y 0
		.amdhsa_system_sgpr_workgroup_id_z 0
		.amdhsa_system_sgpr_workgroup_info 0
		.amdhsa_system_vgpr_workitem_id 0
		.amdhsa_next_free_vgpr 12
		.amdhsa_next_free_sgpr 22
		.amdhsa_reserve_vcc 1
		.amdhsa_float_round_mode_32 0
		.amdhsa_float_round_mode_16_64 0
		.amdhsa_float_denorm_mode_32 3
		.amdhsa_float_denorm_mode_16_64 3
		.amdhsa_dx10_clamp 1
		.amdhsa_ieee_mode 1
		.amdhsa_fp16_overflow 0
		.amdhsa_workgroup_processor_mode 1
		.amdhsa_memory_ordered 1
		.amdhsa_forward_progress 0
		.amdhsa_shared_vgpr_count 0
		.amdhsa_exception_fp_ieee_invalid_op 0
		.amdhsa_exception_fp_denorm_src 0
		.amdhsa_exception_fp_ieee_div_zero 0
		.amdhsa_exception_fp_ieee_overflow 0
		.amdhsa_exception_fp_ieee_underflow 0
		.amdhsa_exception_fp_ieee_inexact 0
		.amdhsa_exception_int_div_zero 0
	.end_amdhsa_kernel
	.section	.text._ZN7rocprim17ROCPRIM_400000_NS6detail17trampoline_kernelINS0_14default_configENS1_22reduce_config_selectorIiEEZNS1_11reduce_implILb1ES3_PiS7_iN6hipcub16HIPCUB_304000_NS6detail34convert_binary_result_type_wrapperINS9_3SumENS9_22TransformInputIteratorIbN2at6native12_GLOBAL__N_19NonZeroOpIN3c107complexINSI_4HalfEEEEEPKSL_lEEiEEEE10hipError_tPvRmT1_T2_T3_mT4_P12ihipStream_tbEUlT_E0_NS1_11comp_targetILNS1_3genE9ELNS1_11target_archE1100ELNS1_3gpuE3ELNS1_3repE0EEENS1_30default_config_static_selectorELNS0_4arch9wavefront6targetE0EEEvSU_,"axG",@progbits,_ZN7rocprim17ROCPRIM_400000_NS6detail17trampoline_kernelINS0_14default_configENS1_22reduce_config_selectorIiEEZNS1_11reduce_implILb1ES3_PiS7_iN6hipcub16HIPCUB_304000_NS6detail34convert_binary_result_type_wrapperINS9_3SumENS9_22TransformInputIteratorIbN2at6native12_GLOBAL__N_19NonZeroOpIN3c107complexINSI_4HalfEEEEEPKSL_lEEiEEEE10hipError_tPvRmT1_T2_T3_mT4_P12ihipStream_tbEUlT_E0_NS1_11comp_targetILNS1_3genE9ELNS1_11target_archE1100ELNS1_3gpuE3ELNS1_3repE0EEENS1_30default_config_static_selectorELNS0_4arch9wavefront6targetE0EEEvSU_,comdat
.Lfunc_end633:
	.size	_ZN7rocprim17ROCPRIM_400000_NS6detail17trampoline_kernelINS0_14default_configENS1_22reduce_config_selectorIiEEZNS1_11reduce_implILb1ES3_PiS7_iN6hipcub16HIPCUB_304000_NS6detail34convert_binary_result_type_wrapperINS9_3SumENS9_22TransformInputIteratorIbN2at6native12_GLOBAL__N_19NonZeroOpIN3c107complexINSI_4HalfEEEEEPKSL_lEEiEEEE10hipError_tPvRmT1_T2_T3_mT4_P12ihipStream_tbEUlT_E0_NS1_11comp_targetILNS1_3genE9ELNS1_11target_archE1100ELNS1_3gpuE3ELNS1_3repE0EEENS1_30default_config_static_selectorELNS0_4arch9wavefront6targetE0EEEvSU_, .Lfunc_end633-_ZN7rocprim17ROCPRIM_400000_NS6detail17trampoline_kernelINS0_14default_configENS1_22reduce_config_selectorIiEEZNS1_11reduce_implILb1ES3_PiS7_iN6hipcub16HIPCUB_304000_NS6detail34convert_binary_result_type_wrapperINS9_3SumENS9_22TransformInputIteratorIbN2at6native12_GLOBAL__N_19NonZeroOpIN3c107complexINSI_4HalfEEEEEPKSL_lEEiEEEE10hipError_tPvRmT1_T2_T3_mT4_P12ihipStream_tbEUlT_E0_NS1_11comp_targetILNS1_3genE9ELNS1_11target_archE1100ELNS1_3gpuE3ELNS1_3repE0EEENS1_30default_config_static_selectorELNS0_4arch9wavefront6targetE0EEEvSU_
                                        ; -- End function
	.section	.AMDGPU.csdata,"",@progbits
; Kernel info:
; codeLenInByte = 1664
; NumSgprs: 24
; NumVgprs: 12
; ScratchSize: 0
; MemoryBound: 0
; FloatMode: 240
; IeeeMode: 1
; LDSByteSize: 64 bytes/workgroup (compile time only)
; SGPRBlocks: 2
; VGPRBlocks: 1
; NumSGPRsForWavesPerEU: 24
; NumVGPRsForWavesPerEU: 12
; Occupancy: 16
; WaveLimiterHint : 1
; COMPUTE_PGM_RSRC2:SCRATCH_EN: 0
; COMPUTE_PGM_RSRC2:USER_SGPR: 15
; COMPUTE_PGM_RSRC2:TRAP_HANDLER: 0
; COMPUTE_PGM_RSRC2:TGID_X_EN: 1
; COMPUTE_PGM_RSRC2:TGID_Y_EN: 0
; COMPUTE_PGM_RSRC2:TGID_Z_EN: 0
; COMPUTE_PGM_RSRC2:TIDIG_COMP_CNT: 0
	.section	.text._ZN7rocprim17ROCPRIM_400000_NS6detail17trampoline_kernelINS0_14default_configENS1_22reduce_config_selectorIiEEZNS1_11reduce_implILb1ES3_PiS7_iN6hipcub16HIPCUB_304000_NS6detail34convert_binary_result_type_wrapperINS9_3SumENS9_22TransformInputIteratorIbN2at6native12_GLOBAL__N_19NonZeroOpIN3c107complexINSI_4HalfEEEEEPKSL_lEEiEEEE10hipError_tPvRmT1_T2_T3_mT4_P12ihipStream_tbEUlT_E0_NS1_11comp_targetILNS1_3genE8ELNS1_11target_archE1030ELNS1_3gpuE2ELNS1_3repE0EEENS1_30default_config_static_selectorELNS0_4arch9wavefront6targetE0EEEvSU_,"axG",@progbits,_ZN7rocprim17ROCPRIM_400000_NS6detail17trampoline_kernelINS0_14default_configENS1_22reduce_config_selectorIiEEZNS1_11reduce_implILb1ES3_PiS7_iN6hipcub16HIPCUB_304000_NS6detail34convert_binary_result_type_wrapperINS9_3SumENS9_22TransformInputIteratorIbN2at6native12_GLOBAL__N_19NonZeroOpIN3c107complexINSI_4HalfEEEEEPKSL_lEEiEEEE10hipError_tPvRmT1_T2_T3_mT4_P12ihipStream_tbEUlT_E0_NS1_11comp_targetILNS1_3genE8ELNS1_11target_archE1030ELNS1_3gpuE2ELNS1_3repE0EEENS1_30default_config_static_selectorELNS0_4arch9wavefront6targetE0EEEvSU_,comdat
	.globl	_ZN7rocprim17ROCPRIM_400000_NS6detail17trampoline_kernelINS0_14default_configENS1_22reduce_config_selectorIiEEZNS1_11reduce_implILb1ES3_PiS7_iN6hipcub16HIPCUB_304000_NS6detail34convert_binary_result_type_wrapperINS9_3SumENS9_22TransformInputIteratorIbN2at6native12_GLOBAL__N_19NonZeroOpIN3c107complexINSI_4HalfEEEEEPKSL_lEEiEEEE10hipError_tPvRmT1_T2_T3_mT4_P12ihipStream_tbEUlT_E0_NS1_11comp_targetILNS1_3genE8ELNS1_11target_archE1030ELNS1_3gpuE2ELNS1_3repE0EEENS1_30default_config_static_selectorELNS0_4arch9wavefront6targetE0EEEvSU_ ; -- Begin function _ZN7rocprim17ROCPRIM_400000_NS6detail17trampoline_kernelINS0_14default_configENS1_22reduce_config_selectorIiEEZNS1_11reduce_implILb1ES3_PiS7_iN6hipcub16HIPCUB_304000_NS6detail34convert_binary_result_type_wrapperINS9_3SumENS9_22TransformInputIteratorIbN2at6native12_GLOBAL__N_19NonZeroOpIN3c107complexINSI_4HalfEEEEEPKSL_lEEiEEEE10hipError_tPvRmT1_T2_T3_mT4_P12ihipStream_tbEUlT_E0_NS1_11comp_targetILNS1_3genE8ELNS1_11target_archE1030ELNS1_3gpuE2ELNS1_3repE0EEENS1_30default_config_static_selectorELNS0_4arch9wavefront6targetE0EEEvSU_
	.p2align	8
	.type	_ZN7rocprim17ROCPRIM_400000_NS6detail17trampoline_kernelINS0_14default_configENS1_22reduce_config_selectorIiEEZNS1_11reduce_implILb1ES3_PiS7_iN6hipcub16HIPCUB_304000_NS6detail34convert_binary_result_type_wrapperINS9_3SumENS9_22TransformInputIteratorIbN2at6native12_GLOBAL__N_19NonZeroOpIN3c107complexINSI_4HalfEEEEEPKSL_lEEiEEEE10hipError_tPvRmT1_T2_T3_mT4_P12ihipStream_tbEUlT_E0_NS1_11comp_targetILNS1_3genE8ELNS1_11target_archE1030ELNS1_3gpuE2ELNS1_3repE0EEENS1_30default_config_static_selectorELNS0_4arch9wavefront6targetE0EEEvSU_,@function
_ZN7rocprim17ROCPRIM_400000_NS6detail17trampoline_kernelINS0_14default_configENS1_22reduce_config_selectorIiEEZNS1_11reduce_implILb1ES3_PiS7_iN6hipcub16HIPCUB_304000_NS6detail34convert_binary_result_type_wrapperINS9_3SumENS9_22TransformInputIteratorIbN2at6native12_GLOBAL__N_19NonZeroOpIN3c107complexINSI_4HalfEEEEEPKSL_lEEiEEEE10hipError_tPvRmT1_T2_T3_mT4_P12ihipStream_tbEUlT_E0_NS1_11comp_targetILNS1_3genE8ELNS1_11target_archE1030ELNS1_3gpuE2ELNS1_3repE0EEENS1_30default_config_static_selectorELNS0_4arch9wavefront6targetE0EEEvSU_: ; @_ZN7rocprim17ROCPRIM_400000_NS6detail17trampoline_kernelINS0_14default_configENS1_22reduce_config_selectorIiEEZNS1_11reduce_implILb1ES3_PiS7_iN6hipcub16HIPCUB_304000_NS6detail34convert_binary_result_type_wrapperINS9_3SumENS9_22TransformInputIteratorIbN2at6native12_GLOBAL__N_19NonZeroOpIN3c107complexINSI_4HalfEEEEEPKSL_lEEiEEEE10hipError_tPvRmT1_T2_T3_mT4_P12ihipStream_tbEUlT_E0_NS1_11comp_targetILNS1_3genE8ELNS1_11target_archE1030ELNS1_3gpuE2ELNS1_3repE0EEENS1_30default_config_static_selectorELNS0_4arch9wavefront6targetE0EEEvSU_
; %bb.0:
	.section	.rodata,"a",@progbits
	.p2align	6, 0x0
	.amdhsa_kernel _ZN7rocprim17ROCPRIM_400000_NS6detail17trampoline_kernelINS0_14default_configENS1_22reduce_config_selectorIiEEZNS1_11reduce_implILb1ES3_PiS7_iN6hipcub16HIPCUB_304000_NS6detail34convert_binary_result_type_wrapperINS9_3SumENS9_22TransformInputIteratorIbN2at6native12_GLOBAL__N_19NonZeroOpIN3c107complexINSI_4HalfEEEEEPKSL_lEEiEEEE10hipError_tPvRmT1_T2_T3_mT4_P12ihipStream_tbEUlT_E0_NS1_11comp_targetILNS1_3genE8ELNS1_11target_archE1030ELNS1_3gpuE2ELNS1_3repE0EEENS1_30default_config_static_selectorELNS0_4arch9wavefront6targetE0EEEvSU_
		.amdhsa_group_segment_fixed_size 0
		.amdhsa_private_segment_fixed_size 0
		.amdhsa_kernarg_size 56
		.amdhsa_user_sgpr_count 15
		.amdhsa_user_sgpr_dispatch_ptr 0
		.amdhsa_user_sgpr_queue_ptr 0
		.amdhsa_user_sgpr_kernarg_segment_ptr 1
		.amdhsa_user_sgpr_dispatch_id 0
		.amdhsa_user_sgpr_private_segment_size 0
		.amdhsa_wavefront_size32 1
		.amdhsa_uses_dynamic_stack 0
		.amdhsa_enable_private_segment 0
		.amdhsa_system_sgpr_workgroup_id_x 1
		.amdhsa_system_sgpr_workgroup_id_y 0
		.amdhsa_system_sgpr_workgroup_id_z 0
		.amdhsa_system_sgpr_workgroup_info 0
		.amdhsa_system_vgpr_workitem_id 0
		.amdhsa_next_free_vgpr 1
		.amdhsa_next_free_sgpr 1
		.amdhsa_reserve_vcc 0
		.amdhsa_float_round_mode_32 0
		.amdhsa_float_round_mode_16_64 0
		.amdhsa_float_denorm_mode_32 3
		.amdhsa_float_denorm_mode_16_64 3
		.amdhsa_dx10_clamp 1
		.amdhsa_ieee_mode 1
		.amdhsa_fp16_overflow 0
		.amdhsa_workgroup_processor_mode 1
		.amdhsa_memory_ordered 1
		.amdhsa_forward_progress 0
		.amdhsa_shared_vgpr_count 0
		.amdhsa_exception_fp_ieee_invalid_op 0
		.amdhsa_exception_fp_denorm_src 0
		.amdhsa_exception_fp_ieee_div_zero 0
		.amdhsa_exception_fp_ieee_overflow 0
		.amdhsa_exception_fp_ieee_underflow 0
		.amdhsa_exception_fp_ieee_inexact 0
		.amdhsa_exception_int_div_zero 0
	.end_amdhsa_kernel
	.section	.text._ZN7rocprim17ROCPRIM_400000_NS6detail17trampoline_kernelINS0_14default_configENS1_22reduce_config_selectorIiEEZNS1_11reduce_implILb1ES3_PiS7_iN6hipcub16HIPCUB_304000_NS6detail34convert_binary_result_type_wrapperINS9_3SumENS9_22TransformInputIteratorIbN2at6native12_GLOBAL__N_19NonZeroOpIN3c107complexINSI_4HalfEEEEEPKSL_lEEiEEEE10hipError_tPvRmT1_T2_T3_mT4_P12ihipStream_tbEUlT_E0_NS1_11comp_targetILNS1_3genE8ELNS1_11target_archE1030ELNS1_3gpuE2ELNS1_3repE0EEENS1_30default_config_static_selectorELNS0_4arch9wavefront6targetE0EEEvSU_,"axG",@progbits,_ZN7rocprim17ROCPRIM_400000_NS6detail17trampoline_kernelINS0_14default_configENS1_22reduce_config_selectorIiEEZNS1_11reduce_implILb1ES3_PiS7_iN6hipcub16HIPCUB_304000_NS6detail34convert_binary_result_type_wrapperINS9_3SumENS9_22TransformInputIteratorIbN2at6native12_GLOBAL__N_19NonZeroOpIN3c107complexINSI_4HalfEEEEEPKSL_lEEiEEEE10hipError_tPvRmT1_T2_T3_mT4_P12ihipStream_tbEUlT_E0_NS1_11comp_targetILNS1_3genE8ELNS1_11target_archE1030ELNS1_3gpuE2ELNS1_3repE0EEENS1_30default_config_static_selectorELNS0_4arch9wavefront6targetE0EEEvSU_,comdat
.Lfunc_end634:
	.size	_ZN7rocprim17ROCPRIM_400000_NS6detail17trampoline_kernelINS0_14default_configENS1_22reduce_config_selectorIiEEZNS1_11reduce_implILb1ES3_PiS7_iN6hipcub16HIPCUB_304000_NS6detail34convert_binary_result_type_wrapperINS9_3SumENS9_22TransformInputIteratorIbN2at6native12_GLOBAL__N_19NonZeroOpIN3c107complexINSI_4HalfEEEEEPKSL_lEEiEEEE10hipError_tPvRmT1_T2_T3_mT4_P12ihipStream_tbEUlT_E0_NS1_11comp_targetILNS1_3genE8ELNS1_11target_archE1030ELNS1_3gpuE2ELNS1_3repE0EEENS1_30default_config_static_selectorELNS0_4arch9wavefront6targetE0EEEvSU_, .Lfunc_end634-_ZN7rocprim17ROCPRIM_400000_NS6detail17trampoline_kernelINS0_14default_configENS1_22reduce_config_selectorIiEEZNS1_11reduce_implILb1ES3_PiS7_iN6hipcub16HIPCUB_304000_NS6detail34convert_binary_result_type_wrapperINS9_3SumENS9_22TransformInputIteratorIbN2at6native12_GLOBAL__N_19NonZeroOpIN3c107complexINSI_4HalfEEEEEPKSL_lEEiEEEE10hipError_tPvRmT1_T2_T3_mT4_P12ihipStream_tbEUlT_E0_NS1_11comp_targetILNS1_3genE8ELNS1_11target_archE1030ELNS1_3gpuE2ELNS1_3repE0EEENS1_30default_config_static_selectorELNS0_4arch9wavefront6targetE0EEEvSU_
                                        ; -- End function
	.section	.AMDGPU.csdata,"",@progbits
; Kernel info:
; codeLenInByte = 0
; NumSgprs: 0
; NumVgprs: 0
; ScratchSize: 0
; MemoryBound: 0
; FloatMode: 240
; IeeeMode: 1
; LDSByteSize: 0 bytes/workgroup (compile time only)
; SGPRBlocks: 0
; VGPRBlocks: 0
; NumSGPRsForWavesPerEU: 1
; NumVGPRsForWavesPerEU: 1
; Occupancy: 16
; WaveLimiterHint : 0
; COMPUTE_PGM_RSRC2:SCRATCH_EN: 0
; COMPUTE_PGM_RSRC2:USER_SGPR: 15
; COMPUTE_PGM_RSRC2:TRAP_HANDLER: 0
; COMPUTE_PGM_RSRC2:TGID_X_EN: 1
; COMPUTE_PGM_RSRC2:TGID_Y_EN: 0
; COMPUTE_PGM_RSRC2:TGID_Z_EN: 0
; COMPUTE_PGM_RSRC2:TIDIG_COMP_CNT: 0
	.section	.text._ZN7rocprim17ROCPRIM_400000_NS6detail17trampoline_kernelINS0_14default_configENS1_22reduce_config_selectorIiEEZNS1_11reduce_implILb1ES3_PiS7_iN6hipcub16HIPCUB_304000_NS6detail34convert_binary_result_type_wrapperINS9_3SumENS9_22TransformInputIteratorIbN2at6native12_GLOBAL__N_19NonZeroOpIN3c107complexINSI_4HalfEEEEEPKSL_lEEiEEEE10hipError_tPvRmT1_T2_T3_mT4_P12ihipStream_tbEUlT_E1_NS1_11comp_targetILNS1_3genE0ELNS1_11target_archE4294967295ELNS1_3gpuE0ELNS1_3repE0EEENS1_30default_config_static_selectorELNS0_4arch9wavefront6targetE0EEEvSU_,"axG",@progbits,_ZN7rocprim17ROCPRIM_400000_NS6detail17trampoline_kernelINS0_14default_configENS1_22reduce_config_selectorIiEEZNS1_11reduce_implILb1ES3_PiS7_iN6hipcub16HIPCUB_304000_NS6detail34convert_binary_result_type_wrapperINS9_3SumENS9_22TransformInputIteratorIbN2at6native12_GLOBAL__N_19NonZeroOpIN3c107complexINSI_4HalfEEEEEPKSL_lEEiEEEE10hipError_tPvRmT1_T2_T3_mT4_P12ihipStream_tbEUlT_E1_NS1_11comp_targetILNS1_3genE0ELNS1_11target_archE4294967295ELNS1_3gpuE0ELNS1_3repE0EEENS1_30default_config_static_selectorELNS0_4arch9wavefront6targetE0EEEvSU_,comdat
	.globl	_ZN7rocprim17ROCPRIM_400000_NS6detail17trampoline_kernelINS0_14default_configENS1_22reduce_config_selectorIiEEZNS1_11reduce_implILb1ES3_PiS7_iN6hipcub16HIPCUB_304000_NS6detail34convert_binary_result_type_wrapperINS9_3SumENS9_22TransformInputIteratorIbN2at6native12_GLOBAL__N_19NonZeroOpIN3c107complexINSI_4HalfEEEEEPKSL_lEEiEEEE10hipError_tPvRmT1_T2_T3_mT4_P12ihipStream_tbEUlT_E1_NS1_11comp_targetILNS1_3genE0ELNS1_11target_archE4294967295ELNS1_3gpuE0ELNS1_3repE0EEENS1_30default_config_static_selectorELNS0_4arch9wavefront6targetE0EEEvSU_ ; -- Begin function _ZN7rocprim17ROCPRIM_400000_NS6detail17trampoline_kernelINS0_14default_configENS1_22reduce_config_selectorIiEEZNS1_11reduce_implILb1ES3_PiS7_iN6hipcub16HIPCUB_304000_NS6detail34convert_binary_result_type_wrapperINS9_3SumENS9_22TransformInputIteratorIbN2at6native12_GLOBAL__N_19NonZeroOpIN3c107complexINSI_4HalfEEEEEPKSL_lEEiEEEE10hipError_tPvRmT1_T2_T3_mT4_P12ihipStream_tbEUlT_E1_NS1_11comp_targetILNS1_3genE0ELNS1_11target_archE4294967295ELNS1_3gpuE0ELNS1_3repE0EEENS1_30default_config_static_selectorELNS0_4arch9wavefront6targetE0EEEvSU_
	.p2align	8
	.type	_ZN7rocprim17ROCPRIM_400000_NS6detail17trampoline_kernelINS0_14default_configENS1_22reduce_config_selectorIiEEZNS1_11reduce_implILb1ES3_PiS7_iN6hipcub16HIPCUB_304000_NS6detail34convert_binary_result_type_wrapperINS9_3SumENS9_22TransformInputIteratorIbN2at6native12_GLOBAL__N_19NonZeroOpIN3c107complexINSI_4HalfEEEEEPKSL_lEEiEEEE10hipError_tPvRmT1_T2_T3_mT4_P12ihipStream_tbEUlT_E1_NS1_11comp_targetILNS1_3genE0ELNS1_11target_archE4294967295ELNS1_3gpuE0ELNS1_3repE0EEENS1_30default_config_static_selectorELNS0_4arch9wavefront6targetE0EEEvSU_,@function
_ZN7rocprim17ROCPRIM_400000_NS6detail17trampoline_kernelINS0_14default_configENS1_22reduce_config_selectorIiEEZNS1_11reduce_implILb1ES3_PiS7_iN6hipcub16HIPCUB_304000_NS6detail34convert_binary_result_type_wrapperINS9_3SumENS9_22TransformInputIteratorIbN2at6native12_GLOBAL__N_19NonZeroOpIN3c107complexINSI_4HalfEEEEEPKSL_lEEiEEEE10hipError_tPvRmT1_T2_T3_mT4_P12ihipStream_tbEUlT_E1_NS1_11comp_targetILNS1_3genE0ELNS1_11target_archE4294967295ELNS1_3gpuE0ELNS1_3repE0EEENS1_30default_config_static_selectorELNS0_4arch9wavefront6targetE0EEEvSU_: ; @_ZN7rocprim17ROCPRIM_400000_NS6detail17trampoline_kernelINS0_14default_configENS1_22reduce_config_selectorIiEEZNS1_11reduce_implILb1ES3_PiS7_iN6hipcub16HIPCUB_304000_NS6detail34convert_binary_result_type_wrapperINS9_3SumENS9_22TransformInputIteratorIbN2at6native12_GLOBAL__N_19NonZeroOpIN3c107complexINSI_4HalfEEEEEPKSL_lEEiEEEE10hipError_tPvRmT1_T2_T3_mT4_P12ihipStream_tbEUlT_E1_NS1_11comp_targetILNS1_3genE0ELNS1_11target_archE4294967295ELNS1_3gpuE0ELNS1_3repE0EEENS1_30default_config_static_selectorELNS0_4arch9wavefront6targetE0EEEvSU_
; %bb.0:
	.section	.rodata,"a",@progbits
	.p2align	6, 0x0
	.amdhsa_kernel _ZN7rocprim17ROCPRIM_400000_NS6detail17trampoline_kernelINS0_14default_configENS1_22reduce_config_selectorIiEEZNS1_11reduce_implILb1ES3_PiS7_iN6hipcub16HIPCUB_304000_NS6detail34convert_binary_result_type_wrapperINS9_3SumENS9_22TransformInputIteratorIbN2at6native12_GLOBAL__N_19NonZeroOpIN3c107complexINSI_4HalfEEEEEPKSL_lEEiEEEE10hipError_tPvRmT1_T2_T3_mT4_P12ihipStream_tbEUlT_E1_NS1_11comp_targetILNS1_3genE0ELNS1_11target_archE4294967295ELNS1_3gpuE0ELNS1_3repE0EEENS1_30default_config_static_selectorELNS0_4arch9wavefront6targetE0EEEvSU_
		.amdhsa_group_segment_fixed_size 0
		.amdhsa_private_segment_fixed_size 0
		.amdhsa_kernarg_size 40
		.amdhsa_user_sgpr_count 15
		.amdhsa_user_sgpr_dispatch_ptr 0
		.amdhsa_user_sgpr_queue_ptr 0
		.amdhsa_user_sgpr_kernarg_segment_ptr 1
		.amdhsa_user_sgpr_dispatch_id 0
		.amdhsa_user_sgpr_private_segment_size 0
		.amdhsa_wavefront_size32 1
		.amdhsa_uses_dynamic_stack 0
		.amdhsa_enable_private_segment 0
		.amdhsa_system_sgpr_workgroup_id_x 1
		.amdhsa_system_sgpr_workgroup_id_y 0
		.amdhsa_system_sgpr_workgroup_id_z 0
		.amdhsa_system_sgpr_workgroup_info 0
		.amdhsa_system_vgpr_workitem_id 0
		.amdhsa_next_free_vgpr 1
		.amdhsa_next_free_sgpr 1
		.amdhsa_reserve_vcc 0
		.amdhsa_float_round_mode_32 0
		.amdhsa_float_round_mode_16_64 0
		.amdhsa_float_denorm_mode_32 3
		.amdhsa_float_denorm_mode_16_64 3
		.amdhsa_dx10_clamp 1
		.amdhsa_ieee_mode 1
		.amdhsa_fp16_overflow 0
		.amdhsa_workgroup_processor_mode 1
		.amdhsa_memory_ordered 1
		.amdhsa_forward_progress 0
		.amdhsa_shared_vgpr_count 0
		.amdhsa_exception_fp_ieee_invalid_op 0
		.amdhsa_exception_fp_denorm_src 0
		.amdhsa_exception_fp_ieee_div_zero 0
		.amdhsa_exception_fp_ieee_overflow 0
		.amdhsa_exception_fp_ieee_underflow 0
		.amdhsa_exception_fp_ieee_inexact 0
		.amdhsa_exception_int_div_zero 0
	.end_amdhsa_kernel
	.section	.text._ZN7rocprim17ROCPRIM_400000_NS6detail17trampoline_kernelINS0_14default_configENS1_22reduce_config_selectorIiEEZNS1_11reduce_implILb1ES3_PiS7_iN6hipcub16HIPCUB_304000_NS6detail34convert_binary_result_type_wrapperINS9_3SumENS9_22TransformInputIteratorIbN2at6native12_GLOBAL__N_19NonZeroOpIN3c107complexINSI_4HalfEEEEEPKSL_lEEiEEEE10hipError_tPvRmT1_T2_T3_mT4_P12ihipStream_tbEUlT_E1_NS1_11comp_targetILNS1_3genE0ELNS1_11target_archE4294967295ELNS1_3gpuE0ELNS1_3repE0EEENS1_30default_config_static_selectorELNS0_4arch9wavefront6targetE0EEEvSU_,"axG",@progbits,_ZN7rocprim17ROCPRIM_400000_NS6detail17trampoline_kernelINS0_14default_configENS1_22reduce_config_selectorIiEEZNS1_11reduce_implILb1ES3_PiS7_iN6hipcub16HIPCUB_304000_NS6detail34convert_binary_result_type_wrapperINS9_3SumENS9_22TransformInputIteratorIbN2at6native12_GLOBAL__N_19NonZeroOpIN3c107complexINSI_4HalfEEEEEPKSL_lEEiEEEE10hipError_tPvRmT1_T2_T3_mT4_P12ihipStream_tbEUlT_E1_NS1_11comp_targetILNS1_3genE0ELNS1_11target_archE4294967295ELNS1_3gpuE0ELNS1_3repE0EEENS1_30default_config_static_selectorELNS0_4arch9wavefront6targetE0EEEvSU_,comdat
.Lfunc_end635:
	.size	_ZN7rocprim17ROCPRIM_400000_NS6detail17trampoline_kernelINS0_14default_configENS1_22reduce_config_selectorIiEEZNS1_11reduce_implILb1ES3_PiS7_iN6hipcub16HIPCUB_304000_NS6detail34convert_binary_result_type_wrapperINS9_3SumENS9_22TransformInputIteratorIbN2at6native12_GLOBAL__N_19NonZeroOpIN3c107complexINSI_4HalfEEEEEPKSL_lEEiEEEE10hipError_tPvRmT1_T2_T3_mT4_P12ihipStream_tbEUlT_E1_NS1_11comp_targetILNS1_3genE0ELNS1_11target_archE4294967295ELNS1_3gpuE0ELNS1_3repE0EEENS1_30default_config_static_selectorELNS0_4arch9wavefront6targetE0EEEvSU_, .Lfunc_end635-_ZN7rocprim17ROCPRIM_400000_NS6detail17trampoline_kernelINS0_14default_configENS1_22reduce_config_selectorIiEEZNS1_11reduce_implILb1ES3_PiS7_iN6hipcub16HIPCUB_304000_NS6detail34convert_binary_result_type_wrapperINS9_3SumENS9_22TransformInputIteratorIbN2at6native12_GLOBAL__N_19NonZeroOpIN3c107complexINSI_4HalfEEEEEPKSL_lEEiEEEE10hipError_tPvRmT1_T2_T3_mT4_P12ihipStream_tbEUlT_E1_NS1_11comp_targetILNS1_3genE0ELNS1_11target_archE4294967295ELNS1_3gpuE0ELNS1_3repE0EEENS1_30default_config_static_selectorELNS0_4arch9wavefront6targetE0EEEvSU_
                                        ; -- End function
	.section	.AMDGPU.csdata,"",@progbits
; Kernel info:
; codeLenInByte = 0
; NumSgprs: 0
; NumVgprs: 0
; ScratchSize: 0
; MemoryBound: 0
; FloatMode: 240
; IeeeMode: 1
; LDSByteSize: 0 bytes/workgroup (compile time only)
; SGPRBlocks: 0
; VGPRBlocks: 0
; NumSGPRsForWavesPerEU: 1
; NumVGPRsForWavesPerEU: 1
; Occupancy: 16
; WaveLimiterHint : 0
; COMPUTE_PGM_RSRC2:SCRATCH_EN: 0
; COMPUTE_PGM_RSRC2:USER_SGPR: 15
; COMPUTE_PGM_RSRC2:TRAP_HANDLER: 0
; COMPUTE_PGM_RSRC2:TGID_X_EN: 1
; COMPUTE_PGM_RSRC2:TGID_Y_EN: 0
; COMPUTE_PGM_RSRC2:TGID_Z_EN: 0
; COMPUTE_PGM_RSRC2:TIDIG_COMP_CNT: 0
	.section	.text._ZN7rocprim17ROCPRIM_400000_NS6detail17trampoline_kernelINS0_14default_configENS1_22reduce_config_selectorIiEEZNS1_11reduce_implILb1ES3_PiS7_iN6hipcub16HIPCUB_304000_NS6detail34convert_binary_result_type_wrapperINS9_3SumENS9_22TransformInputIteratorIbN2at6native12_GLOBAL__N_19NonZeroOpIN3c107complexINSI_4HalfEEEEEPKSL_lEEiEEEE10hipError_tPvRmT1_T2_T3_mT4_P12ihipStream_tbEUlT_E1_NS1_11comp_targetILNS1_3genE5ELNS1_11target_archE942ELNS1_3gpuE9ELNS1_3repE0EEENS1_30default_config_static_selectorELNS0_4arch9wavefront6targetE0EEEvSU_,"axG",@progbits,_ZN7rocprim17ROCPRIM_400000_NS6detail17trampoline_kernelINS0_14default_configENS1_22reduce_config_selectorIiEEZNS1_11reduce_implILb1ES3_PiS7_iN6hipcub16HIPCUB_304000_NS6detail34convert_binary_result_type_wrapperINS9_3SumENS9_22TransformInputIteratorIbN2at6native12_GLOBAL__N_19NonZeroOpIN3c107complexINSI_4HalfEEEEEPKSL_lEEiEEEE10hipError_tPvRmT1_T2_T3_mT4_P12ihipStream_tbEUlT_E1_NS1_11comp_targetILNS1_3genE5ELNS1_11target_archE942ELNS1_3gpuE9ELNS1_3repE0EEENS1_30default_config_static_selectorELNS0_4arch9wavefront6targetE0EEEvSU_,comdat
	.globl	_ZN7rocprim17ROCPRIM_400000_NS6detail17trampoline_kernelINS0_14default_configENS1_22reduce_config_selectorIiEEZNS1_11reduce_implILb1ES3_PiS7_iN6hipcub16HIPCUB_304000_NS6detail34convert_binary_result_type_wrapperINS9_3SumENS9_22TransformInputIteratorIbN2at6native12_GLOBAL__N_19NonZeroOpIN3c107complexINSI_4HalfEEEEEPKSL_lEEiEEEE10hipError_tPvRmT1_T2_T3_mT4_P12ihipStream_tbEUlT_E1_NS1_11comp_targetILNS1_3genE5ELNS1_11target_archE942ELNS1_3gpuE9ELNS1_3repE0EEENS1_30default_config_static_selectorELNS0_4arch9wavefront6targetE0EEEvSU_ ; -- Begin function _ZN7rocprim17ROCPRIM_400000_NS6detail17trampoline_kernelINS0_14default_configENS1_22reduce_config_selectorIiEEZNS1_11reduce_implILb1ES3_PiS7_iN6hipcub16HIPCUB_304000_NS6detail34convert_binary_result_type_wrapperINS9_3SumENS9_22TransformInputIteratorIbN2at6native12_GLOBAL__N_19NonZeroOpIN3c107complexINSI_4HalfEEEEEPKSL_lEEiEEEE10hipError_tPvRmT1_T2_T3_mT4_P12ihipStream_tbEUlT_E1_NS1_11comp_targetILNS1_3genE5ELNS1_11target_archE942ELNS1_3gpuE9ELNS1_3repE0EEENS1_30default_config_static_selectorELNS0_4arch9wavefront6targetE0EEEvSU_
	.p2align	8
	.type	_ZN7rocprim17ROCPRIM_400000_NS6detail17trampoline_kernelINS0_14default_configENS1_22reduce_config_selectorIiEEZNS1_11reduce_implILb1ES3_PiS7_iN6hipcub16HIPCUB_304000_NS6detail34convert_binary_result_type_wrapperINS9_3SumENS9_22TransformInputIteratorIbN2at6native12_GLOBAL__N_19NonZeroOpIN3c107complexINSI_4HalfEEEEEPKSL_lEEiEEEE10hipError_tPvRmT1_T2_T3_mT4_P12ihipStream_tbEUlT_E1_NS1_11comp_targetILNS1_3genE5ELNS1_11target_archE942ELNS1_3gpuE9ELNS1_3repE0EEENS1_30default_config_static_selectorELNS0_4arch9wavefront6targetE0EEEvSU_,@function
_ZN7rocprim17ROCPRIM_400000_NS6detail17trampoline_kernelINS0_14default_configENS1_22reduce_config_selectorIiEEZNS1_11reduce_implILb1ES3_PiS7_iN6hipcub16HIPCUB_304000_NS6detail34convert_binary_result_type_wrapperINS9_3SumENS9_22TransformInputIteratorIbN2at6native12_GLOBAL__N_19NonZeroOpIN3c107complexINSI_4HalfEEEEEPKSL_lEEiEEEE10hipError_tPvRmT1_T2_T3_mT4_P12ihipStream_tbEUlT_E1_NS1_11comp_targetILNS1_3genE5ELNS1_11target_archE942ELNS1_3gpuE9ELNS1_3repE0EEENS1_30default_config_static_selectorELNS0_4arch9wavefront6targetE0EEEvSU_: ; @_ZN7rocprim17ROCPRIM_400000_NS6detail17trampoline_kernelINS0_14default_configENS1_22reduce_config_selectorIiEEZNS1_11reduce_implILb1ES3_PiS7_iN6hipcub16HIPCUB_304000_NS6detail34convert_binary_result_type_wrapperINS9_3SumENS9_22TransformInputIteratorIbN2at6native12_GLOBAL__N_19NonZeroOpIN3c107complexINSI_4HalfEEEEEPKSL_lEEiEEEE10hipError_tPvRmT1_T2_T3_mT4_P12ihipStream_tbEUlT_E1_NS1_11comp_targetILNS1_3genE5ELNS1_11target_archE942ELNS1_3gpuE9ELNS1_3repE0EEENS1_30default_config_static_selectorELNS0_4arch9wavefront6targetE0EEEvSU_
; %bb.0:
	.section	.rodata,"a",@progbits
	.p2align	6, 0x0
	.amdhsa_kernel _ZN7rocprim17ROCPRIM_400000_NS6detail17trampoline_kernelINS0_14default_configENS1_22reduce_config_selectorIiEEZNS1_11reduce_implILb1ES3_PiS7_iN6hipcub16HIPCUB_304000_NS6detail34convert_binary_result_type_wrapperINS9_3SumENS9_22TransformInputIteratorIbN2at6native12_GLOBAL__N_19NonZeroOpIN3c107complexINSI_4HalfEEEEEPKSL_lEEiEEEE10hipError_tPvRmT1_T2_T3_mT4_P12ihipStream_tbEUlT_E1_NS1_11comp_targetILNS1_3genE5ELNS1_11target_archE942ELNS1_3gpuE9ELNS1_3repE0EEENS1_30default_config_static_selectorELNS0_4arch9wavefront6targetE0EEEvSU_
		.amdhsa_group_segment_fixed_size 0
		.amdhsa_private_segment_fixed_size 0
		.amdhsa_kernarg_size 40
		.amdhsa_user_sgpr_count 15
		.amdhsa_user_sgpr_dispatch_ptr 0
		.amdhsa_user_sgpr_queue_ptr 0
		.amdhsa_user_sgpr_kernarg_segment_ptr 1
		.amdhsa_user_sgpr_dispatch_id 0
		.amdhsa_user_sgpr_private_segment_size 0
		.amdhsa_wavefront_size32 1
		.amdhsa_uses_dynamic_stack 0
		.amdhsa_enable_private_segment 0
		.amdhsa_system_sgpr_workgroup_id_x 1
		.amdhsa_system_sgpr_workgroup_id_y 0
		.amdhsa_system_sgpr_workgroup_id_z 0
		.amdhsa_system_sgpr_workgroup_info 0
		.amdhsa_system_vgpr_workitem_id 0
		.amdhsa_next_free_vgpr 1
		.amdhsa_next_free_sgpr 1
		.amdhsa_reserve_vcc 0
		.amdhsa_float_round_mode_32 0
		.amdhsa_float_round_mode_16_64 0
		.amdhsa_float_denorm_mode_32 3
		.amdhsa_float_denorm_mode_16_64 3
		.amdhsa_dx10_clamp 1
		.amdhsa_ieee_mode 1
		.amdhsa_fp16_overflow 0
		.amdhsa_workgroup_processor_mode 1
		.amdhsa_memory_ordered 1
		.amdhsa_forward_progress 0
		.amdhsa_shared_vgpr_count 0
		.amdhsa_exception_fp_ieee_invalid_op 0
		.amdhsa_exception_fp_denorm_src 0
		.amdhsa_exception_fp_ieee_div_zero 0
		.amdhsa_exception_fp_ieee_overflow 0
		.amdhsa_exception_fp_ieee_underflow 0
		.amdhsa_exception_fp_ieee_inexact 0
		.amdhsa_exception_int_div_zero 0
	.end_amdhsa_kernel
	.section	.text._ZN7rocprim17ROCPRIM_400000_NS6detail17trampoline_kernelINS0_14default_configENS1_22reduce_config_selectorIiEEZNS1_11reduce_implILb1ES3_PiS7_iN6hipcub16HIPCUB_304000_NS6detail34convert_binary_result_type_wrapperINS9_3SumENS9_22TransformInputIteratorIbN2at6native12_GLOBAL__N_19NonZeroOpIN3c107complexINSI_4HalfEEEEEPKSL_lEEiEEEE10hipError_tPvRmT1_T2_T3_mT4_P12ihipStream_tbEUlT_E1_NS1_11comp_targetILNS1_3genE5ELNS1_11target_archE942ELNS1_3gpuE9ELNS1_3repE0EEENS1_30default_config_static_selectorELNS0_4arch9wavefront6targetE0EEEvSU_,"axG",@progbits,_ZN7rocprim17ROCPRIM_400000_NS6detail17trampoline_kernelINS0_14default_configENS1_22reduce_config_selectorIiEEZNS1_11reduce_implILb1ES3_PiS7_iN6hipcub16HIPCUB_304000_NS6detail34convert_binary_result_type_wrapperINS9_3SumENS9_22TransformInputIteratorIbN2at6native12_GLOBAL__N_19NonZeroOpIN3c107complexINSI_4HalfEEEEEPKSL_lEEiEEEE10hipError_tPvRmT1_T2_T3_mT4_P12ihipStream_tbEUlT_E1_NS1_11comp_targetILNS1_3genE5ELNS1_11target_archE942ELNS1_3gpuE9ELNS1_3repE0EEENS1_30default_config_static_selectorELNS0_4arch9wavefront6targetE0EEEvSU_,comdat
.Lfunc_end636:
	.size	_ZN7rocprim17ROCPRIM_400000_NS6detail17trampoline_kernelINS0_14default_configENS1_22reduce_config_selectorIiEEZNS1_11reduce_implILb1ES3_PiS7_iN6hipcub16HIPCUB_304000_NS6detail34convert_binary_result_type_wrapperINS9_3SumENS9_22TransformInputIteratorIbN2at6native12_GLOBAL__N_19NonZeroOpIN3c107complexINSI_4HalfEEEEEPKSL_lEEiEEEE10hipError_tPvRmT1_T2_T3_mT4_P12ihipStream_tbEUlT_E1_NS1_11comp_targetILNS1_3genE5ELNS1_11target_archE942ELNS1_3gpuE9ELNS1_3repE0EEENS1_30default_config_static_selectorELNS0_4arch9wavefront6targetE0EEEvSU_, .Lfunc_end636-_ZN7rocprim17ROCPRIM_400000_NS6detail17trampoline_kernelINS0_14default_configENS1_22reduce_config_selectorIiEEZNS1_11reduce_implILb1ES3_PiS7_iN6hipcub16HIPCUB_304000_NS6detail34convert_binary_result_type_wrapperINS9_3SumENS9_22TransformInputIteratorIbN2at6native12_GLOBAL__N_19NonZeroOpIN3c107complexINSI_4HalfEEEEEPKSL_lEEiEEEE10hipError_tPvRmT1_T2_T3_mT4_P12ihipStream_tbEUlT_E1_NS1_11comp_targetILNS1_3genE5ELNS1_11target_archE942ELNS1_3gpuE9ELNS1_3repE0EEENS1_30default_config_static_selectorELNS0_4arch9wavefront6targetE0EEEvSU_
                                        ; -- End function
	.section	.AMDGPU.csdata,"",@progbits
; Kernel info:
; codeLenInByte = 0
; NumSgprs: 0
; NumVgprs: 0
; ScratchSize: 0
; MemoryBound: 0
; FloatMode: 240
; IeeeMode: 1
; LDSByteSize: 0 bytes/workgroup (compile time only)
; SGPRBlocks: 0
; VGPRBlocks: 0
; NumSGPRsForWavesPerEU: 1
; NumVGPRsForWavesPerEU: 1
; Occupancy: 16
; WaveLimiterHint : 0
; COMPUTE_PGM_RSRC2:SCRATCH_EN: 0
; COMPUTE_PGM_RSRC2:USER_SGPR: 15
; COMPUTE_PGM_RSRC2:TRAP_HANDLER: 0
; COMPUTE_PGM_RSRC2:TGID_X_EN: 1
; COMPUTE_PGM_RSRC2:TGID_Y_EN: 0
; COMPUTE_PGM_RSRC2:TGID_Z_EN: 0
; COMPUTE_PGM_RSRC2:TIDIG_COMP_CNT: 0
	.section	.text._ZN7rocprim17ROCPRIM_400000_NS6detail17trampoline_kernelINS0_14default_configENS1_22reduce_config_selectorIiEEZNS1_11reduce_implILb1ES3_PiS7_iN6hipcub16HIPCUB_304000_NS6detail34convert_binary_result_type_wrapperINS9_3SumENS9_22TransformInputIteratorIbN2at6native12_GLOBAL__N_19NonZeroOpIN3c107complexINSI_4HalfEEEEEPKSL_lEEiEEEE10hipError_tPvRmT1_T2_T3_mT4_P12ihipStream_tbEUlT_E1_NS1_11comp_targetILNS1_3genE4ELNS1_11target_archE910ELNS1_3gpuE8ELNS1_3repE0EEENS1_30default_config_static_selectorELNS0_4arch9wavefront6targetE0EEEvSU_,"axG",@progbits,_ZN7rocprim17ROCPRIM_400000_NS6detail17trampoline_kernelINS0_14default_configENS1_22reduce_config_selectorIiEEZNS1_11reduce_implILb1ES3_PiS7_iN6hipcub16HIPCUB_304000_NS6detail34convert_binary_result_type_wrapperINS9_3SumENS9_22TransformInputIteratorIbN2at6native12_GLOBAL__N_19NonZeroOpIN3c107complexINSI_4HalfEEEEEPKSL_lEEiEEEE10hipError_tPvRmT1_T2_T3_mT4_P12ihipStream_tbEUlT_E1_NS1_11comp_targetILNS1_3genE4ELNS1_11target_archE910ELNS1_3gpuE8ELNS1_3repE0EEENS1_30default_config_static_selectorELNS0_4arch9wavefront6targetE0EEEvSU_,comdat
	.globl	_ZN7rocprim17ROCPRIM_400000_NS6detail17trampoline_kernelINS0_14default_configENS1_22reduce_config_selectorIiEEZNS1_11reduce_implILb1ES3_PiS7_iN6hipcub16HIPCUB_304000_NS6detail34convert_binary_result_type_wrapperINS9_3SumENS9_22TransformInputIteratorIbN2at6native12_GLOBAL__N_19NonZeroOpIN3c107complexINSI_4HalfEEEEEPKSL_lEEiEEEE10hipError_tPvRmT1_T2_T3_mT4_P12ihipStream_tbEUlT_E1_NS1_11comp_targetILNS1_3genE4ELNS1_11target_archE910ELNS1_3gpuE8ELNS1_3repE0EEENS1_30default_config_static_selectorELNS0_4arch9wavefront6targetE0EEEvSU_ ; -- Begin function _ZN7rocprim17ROCPRIM_400000_NS6detail17trampoline_kernelINS0_14default_configENS1_22reduce_config_selectorIiEEZNS1_11reduce_implILb1ES3_PiS7_iN6hipcub16HIPCUB_304000_NS6detail34convert_binary_result_type_wrapperINS9_3SumENS9_22TransformInputIteratorIbN2at6native12_GLOBAL__N_19NonZeroOpIN3c107complexINSI_4HalfEEEEEPKSL_lEEiEEEE10hipError_tPvRmT1_T2_T3_mT4_P12ihipStream_tbEUlT_E1_NS1_11comp_targetILNS1_3genE4ELNS1_11target_archE910ELNS1_3gpuE8ELNS1_3repE0EEENS1_30default_config_static_selectorELNS0_4arch9wavefront6targetE0EEEvSU_
	.p2align	8
	.type	_ZN7rocprim17ROCPRIM_400000_NS6detail17trampoline_kernelINS0_14default_configENS1_22reduce_config_selectorIiEEZNS1_11reduce_implILb1ES3_PiS7_iN6hipcub16HIPCUB_304000_NS6detail34convert_binary_result_type_wrapperINS9_3SumENS9_22TransformInputIteratorIbN2at6native12_GLOBAL__N_19NonZeroOpIN3c107complexINSI_4HalfEEEEEPKSL_lEEiEEEE10hipError_tPvRmT1_T2_T3_mT4_P12ihipStream_tbEUlT_E1_NS1_11comp_targetILNS1_3genE4ELNS1_11target_archE910ELNS1_3gpuE8ELNS1_3repE0EEENS1_30default_config_static_selectorELNS0_4arch9wavefront6targetE0EEEvSU_,@function
_ZN7rocprim17ROCPRIM_400000_NS6detail17trampoline_kernelINS0_14default_configENS1_22reduce_config_selectorIiEEZNS1_11reduce_implILb1ES3_PiS7_iN6hipcub16HIPCUB_304000_NS6detail34convert_binary_result_type_wrapperINS9_3SumENS9_22TransformInputIteratorIbN2at6native12_GLOBAL__N_19NonZeroOpIN3c107complexINSI_4HalfEEEEEPKSL_lEEiEEEE10hipError_tPvRmT1_T2_T3_mT4_P12ihipStream_tbEUlT_E1_NS1_11comp_targetILNS1_3genE4ELNS1_11target_archE910ELNS1_3gpuE8ELNS1_3repE0EEENS1_30default_config_static_selectorELNS0_4arch9wavefront6targetE0EEEvSU_: ; @_ZN7rocprim17ROCPRIM_400000_NS6detail17trampoline_kernelINS0_14default_configENS1_22reduce_config_selectorIiEEZNS1_11reduce_implILb1ES3_PiS7_iN6hipcub16HIPCUB_304000_NS6detail34convert_binary_result_type_wrapperINS9_3SumENS9_22TransformInputIteratorIbN2at6native12_GLOBAL__N_19NonZeroOpIN3c107complexINSI_4HalfEEEEEPKSL_lEEiEEEE10hipError_tPvRmT1_T2_T3_mT4_P12ihipStream_tbEUlT_E1_NS1_11comp_targetILNS1_3genE4ELNS1_11target_archE910ELNS1_3gpuE8ELNS1_3repE0EEENS1_30default_config_static_selectorELNS0_4arch9wavefront6targetE0EEEvSU_
; %bb.0:
	.section	.rodata,"a",@progbits
	.p2align	6, 0x0
	.amdhsa_kernel _ZN7rocprim17ROCPRIM_400000_NS6detail17trampoline_kernelINS0_14default_configENS1_22reduce_config_selectorIiEEZNS1_11reduce_implILb1ES3_PiS7_iN6hipcub16HIPCUB_304000_NS6detail34convert_binary_result_type_wrapperINS9_3SumENS9_22TransformInputIteratorIbN2at6native12_GLOBAL__N_19NonZeroOpIN3c107complexINSI_4HalfEEEEEPKSL_lEEiEEEE10hipError_tPvRmT1_T2_T3_mT4_P12ihipStream_tbEUlT_E1_NS1_11comp_targetILNS1_3genE4ELNS1_11target_archE910ELNS1_3gpuE8ELNS1_3repE0EEENS1_30default_config_static_selectorELNS0_4arch9wavefront6targetE0EEEvSU_
		.amdhsa_group_segment_fixed_size 0
		.amdhsa_private_segment_fixed_size 0
		.amdhsa_kernarg_size 40
		.amdhsa_user_sgpr_count 15
		.amdhsa_user_sgpr_dispatch_ptr 0
		.amdhsa_user_sgpr_queue_ptr 0
		.amdhsa_user_sgpr_kernarg_segment_ptr 1
		.amdhsa_user_sgpr_dispatch_id 0
		.amdhsa_user_sgpr_private_segment_size 0
		.amdhsa_wavefront_size32 1
		.amdhsa_uses_dynamic_stack 0
		.amdhsa_enable_private_segment 0
		.amdhsa_system_sgpr_workgroup_id_x 1
		.amdhsa_system_sgpr_workgroup_id_y 0
		.amdhsa_system_sgpr_workgroup_id_z 0
		.amdhsa_system_sgpr_workgroup_info 0
		.amdhsa_system_vgpr_workitem_id 0
		.amdhsa_next_free_vgpr 1
		.amdhsa_next_free_sgpr 1
		.amdhsa_reserve_vcc 0
		.amdhsa_float_round_mode_32 0
		.amdhsa_float_round_mode_16_64 0
		.amdhsa_float_denorm_mode_32 3
		.amdhsa_float_denorm_mode_16_64 3
		.amdhsa_dx10_clamp 1
		.amdhsa_ieee_mode 1
		.amdhsa_fp16_overflow 0
		.amdhsa_workgroup_processor_mode 1
		.amdhsa_memory_ordered 1
		.amdhsa_forward_progress 0
		.amdhsa_shared_vgpr_count 0
		.amdhsa_exception_fp_ieee_invalid_op 0
		.amdhsa_exception_fp_denorm_src 0
		.amdhsa_exception_fp_ieee_div_zero 0
		.amdhsa_exception_fp_ieee_overflow 0
		.amdhsa_exception_fp_ieee_underflow 0
		.amdhsa_exception_fp_ieee_inexact 0
		.amdhsa_exception_int_div_zero 0
	.end_amdhsa_kernel
	.section	.text._ZN7rocprim17ROCPRIM_400000_NS6detail17trampoline_kernelINS0_14default_configENS1_22reduce_config_selectorIiEEZNS1_11reduce_implILb1ES3_PiS7_iN6hipcub16HIPCUB_304000_NS6detail34convert_binary_result_type_wrapperINS9_3SumENS9_22TransformInputIteratorIbN2at6native12_GLOBAL__N_19NonZeroOpIN3c107complexINSI_4HalfEEEEEPKSL_lEEiEEEE10hipError_tPvRmT1_T2_T3_mT4_P12ihipStream_tbEUlT_E1_NS1_11comp_targetILNS1_3genE4ELNS1_11target_archE910ELNS1_3gpuE8ELNS1_3repE0EEENS1_30default_config_static_selectorELNS0_4arch9wavefront6targetE0EEEvSU_,"axG",@progbits,_ZN7rocprim17ROCPRIM_400000_NS6detail17trampoline_kernelINS0_14default_configENS1_22reduce_config_selectorIiEEZNS1_11reduce_implILb1ES3_PiS7_iN6hipcub16HIPCUB_304000_NS6detail34convert_binary_result_type_wrapperINS9_3SumENS9_22TransformInputIteratorIbN2at6native12_GLOBAL__N_19NonZeroOpIN3c107complexINSI_4HalfEEEEEPKSL_lEEiEEEE10hipError_tPvRmT1_T2_T3_mT4_P12ihipStream_tbEUlT_E1_NS1_11comp_targetILNS1_3genE4ELNS1_11target_archE910ELNS1_3gpuE8ELNS1_3repE0EEENS1_30default_config_static_selectorELNS0_4arch9wavefront6targetE0EEEvSU_,comdat
.Lfunc_end637:
	.size	_ZN7rocprim17ROCPRIM_400000_NS6detail17trampoline_kernelINS0_14default_configENS1_22reduce_config_selectorIiEEZNS1_11reduce_implILb1ES3_PiS7_iN6hipcub16HIPCUB_304000_NS6detail34convert_binary_result_type_wrapperINS9_3SumENS9_22TransformInputIteratorIbN2at6native12_GLOBAL__N_19NonZeroOpIN3c107complexINSI_4HalfEEEEEPKSL_lEEiEEEE10hipError_tPvRmT1_T2_T3_mT4_P12ihipStream_tbEUlT_E1_NS1_11comp_targetILNS1_3genE4ELNS1_11target_archE910ELNS1_3gpuE8ELNS1_3repE0EEENS1_30default_config_static_selectorELNS0_4arch9wavefront6targetE0EEEvSU_, .Lfunc_end637-_ZN7rocprim17ROCPRIM_400000_NS6detail17trampoline_kernelINS0_14default_configENS1_22reduce_config_selectorIiEEZNS1_11reduce_implILb1ES3_PiS7_iN6hipcub16HIPCUB_304000_NS6detail34convert_binary_result_type_wrapperINS9_3SumENS9_22TransformInputIteratorIbN2at6native12_GLOBAL__N_19NonZeroOpIN3c107complexINSI_4HalfEEEEEPKSL_lEEiEEEE10hipError_tPvRmT1_T2_T3_mT4_P12ihipStream_tbEUlT_E1_NS1_11comp_targetILNS1_3genE4ELNS1_11target_archE910ELNS1_3gpuE8ELNS1_3repE0EEENS1_30default_config_static_selectorELNS0_4arch9wavefront6targetE0EEEvSU_
                                        ; -- End function
	.section	.AMDGPU.csdata,"",@progbits
; Kernel info:
; codeLenInByte = 0
; NumSgprs: 0
; NumVgprs: 0
; ScratchSize: 0
; MemoryBound: 0
; FloatMode: 240
; IeeeMode: 1
; LDSByteSize: 0 bytes/workgroup (compile time only)
; SGPRBlocks: 0
; VGPRBlocks: 0
; NumSGPRsForWavesPerEU: 1
; NumVGPRsForWavesPerEU: 1
; Occupancy: 16
; WaveLimiterHint : 0
; COMPUTE_PGM_RSRC2:SCRATCH_EN: 0
; COMPUTE_PGM_RSRC2:USER_SGPR: 15
; COMPUTE_PGM_RSRC2:TRAP_HANDLER: 0
; COMPUTE_PGM_RSRC2:TGID_X_EN: 1
; COMPUTE_PGM_RSRC2:TGID_Y_EN: 0
; COMPUTE_PGM_RSRC2:TGID_Z_EN: 0
; COMPUTE_PGM_RSRC2:TIDIG_COMP_CNT: 0
	.section	.text._ZN7rocprim17ROCPRIM_400000_NS6detail17trampoline_kernelINS0_14default_configENS1_22reduce_config_selectorIiEEZNS1_11reduce_implILb1ES3_PiS7_iN6hipcub16HIPCUB_304000_NS6detail34convert_binary_result_type_wrapperINS9_3SumENS9_22TransformInputIteratorIbN2at6native12_GLOBAL__N_19NonZeroOpIN3c107complexINSI_4HalfEEEEEPKSL_lEEiEEEE10hipError_tPvRmT1_T2_T3_mT4_P12ihipStream_tbEUlT_E1_NS1_11comp_targetILNS1_3genE3ELNS1_11target_archE908ELNS1_3gpuE7ELNS1_3repE0EEENS1_30default_config_static_selectorELNS0_4arch9wavefront6targetE0EEEvSU_,"axG",@progbits,_ZN7rocprim17ROCPRIM_400000_NS6detail17trampoline_kernelINS0_14default_configENS1_22reduce_config_selectorIiEEZNS1_11reduce_implILb1ES3_PiS7_iN6hipcub16HIPCUB_304000_NS6detail34convert_binary_result_type_wrapperINS9_3SumENS9_22TransformInputIteratorIbN2at6native12_GLOBAL__N_19NonZeroOpIN3c107complexINSI_4HalfEEEEEPKSL_lEEiEEEE10hipError_tPvRmT1_T2_T3_mT4_P12ihipStream_tbEUlT_E1_NS1_11comp_targetILNS1_3genE3ELNS1_11target_archE908ELNS1_3gpuE7ELNS1_3repE0EEENS1_30default_config_static_selectorELNS0_4arch9wavefront6targetE0EEEvSU_,comdat
	.globl	_ZN7rocprim17ROCPRIM_400000_NS6detail17trampoline_kernelINS0_14default_configENS1_22reduce_config_selectorIiEEZNS1_11reduce_implILb1ES3_PiS7_iN6hipcub16HIPCUB_304000_NS6detail34convert_binary_result_type_wrapperINS9_3SumENS9_22TransformInputIteratorIbN2at6native12_GLOBAL__N_19NonZeroOpIN3c107complexINSI_4HalfEEEEEPKSL_lEEiEEEE10hipError_tPvRmT1_T2_T3_mT4_P12ihipStream_tbEUlT_E1_NS1_11comp_targetILNS1_3genE3ELNS1_11target_archE908ELNS1_3gpuE7ELNS1_3repE0EEENS1_30default_config_static_selectorELNS0_4arch9wavefront6targetE0EEEvSU_ ; -- Begin function _ZN7rocprim17ROCPRIM_400000_NS6detail17trampoline_kernelINS0_14default_configENS1_22reduce_config_selectorIiEEZNS1_11reduce_implILb1ES3_PiS7_iN6hipcub16HIPCUB_304000_NS6detail34convert_binary_result_type_wrapperINS9_3SumENS9_22TransformInputIteratorIbN2at6native12_GLOBAL__N_19NonZeroOpIN3c107complexINSI_4HalfEEEEEPKSL_lEEiEEEE10hipError_tPvRmT1_T2_T3_mT4_P12ihipStream_tbEUlT_E1_NS1_11comp_targetILNS1_3genE3ELNS1_11target_archE908ELNS1_3gpuE7ELNS1_3repE0EEENS1_30default_config_static_selectorELNS0_4arch9wavefront6targetE0EEEvSU_
	.p2align	8
	.type	_ZN7rocprim17ROCPRIM_400000_NS6detail17trampoline_kernelINS0_14default_configENS1_22reduce_config_selectorIiEEZNS1_11reduce_implILb1ES3_PiS7_iN6hipcub16HIPCUB_304000_NS6detail34convert_binary_result_type_wrapperINS9_3SumENS9_22TransformInputIteratorIbN2at6native12_GLOBAL__N_19NonZeroOpIN3c107complexINSI_4HalfEEEEEPKSL_lEEiEEEE10hipError_tPvRmT1_T2_T3_mT4_P12ihipStream_tbEUlT_E1_NS1_11comp_targetILNS1_3genE3ELNS1_11target_archE908ELNS1_3gpuE7ELNS1_3repE0EEENS1_30default_config_static_selectorELNS0_4arch9wavefront6targetE0EEEvSU_,@function
_ZN7rocprim17ROCPRIM_400000_NS6detail17trampoline_kernelINS0_14default_configENS1_22reduce_config_selectorIiEEZNS1_11reduce_implILb1ES3_PiS7_iN6hipcub16HIPCUB_304000_NS6detail34convert_binary_result_type_wrapperINS9_3SumENS9_22TransformInputIteratorIbN2at6native12_GLOBAL__N_19NonZeroOpIN3c107complexINSI_4HalfEEEEEPKSL_lEEiEEEE10hipError_tPvRmT1_T2_T3_mT4_P12ihipStream_tbEUlT_E1_NS1_11comp_targetILNS1_3genE3ELNS1_11target_archE908ELNS1_3gpuE7ELNS1_3repE0EEENS1_30default_config_static_selectorELNS0_4arch9wavefront6targetE0EEEvSU_: ; @_ZN7rocprim17ROCPRIM_400000_NS6detail17trampoline_kernelINS0_14default_configENS1_22reduce_config_selectorIiEEZNS1_11reduce_implILb1ES3_PiS7_iN6hipcub16HIPCUB_304000_NS6detail34convert_binary_result_type_wrapperINS9_3SumENS9_22TransformInputIteratorIbN2at6native12_GLOBAL__N_19NonZeroOpIN3c107complexINSI_4HalfEEEEEPKSL_lEEiEEEE10hipError_tPvRmT1_T2_T3_mT4_P12ihipStream_tbEUlT_E1_NS1_11comp_targetILNS1_3genE3ELNS1_11target_archE908ELNS1_3gpuE7ELNS1_3repE0EEENS1_30default_config_static_selectorELNS0_4arch9wavefront6targetE0EEEvSU_
; %bb.0:
	.section	.rodata,"a",@progbits
	.p2align	6, 0x0
	.amdhsa_kernel _ZN7rocprim17ROCPRIM_400000_NS6detail17trampoline_kernelINS0_14default_configENS1_22reduce_config_selectorIiEEZNS1_11reduce_implILb1ES3_PiS7_iN6hipcub16HIPCUB_304000_NS6detail34convert_binary_result_type_wrapperINS9_3SumENS9_22TransformInputIteratorIbN2at6native12_GLOBAL__N_19NonZeroOpIN3c107complexINSI_4HalfEEEEEPKSL_lEEiEEEE10hipError_tPvRmT1_T2_T3_mT4_P12ihipStream_tbEUlT_E1_NS1_11comp_targetILNS1_3genE3ELNS1_11target_archE908ELNS1_3gpuE7ELNS1_3repE0EEENS1_30default_config_static_selectorELNS0_4arch9wavefront6targetE0EEEvSU_
		.amdhsa_group_segment_fixed_size 0
		.amdhsa_private_segment_fixed_size 0
		.amdhsa_kernarg_size 40
		.amdhsa_user_sgpr_count 15
		.amdhsa_user_sgpr_dispatch_ptr 0
		.amdhsa_user_sgpr_queue_ptr 0
		.amdhsa_user_sgpr_kernarg_segment_ptr 1
		.amdhsa_user_sgpr_dispatch_id 0
		.amdhsa_user_sgpr_private_segment_size 0
		.amdhsa_wavefront_size32 1
		.amdhsa_uses_dynamic_stack 0
		.amdhsa_enable_private_segment 0
		.amdhsa_system_sgpr_workgroup_id_x 1
		.amdhsa_system_sgpr_workgroup_id_y 0
		.amdhsa_system_sgpr_workgroup_id_z 0
		.amdhsa_system_sgpr_workgroup_info 0
		.amdhsa_system_vgpr_workitem_id 0
		.amdhsa_next_free_vgpr 1
		.amdhsa_next_free_sgpr 1
		.amdhsa_reserve_vcc 0
		.amdhsa_float_round_mode_32 0
		.amdhsa_float_round_mode_16_64 0
		.amdhsa_float_denorm_mode_32 3
		.amdhsa_float_denorm_mode_16_64 3
		.amdhsa_dx10_clamp 1
		.amdhsa_ieee_mode 1
		.amdhsa_fp16_overflow 0
		.amdhsa_workgroup_processor_mode 1
		.amdhsa_memory_ordered 1
		.amdhsa_forward_progress 0
		.amdhsa_shared_vgpr_count 0
		.amdhsa_exception_fp_ieee_invalid_op 0
		.amdhsa_exception_fp_denorm_src 0
		.amdhsa_exception_fp_ieee_div_zero 0
		.amdhsa_exception_fp_ieee_overflow 0
		.amdhsa_exception_fp_ieee_underflow 0
		.amdhsa_exception_fp_ieee_inexact 0
		.amdhsa_exception_int_div_zero 0
	.end_amdhsa_kernel
	.section	.text._ZN7rocprim17ROCPRIM_400000_NS6detail17trampoline_kernelINS0_14default_configENS1_22reduce_config_selectorIiEEZNS1_11reduce_implILb1ES3_PiS7_iN6hipcub16HIPCUB_304000_NS6detail34convert_binary_result_type_wrapperINS9_3SumENS9_22TransformInputIteratorIbN2at6native12_GLOBAL__N_19NonZeroOpIN3c107complexINSI_4HalfEEEEEPKSL_lEEiEEEE10hipError_tPvRmT1_T2_T3_mT4_P12ihipStream_tbEUlT_E1_NS1_11comp_targetILNS1_3genE3ELNS1_11target_archE908ELNS1_3gpuE7ELNS1_3repE0EEENS1_30default_config_static_selectorELNS0_4arch9wavefront6targetE0EEEvSU_,"axG",@progbits,_ZN7rocprim17ROCPRIM_400000_NS6detail17trampoline_kernelINS0_14default_configENS1_22reduce_config_selectorIiEEZNS1_11reduce_implILb1ES3_PiS7_iN6hipcub16HIPCUB_304000_NS6detail34convert_binary_result_type_wrapperINS9_3SumENS9_22TransformInputIteratorIbN2at6native12_GLOBAL__N_19NonZeroOpIN3c107complexINSI_4HalfEEEEEPKSL_lEEiEEEE10hipError_tPvRmT1_T2_T3_mT4_P12ihipStream_tbEUlT_E1_NS1_11comp_targetILNS1_3genE3ELNS1_11target_archE908ELNS1_3gpuE7ELNS1_3repE0EEENS1_30default_config_static_selectorELNS0_4arch9wavefront6targetE0EEEvSU_,comdat
.Lfunc_end638:
	.size	_ZN7rocprim17ROCPRIM_400000_NS6detail17trampoline_kernelINS0_14default_configENS1_22reduce_config_selectorIiEEZNS1_11reduce_implILb1ES3_PiS7_iN6hipcub16HIPCUB_304000_NS6detail34convert_binary_result_type_wrapperINS9_3SumENS9_22TransformInputIteratorIbN2at6native12_GLOBAL__N_19NonZeroOpIN3c107complexINSI_4HalfEEEEEPKSL_lEEiEEEE10hipError_tPvRmT1_T2_T3_mT4_P12ihipStream_tbEUlT_E1_NS1_11comp_targetILNS1_3genE3ELNS1_11target_archE908ELNS1_3gpuE7ELNS1_3repE0EEENS1_30default_config_static_selectorELNS0_4arch9wavefront6targetE0EEEvSU_, .Lfunc_end638-_ZN7rocprim17ROCPRIM_400000_NS6detail17trampoline_kernelINS0_14default_configENS1_22reduce_config_selectorIiEEZNS1_11reduce_implILb1ES3_PiS7_iN6hipcub16HIPCUB_304000_NS6detail34convert_binary_result_type_wrapperINS9_3SumENS9_22TransformInputIteratorIbN2at6native12_GLOBAL__N_19NonZeroOpIN3c107complexINSI_4HalfEEEEEPKSL_lEEiEEEE10hipError_tPvRmT1_T2_T3_mT4_P12ihipStream_tbEUlT_E1_NS1_11comp_targetILNS1_3genE3ELNS1_11target_archE908ELNS1_3gpuE7ELNS1_3repE0EEENS1_30default_config_static_selectorELNS0_4arch9wavefront6targetE0EEEvSU_
                                        ; -- End function
	.section	.AMDGPU.csdata,"",@progbits
; Kernel info:
; codeLenInByte = 0
; NumSgprs: 0
; NumVgprs: 0
; ScratchSize: 0
; MemoryBound: 0
; FloatMode: 240
; IeeeMode: 1
; LDSByteSize: 0 bytes/workgroup (compile time only)
; SGPRBlocks: 0
; VGPRBlocks: 0
; NumSGPRsForWavesPerEU: 1
; NumVGPRsForWavesPerEU: 1
; Occupancy: 16
; WaveLimiterHint : 0
; COMPUTE_PGM_RSRC2:SCRATCH_EN: 0
; COMPUTE_PGM_RSRC2:USER_SGPR: 15
; COMPUTE_PGM_RSRC2:TRAP_HANDLER: 0
; COMPUTE_PGM_RSRC2:TGID_X_EN: 1
; COMPUTE_PGM_RSRC2:TGID_Y_EN: 0
; COMPUTE_PGM_RSRC2:TGID_Z_EN: 0
; COMPUTE_PGM_RSRC2:TIDIG_COMP_CNT: 0
	.section	.text._ZN7rocprim17ROCPRIM_400000_NS6detail17trampoline_kernelINS0_14default_configENS1_22reduce_config_selectorIiEEZNS1_11reduce_implILb1ES3_PiS7_iN6hipcub16HIPCUB_304000_NS6detail34convert_binary_result_type_wrapperINS9_3SumENS9_22TransformInputIteratorIbN2at6native12_GLOBAL__N_19NonZeroOpIN3c107complexINSI_4HalfEEEEEPKSL_lEEiEEEE10hipError_tPvRmT1_T2_T3_mT4_P12ihipStream_tbEUlT_E1_NS1_11comp_targetILNS1_3genE2ELNS1_11target_archE906ELNS1_3gpuE6ELNS1_3repE0EEENS1_30default_config_static_selectorELNS0_4arch9wavefront6targetE0EEEvSU_,"axG",@progbits,_ZN7rocprim17ROCPRIM_400000_NS6detail17trampoline_kernelINS0_14default_configENS1_22reduce_config_selectorIiEEZNS1_11reduce_implILb1ES3_PiS7_iN6hipcub16HIPCUB_304000_NS6detail34convert_binary_result_type_wrapperINS9_3SumENS9_22TransformInputIteratorIbN2at6native12_GLOBAL__N_19NonZeroOpIN3c107complexINSI_4HalfEEEEEPKSL_lEEiEEEE10hipError_tPvRmT1_T2_T3_mT4_P12ihipStream_tbEUlT_E1_NS1_11comp_targetILNS1_3genE2ELNS1_11target_archE906ELNS1_3gpuE6ELNS1_3repE0EEENS1_30default_config_static_selectorELNS0_4arch9wavefront6targetE0EEEvSU_,comdat
	.globl	_ZN7rocprim17ROCPRIM_400000_NS6detail17trampoline_kernelINS0_14default_configENS1_22reduce_config_selectorIiEEZNS1_11reduce_implILb1ES3_PiS7_iN6hipcub16HIPCUB_304000_NS6detail34convert_binary_result_type_wrapperINS9_3SumENS9_22TransformInputIteratorIbN2at6native12_GLOBAL__N_19NonZeroOpIN3c107complexINSI_4HalfEEEEEPKSL_lEEiEEEE10hipError_tPvRmT1_T2_T3_mT4_P12ihipStream_tbEUlT_E1_NS1_11comp_targetILNS1_3genE2ELNS1_11target_archE906ELNS1_3gpuE6ELNS1_3repE0EEENS1_30default_config_static_selectorELNS0_4arch9wavefront6targetE0EEEvSU_ ; -- Begin function _ZN7rocprim17ROCPRIM_400000_NS6detail17trampoline_kernelINS0_14default_configENS1_22reduce_config_selectorIiEEZNS1_11reduce_implILb1ES3_PiS7_iN6hipcub16HIPCUB_304000_NS6detail34convert_binary_result_type_wrapperINS9_3SumENS9_22TransformInputIteratorIbN2at6native12_GLOBAL__N_19NonZeroOpIN3c107complexINSI_4HalfEEEEEPKSL_lEEiEEEE10hipError_tPvRmT1_T2_T3_mT4_P12ihipStream_tbEUlT_E1_NS1_11comp_targetILNS1_3genE2ELNS1_11target_archE906ELNS1_3gpuE6ELNS1_3repE0EEENS1_30default_config_static_selectorELNS0_4arch9wavefront6targetE0EEEvSU_
	.p2align	8
	.type	_ZN7rocprim17ROCPRIM_400000_NS6detail17trampoline_kernelINS0_14default_configENS1_22reduce_config_selectorIiEEZNS1_11reduce_implILb1ES3_PiS7_iN6hipcub16HIPCUB_304000_NS6detail34convert_binary_result_type_wrapperINS9_3SumENS9_22TransformInputIteratorIbN2at6native12_GLOBAL__N_19NonZeroOpIN3c107complexINSI_4HalfEEEEEPKSL_lEEiEEEE10hipError_tPvRmT1_T2_T3_mT4_P12ihipStream_tbEUlT_E1_NS1_11comp_targetILNS1_3genE2ELNS1_11target_archE906ELNS1_3gpuE6ELNS1_3repE0EEENS1_30default_config_static_selectorELNS0_4arch9wavefront6targetE0EEEvSU_,@function
_ZN7rocprim17ROCPRIM_400000_NS6detail17trampoline_kernelINS0_14default_configENS1_22reduce_config_selectorIiEEZNS1_11reduce_implILb1ES3_PiS7_iN6hipcub16HIPCUB_304000_NS6detail34convert_binary_result_type_wrapperINS9_3SumENS9_22TransformInputIteratorIbN2at6native12_GLOBAL__N_19NonZeroOpIN3c107complexINSI_4HalfEEEEEPKSL_lEEiEEEE10hipError_tPvRmT1_T2_T3_mT4_P12ihipStream_tbEUlT_E1_NS1_11comp_targetILNS1_3genE2ELNS1_11target_archE906ELNS1_3gpuE6ELNS1_3repE0EEENS1_30default_config_static_selectorELNS0_4arch9wavefront6targetE0EEEvSU_: ; @_ZN7rocprim17ROCPRIM_400000_NS6detail17trampoline_kernelINS0_14default_configENS1_22reduce_config_selectorIiEEZNS1_11reduce_implILb1ES3_PiS7_iN6hipcub16HIPCUB_304000_NS6detail34convert_binary_result_type_wrapperINS9_3SumENS9_22TransformInputIteratorIbN2at6native12_GLOBAL__N_19NonZeroOpIN3c107complexINSI_4HalfEEEEEPKSL_lEEiEEEE10hipError_tPvRmT1_T2_T3_mT4_P12ihipStream_tbEUlT_E1_NS1_11comp_targetILNS1_3genE2ELNS1_11target_archE906ELNS1_3gpuE6ELNS1_3repE0EEENS1_30default_config_static_selectorELNS0_4arch9wavefront6targetE0EEEvSU_
; %bb.0:
	.section	.rodata,"a",@progbits
	.p2align	6, 0x0
	.amdhsa_kernel _ZN7rocprim17ROCPRIM_400000_NS6detail17trampoline_kernelINS0_14default_configENS1_22reduce_config_selectorIiEEZNS1_11reduce_implILb1ES3_PiS7_iN6hipcub16HIPCUB_304000_NS6detail34convert_binary_result_type_wrapperINS9_3SumENS9_22TransformInputIteratorIbN2at6native12_GLOBAL__N_19NonZeroOpIN3c107complexINSI_4HalfEEEEEPKSL_lEEiEEEE10hipError_tPvRmT1_T2_T3_mT4_P12ihipStream_tbEUlT_E1_NS1_11comp_targetILNS1_3genE2ELNS1_11target_archE906ELNS1_3gpuE6ELNS1_3repE0EEENS1_30default_config_static_selectorELNS0_4arch9wavefront6targetE0EEEvSU_
		.amdhsa_group_segment_fixed_size 0
		.amdhsa_private_segment_fixed_size 0
		.amdhsa_kernarg_size 40
		.amdhsa_user_sgpr_count 15
		.amdhsa_user_sgpr_dispatch_ptr 0
		.amdhsa_user_sgpr_queue_ptr 0
		.amdhsa_user_sgpr_kernarg_segment_ptr 1
		.amdhsa_user_sgpr_dispatch_id 0
		.amdhsa_user_sgpr_private_segment_size 0
		.amdhsa_wavefront_size32 1
		.amdhsa_uses_dynamic_stack 0
		.amdhsa_enable_private_segment 0
		.amdhsa_system_sgpr_workgroup_id_x 1
		.amdhsa_system_sgpr_workgroup_id_y 0
		.amdhsa_system_sgpr_workgroup_id_z 0
		.amdhsa_system_sgpr_workgroup_info 0
		.amdhsa_system_vgpr_workitem_id 0
		.amdhsa_next_free_vgpr 1
		.amdhsa_next_free_sgpr 1
		.amdhsa_reserve_vcc 0
		.amdhsa_float_round_mode_32 0
		.amdhsa_float_round_mode_16_64 0
		.amdhsa_float_denorm_mode_32 3
		.amdhsa_float_denorm_mode_16_64 3
		.amdhsa_dx10_clamp 1
		.amdhsa_ieee_mode 1
		.amdhsa_fp16_overflow 0
		.amdhsa_workgroup_processor_mode 1
		.amdhsa_memory_ordered 1
		.amdhsa_forward_progress 0
		.amdhsa_shared_vgpr_count 0
		.amdhsa_exception_fp_ieee_invalid_op 0
		.amdhsa_exception_fp_denorm_src 0
		.amdhsa_exception_fp_ieee_div_zero 0
		.amdhsa_exception_fp_ieee_overflow 0
		.amdhsa_exception_fp_ieee_underflow 0
		.amdhsa_exception_fp_ieee_inexact 0
		.amdhsa_exception_int_div_zero 0
	.end_amdhsa_kernel
	.section	.text._ZN7rocprim17ROCPRIM_400000_NS6detail17trampoline_kernelINS0_14default_configENS1_22reduce_config_selectorIiEEZNS1_11reduce_implILb1ES3_PiS7_iN6hipcub16HIPCUB_304000_NS6detail34convert_binary_result_type_wrapperINS9_3SumENS9_22TransformInputIteratorIbN2at6native12_GLOBAL__N_19NonZeroOpIN3c107complexINSI_4HalfEEEEEPKSL_lEEiEEEE10hipError_tPvRmT1_T2_T3_mT4_P12ihipStream_tbEUlT_E1_NS1_11comp_targetILNS1_3genE2ELNS1_11target_archE906ELNS1_3gpuE6ELNS1_3repE0EEENS1_30default_config_static_selectorELNS0_4arch9wavefront6targetE0EEEvSU_,"axG",@progbits,_ZN7rocprim17ROCPRIM_400000_NS6detail17trampoline_kernelINS0_14default_configENS1_22reduce_config_selectorIiEEZNS1_11reduce_implILb1ES3_PiS7_iN6hipcub16HIPCUB_304000_NS6detail34convert_binary_result_type_wrapperINS9_3SumENS9_22TransformInputIteratorIbN2at6native12_GLOBAL__N_19NonZeroOpIN3c107complexINSI_4HalfEEEEEPKSL_lEEiEEEE10hipError_tPvRmT1_T2_T3_mT4_P12ihipStream_tbEUlT_E1_NS1_11comp_targetILNS1_3genE2ELNS1_11target_archE906ELNS1_3gpuE6ELNS1_3repE0EEENS1_30default_config_static_selectorELNS0_4arch9wavefront6targetE0EEEvSU_,comdat
.Lfunc_end639:
	.size	_ZN7rocprim17ROCPRIM_400000_NS6detail17trampoline_kernelINS0_14default_configENS1_22reduce_config_selectorIiEEZNS1_11reduce_implILb1ES3_PiS7_iN6hipcub16HIPCUB_304000_NS6detail34convert_binary_result_type_wrapperINS9_3SumENS9_22TransformInputIteratorIbN2at6native12_GLOBAL__N_19NonZeroOpIN3c107complexINSI_4HalfEEEEEPKSL_lEEiEEEE10hipError_tPvRmT1_T2_T3_mT4_P12ihipStream_tbEUlT_E1_NS1_11comp_targetILNS1_3genE2ELNS1_11target_archE906ELNS1_3gpuE6ELNS1_3repE0EEENS1_30default_config_static_selectorELNS0_4arch9wavefront6targetE0EEEvSU_, .Lfunc_end639-_ZN7rocprim17ROCPRIM_400000_NS6detail17trampoline_kernelINS0_14default_configENS1_22reduce_config_selectorIiEEZNS1_11reduce_implILb1ES3_PiS7_iN6hipcub16HIPCUB_304000_NS6detail34convert_binary_result_type_wrapperINS9_3SumENS9_22TransformInputIteratorIbN2at6native12_GLOBAL__N_19NonZeroOpIN3c107complexINSI_4HalfEEEEEPKSL_lEEiEEEE10hipError_tPvRmT1_T2_T3_mT4_P12ihipStream_tbEUlT_E1_NS1_11comp_targetILNS1_3genE2ELNS1_11target_archE906ELNS1_3gpuE6ELNS1_3repE0EEENS1_30default_config_static_selectorELNS0_4arch9wavefront6targetE0EEEvSU_
                                        ; -- End function
	.section	.AMDGPU.csdata,"",@progbits
; Kernel info:
; codeLenInByte = 0
; NumSgprs: 0
; NumVgprs: 0
; ScratchSize: 0
; MemoryBound: 0
; FloatMode: 240
; IeeeMode: 1
; LDSByteSize: 0 bytes/workgroup (compile time only)
; SGPRBlocks: 0
; VGPRBlocks: 0
; NumSGPRsForWavesPerEU: 1
; NumVGPRsForWavesPerEU: 1
; Occupancy: 16
; WaveLimiterHint : 0
; COMPUTE_PGM_RSRC2:SCRATCH_EN: 0
; COMPUTE_PGM_RSRC2:USER_SGPR: 15
; COMPUTE_PGM_RSRC2:TRAP_HANDLER: 0
; COMPUTE_PGM_RSRC2:TGID_X_EN: 1
; COMPUTE_PGM_RSRC2:TGID_Y_EN: 0
; COMPUTE_PGM_RSRC2:TGID_Z_EN: 0
; COMPUTE_PGM_RSRC2:TIDIG_COMP_CNT: 0
	.section	.text._ZN7rocprim17ROCPRIM_400000_NS6detail17trampoline_kernelINS0_14default_configENS1_22reduce_config_selectorIiEEZNS1_11reduce_implILb1ES3_PiS7_iN6hipcub16HIPCUB_304000_NS6detail34convert_binary_result_type_wrapperINS9_3SumENS9_22TransformInputIteratorIbN2at6native12_GLOBAL__N_19NonZeroOpIN3c107complexINSI_4HalfEEEEEPKSL_lEEiEEEE10hipError_tPvRmT1_T2_T3_mT4_P12ihipStream_tbEUlT_E1_NS1_11comp_targetILNS1_3genE10ELNS1_11target_archE1201ELNS1_3gpuE5ELNS1_3repE0EEENS1_30default_config_static_selectorELNS0_4arch9wavefront6targetE0EEEvSU_,"axG",@progbits,_ZN7rocprim17ROCPRIM_400000_NS6detail17trampoline_kernelINS0_14default_configENS1_22reduce_config_selectorIiEEZNS1_11reduce_implILb1ES3_PiS7_iN6hipcub16HIPCUB_304000_NS6detail34convert_binary_result_type_wrapperINS9_3SumENS9_22TransformInputIteratorIbN2at6native12_GLOBAL__N_19NonZeroOpIN3c107complexINSI_4HalfEEEEEPKSL_lEEiEEEE10hipError_tPvRmT1_T2_T3_mT4_P12ihipStream_tbEUlT_E1_NS1_11comp_targetILNS1_3genE10ELNS1_11target_archE1201ELNS1_3gpuE5ELNS1_3repE0EEENS1_30default_config_static_selectorELNS0_4arch9wavefront6targetE0EEEvSU_,comdat
	.globl	_ZN7rocprim17ROCPRIM_400000_NS6detail17trampoline_kernelINS0_14default_configENS1_22reduce_config_selectorIiEEZNS1_11reduce_implILb1ES3_PiS7_iN6hipcub16HIPCUB_304000_NS6detail34convert_binary_result_type_wrapperINS9_3SumENS9_22TransformInputIteratorIbN2at6native12_GLOBAL__N_19NonZeroOpIN3c107complexINSI_4HalfEEEEEPKSL_lEEiEEEE10hipError_tPvRmT1_T2_T3_mT4_P12ihipStream_tbEUlT_E1_NS1_11comp_targetILNS1_3genE10ELNS1_11target_archE1201ELNS1_3gpuE5ELNS1_3repE0EEENS1_30default_config_static_selectorELNS0_4arch9wavefront6targetE0EEEvSU_ ; -- Begin function _ZN7rocprim17ROCPRIM_400000_NS6detail17trampoline_kernelINS0_14default_configENS1_22reduce_config_selectorIiEEZNS1_11reduce_implILb1ES3_PiS7_iN6hipcub16HIPCUB_304000_NS6detail34convert_binary_result_type_wrapperINS9_3SumENS9_22TransformInputIteratorIbN2at6native12_GLOBAL__N_19NonZeroOpIN3c107complexINSI_4HalfEEEEEPKSL_lEEiEEEE10hipError_tPvRmT1_T2_T3_mT4_P12ihipStream_tbEUlT_E1_NS1_11comp_targetILNS1_3genE10ELNS1_11target_archE1201ELNS1_3gpuE5ELNS1_3repE0EEENS1_30default_config_static_selectorELNS0_4arch9wavefront6targetE0EEEvSU_
	.p2align	8
	.type	_ZN7rocprim17ROCPRIM_400000_NS6detail17trampoline_kernelINS0_14default_configENS1_22reduce_config_selectorIiEEZNS1_11reduce_implILb1ES3_PiS7_iN6hipcub16HIPCUB_304000_NS6detail34convert_binary_result_type_wrapperINS9_3SumENS9_22TransformInputIteratorIbN2at6native12_GLOBAL__N_19NonZeroOpIN3c107complexINSI_4HalfEEEEEPKSL_lEEiEEEE10hipError_tPvRmT1_T2_T3_mT4_P12ihipStream_tbEUlT_E1_NS1_11comp_targetILNS1_3genE10ELNS1_11target_archE1201ELNS1_3gpuE5ELNS1_3repE0EEENS1_30default_config_static_selectorELNS0_4arch9wavefront6targetE0EEEvSU_,@function
_ZN7rocprim17ROCPRIM_400000_NS6detail17trampoline_kernelINS0_14default_configENS1_22reduce_config_selectorIiEEZNS1_11reduce_implILb1ES3_PiS7_iN6hipcub16HIPCUB_304000_NS6detail34convert_binary_result_type_wrapperINS9_3SumENS9_22TransformInputIteratorIbN2at6native12_GLOBAL__N_19NonZeroOpIN3c107complexINSI_4HalfEEEEEPKSL_lEEiEEEE10hipError_tPvRmT1_T2_T3_mT4_P12ihipStream_tbEUlT_E1_NS1_11comp_targetILNS1_3genE10ELNS1_11target_archE1201ELNS1_3gpuE5ELNS1_3repE0EEENS1_30default_config_static_selectorELNS0_4arch9wavefront6targetE0EEEvSU_: ; @_ZN7rocprim17ROCPRIM_400000_NS6detail17trampoline_kernelINS0_14default_configENS1_22reduce_config_selectorIiEEZNS1_11reduce_implILb1ES3_PiS7_iN6hipcub16HIPCUB_304000_NS6detail34convert_binary_result_type_wrapperINS9_3SumENS9_22TransformInputIteratorIbN2at6native12_GLOBAL__N_19NonZeroOpIN3c107complexINSI_4HalfEEEEEPKSL_lEEiEEEE10hipError_tPvRmT1_T2_T3_mT4_P12ihipStream_tbEUlT_E1_NS1_11comp_targetILNS1_3genE10ELNS1_11target_archE1201ELNS1_3gpuE5ELNS1_3repE0EEENS1_30default_config_static_selectorELNS0_4arch9wavefront6targetE0EEEvSU_
; %bb.0:
	.section	.rodata,"a",@progbits
	.p2align	6, 0x0
	.amdhsa_kernel _ZN7rocprim17ROCPRIM_400000_NS6detail17trampoline_kernelINS0_14default_configENS1_22reduce_config_selectorIiEEZNS1_11reduce_implILb1ES3_PiS7_iN6hipcub16HIPCUB_304000_NS6detail34convert_binary_result_type_wrapperINS9_3SumENS9_22TransformInputIteratorIbN2at6native12_GLOBAL__N_19NonZeroOpIN3c107complexINSI_4HalfEEEEEPKSL_lEEiEEEE10hipError_tPvRmT1_T2_T3_mT4_P12ihipStream_tbEUlT_E1_NS1_11comp_targetILNS1_3genE10ELNS1_11target_archE1201ELNS1_3gpuE5ELNS1_3repE0EEENS1_30default_config_static_selectorELNS0_4arch9wavefront6targetE0EEEvSU_
		.amdhsa_group_segment_fixed_size 0
		.amdhsa_private_segment_fixed_size 0
		.amdhsa_kernarg_size 40
		.amdhsa_user_sgpr_count 15
		.amdhsa_user_sgpr_dispatch_ptr 0
		.amdhsa_user_sgpr_queue_ptr 0
		.amdhsa_user_sgpr_kernarg_segment_ptr 1
		.amdhsa_user_sgpr_dispatch_id 0
		.amdhsa_user_sgpr_private_segment_size 0
		.amdhsa_wavefront_size32 1
		.amdhsa_uses_dynamic_stack 0
		.amdhsa_enable_private_segment 0
		.amdhsa_system_sgpr_workgroup_id_x 1
		.amdhsa_system_sgpr_workgroup_id_y 0
		.amdhsa_system_sgpr_workgroup_id_z 0
		.amdhsa_system_sgpr_workgroup_info 0
		.amdhsa_system_vgpr_workitem_id 0
		.amdhsa_next_free_vgpr 1
		.amdhsa_next_free_sgpr 1
		.amdhsa_reserve_vcc 0
		.amdhsa_float_round_mode_32 0
		.amdhsa_float_round_mode_16_64 0
		.amdhsa_float_denorm_mode_32 3
		.amdhsa_float_denorm_mode_16_64 3
		.amdhsa_dx10_clamp 1
		.amdhsa_ieee_mode 1
		.amdhsa_fp16_overflow 0
		.amdhsa_workgroup_processor_mode 1
		.amdhsa_memory_ordered 1
		.amdhsa_forward_progress 0
		.amdhsa_shared_vgpr_count 0
		.amdhsa_exception_fp_ieee_invalid_op 0
		.amdhsa_exception_fp_denorm_src 0
		.amdhsa_exception_fp_ieee_div_zero 0
		.amdhsa_exception_fp_ieee_overflow 0
		.amdhsa_exception_fp_ieee_underflow 0
		.amdhsa_exception_fp_ieee_inexact 0
		.amdhsa_exception_int_div_zero 0
	.end_amdhsa_kernel
	.section	.text._ZN7rocprim17ROCPRIM_400000_NS6detail17trampoline_kernelINS0_14default_configENS1_22reduce_config_selectorIiEEZNS1_11reduce_implILb1ES3_PiS7_iN6hipcub16HIPCUB_304000_NS6detail34convert_binary_result_type_wrapperINS9_3SumENS9_22TransformInputIteratorIbN2at6native12_GLOBAL__N_19NonZeroOpIN3c107complexINSI_4HalfEEEEEPKSL_lEEiEEEE10hipError_tPvRmT1_T2_T3_mT4_P12ihipStream_tbEUlT_E1_NS1_11comp_targetILNS1_3genE10ELNS1_11target_archE1201ELNS1_3gpuE5ELNS1_3repE0EEENS1_30default_config_static_selectorELNS0_4arch9wavefront6targetE0EEEvSU_,"axG",@progbits,_ZN7rocprim17ROCPRIM_400000_NS6detail17trampoline_kernelINS0_14default_configENS1_22reduce_config_selectorIiEEZNS1_11reduce_implILb1ES3_PiS7_iN6hipcub16HIPCUB_304000_NS6detail34convert_binary_result_type_wrapperINS9_3SumENS9_22TransformInputIteratorIbN2at6native12_GLOBAL__N_19NonZeroOpIN3c107complexINSI_4HalfEEEEEPKSL_lEEiEEEE10hipError_tPvRmT1_T2_T3_mT4_P12ihipStream_tbEUlT_E1_NS1_11comp_targetILNS1_3genE10ELNS1_11target_archE1201ELNS1_3gpuE5ELNS1_3repE0EEENS1_30default_config_static_selectorELNS0_4arch9wavefront6targetE0EEEvSU_,comdat
.Lfunc_end640:
	.size	_ZN7rocprim17ROCPRIM_400000_NS6detail17trampoline_kernelINS0_14default_configENS1_22reduce_config_selectorIiEEZNS1_11reduce_implILb1ES3_PiS7_iN6hipcub16HIPCUB_304000_NS6detail34convert_binary_result_type_wrapperINS9_3SumENS9_22TransformInputIteratorIbN2at6native12_GLOBAL__N_19NonZeroOpIN3c107complexINSI_4HalfEEEEEPKSL_lEEiEEEE10hipError_tPvRmT1_T2_T3_mT4_P12ihipStream_tbEUlT_E1_NS1_11comp_targetILNS1_3genE10ELNS1_11target_archE1201ELNS1_3gpuE5ELNS1_3repE0EEENS1_30default_config_static_selectorELNS0_4arch9wavefront6targetE0EEEvSU_, .Lfunc_end640-_ZN7rocprim17ROCPRIM_400000_NS6detail17trampoline_kernelINS0_14default_configENS1_22reduce_config_selectorIiEEZNS1_11reduce_implILb1ES3_PiS7_iN6hipcub16HIPCUB_304000_NS6detail34convert_binary_result_type_wrapperINS9_3SumENS9_22TransformInputIteratorIbN2at6native12_GLOBAL__N_19NonZeroOpIN3c107complexINSI_4HalfEEEEEPKSL_lEEiEEEE10hipError_tPvRmT1_T2_T3_mT4_P12ihipStream_tbEUlT_E1_NS1_11comp_targetILNS1_3genE10ELNS1_11target_archE1201ELNS1_3gpuE5ELNS1_3repE0EEENS1_30default_config_static_selectorELNS0_4arch9wavefront6targetE0EEEvSU_
                                        ; -- End function
	.section	.AMDGPU.csdata,"",@progbits
; Kernel info:
; codeLenInByte = 0
; NumSgprs: 0
; NumVgprs: 0
; ScratchSize: 0
; MemoryBound: 0
; FloatMode: 240
; IeeeMode: 1
; LDSByteSize: 0 bytes/workgroup (compile time only)
; SGPRBlocks: 0
; VGPRBlocks: 0
; NumSGPRsForWavesPerEU: 1
; NumVGPRsForWavesPerEU: 1
; Occupancy: 16
; WaveLimiterHint : 0
; COMPUTE_PGM_RSRC2:SCRATCH_EN: 0
; COMPUTE_PGM_RSRC2:USER_SGPR: 15
; COMPUTE_PGM_RSRC2:TRAP_HANDLER: 0
; COMPUTE_PGM_RSRC2:TGID_X_EN: 1
; COMPUTE_PGM_RSRC2:TGID_Y_EN: 0
; COMPUTE_PGM_RSRC2:TGID_Z_EN: 0
; COMPUTE_PGM_RSRC2:TIDIG_COMP_CNT: 0
	.section	.text._ZN7rocprim17ROCPRIM_400000_NS6detail17trampoline_kernelINS0_14default_configENS1_22reduce_config_selectorIiEEZNS1_11reduce_implILb1ES3_PiS7_iN6hipcub16HIPCUB_304000_NS6detail34convert_binary_result_type_wrapperINS9_3SumENS9_22TransformInputIteratorIbN2at6native12_GLOBAL__N_19NonZeroOpIN3c107complexINSI_4HalfEEEEEPKSL_lEEiEEEE10hipError_tPvRmT1_T2_T3_mT4_P12ihipStream_tbEUlT_E1_NS1_11comp_targetILNS1_3genE10ELNS1_11target_archE1200ELNS1_3gpuE4ELNS1_3repE0EEENS1_30default_config_static_selectorELNS0_4arch9wavefront6targetE0EEEvSU_,"axG",@progbits,_ZN7rocprim17ROCPRIM_400000_NS6detail17trampoline_kernelINS0_14default_configENS1_22reduce_config_selectorIiEEZNS1_11reduce_implILb1ES3_PiS7_iN6hipcub16HIPCUB_304000_NS6detail34convert_binary_result_type_wrapperINS9_3SumENS9_22TransformInputIteratorIbN2at6native12_GLOBAL__N_19NonZeroOpIN3c107complexINSI_4HalfEEEEEPKSL_lEEiEEEE10hipError_tPvRmT1_T2_T3_mT4_P12ihipStream_tbEUlT_E1_NS1_11comp_targetILNS1_3genE10ELNS1_11target_archE1200ELNS1_3gpuE4ELNS1_3repE0EEENS1_30default_config_static_selectorELNS0_4arch9wavefront6targetE0EEEvSU_,comdat
	.globl	_ZN7rocprim17ROCPRIM_400000_NS6detail17trampoline_kernelINS0_14default_configENS1_22reduce_config_selectorIiEEZNS1_11reduce_implILb1ES3_PiS7_iN6hipcub16HIPCUB_304000_NS6detail34convert_binary_result_type_wrapperINS9_3SumENS9_22TransformInputIteratorIbN2at6native12_GLOBAL__N_19NonZeroOpIN3c107complexINSI_4HalfEEEEEPKSL_lEEiEEEE10hipError_tPvRmT1_T2_T3_mT4_P12ihipStream_tbEUlT_E1_NS1_11comp_targetILNS1_3genE10ELNS1_11target_archE1200ELNS1_3gpuE4ELNS1_3repE0EEENS1_30default_config_static_selectorELNS0_4arch9wavefront6targetE0EEEvSU_ ; -- Begin function _ZN7rocprim17ROCPRIM_400000_NS6detail17trampoline_kernelINS0_14default_configENS1_22reduce_config_selectorIiEEZNS1_11reduce_implILb1ES3_PiS7_iN6hipcub16HIPCUB_304000_NS6detail34convert_binary_result_type_wrapperINS9_3SumENS9_22TransformInputIteratorIbN2at6native12_GLOBAL__N_19NonZeroOpIN3c107complexINSI_4HalfEEEEEPKSL_lEEiEEEE10hipError_tPvRmT1_T2_T3_mT4_P12ihipStream_tbEUlT_E1_NS1_11comp_targetILNS1_3genE10ELNS1_11target_archE1200ELNS1_3gpuE4ELNS1_3repE0EEENS1_30default_config_static_selectorELNS0_4arch9wavefront6targetE0EEEvSU_
	.p2align	8
	.type	_ZN7rocprim17ROCPRIM_400000_NS6detail17trampoline_kernelINS0_14default_configENS1_22reduce_config_selectorIiEEZNS1_11reduce_implILb1ES3_PiS7_iN6hipcub16HIPCUB_304000_NS6detail34convert_binary_result_type_wrapperINS9_3SumENS9_22TransformInputIteratorIbN2at6native12_GLOBAL__N_19NonZeroOpIN3c107complexINSI_4HalfEEEEEPKSL_lEEiEEEE10hipError_tPvRmT1_T2_T3_mT4_P12ihipStream_tbEUlT_E1_NS1_11comp_targetILNS1_3genE10ELNS1_11target_archE1200ELNS1_3gpuE4ELNS1_3repE0EEENS1_30default_config_static_selectorELNS0_4arch9wavefront6targetE0EEEvSU_,@function
_ZN7rocprim17ROCPRIM_400000_NS6detail17trampoline_kernelINS0_14default_configENS1_22reduce_config_selectorIiEEZNS1_11reduce_implILb1ES3_PiS7_iN6hipcub16HIPCUB_304000_NS6detail34convert_binary_result_type_wrapperINS9_3SumENS9_22TransformInputIteratorIbN2at6native12_GLOBAL__N_19NonZeroOpIN3c107complexINSI_4HalfEEEEEPKSL_lEEiEEEE10hipError_tPvRmT1_T2_T3_mT4_P12ihipStream_tbEUlT_E1_NS1_11comp_targetILNS1_3genE10ELNS1_11target_archE1200ELNS1_3gpuE4ELNS1_3repE0EEENS1_30default_config_static_selectorELNS0_4arch9wavefront6targetE0EEEvSU_: ; @_ZN7rocprim17ROCPRIM_400000_NS6detail17trampoline_kernelINS0_14default_configENS1_22reduce_config_selectorIiEEZNS1_11reduce_implILb1ES3_PiS7_iN6hipcub16HIPCUB_304000_NS6detail34convert_binary_result_type_wrapperINS9_3SumENS9_22TransformInputIteratorIbN2at6native12_GLOBAL__N_19NonZeroOpIN3c107complexINSI_4HalfEEEEEPKSL_lEEiEEEE10hipError_tPvRmT1_T2_T3_mT4_P12ihipStream_tbEUlT_E1_NS1_11comp_targetILNS1_3genE10ELNS1_11target_archE1200ELNS1_3gpuE4ELNS1_3repE0EEENS1_30default_config_static_selectorELNS0_4arch9wavefront6targetE0EEEvSU_
; %bb.0:
	.section	.rodata,"a",@progbits
	.p2align	6, 0x0
	.amdhsa_kernel _ZN7rocprim17ROCPRIM_400000_NS6detail17trampoline_kernelINS0_14default_configENS1_22reduce_config_selectorIiEEZNS1_11reduce_implILb1ES3_PiS7_iN6hipcub16HIPCUB_304000_NS6detail34convert_binary_result_type_wrapperINS9_3SumENS9_22TransformInputIteratorIbN2at6native12_GLOBAL__N_19NonZeroOpIN3c107complexINSI_4HalfEEEEEPKSL_lEEiEEEE10hipError_tPvRmT1_T2_T3_mT4_P12ihipStream_tbEUlT_E1_NS1_11comp_targetILNS1_3genE10ELNS1_11target_archE1200ELNS1_3gpuE4ELNS1_3repE0EEENS1_30default_config_static_selectorELNS0_4arch9wavefront6targetE0EEEvSU_
		.amdhsa_group_segment_fixed_size 0
		.amdhsa_private_segment_fixed_size 0
		.amdhsa_kernarg_size 40
		.amdhsa_user_sgpr_count 15
		.amdhsa_user_sgpr_dispatch_ptr 0
		.amdhsa_user_sgpr_queue_ptr 0
		.amdhsa_user_sgpr_kernarg_segment_ptr 1
		.amdhsa_user_sgpr_dispatch_id 0
		.amdhsa_user_sgpr_private_segment_size 0
		.amdhsa_wavefront_size32 1
		.amdhsa_uses_dynamic_stack 0
		.amdhsa_enable_private_segment 0
		.amdhsa_system_sgpr_workgroup_id_x 1
		.amdhsa_system_sgpr_workgroup_id_y 0
		.amdhsa_system_sgpr_workgroup_id_z 0
		.amdhsa_system_sgpr_workgroup_info 0
		.amdhsa_system_vgpr_workitem_id 0
		.amdhsa_next_free_vgpr 1
		.amdhsa_next_free_sgpr 1
		.amdhsa_reserve_vcc 0
		.amdhsa_float_round_mode_32 0
		.amdhsa_float_round_mode_16_64 0
		.amdhsa_float_denorm_mode_32 3
		.amdhsa_float_denorm_mode_16_64 3
		.amdhsa_dx10_clamp 1
		.amdhsa_ieee_mode 1
		.amdhsa_fp16_overflow 0
		.amdhsa_workgroup_processor_mode 1
		.amdhsa_memory_ordered 1
		.amdhsa_forward_progress 0
		.amdhsa_shared_vgpr_count 0
		.amdhsa_exception_fp_ieee_invalid_op 0
		.amdhsa_exception_fp_denorm_src 0
		.amdhsa_exception_fp_ieee_div_zero 0
		.amdhsa_exception_fp_ieee_overflow 0
		.amdhsa_exception_fp_ieee_underflow 0
		.amdhsa_exception_fp_ieee_inexact 0
		.amdhsa_exception_int_div_zero 0
	.end_amdhsa_kernel
	.section	.text._ZN7rocprim17ROCPRIM_400000_NS6detail17trampoline_kernelINS0_14default_configENS1_22reduce_config_selectorIiEEZNS1_11reduce_implILb1ES3_PiS7_iN6hipcub16HIPCUB_304000_NS6detail34convert_binary_result_type_wrapperINS9_3SumENS9_22TransformInputIteratorIbN2at6native12_GLOBAL__N_19NonZeroOpIN3c107complexINSI_4HalfEEEEEPKSL_lEEiEEEE10hipError_tPvRmT1_T2_T3_mT4_P12ihipStream_tbEUlT_E1_NS1_11comp_targetILNS1_3genE10ELNS1_11target_archE1200ELNS1_3gpuE4ELNS1_3repE0EEENS1_30default_config_static_selectorELNS0_4arch9wavefront6targetE0EEEvSU_,"axG",@progbits,_ZN7rocprim17ROCPRIM_400000_NS6detail17trampoline_kernelINS0_14default_configENS1_22reduce_config_selectorIiEEZNS1_11reduce_implILb1ES3_PiS7_iN6hipcub16HIPCUB_304000_NS6detail34convert_binary_result_type_wrapperINS9_3SumENS9_22TransformInputIteratorIbN2at6native12_GLOBAL__N_19NonZeroOpIN3c107complexINSI_4HalfEEEEEPKSL_lEEiEEEE10hipError_tPvRmT1_T2_T3_mT4_P12ihipStream_tbEUlT_E1_NS1_11comp_targetILNS1_3genE10ELNS1_11target_archE1200ELNS1_3gpuE4ELNS1_3repE0EEENS1_30default_config_static_selectorELNS0_4arch9wavefront6targetE0EEEvSU_,comdat
.Lfunc_end641:
	.size	_ZN7rocprim17ROCPRIM_400000_NS6detail17trampoline_kernelINS0_14default_configENS1_22reduce_config_selectorIiEEZNS1_11reduce_implILb1ES3_PiS7_iN6hipcub16HIPCUB_304000_NS6detail34convert_binary_result_type_wrapperINS9_3SumENS9_22TransformInputIteratorIbN2at6native12_GLOBAL__N_19NonZeroOpIN3c107complexINSI_4HalfEEEEEPKSL_lEEiEEEE10hipError_tPvRmT1_T2_T3_mT4_P12ihipStream_tbEUlT_E1_NS1_11comp_targetILNS1_3genE10ELNS1_11target_archE1200ELNS1_3gpuE4ELNS1_3repE0EEENS1_30default_config_static_selectorELNS0_4arch9wavefront6targetE0EEEvSU_, .Lfunc_end641-_ZN7rocprim17ROCPRIM_400000_NS6detail17trampoline_kernelINS0_14default_configENS1_22reduce_config_selectorIiEEZNS1_11reduce_implILb1ES3_PiS7_iN6hipcub16HIPCUB_304000_NS6detail34convert_binary_result_type_wrapperINS9_3SumENS9_22TransformInputIteratorIbN2at6native12_GLOBAL__N_19NonZeroOpIN3c107complexINSI_4HalfEEEEEPKSL_lEEiEEEE10hipError_tPvRmT1_T2_T3_mT4_P12ihipStream_tbEUlT_E1_NS1_11comp_targetILNS1_3genE10ELNS1_11target_archE1200ELNS1_3gpuE4ELNS1_3repE0EEENS1_30default_config_static_selectorELNS0_4arch9wavefront6targetE0EEEvSU_
                                        ; -- End function
	.section	.AMDGPU.csdata,"",@progbits
; Kernel info:
; codeLenInByte = 0
; NumSgprs: 0
; NumVgprs: 0
; ScratchSize: 0
; MemoryBound: 0
; FloatMode: 240
; IeeeMode: 1
; LDSByteSize: 0 bytes/workgroup (compile time only)
; SGPRBlocks: 0
; VGPRBlocks: 0
; NumSGPRsForWavesPerEU: 1
; NumVGPRsForWavesPerEU: 1
; Occupancy: 16
; WaveLimiterHint : 0
; COMPUTE_PGM_RSRC2:SCRATCH_EN: 0
; COMPUTE_PGM_RSRC2:USER_SGPR: 15
; COMPUTE_PGM_RSRC2:TRAP_HANDLER: 0
; COMPUTE_PGM_RSRC2:TGID_X_EN: 1
; COMPUTE_PGM_RSRC2:TGID_Y_EN: 0
; COMPUTE_PGM_RSRC2:TGID_Z_EN: 0
; COMPUTE_PGM_RSRC2:TIDIG_COMP_CNT: 0
	.section	.text._ZN7rocprim17ROCPRIM_400000_NS6detail17trampoline_kernelINS0_14default_configENS1_22reduce_config_selectorIiEEZNS1_11reduce_implILb1ES3_PiS7_iN6hipcub16HIPCUB_304000_NS6detail34convert_binary_result_type_wrapperINS9_3SumENS9_22TransformInputIteratorIbN2at6native12_GLOBAL__N_19NonZeroOpIN3c107complexINSI_4HalfEEEEEPKSL_lEEiEEEE10hipError_tPvRmT1_T2_T3_mT4_P12ihipStream_tbEUlT_E1_NS1_11comp_targetILNS1_3genE9ELNS1_11target_archE1100ELNS1_3gpuE3ELNS1_3repE0EEENS1_30default_config_static_selectorELNS0_4arch9wavefront6targetE0EEEvSU_,"axG",@progbits,_ZN7rocprim17ROCPRIM_400000_NS6detail17trampoline_kernelINS0_14default_configENS1_22reduce_config_selectorIiEEZNS1_11reduce_implILb1ES3_PiS7_iN6hipcub16HIPCUB_304000_NS6detail34convert_binary_result_type_wrapperINS9_3SumENS9_22TransformInputIteratorIbN2at6native12_GLOBAL__N_19NonZeroOpIN3c107complexINSI_4HalfEEEEEPKSL_lEEiEEEE10hipError_tPvRmT1_T2_T3_mT4_P12ihipStream_tbEUlT_E1_NS1_11comp_targetILNS1_3genE9ELNS1_11target_archE1100ELNS1_3gpuE3ELNS1_3repE0EEENS1_30default_config_static_selectorELNS0_4arch9wavefront6targetE0EEEvSU_,comdat
	.globl	_ZN7rocprim17ROCPRIM_400000_NS6detail17trampoline_kernelINS0_14default_configENS1_22reduce_config_selectorIiEEZNS1_11reduce_implILb1ES3_PiS7_iN6hipcub16HIPCUB_304000_NS6detail34convert_binary_result_type_wrapperINS9_3SumENS9_22TransformInputIteratorIbN2at6native12_GLOBAL__N_19NonZeroOpIN3c107complexINSI_4HalfEEEEEPKSL_lEEiEEEE10hipError_tPvRmT1_T2_T3_mT4_P12ihipStream_tbEUlT_E1_NS1_11comp_targetILNS1_3genE9ELNS1_11target_archE1100ELNS1_3gpuE3ELNS1_3repE0EEENS1_30default_config_static_selectorELNS0_4arch9wavefront6targetE0EEEvSU_ ; -- Begin function _ZN7rocprim17ROCPRIM_400000_NS6detail17trampoline_kernelINS0_14default_configENS1_22reduce_config_selectorIiEEZNS1_11reduce_implILb1ES3_PiS7_iN6hipcub16HIPCUB_304000_NS6detail34convert_binary_result_type_wrapperINS9_3SumENS9_22TransformInputIteratorIbN2at6native12_GLOBAL__N_19NonZeroOpIN3c107complexINSI_4HalfEEEEEPKSL_lEEiEEEE10hipError_tPvRmT1_T2_T3_mT4_P12ihipStream_tbEUlT_E1_NS1_11comp_targetILNS1_3genE9ELNS1_11target_archE1100ELNS1_3gpuE3ELNS1_3repE0EEENS1_30default_config_static_selectorELNS0_4arch9wavefront6targetE0EEEvSU_
	.p2align	8
	.type	_ZN7rocprim17ROCPRIM_400000_NS6detail17trampoline_kernelINS0_14default_configENS1_22reduce_config_selectorIiEEZNS1_11reduce_implILb1ES3_PiS7_iN6hipcub16HIPCUB_304000_NS6detail34convert_binary_result_type_wrapperINS9_3SumENS9_22TransformInputIteratorIbN2at6native12_GLOBAL__N_19NonZeroOpIN3c107complexINSI_4HalfEEEEEPKSL_lEEiEEEE10hipError_tPvRmT1_T2_T3_mT4_P12ihipStream_tbEUlT_E1_NS1_11comp_targetILNS1_3genE9ELNS1_11target_archE1100ELNS1_3gpuE3ELNS1_3repE0EEENS1_30default_config_static_selectorELNS0_4arch9wavefront6targetE0EEEvSU_,@function
_ZN7rocprim17ROCPRIM_400000_NS6detail17trampoline_kernelINS0_14default_configENS1_22reduce_config_selectorIiEEZNS1_11reduce_implILb1ES3_PiS7_iN6hipcub16HIPCUB_304000_NS6detail34convert_binary_result_type_wrapperINS9_3SumENS9_22TransformInputIteratorIbN2at6native12_GLOBAL__N_19NonZeroOpIN3c107complexINSI_4HalfEEEEEPKSL_lEEiEEEE10hipError_tPvRmT1_T2_T3_mT4_P12ihipStream_tbEUlT_E1_NS1_11comp_targetILNS1_3genE9ELNS1_11target_archE1100ELNS1_3gpuE3ELNS1_3repE0EEENS1_30default_config_static_selectorELNS0_4arch9wavefront6targetE0EEEvSU_: ; @_ZN7rocprim17ROCPRIM_400000_NS6detail17trampoline_kernelINS0_14default_configENS1_22reduce_config_selectorIiEEZNS1_11reduce_implILb1ES3_PiS7_iN6hipcub16HIPCUB_304000_NS6detail34convert_binary_result_type_wrapperINS9_3SumENS9_22TransformInputIteratorIbN2at6native12_GLOBAL__N_19NonZeroOpIN3c107complexINSI_4HalfEEEEEPKSL_lEEiEEEE10hipError_tPvRmT1_T2_T3_mT4_P12ihipStream_tbEUlT_E1_NS1_11comp_targetILNS1_3genE9ELNS1_11target_archE1100ELNS1_3gpuE3ELNS1_3repE0EEENS1_30default_config_static_selectorELNS0_4arch9wavefront6targetE0EEEvSU_
; %bb.0:
	s_clause 0x1
	s_load_b32 s24, s[0:1], 0x4
	s_load_b128 s[16:19], s[0:1], 0x8
	s_mov_b32 s20, s15
	s_waitcnt lgkmcnt(0)
	s_cmp_lt_i32 s24, 8
	s_cbranch_scc1 .LBB642_11
; %bb.1:
	s_cmp_gt_i32 s24, 15
	s_cbranch_scc0 .LBB642_12
; %bb.2:
	s_cmp_gt_i32 s24, 31
	s_cbranch_scc0 .LBB642_13
; %bb.3:
	s_cmp_eq_u32 s24, 32
	s_mov_b32 s6, 0
	s_cbranch_scc0 .LBB642_14
; %bb.4:
	s_mov_b32 s21, 0
	s_lshl_b32 s4, s20, 13
	s_mov_b32 s5, s21
	s_lshr_b64 s[8:9], s[18:19], 13
	s_lshl_b64 s[2:3], s[4:5], 2
	s_delay_alu instid0(SALU_CYCLE_1)
	s_add_u32 s2, s16, s2
	s_addc_u32 s3, s17, s3
	s_cmp_lg_u64 s[8:9], s[20:21]
	s_cbranch_scc0 .LBB642_23
; %bb.5:
	v_lshlrev_b32_e32 v5, 2, v0
	s_clause 0x1
	global_load_b32 v9, v5, s[2:3]
	global_load_b32 v10, v5, s[2:3] offset:1024
	v_add_co_u32 v7, s5, s2, v5
	s_delay_alu instid0(VALU_DEP_1) | instskip(SKIP_1) | instid1(VALU_DEP_2)
	v_add_co_ci_u32_e64 v8, null, s3, 0, s5
	s_mov_b32 s5, exec_lo
	v_add_co_u32 v1, vcc_lo, 0x1000, v7
	s_delay_alu instid0(VALU_DEP_2)
	v_add_co_ci_u32_e32 v2, vcc_lo, 0, v8, vcc_lo
	s_clause 0x2
	global_load_b32 v11, v5, s[2:3] offset:2048
	global_load_b32 v12, v5, s[2:3] offset:3072
	global_load_b32 v13, v[1:2], off offset:1024
	v_add_co_u32 v3, vcc_lo, v7, 0x2000
	v_add_co_ci_u32_e32 v4, vcc_lo, 0, v8, vcc_lo
	v_add_co_u32 v5, vcc_lo, 0x2000, v7
	v_add_co_ci_u32_e32 v6, vcc_lo, 0, v8, vcc_lo
	s_clause 0x4
	global_load_b32 v14, v[3:4], off offset:-4096
	global_load_b32 v15, v[3:4], off
	global_load_b32 v16, v[1:2], off offset:2048
	global_load_b32 v17, v[1:2], off offset:3072
	;; [unrolled: 1-line block ×3, first 2 shown]
	v_add_co_u32 v1, vcc_lo, 0x3000, v7
	v_add_co_ci_u32_e32 v2, vcc_lo, 0, v8, vcc_lo
	s_clause 0x2
	global_load_b32 v19, v[5:6], off offset:2048
	global_load_b32 v20, v[5:6], off offset:3072
	;; [unrolled: 1-line block ×3, first 2 shown]
	v_add_co_u32 v3, vcc_lo, v7, 0x4000
	v_add_co_ci_u32_e32 v4, vcc_lo, 0, v8, vcc_lo
	v_add_co_u32 v5, vcc_lo, 0x4000, v7
	v_add_co_ci_u32_e32 v6, vcc_lo, 0, v8, vcc_lo
	s_clause 0x4
	global_load_b32 v22, v[3:4], off offset:-4096
	global_load_b32 v23, v[3:4], off
	global_load_b32 v24, v[1:2], off offset:2048
	global_load_b32 v25, v[1:2], off offset:3072
	;; [unrolled: 1-line block ×3, first 2 shown]
	v_add_co_u32 v1, vcc_lo, 0x5000, v7
	v_add_co_ci_u32_e32 v2, vcc_lo, 0, v8, vcc_lo
	v_add_co_u32 v3, vcc_lo, v7, 0x6000
	v_add_co_ci_u32_e32 v4, vcc_lo, 0, v8, vcc_lo
	s_clause 0x3
	global_load_b32 v27, v[5:6], off offset:2048
	global_load_b32 v28, v[5:6], off offset:3072
	global_load_b32 v29, v[3:4], off offset:-4096
	global_load_b32 v30, v[1:2], off offset:1024
	v_add_co_u32 v5, vcc_lo, 0x6000, v7
	v_add_co_ci_u32_e32 v6, vcc_lo, 0, v8, vcc_lo
	s_clause 0x3
	global_load_b32 v31, v[1:2], off offset:2048
	global_load_b32 v32, v[1:2], off offset:3072
	global_load_b32 v3, v[3:4], off
	global_load_b32 v4, v[5:6], off offset:1024
	v_add_co_u32 v1, vcc_lo, 0x7000, v7
	v_add_co_ci_u32_e32 v2, vcc_lo, 0, v8, vcc_lo
	s_clause 0x5
	global_load_b32 v7, v[5:6], off offset:2048
	global_load_b32 v5, v[5:6], off offset:3072
	global_load_b32 v6, v[1:2], off
	global_load_b32 v8, v[1:2], off offset:1024
	global_load_b32 v33, v[1:2], off offset:2048
	;; [unrolled: 1-line block ×3, first 2 shown]
	s_waitcnt vmcnt(30)
	v_add_nc_u32_e32 v2, v10, v9
	s_waitcnt vmcnt(28)
	s_delay_alu instid0(VALU_DEP_1) | instskip(SKIP_1) | instid1(VALU_DEP_1)
	v_add3_u32 v2, v2, v11, v12
	s_waitcnt vmcnt(26)
	v_add3_u32 v2, v2, v14, v13
	s_waitcnt vmcnt(23)
	s_delay_alu instid0(VALU_DEP_1) | instskip(SKIP_1) | instid1(VALU_DEP_1)
	v_add3_u32 v2, v2, v16, v17
	s_waitcnt vmcnt(22)
	v_add3_u32 v2, v2, v15, v18
	;; [unrolled: 5-line block ×6, first 2 shown]
	v_mov_b32_e32 v3, 0
	s_waitcnt vmcnt(4)
	s_delay_alu instid0(VALU_DEP_2) | instskip(SKIP_1) | instid1(VALU_DEP_1)
	v_add3_u32 v2, v2, v7, v5
	s_waitcnt vmcnt(2)
	v_add3_u32 v2, v2, v6, v8
	s_waitcnt vmcnt(0)
	s_delay_alu instid0(VALU_DEP_1) | instskip(NEXT) | instid1(VALU_DEP_1)
	v_add3_u32 v1, v2, v33, v1
	v_mov_b32_dpp v2, v1 quad_perm:[1,0,3,2] row_mask:0xf bank_mask:0xf
	s_delay_alu instid0(VALU_DEP_1) | instskip(NEXT) | instid1(VALU_DEP_1)
	v_add_nc_u32_e32 v1, v2, v1
	v_mov_b32_dpp v2, v1 quad_perm:[2,3,0,1] row_mask:0xf bank_mask:0xf
	s_delay_alu instid0(VALU_DEP_1) | instskip(NEXT) | instid1(VALU_DEP_1)
	v_add_nc_u32_e32 v1, v1, v2
	v_mov_b32_dpp v2, v1 row_ror:4 row_mask:0xf bank_mask:0xf
	s_delay_alu instid0(VALU_DEP_1) | instskip(NEXT) | instid1(VALU_DEP_1)
	v_add_nc_u32_e32 v1, v1, v2
	v_mov_b32_dpp v2, v1 row_ror:8 row_mask:0xf bank_mask:0xf
	s_delay_alu instid0(VALU_DEP_1)
	v_add_nc_u32_e32 v1, v1, v2
	ds_swizzle_b32 v2, v1 offset:swizzle(BROADCAST,32,15)
	s_waitcnt lgkmcnt(0)
	v_add_nc_u32_e32 v1, v1, v2
	v_mbcnt_lo_u32_b32 v2, -1, 0
	ds_bpermute_b32 v1, v3, v1 offset:124
	v_cmpx_eq_u32_e32 0, v2
	s_cbranch_execz .LBB642_7
; %bb.6:
	v_lshrrev_b32_e32 v3, 3, v0
	s_delay_alu instid0(VALU_DEP_1)
	v_and_b32_e32 v3, 28, v3
	s_waitcnt lgkmcnt(0)
	ds_store_b32 v3, v1 offset:96
.LBB642_7:
	s_or_b32 exec_lo, exec_lo, s5
	s_delay_alu instid0(SALU_CYCLE_1)
	s_mov_b32 s5, exec_lo
	s_waitcnt lgkmcnt(0)
	s_barrier
	buffer_gl0_inv
	v_cmpx_gt_u32_e32 32, v0
	s_cbranch_execz .LBB642_9
; %bb.8:
	v_lshl_or_b32 v1, v2, 2, 0x60
	v_and_b32_e32 v3, 7, v2
	ds_load_b32 v1, v1
	v_cmp_ne_u32_e32 vcc_lo, 7, v3
	v_add_co_ci_u32_e32 v4, vcc_lo, 0, v2, vcc_lo
	v_cmp_gt_u32_e32 vcc_lo, 6, v3
	s_delay_alu instid0(VALU_DEP_2) | instskip(SKIP_2) | instid1(VALU_DEP_2)
	v_lshlrev_b32_e32 v4, 2, v4
	v_cndmask_b32_e64 v5, 0, 1, vcc_lo
	v_cmp_gt_u32_e32 vcc_lo, 4, v3
	v_lshlrev_b32_e32 v5, 1, v5
	v_cndmask_b32_e64 v3, 0, 1, vcc_lo
	s_waitcnt lgkmcnt(0)
	ds_bpermute_b32 v4, v4, v1
	v_add_lshl_u32 v5, v5, v2, 2
	v_lshlrev_b32_e32 v3, 2, v3
	s_delay_alu instid0(VALU_DEP_1)
	v_add_lshl_u32 v2, v3, v2, 2
	s_waitcnt lgkmcnt(0)
	v_add_nc_u32_e32 v1, v4, v1
	ds_bpermute_b32 v4, v5, v1
	s_waitcnt lgkmcnt(0)
	v_add_nc_u32_e32 v1, v4, v1
	ds_bpermute_b32 v2, v2, v1
	s_waitcnt lgkmcnt(0)
	v_add_nc_u32_e32 v1, v2, v1
.LBB642_9:
	s_or_b32 exec_lo, exec_lo, s5
.LBB642_10:
	v_cmp_eq_u32_e64 s2, 0, v0
	s_and_b32 vcc_lo, exec_lo, s6
	s_cbranch_vccnz .LBB642_15
	s_branch .LBB642_93
.LBB642_11:
	s_mov_b32 s2, 0
                                        ; implicit-def: $vgpr1
	s_cbranch_execnz .LBB642_166
	s_branch .LBB642_224
.LBB642_12:
	s_mov_b32 s2, 0
                                        ; implicit-def: $vgpr1
	s_cbranch_execnz .LBB642_134
	s_branch .LBB642_142
.LBB642_13:
	s_mov_b32 s6, -1
.LBB642_14:
	s_mov_b32 s2, 0
                                        ; implicit-def: $vgpr1
	s_and_b32 vcc_lo, exec_lo, s6
	s_cbranch_vccz .LBB642_93
.LBB642_15:
	s_cmp_eq_u32 s24, 16
	s_cbranch_scc0 .LBB642_22
; %bb.16:
	s_mov_b32 s21, 0
	s_lshl_b32 s2, s20, 12
	s_mov_b32 s3, s21
	s_lshr_b64 s[6:7], s[18:19], 12
	s_lshl_b64 s[4:5], s[2:3], 2
	s_delay_alu instid0(SALU_CYCLE_1)
	s_add_u32 s22, s16, s4
	s_addc_u32 s23, s17, s5
	s_cmp_lg_u64 s[6:7], s[20:21]
	s_cbranch_scc0 .LBB642_94
; %bb.17:
	v_lshlrev_b32_e32 v5, 2, v0
	s_clause 0x1
	global_load_b32 v9, v5, s[22:23]
	global_load_b32 v10, v5, s[22:23] offset:1024
	v_add_co_u32 v7, s3, s22, v5
	s_delay_alu instid0(VALU_DEP_1) | instskip(SKIP_1) | instid1(VALU_DEP_2)
	v_add_co_ci_u32_e64 v8, null, s23, 0, s3
	s_mov_b32 s3, exec_lo
	v_add_co_u32 v1, vcc_lo, 0x1000, v7
	s_delay_alu instid0(VALU_DEP_2)
	v_add_co_ci_u32_e32 v2, vcc_lo, 0, v8, vcc_lo
	v_add_co_u32 v3, vcc_lo, v7, 0x2000
	v_add_co_ci_u32_e32 v4, vcc_lo, 0, v8, vcc_lo
	s_clause 0x3
	global_load_b32 v11, v5, s[22:23] offset:2048
	global_load_b32 v12, v5, s[22:23] offset:3072
	global_load_b32 v13, v[3:4], off offset:-4096
	global_load_b32 v14, v[1:2], off offset:1024
	v_add_co_u32 v5, vcc_lo, 0x2000, v7
	v_add_co_ci_u32_e32 v6, vcc_lo, 0, v8, vcc_lo
	s_clause 0x3
	global_load_b32 v15, v[1:2], off offset:2048
	global_load_b32 v16, v[1:2], off offset:3072
	global_load_b32 v3, v[3:4], off
	global_load_b32 v4, v[5:6], off offset:1024
	v_add_co_u32 v1, vcc_lo, 0x3000, v7
	v_add_co_ci_u32_e32 v2, vcc_lo, 0, v8, vcc_lo
	s_clause 0x5
	global_load_b32 v7, v[5:6], off offset:2048
	global_load_b32 v5, v[5:6], off offset:3072
	global_load_b32 v6, v[1:2], off
	global_load_b32 v8, v[1:2], off offset:1024
	global_load_b32 v17, v[1:2], off offset:2048
	;; [unrolled: 1-line block ×3, first 2 shown]
	s_waitcnt vmcnt(14)
	v_add_nc_u32_e32 v2, v10, v9
	s_waitcnt vmcnt(12)
	s_delay_alu instid0(VALU_DEP_1) | instskip(SKIP_1) | instid1(VALU_DEP_1)
	v_add3_u32 v2, v2, v11, v12
	s_waitcnt vmcnt(10)
	v_add3_u32 v2, v2, v13, v14
	s_waitcnt vmcnt(8)
	s_delay_alu instid0(VALU_DEP_1) | instskip(SKIP_1) | instid1(VALU_DEP_1)
	v_add3_u32 v2, v2, v15, v16
	s_waitcnt vmcnt(6)
	v_add3_u32 v2, v2, v3, v4
	v_mov_b32_e32 v3, 0
	s_waitcnt vmcnt(4)
	s_delay_alu instid0(VALU_DEP_2) | instskip(SKIP_1) | instid1(VALU_DEP_1)
	v_add3_u32 v2, v2, v7, v5
	s_waitcnt vmcnt(2)
	v_add3_u32 v2, v2, v6, v8
	s_waitcnt vmcnt(0)
	s_delay_alu instid0(VALU_DEP_1) | instskip(NEXT) | instid1(VALU_DEP_1)
	v_add3_u32 v1, v2, v17, v1
	v_mov_b32_dpp v2, v1 quad_perm:[1,0,3,2] row_mask:0xf bank_mask:0xf
	s_delay_alu instid0(VALU_DEP_1) | instskip(NEXT) | instid1(VALU_DEP_1)
	v_add_nc_u32_e32 v1, v2, v1
	v_mov_b32_dpp v2, v1 quad_perm:[2,3,0,1] row_mask:0xf bank_mask:0xf
	s_delay_alu instid0(VALU_DEP_1) | instskip(NEXT) | instid1(VALU_DEP_1)
	v_add_nc_u32_e32 v1, v1, v2
	v_mov_b32_dpp v2, v1 row_ror:4 row_mask:0xf bank_mask:0xf
	s_delay_alu instid0(VALU_DEP_1) | instskip(NEXT) | instid1(VALU_DEP_1)
	v_add_nc_u32_e32 v1, v1, v2
	v_mov_b32_dpp v2, v1 row_ror:8 row_mask:0xf bank_mask:0xf
	s_delay_alu instid0(VALU_DEP_1)
	v_add_nc_u32_e32 v1, v1, v2
	ds_swizzle_b32 v2, v1 offset:swizzle(BROADCAST,32,15)
	s_waitcnt lgkmcnt(0)
	v_add_nc_u32_e32 v1, v1, v2
	v_mbcnt_lo_u32_b32 v2, -1, 0
	ds_bpermute_b32 v1, v3, v1 offset:124
	v_cmpx_eq_u32_e32 0, v2
	s_cbranch_execz .LBB642_19
; %bb.18:
	v_lshrrev_b32_e32 v3, 3, v0
	s_delay_alu instid0(VALU_DEP_1)
	v_and_b32_e32 v3, 28, v3
	s_waitcnt lgkmcnt(0)
	ds_store_b32 v3, v1
.LBB642_19:
	s_or_b32 exec_lo, exec_lo, s3
	s_delay_alu instid0(SALU_CYCLE_1)
	s_mov_b32 s3, exec_lo
	s_waitcnt lgkmcnt(0)
	s_barrier
	buffer_gl0_inv
	v_cmpx_gt_u32_e32 32, v0
	s_cbranch_execz .LBB642_21
; %bb.20:
	v_and_b32_e32 v1, 7, v2
	s_delay_alu instid0(VALU_DEP_1) | instskip(SKIP_4) | instid1(VALU_DEP_2)
	v_lshlrev_b32_e32 v3, 2, v1
	v_cmp_ne_u32_e32 vcc_lo, 7, v1
	ds_load_b32 v3, v3
	v_add_co_ci_u32_e32 v4, vcc_lo, 0, v2, vcc_lo
	v_cmp_gt_u32_e32 vcc_lo, 6, v1
	v_lshlrev_b32_e32 v4, 2, v4
	v_cndmask_b32_e64 v5, 0, 1, vcc_lo
	v_cmp_gt_u32_e32 vcc_lo, 4, v1
	s_delay_alu instid0(VALU_DEP_2) | instskip(SKIP_1) | instid1(VALU_DEP_2)
	v_lshlrev_b32_e32 v5, 1, v5
	v_cndmask_b32_e64 v1, 0, 1, vcc_lo
	v_add_lshl_u32 v5, v5, v2, 2
	s_delay_alu instid0(VALU_DEP_2)
	v_lshlrev_b32_e32 v1, 2, v1
	s_waitcnt lgkmcnt(0)
	ds_bpermute_b32 v4, v4, v3
	v_add_lshl_u32 v1, v1, v2, 2
	s_waitcnt lgkmcnt(0)
	v_add_nc_u32_e32 v3, v4, v3
	ds_bpermute_b32 v4, v5, v3
	s_waitcnt lgkmcnt(0)
	v_add_nc_u32_e32 v3, v4, v3
	ds_bpermute_b32 v1, v1, v3
	s_waitcnt lgkmcnt(0)
	v_add_nc_u32_e32 v1, v1, v3
.LBB642_21:
	s_or_b32 exec_lo, exec_lo, s3
	s_mov_b32 s3, 0
	s_branch .LBB642_95
.LBB642_22:
                                        ; implicit-def: $vgpr1
	s_branch .LBB642_142
.LBB642_23:
                                        ; implicit-def: $vgpr1
	s_cbranch_execz .LBB642_10
; %bb.24:
	s_sub_i32 s4, s18, s4
	s_mov_b32 s5, exec_lo
                                        ; implicit-def: $vgpr1
	v_cmpx_gt_u32_e64 s4, v0
	s_cbranch_execz .LBB642_26
; %bb.25:
	v_lshlrev_b32_e32 v1, 2, v0
	global_load_b32 v1, v1, s[2:3]
.LBB642_26:
	s_or_b32 exec_lo, exec_lo, s5
	v_or_b32_e32 v3, 0x100, v0
	v_mov_b32_e32 v2, 0
	s_delay_alu instid0(VALU_DEP_2)
	v_cmp_gt_u32_e32 vcc_lo, s4, v3
	v_mov_b32_e32 v3, 0
	s_and_saveexec_b32 s5, vcc_lo
	s_cbranch_execz .LBB642_28
; %bb.27:
	v_lshlrev_b32_e32 v3, 2, v0
	global_load_b32 v3, v3, s[2:3] offset:1024
.LBB642_28:
	s_or_b32 exec_lo, exec_lo, s5
	v_or_b32_e32 v4, 0x200, v0
	s_mov_b32 s5, exec_lo
	s_delay_alu instid0(VALU_DEP_1)
	v_cmpx_gt_u32_e64 s4, v4
	s_cbranch_execz .LBB642_30
; %bb.29:
	v_lshlrev_b32_e32 v2, 2, v0
	global_load_b32 v2, v2, s[2:3] offset:2048
.LBB642_30:
	s_or_b32 exec_lo, exec_lo, s5
	v_or_b32_e32 v5, 0x300, v0
	v_mov_b32_e32 v4, 0
	s_delay_alu instid0(VALU_DEP_2)
	v_cmp_gt_u32_e32 vcc_lo, s4, v5
	v_mov_b32_e32 v5, 0
	s_and_saveexec_b32 s5, vcc_lo
	s_cbranch_execz .LBB642_32
; %bb.31:
	v_lshlrev_b32_e32 v5, 2, v0
	global_load_b32 v5, v5, s[2:3] offset:3072
.LBB642_32:
	s_or_b32 exec_lo, exec_lo, s5
	v_or_b32_e32 v6, 0x400, v0
	s_mov_b32 s5, exec_lo
	s_delay_alu instid0(VALU_DEP_1)
	v_cmpx_gt_u32_e64 s4, v6
	s_cbranch_execz .LBB642_34
; %bb.33:
	v_lshlrev_b32_e32 v4, 2, v6
	global_load_b32 v4, v4, s[2:3]
.LBB642_34:
	s_or_b32 exec_lo, exec_lo, s5
	v_or_b32_e32 v8, 0x500, v0
	v_dual_mov_b32 v6, 0 :: v_dual_mov_b32 v7, 0
	s_mov_b32 s5, exec_lo
	s_delay_alu instid0(VALU_DEP_2)
	v_cmpx_gt_u32_e64 s4, v8
	s_cbranch_execz .LBB642_36
; %bb.35:
	v_lshlrev_b32_e32 v7, 2, v8
	global_load_b32 v7, v7, s[2:3]
.LBB642_36:
	s_or_b32 exec_lo, exec_lo, s5
	v_or_b32_e32 v8, 0x600, v0
	s_mov_b32 s5, exec_lo
	s_delay_alu instid0(VALU_DEP_1)
	v_cmpx_gt_u32_e64 s4, v8
	s_cbranch_execz .LBB642_38
; %bb.37:
	v_lshlrev_b32_e32 v6, 2, v8
	global_load_b32 v6, v6, s[2:3]
.LBB642_38:
	s_or_b32 exec_lo, exec_lo, s5
	v_or_b32_e32 v10, 0x700, v0
	v_dual_mov_b32 v8, 0 :: v_dual_mov_b32 v9, 0
	s_mov_b32 s5, exec_lo
	s_delay_alu instid0(VALU_DEP_2)
	v_cmpx_gt_u32_e64 s4, v10
	s_cbranch_execz .LBB642_40
; %bb.39:
	v_lshlrev_b32_e32 v9, 2, v10
	global_load_b32 v9, v9, s[2:3]
.LBB642_40:
	;; [unrolled: 21-line block ×13, first 2 shown]
	s_or_b32 exec_lo, exec_lo, s5
	v_or_b32_e32 v32, 0x1e00, v0
	s_mov_b32 s5, exec_lo
	s_delay_alu instid0(VALU_DEP_1)
	v_cmpx_gt_u32_e64 s4, v32
	s_cbranch_execz .LBB642_86
; %bb.85:
	v_lshlrev_b32_e32 v30, 2, v32
	global_load_b32 v30, v30, s[2:3]
.LBB642_86:
	s_or_b32 exec_lo, exec_lo, s5
	v_or_b32_e32 v33, 0x1f00, v0
	v_mov_b32_e32 v32, 0
	s_mov_b32 s5, exec_lo
	s_delay_alu instid0(VALU_DEP_2)
	v_cmpx_gt_u32_e64 s4, v33
	s_cbranch_execz .LBB642_88
; %bb.87:
	v_lshlrev_b32_e32 v32, 2, v33
	global_load_b32 v32, v32, s[2:3]
.LBB642_88:
	s_or_b32 exec_lo, exec_lo, s5
	s_waitcnt vmcnt(0)
	v_add_nc_u32_e32 v1, v3, v1
	s_min_u32 s2, s4, 0x100
	s_mov_b32 s3, exec_lo
	s_delay_alu instid0(VALU_DEP_1) | instskip(SKIP_1) | instid1(VALU_DEP_2)
	v_add3_u32 v1, v1, v2, v5
	v_mbcnt_lo_u32_b32 v2, -1, 0
	v_add3_u32 v1, v1, v4, v7
	s_delay_alu instid0(VALU_DEP_2) | instskip(NEXT) | instid1(VALU_DEP_2)
	v_cmp_ne_u32_e32 vcc_lo, 31, v2
	v_add3_u32 v1, v1, v6, v9
	v_add_co_ci_u32_e32 v3, vcc_lo, 0, v2, vcc_lo
	v_cmp_gt_u32_e32 vcc_lo, 30, v2
	v_add_nc_u32_e32 v6, 1, v2
	s_delay_alu instid0(VALU_DEP_4) | instskip(NEXT) | instid1(VALU_DEP_4)
	v_add3_u32 v1, v1, v8, v11
	v_lshlrev_b32_e32 v3, 2, v3
	v_cndmask_b32_e64 v5, 0, 1, vcc_lo
	s_delay_alu instid0(VALU_DEP_3) | instskip(NEXT) | instid1(VALU_DEP_2)
	v_add3_u32 v1, v1, v10, v13
	v_lshlrev_b32_e32 v5, 1, v5
	s_delay_alu instid0(VALU_DEP_2) | instskip(NEXT) | instid1(VALU_DEP_2)
	v_add3_u32 v1, v1, v12, v15
	v_add_lshl_u32 v5, v5, v2, 2
	s_delay_alu instid0(VALU_DEP_2) | instskip(NEXT) | instid1(VALU_DEP_1)
	v_add3_u32 v1, v1, v14, v17
	v_add3_u32 v1, v1, v16, v19
	s_delay_alu instid0(VALU_DEP_1) | instskip(NEXT) | instid1(VALU_DEP_1)
	v_add3_u32 v1, v1, v18, v21
	v_add3_u32 v1, v1, v20, v23
	s_delay_alu instid0(VALU_DEP_1) | instskip(NEXT) | instid1(VALU_DEP_1)
	;; [unrolled: 3-line block ×3, first 2 shown]
	v_add3_u32 v1, v1, v26, v29
	v_add3_u32 v1, v1, v28, v31
	s_delay_alu instid0(VALU_DEP_1) | instskip(SKIP_2) | instid1(VALU_DEP_1)
	v_add3_u32 v1, v1, v30, v32
	ds_bpermute_b32 v3, v3, v1
	v_and_b32_e32 v4, 0xe0, v0
	v_sub_nc_u32_e64 v4, s2, v4 clamp
	s_delay_alu instid0(VALU_DEP_1) | instskip(SKIP_3) | instid1(VALU_DEP_2)
	v_cmp_lt_u32_e32 vcc_lo, v6, v4
	s_waitcnt lgkmcnt(0)
	v_dual_cndmask_b32 v3, 0, v3 :: v_dual_add_nc_u32 v6, 2, v2
	v_cmp_gt_u32_e32 vcc_lo, 28, v2
	v_add_nc_u32_e32 v1, v3, v1
	ds_bpermute_b32 v3, v5, v1
	v_cndmask_b32_e64 v5, 0, 1, vcc_lo
	v_cmp_lt_u32_e32 vcc_lo, v6, v4
	v_add_nc_u32_e32 v6, 4, v2
	s_delay_alu instid0(VALU_DEP_3) | instskip(NEXT) | instid1(VALU_DEP_1)
	v_lshlrev_b32_e32 v5, 2, v5
	v_add_lshl_u32 v5, v5, v2, 2
	s_waitcnt lgkmcnt(0)
	v_cndmask_b32_e32 v3, 0, v3, vcc_lo
	v_cmp_gt_u32_e32 vcc_lo, 24, v2
	s_delay_alu instid0(VALU_DEP_2) | instskip(SKIP_4) | instid1(VALU_DEP_3)
	v_add_nc_u32_e32 v1, v1, v3
	ds_bpermute_b32 v3, v5, v1
	v_cndmask_b32_e64 v5, 0, 1, vcc_lo
	v_cmp_lt_u32_e32 vcc_lo, v6, v4
	v_add_nc_u32_e32 v6, 8, v2
	v_lshlrev_b32_e32 v5, 3, v5
	s_delay_alu instid0(VALU_DEP_1) | instskip(SKIP_3) | instid1(VALU_DEP_2)
	v_add_lshl_u32 v5, v5, v2, 2
	s_waitcnt lgkmcnt(0)
	v_cndmask_b32_e32 v3, 0, v3, vcc_lo
	v_cmp_gt_u32_e32 vcc_lo, 16, v2
	v_add_nc_u32_e32 v1, v1, v3
	ds_bpermute_b32 v3, v5, v1
	v_cndmask_b32_e64 v5, 0, 1, vcc_lo
	v_cmp_lt_u32_e32 vcc_lo, v6, v4
	s_delay_alu instid0(VALU_DEP_2) | instskip(NEXT) | instid1(VALU_DEP_1)
	v_lshlrev_b32_e32 v5, 4, v5
	v_add_lshl_u32 v5, v5, v2, 2
	s_waitcnt lgkmcnt(0)
	v_cndmask_b32_e32 v3, 0, v3, vcc_lo
	s_delay_alu instid0(VALU_DEP_1) | instskip(SKIP_2) | instid1(VALU_DEP_1)
	v_add_nc_u32_e32 v1, v1, v3
	ds_bpermute_b32 v3, v5, v1
	v_add_nc_u32_e32 v5, 16, v2
	v_cmp_lt_u32_e32 vcc_lo, v5, v4
	s_waitcnt lgkmcnt(0)
	v_cndmask_b32_e32 v3, 0, v3, vcc_lo
	s_delay_alu instid0(VALU_DEP_1)
	v_add_nc_u32_e32 v1, v1, v3
	v_cmpx_eq_u32_e32 0, v2
	s_cbranch_execz .LBB642_90
; %bb.89:
	v_lshrrev_b32_e32 v3, 3, v0
	s_delay_alu instid0(VALU_DEP_1)
	v_and_b32_e32 v3, 28, v3
	ds_store_b32 v3, v1 offset:192
.LBB642_90:
	s_or_b32 exec_lo, exec_lo, s3
	s_delay_alu instid0(SALU_CYCLE_1)
	s_mov_b32 s3, exec_lo
	s_waitcnt lgkmcnt(0)
	s_barrier
	buffer_gl0_inv
	v_cmpx_gt_u32_e32 8, v0
	s_cbranch_execz .LBB642_92
; %bb.91:
	v_and_b32_e32 v3, 7, v2
	s_add_i32 s2, s2, 31
	s_delay_alu instid0(SALU_CYCLE_1) | instskip(NEXT) | instid1(VALU_DEP_1)
	s_lshr_b32 s2, s2, 5
	v_cmp_ne_u32_e32 vcc_lo, 7, v3
	v_add_nc_u32_e32 v6, 1, v3
	v_add_co_ci_u32_e32 v4, vcc_lo, 0, v2, vcc_lo
	v_cmp_gt_u32_e32 vcc_lo, 6, v3
	s_delay_alu instid0(VALU_DEP_2) | instskip(SKIP_3) | instid1(VALU_DEP_3)
	v_lshlrev_b32_e32 v4, 2, v4
	v_cndmask_b32_e64 v5, 0, 1, vcc_lo
	v_cmp_gt_u32_e32 vcc_lo, s2, v6
	v_lshlrev_b32_e32 v1, 2, v2
	v_lshlrev_b32_e32 v5, 1, v5
	ds_load_b32 v1, v1 offset:192
	v_add_lshl_u32 v5, v5, v2, 2
	s_waitcnt lgkmcnt(0)
	ds_bpermute_b32 v4, v4, v1
	s_waitcnt lgkmcnt(0)
	v_cndmask_b32_e32 v4, 0, v4, vcc_lo
	v_cmp_gt_u32_e32 vcc_lo, 4, v3
	s_delay_alu instid0(VALU_DEP_2) | instskip(SKIP_3) | instid1(VALU_DEP_1)
	v_add_nc_u32_e32 v1, v4, v1
	v_cndmask_b32_e64 v6, 0, 1, vcc_lo
	ds_bpermute_b32 v4, v5, v1
	v_add_nc_u32_e32 v5, 2, v3
	v_cmp_gt_u32_e32 vcc_lo, s2, v5
	v_lshlrev_b32_e32 v5, 2, v6
	s_delay_alu instid0(VALU_DEP_1) | instskip(SKIP_2) | instid1(VALU_DEP_1)
	v_add_lshl_u32 v2, v5, v2, 2
	s_waitcnt lgkmcnt(0)
	v_dual_cndmask_b32 v4, 0, v4 :: v_dual_add_nc_u32 v3, 4, v3
	v_add_nc_u32_e32 v1, v1, v4
	s_delay_alu instid0(VALU_DEP_2) | instskip(SKIP_3) | instid1(VALU_DEP_1)
	v_cmp_gt_u32_e32 vcc_lo, s2, v3
	ds_bpermute_b32 v2, v2, v1
	s_waitcnt lgkmcnt(0)
	v_cndmask_b32_e32 v2, 0, v2, vcc_lo
	v_add_nc_u32_e32 v1, v1, v2
.LBB642_92:
	s_or_b32 exec_lo, exec_lo, s3
	v_cmp_eq_u32_e64 s2, 0, v0
	s_and_b32 vcc_lo, exec_lo, s6
	s_cbranch_vccnz .LBB642_15
.LBB642_93:
	s_branch .LBB642_142
.LBB642_94:
	s_mov_b32 s3, -1
                                        ; implicit-def: $vgpr1
.LBB642_95:
	s_delay_alu instid0(SALU_CYCLE_1)
	s_and_b32 vcc_lo, exec_lo, s3
	s_cbranch_vccz .LBB642_133
; %bb.96:
	s_sub_i32 s25, s18, s2
	s_mov_b32 s2, exec_lo
                                        ; implicit-def: $vgpr1_vgpr2_vgpr3_vgpr4_vgpr5_vgpr6_vgpr7_vgpr8_vgpr9_vgpr10_vgpr11_vgpr12_vgpr13_vgpr14_vgpr15_vgpr16
	v_cmpx_gt_u32_e64 s25, v0
	s_cbranch_execz .LBB642_98
; %bb.97:
	v_lshlrev_b32_e32 v1, 2, v0
	global_load_b32 v1, v1, s[22:23]
.LBB642_98:
	s_or_b32 exec_lo, exec_lo, s2
	v_or_b32_e32 v17, 0x100, v0
	s_delay_alu instid0(VALU_DEP_1)
	v_cmp_gt_u32_e32 vcc_lo, s25, v17
	s_and_saveexec_b32 s2, vcc_lo
	s_cbranch_execz .LBB642_100
; %bb.99:
	v_lshlrev_b32_e32 v2, 2, v0
	global_load_b32 v2, v2, s[22:23] offset:1024
.LBB642_100:
	s_or_b32 exec_lo, exec_lo, s2
	v_or_b32_e32 v17, 0x200, v0
	s_delay_alu instid0(VALU_DEP_1) | instskip(NEXT) | instid1(VALU_DEP_1)
	v_cmp_gt_u32_e64 s2, s25, v17
	s_and_saveexec_b32 s3, s2
	s_cbranch_execz .LBB642_102
; %bb.101:
	v_lshlrev_b32_e32 v3, 2, v0
	global_load_b32 v3, v3, s[22:23] offset:2048
.LBB642_102:
	s_or_b32 exec_lo, exec_lo, s3
	v_or_b32_e32 v17, 0x300, v0
	s_delay_alu instid0(VALU_DEP_1) | instskip(NEXT) | instid1(VALU_DEP_1)
	v_cmp_gt_u32_e64 s3, s25, v17
	s_and_saveexec_b32 s4, s3
	;; [unrolled: 10-line block ×3, first 2 shown]
	s_cbranch_execz .LBB642_106
; %bb.105:
	v_lshlrev_b32_e32 v5, 2, v17
	global_load_b32 v5, v5, s[22:23]
.LBB642_106:
	s_or_b32 exec_lo, exec_lo, s5
	v_or_b32_e32 v17, 0x500, v0
	s_delay_alu instid0(VALU_DEP_1) | instskip(NEXT) | instid1(VALU_DEP_1)
	v_cmp_gt_u32_e64 s5, s25, v17
	s_and_saveexec_b32 s6, s5
	s_cbranch_execz .LBB642_108
; %bb.107:
	v_lshlrev_b32_e32 v6, 2, v17
	global_load_b32 v6, v6, s[22:23]
.LBB642_108:
	s_or_b32 exec_lo, exec_lo, s6
	v_or_b32_e32 v17, 0x600, v0
	s_delay_alu instid0(VALU_DEP_1) | instskip(NEXT) | instid1(VALU_DEP_1)
	v_cmp_gt_u32_e64 s6, s25, v17
	s_and_saveexec_b32 s7, s6
	;; [unrolled: 10-line block ×11, first 2 shown]
	s_cbranch_execz .LBB642_128
; %bb.127:
	v_lshlrev_b32_e32 v16, 2, v17
	global_load_b32 v16, v16, s[22:23]
.LBB642_128:
	s_or_b32 exec_lo, exec_lo, s26
	s_waitcnt vmcnt(0)
	v_cndmask_b32_e32 v2, 0, v2, vcc_lo
	v_cndmask_b32_e64 v3, 0, v3, s2
	v_cndmask_b32_e64 v4, 0, v4, s3
	s_min_u32 s2, s25, 0x100
	s_mov_b32 s3, exec_lo
	v_add_nc_u32_e32 v1, v2, v1
	v_cndmask_b32_e64 v2, 0, v5, s4
	v_cndmask_b32_e64 v5, 0, v6, s5
	;; [unrolled: 1-line block ×3, first 2 shown]
	s_delay_alu instid0(VALU_DEP_4) | instskip(SKIP_3) | instid1(VALU_DEP_4)
	v_add3_u32 v1, v1, v3, v4
	v_cndmask_b32_e64 v3, 0, v7, s6
	v_cndmask_b32_e64 v4, 0, v8, s7
	;; [unrolled: 1-line block ×3, first 2 shown]
	v_add3_u32 v1, v1, v2, v5
	v_cndmask_b32_e64 v2, 0, v9, s8
	v_cndmask_b32_e64 v5, 0, v10, s9
	s_delay_alu instid0(VALU_DEP_3) | instskip(SKIP_2) | instid1(VALU_DEP_3)
	v_add3_u32 v1, v1, v3, v4
	v_cndmask_b32_e64 v3, 0, v11, s10
	v_cndmask_b32_e64 v4, 0, v12, s11
	v_add3_u32 v1, v1, v2, v5
	v_mbcnt_lo_u32_b32 v2, -1, 0
	v_cndmask_b32_e64 v5, 0, v13, s12
	s_delay_alu instid0(VALU_DEP_3) | instskip(NEXT) | instid1(VALU_DEP_3)
	v_add3_u32 v1, v1, v3, v4
	v_cmp_ne_u32_e32 vcc_lo, 31, v2
	v_cndmask_b32_e64 v3, 0, v16, s15
	s_delay_alu instid0(VALU_DEP_3) | instskip(SKIP_3) | instid1(VALU_DEP_4)
	v_add3_u32 v1, v1, v5, v6
	v_add_co_ci_u32_e32 v4, vcc_lo, 0, v2, vcc_lo
	v_cmp_gt_u32_e32 vcc_lo, 30, v2
	v_add_nc_u32_e32 v6, 1, v2
	v_add3_u32 v1, v1, v7, v3
	s_delay_alu instid0(VALU_DEP_4) | instskip(SKIP_4) | instid1(VALU_DEP_2)
	v_lshlrev_b32_e32 v4, 2, v4
	v_cndmask_b32_e64 v5, 0, 1, vcc_lo
	ds_bpermute_b32 v3, v4, v1
	v_and_b32_e32 v4, 0xe0, v0
	v_lshlrev_b32_e32 v5, 1, v5
	v_sub_nc_u32_e64 v4, s2, v4 clamp
	s_delay_alu instid0(VALU_DEP_2) | instskip(NEXT) | instid1(VALU_DEP_2)
	v_add_lshl_u32 v5, v5, v2, 2
	v_cmp_lt_u32_e32 vcc_lo, v6, v4
	s_waitcnt lgkmcnt(0)
	v_dual_cndmask_b32 v3, 0, v3 :: v_dual_add_nc_u32 v6, 2, v2
	v_cmp_gt_u32_e32 vcc_lo, 28, v2
	s_delay_alu instid0(VALU_DEP_2) | instskip(SKIP_4) | instid1(VALU_DEP_3)
	v_add_nc_u32_e32 v1, v1, v3
	ds_bpermute_b32 v3, v5, v1
	v_cndmask_b32_e64 v5, 0, 1, vcc_lo
	v_cmp_lt_u32_e32 vcc_lo, v6, v4
	v_add_nc_u32_e32 v6, 4, v2
	v_lshlrev_b32_e32 v5, 2, v5
	s_delay_alu instid0(VALU_DEP_1) | instskip(SKIP_3) | instid1(VALU_DEP_2)
	v_add_lshl_u32 v5, v5, v2, 2
	s_waitcnt lgkmcnt(0)
	v_cndmask_b32_e32 v3, 0, v3, vcc_lo
	v_cmp_gt_u32_e32 vcc_lo, 24, v2
	v_add_nc_u32_e32 v1, v1, v3
	ds_bpermute_b32 v3, v5, v1
	v_cndmask_b32_e64 v5, 0, 1, vcc_lo
	v_cmp_lt_u32_e32 vcc_lo, v6, v4
	v_add_nc_u32_e32 v6, 8, v2
	s_delay_alu instid0(VALU_DEP_3) | instskip(NEXT) | instid1(VALU_DEP_1)
	v_lshlrev_b32_e32 v5, 3, v5
	v_add_lshl_u32 v5, v5, v2, 2
	s_waitcnt lgkmcnt(0)
	v_cndmask_b32_e32 v3, 0, v3, vcc_lo
	v_cmp_gt_u32_e32 vcc_lo, 16, v2
	s_delay_alu instid0(VALU_DEP_2) | instskip(SKIP_3) | instid1(VALU_DEP_2)
	v_add_nc_u32_e32 v1, v1, v3
	ds_bpermute_b32 v3, v5, v1
	v_cndmask_b32_e64 v5, 0, 1, vcc_lo
	v_cmp_lt_u32_e32 vcc_lo, v6, v4
	v_lshlrev_b32_e32 v5, 4, v5
	s_delay_alu instid0(VALU_DEP_1) | instskip(SKIP_2) | instid1(VALU_DEP_1)
	v_add_lshl_u32 v5, v5, v2, 2
	s_waitcnt lgkmcnt(0)
	v_cndmask_b32_e32 v3, 0, v3, vcc_lo
	v_add_nc_u32_e32 v1, v1, v3
	ds_bpermute_b32 v3, v5, v1
	v_add_nc_u32_e32 v5, 16, v2
	s_delay_alu instid0(VALU_DEP_1) | instskip(SKIP_2) | instid1(VALU_DEP_1)
	v_cmp_lt_u32_e32 vcc_lo, v5, v4
	s_waitcnt lgkmcnt(0)
	v_cndmask_b32_e32 v3, 0, v3, vcc_lo
	v_add_nc_u32_e32 v1, v1, v3
	v_cmpx_eq_u32_e32 0, v2
	s_cbranch_execz .LBB642_130
; %bb.129:
	v_lshrrev_b32_e32 v3, 3, v0
	s_delay_alu instid0(VALU_DEP_1)
	v_and_b32_e32 v3, 28, v3
	ds_store_b32 v3, v1 offset:192
.LBB642_130:
	s_or_b32 exec_lo, exec_lo, s3
	s_delay_alu instid0(SALU_CYCLE_1)
	s_mov_b32 s3, exec_lo
	s_waitcnt lgkmcnt(0)
	s_barrier
	buffer_gl0_inv
	v_cmpx_gt_u32_e32 8, v0
	s_cbranch_execz .LBB642_132
; %bb.131:
	v_and_b32_e32 v3, 7, v2
	s_add_i32 s2, s2, 31
	s_delay_alu instid0(SALU_CYCLE_1) | instskip(NEXT) | instid1(VALU_DEP_1)
	s_lshr_b32 s2, s2, 5
	v_cmp_ne_u32_e32 vcc_lo, 7, v3
	v_add_nc_u32_e32 v6, 1, v3
	v_add_co_ci_u32_e32 v4, vcc_lo, 0, v2, vcc_lo
	v_cmp_gt_u32_e32 vcc_lo, 6, v3
	s_delay_alu instid0(VALU_DEP_2) | instskip(SKIP_3) | instid1(VALU_DEP_3)
	v_lshlrev_b32_e32 v4, 2, v4
	v_cndmask_b32_e64 v5, 0, 1, vcc_lo
	v_cmp_gt_u32_e32 vcc_lo, s2, v6
	v_lshlrev_b32_e32 v1, 2, v2
	v_lshlrev_b32_e32 v5, 1, v5
	ds_load_b32 v1, v1 offset:192
	v_add_lshl_u32 v5, v5, v2, 2
	s_waitcnt lgkmcnt(0)
	ds_bpermute_b32 v4, v4, v1
	s_waitcnt lgkmcnt(0)
	v_cndmask_b32_e32 v4, 0, v4, vcc_lo
	v_cmp_gt_u32_e32 vcc_lo, 4, v3
	s_delay_alu instid0(VALU_DEP_2) | instskip(SKIP_3) | instid1(VALU_DEP_1)
	v_add_nc_u32_e32 v1, v4, v1
	v_cndmask_b32_e64 v6, 0, 1, vcc_lo
	ds_bpermute_b32 v4, v5, v1
	v_add_nc_u32_e32 v5, 2, v3
	v_cmp_gt_u32_e32 vcc_lo, s2, v5
	v_lshlrev_b32_e32 v5, 2, v6
	s_delay_alu instid0(VALU_DEP_1) | instskip(SKIP_2) | instid1(VALU_DEP_1)
	v_add_lshl_u32 v2, v5, v2, 2
	s_waitcnt lgkmcnt(0)
	v_dual_cndmask_b32 v4, 0, v4 :: v_dual_add_nc_u32 v3, 4, v3
	v_add_nc_u32_e32 v1, v1, v4
	s_delay_alu instid0(VALU_DEP_2) | instskip(SKIP_3) | instid1(VALU_DEP_1)
	v_cmp_gt_u32_e32 vcc_lo, s2, v3
	ds_bpermute_b32 v2, v2, v1
	s_waitcnt lgkmcnt(0)
	v_cndmask_b32_e32 v2, 0, v2, vcc_lo
	v_add_nc_u32_e32 v1, v1, v2
.LBB642_132:
	s_or_b32 exec_lo, exec_lo, s3
.LBB642_133:
	v_cmp_eq_u32_e64 s2, 0, v0
	s_branch .LBB642_142
.LBB642_134:
	s_cmp_eq_u32 s24, 8
	s_cbranch_scc0 .LBB642_141
; %bb.135:
	s_mov_b32 s21, 0
	s_lshl_b32 s2, s20, 11
	s_mov_b32 s3, s21
	s_lshr_b64 s[6:7], s[18:19], 11
	s_lshl_b64 s[4:5], s[2:3], 2
	s_delay_alu instid0(SALU_CYCLE_1)
	s_add_u32 s8, s16, s4
	s_addc_u32 s9, s17, s5
	s_cmp_lg_u64 s[6:7], s[20:21]
	s_cbranch_scc0 .LBB642_143
; %bb.136:
	v_lshlrev_b32_e32 v3, 2, v0
	s_clause 0x1
	global_load_b32 v4, v3, s[8:9]
	global_load_b32 v5, v3, s[8:9] offset:1024
	v_add_co_u32 v1, s3, s8, v3
	s_delay_alu instid0(VALU_DEP_1) | instskip(SKIP_1) | instid1(VALU_DEP_2)
	v_add_co_ci_u32_e64 v2, null, s9, 0, s3
	s_mov_b32 s3, exec_lo
	v_add_co_u32 v1, vcc_lo, 0x1000, v1
	s_delay_alu instid0(VALU_DEP_2)
	v_add_co_ci_u32_e32 v2, vcc_lo, 0, v2, vcc_lo
	s_clause 0x5
	global_load_b32 v6, v3, s[8:9] offset:2048
	global_load_b32 v3, v3, s[8:9] offset:3072
	global_load_b32 v7, v[1:2], off
	global_load_b32 v8, v[1:2], off offset:1024
	global_load_b32 v9, v[1:2], off offset:2048
	;; [unrolled: 1-line block ×3, first 2 shown]
	s_waitcnt vmcnt(6)
	v_add_nc_u32_e32 v2, v5, v4
	s_waitcnt vmcnt(4)
	s_delay_alu instid0(VALU_DEP_1) | instskip(SKIP_2) | instid1(VALU_DEP_2)
	v_add3_u32 v2, v2, v6, v3
	v_mov_b32_e32 v3, 0
	s_waitcnt vmcnt(2)
	v_add3_u32 v2, v2, v7, v8
	s_waitcnt vmcnt(0)
	s_delay_alu instid0(VALU_DEP_1) | instskip(NEXT) | instid1(VALU_DEP_1)
	v_add3_u32 v1, v2, v9, v1
	v_mov_b32_dpp v2, v1 quad_perm:[1,0,3,2] row_mask:0xf bank_mask:0xf
	s_delay_alu instid0(VALU_DEP_1) | instskip(NEXT) | instid1(VALU_DEP_1)
	v_add_nc_u32_e32 v1, v2, v1
	v_mov_b32_dpp v2, v1 quad_perm:[2,3,0,1] row_mask:0xf bank_mask:0xf
	s_delay_alu instid0(VALU_DEP_1) | instskip(NEXT) | instid1(VALU_DEP_1)
	v_add_nc_u32_e32 v1, v1, v2
	v_mov_b32_dpp v2, v1 row_ror:4 row_mask:0xf bank_mask:0xf
	s_delay_alu instid0(VALU_DEP_1) | instskip(NEXT) | instid1(VALU_DEP_1)
	v_add_nc_u32_e32 v1, v1, v2
	v_mov_b32_dpp v2, v1 row_ror:8 row_mask:0xf bank_mask:0xf
	s_delay_alu instid0(VALU_DEP_1)
	v_add_nc_u32_e32 v1, v1, v2
	ds_swizzle_b32 v2, v1 offset:swizzle(BROADCAST,32,15)
	s_waitcnt lgkmcnt(0)
	v_add_nc_u32_e32 v1, v1, v2
	v_mbcnt_lo_u32_b32 v2, -1, 0
	ds_bpermute_b32 v1, v3, v1 offset:124
	v_cmpx_eq_u32_e32 0, v2
	s_cbranch_execz .LBB642_138
; %bb.137:
	v_lshrrev_b32_e32 v3, 3, v0
	s_delay_alu instid0(VALU_DEP_1)
	v_and_b32_e32 v3, 28, v3
	s_waitcnt lgkmcnt(0)
	ds_store_b32 v3, v1 offset:160
.LBB642_138:
	s_or_b32 exec_lo, exec_lo, s3
	s_delay_alu instid0(SALU_CYCLE_1)
	s_mov_b32 s3, exec_lo
	s_waitcnt lgkmcnt(0)
	s_barrier
	buffer_gl0_inv
	v_cmpx_gt_u32_e32 32, v0
	s_cbranch_execz .LBB642_140
; %bb.139:
	v_and_b32_e32 v1, 7, v2
	s_delay_alu instid0(VALU_DEP_1) | instskip(SKIP_4) | instid1(VALU_DEP_2)
	v_lshlrev_b32_e32 v3, 2, v1
	v_cmp_ne_u32_e32 vcc_lo, 7, v1
	ds_load_b32 v3, v3 offset:160
	v_add_co_ci_u32_e32 v4, vcc_lo, 0, v2, vcc_lo
	v_cmp_gt_u32_e32 vcc_lo, 6, v1
	v_lshlrev_b32_e32 v4, 2, v4
	v_cndmask_b32_e64 v5, 0, 1, vcc_lo
	v_cmp_gt_u32_e32 vcc_lo, 4, v1
	s_delay_alu instid0(VALU_DEP_2) | instskip(SKIP_1) | instid1(VALU_DEP_2)
	v_lshlrev_b32_e32 v5, 1, v5
	v_cndmask_b32_e64 v1, 0, 1, vcc_lo
	v_add_lshl_u32 v5, v5, v2, 2
	s_delay_alu instid0(VALU_DEP_2)
	v_lshlrev_b32_e32 v1, 2, v1
	s_waitcnt lgkmcnt(0)
	ds_bpermute_b32 v4, v4, v3
	v_add_lshl_u32 v1, v1, v2, 2
	s_waitcnt lgkmcnt(0)
	v_add_nc_u32_e32 v3, v4, v3
	ds_bpermute_b32 v4, v5, v3
	s_waitcnt lgkmcnt(0)
	v_add_nc_u32_e32 v3, v4, v3
	ds_bpermute_b32 v1, v1, v3
	s_waitcnt lgkmcnt(0)
	v_add_nc_u32_e32 v1, v1, v3
.LBB642_140:
	s_or_b32 exec_lo, exec_lo, s3
	s_branch .LBB642_165
.LBB642_141:
                                        ; implicit-def: $vgpr1
.LBB642_142:
	s_branch .LBB642_224
.LBB642_143:
                                        ; implicit-def: $vgpr1
	s_cbranch_execz .LBB642_165
; %bb.144:
	s_sub_i32 s10, s18, s2
	s_mov_b32 s2, exec_lo
                                        ; implicit-def: $vgpr1_vgpr2_vgpr3_vgpr4_vgpr5_vgpr6_vgpr7_vgpr8
	v_cmpx_gt_u32_e64 s10, v0
	s_cbranch_execz .LBB642_146
; %bb.145:
	v_lshlrev_b32_e32 v1, 2, v0
	global_load_b32 v1, v1, s[8:9]
.LBB642_146:
	s_or_b32 exec_lo, exec_lo, s2
	v_or_b32_e32 v9, 0x100, v0
	s_delay_alu instid0(VALU_DEP_1)
	v_cmp_gt_u32_e32 vcc_lo, s10, v9
	s_and_saveexec_b32 s2, vcc_lo
	s_cbranch_execz .LBB642_148
; %bb.147:
	v_lshlrev_b32_e32 v2, 2, v0
	global_load_b32 v2, v2, s[8:9] offset:1024
.LBB642_148:
	s_or_b32 exec_lo, exec_lo, s2
	v_or_b32_e32 v9, 0x200, v0
	s_delay_alu instid0(VALU_DEP_1) | instskip(NEXT) | instid1(VALU_DEP_1)
	v_cmp_gt_u32_e64 s2, s10, v9
	s_and_saveexec_b32 s3, s2
	s_cbranch_execz .LBB642_150
; %bb.149:
	v_lshlrev_b32_e32 v3, 2, v0
	global_load_b32 v3, v3, s[8:9] offset:2048
.LBB642_150:
	s_or_b32 exec_lo, exec_lo, s3
	v_or_b32_e32 v9, 0x300, v0
	s_delay_alu instid0(VALU_DEP_1) | instskip(NEXT) | instid1(VALU_DEP_1)
	v_cmp_gt_u32_e64 s3, s10, v9
	s_and_saveexec_b32 s4, s3
	;; [unrolled: 10-line block ×3, first 2 shown]
	s_cbranch_execz .LBB642_154
; %bb.153:
	v_lshlrev_b32_e32 v5, 2, v9
	global_load_b32 v5, v5, s[8:9]
.LBB642_154:
	s_or_b32 exec_lo, exec_lo, s5
	v_or_b32_e32 v9, 0x500, v0
	s_delay_alu instid0(VALU_DEP_1) | instskip(NEXT) | instid1(VALU_DEP_1)
	v_cmp_gt_u32_e64 s5, s10, v9
	s_and_saveexec_b32 s6, s5
	s_cbranch_execz .LBB642_156
; %bb.155:
	v_lshlrev_b32_e32 v6, 2, v9
	global_load_b32 v6, v6, s[8:9]
.LBB642_156:
	s_or_b32 exec_lo, exec_lo, s6
	v_or_b32_e32 v9, 0x600, v0
	s_delay_alu instid0(VALU_DEP_1) | instskip(NEXT) | instid1(VALU_DEP_1)
	v_cmp_gt_u32_e64 s6, s10, v9
	s_and_saveexec_b32 s7, s6
	;; [unrolled: 10-line block ×3, first 2 shown]
	s_cbranch_execz .LBB642_160
; %bb.159:
	v_lshlrev_b32_e32 v8, 2, v9
	global_load_b32 v8, v8, s[8:9]
.LBB642_160:
	s_or_b32 exec_lo, exec_lo, s11
	s_waitcnt vmcnt(0)
	v_cndmask_b32_e32 v2, 0, v2, vcc_lo
	v_cndmask_b32_e64 v3, 0, v3, s2
	v_cndmask_b32_e64 v4, 0, v4, s3
	;; [unrolled: 1-line block ×4, first 2 shown]
	v_add_nc_u32_e32 v1, v2, v1
	v_mbcnt_lo_u32_b32 v2, -1, 0
	v_cndmask_b32_e64 v7, 0, v7, s6
	s_min_u32 s2, s10, 0x100
	s_mov_b32 s3, exec_lo
	v_add3_u32 v1, v1, v3, v4
	v_cmp_ne_u32_e32 vcc_lo, 31, v2
	v_cndmask_b32_e64 v3, 0, v8, s7
	s_delay_alu instid0(VALU_DEP_3) | instskip(SKIP_3) | instid1(VALU_DEP_4)
	v_add3_u32 v1, v1, v5, v6
	v_add_co_ci_u32_e32 v4, vcc_lo, 0, v2, vcc_lo
	v_cmp_gt_u32_e32 vcc_lo, 30, v2
	v_add_nc_u32_e32 v6, 1, v2
	v_add3_u32 v1, v1, v7, v3
	s_delay_alu instid0(VALU_DEP_4) | instskip(SKIP_4) | instid1(VALU_DEP_2)
	v_lshlrev_b32_e32 v4, 2, v4
	v_cndmask_b32_e64 v5, 0, 1, vcc_lo
	ds_bpermute_b32 v3, v4, v1
	v_and_b32_e32 v4, 0xe0, v0
	v_lshlrev_b32_e32 v5, 1, v5
	v_sub_nc_u32_e64 v4, s2, v4 clamp
	s_delay_alu instid0(VALU_DEP_2) | instskip(NEXT) | instid1(VALU_DEP_2)
	v_add_lshl_u32 v5, v5, v2, 2
	v_cmp_lt_u32_e32 vcc_lo, v6, v4
	s_waitcnt lgkmcnt(0)
	v_dual_cndmask_b32 v3, 0, v3 :: v_dual_add_nc_u32 v6, 2, v2
	v_cmp_gt_u32_e32 vcc_lo, 28, v2
	s_delay_alu instid0(VALU_DEP_2) | instskip(SKIP_4) | instid1(VALU_DEP_3)
	v_add_nc_u32_e32 v1, v1, v3
	ds_bpermute_b32 v3, v5, v1
	v_cndmask_b32_e64 v5, 0, 1, vcc_lo
	v_cmp_lt_u32_e32 vcc_lo, v6, v4
	v_add_nc_u32_e32 v6, 4, v2
	v_lshlrev_b32_e32 v5, 2, v5
	s_delay_alu instid0(VALU_DEP_1) | instskip(SKIP_3) | instid1(VALU_DEP_2)
	v_add_lshl_u32 v5, v5, v2, 2
	s_waitcnt lgkmcnt(0)
	v_cndmask_b32_e32 v3, 0, v3, vcc_lo
	v_cmp_gt_u32_e32 vcc_lo, 24, v2
	v_add_nc_u32_e32 v1, v1, v3
	ds_bpermute_b32 v3, v5, v1
	v_cndmask_b32_e64 v5, 0, 1, vcc_lo
	v_cmp_lt_u32_e32 vcc_lo, v6, v4
	v_add_nc_u32_e32 v6, 8, v2
	s_delay_alu instid0(VALU_DEP_3) | instskip(NEXT) | instid1(VALU_DEP_1)
	v_lshlrev_b32_e32 v5, 3, v5
	v_add_lshl_u32 v5, v5, v2, 2
	s_waitcnt lgkmcnt(0)
	v_cndmask_b32_e32 v3, 0, v3, vcc_lo
	v_cmp_gt_u32_e32 vcc_lo, 16, v2
	s_delay_alu instid0(VALU_DEP_2) | instskip(SKIP_3) | instid1(VALU_DEP_2)
	v_add_nc_u32_e32 v1, v1, v3
	ds_bpermute_b32 v3, v5, v1
	v_cndmask_b32_e64 v5, 0, 1, vcc_lo
	v_cmp_lt_u32_e32 vcc_lo, v6, v4
	v_lshlrev_b32_e32 v5, 4, v5
	s_delay_alu instid0(VALU_DEP_1) | instskip(SKIP_2) | instid1(VALU_DEP_1)
	v_add_lshl_u32 v5, v5, v2, 2
	s_waitcnt lgkmcnt(0)
	v_cndmask_b32_e32 v3, 0, v3, vcc_lo
	v_add_nc_u32_e32 v1, v1, v3
	ds_bpermute_b32 v3, v5, v1
	v_add_nc_u32_e32 v5, 16, v2
	s_delay_alu instid0(VALU_DEP_1) | instskip(SKIP_2) | instid1(VALU_DEP_1)
	v_cmp_lt_u32_e32 vcc_lo, v5, v4
	s_waitcnt lgkmcnt(0)
	v_cndmask_b32_e32 v3, 0, v3, vcc_lo
	v_add_nc_u32_e32 v1, v1, v3
	v_cmpx_eq_u32_e32 0, v2
	s_cbranch_execz .LBB642_162
; %bb.161:
	v_lshrrev_b32_e32 v3, 3, v0
	s_delay_alu instid0(VALU_DEP_1)
	v_and_b32_e32 v3, 28, v3
	ds_store_b32 v3, v1 offset:192
.LBB642_162:
	s_or_b32 exec_lo, exec_lo, s3
	s_delay_alu instid0(SALU_CYCLE_1)
	s_mov_b32 s3, exec_lo
	s_waitcnt lgkmcnt(0)
	s_barrier
	buffer_gl0_inv
	v_cmpx_gt_u32_e32 8, v0
	s_cbranch_execz .LBB642_164
; %bb.163:
	v_and_b32_e32 v3, 7, v2
	s_add_i32 s2, s2, 31
	s_delay_alu instid0(SALU_CYCLE_1) | instskip(NEXT) | instid1(VALU_DEP_1)
	s_lshr_b32 s2, s2, 5
	v_cmp_ne_u32_e32 vcc_lo, 7, v3
	v_add_nc_u32_e32 v6, 1, v3
	v_add_co_ci_u32_e32 v4, vcc_lo, 0, v2, vcc_lo
	v_cmp_gt_u32_e32 vcc_lo, 6, v3
	s_delay_alu instid0(VALU_DEP_2) | instskip(SKIP_3) | instid1(VALU_DEP_3)
	v_lshlrev_b32_e32 v4, 2, v4
	v_cndmask_b32_e64 v5, 0, 1, vcc_lo
	v_cmp_gt_u32_e32 vcc_lo, s2, v6
	v_lshlrev_b32_e32 v1, 2, v2
	v_lshlrev_b32_e32 v5, 1, v5
	ds_load_b32 v1, v1 offset:192
	v_add_lshl_u32 v5, v5, v2, 2
	s_waitcnt lgkmcnt(0)
	ds_bpermute_b32 v4, v4, v1
	s_waitcnt lgkmcnt(0)
	v_cndmask_b32_e32 v4, 0, v4, vcc_lo
	v_cmp_gt_u32_e32 vcc_lo, 4, v3
	s_delay_alu instid0(VALU_DEP_2) | instskip(SKIP_3) | instid1(VALU_DEP_1)
	v_add_nc_u32_e32 v1, v4, v1
	v_cndmask_b32_e64 v6, 0, 1, vcc_lo
	ds_bpermute_b32 v4, v5, v1
	v_add_nc_u32_e32 v5, 2, v3
	v_cmp_gt_u32_e32 vcc_lo, s2, v5
	v_lshlrev_b32_e32 v5, 2, v6
	s_delay_alu instid0(VALU_DEP_1) | instskip(SKIP_2) | instid1(VALU_DEP_1)
	v_add_lshl_u32 v2, v5, v2, 2
	s_waitcnt lgkmcnt(0)
	v_dual_cndmask_b32 v4, 0, v4 :: v_dual_add_nc_u32 v3, 4, v3
	v_add_nc_u32_e32 v1, v1, v4
	s_delay_alu instid0(VALU_DEP_2) | instskip(SKIP_3) | instid1(VALU_DEP_1)
	v_cmp_gt_u32_e32 vcc_lo, s2, v3
	ds_bpermute_b32 v2, v2, v1
	s_waitcnt lgkmcnt(0)
	v_cndmask_b32_e32 v2, 0, v2, vcc_lo
	v_add_nc_u32_e32 v1, v1, v2
.LBB642_164:
	s_or_b32 exec_lo, exec_lo, s3
.LBB642_165:
	v_cmp_eq_u32_e64 s2, 0, v0
	s_branch .LBB642_224
.LBB642_166:
	s_cmp_gt_i32 s24, 1
	s_cbranch_scc0 .LBB642_175
; %bb.167:
	s_cmp_gt_i32 s24, 3
	s_cbranch_scc0 .LBB642_176
; %bb.168:
	s_cmp_eq_u32 s24, 4
	s_cbranch_scc0 .LBB642_177
; %bb.169:
	s_mov_b32 s21, 0
	s_lshl_b32 s2, s20, 10
	s_mov_b32 s3, s21
	s_lshr_b64 s[6:7], s[18:19], 10
	s_lshl_b64 s[4:5], s[2:3], 2
	s_delay_alu instid0(SALU_CYCLE_1)
	s_add_u32 s4, s16, s4
	s_addc_u32 s5, s17, s5
	s_cmp_lg_u64 s[6:7], s[20:21]
	s_cbranch_scc0 .LBB642_179
; %bb.170:
	v_lshlrev_b32_e32 v1, 2, v0
	s_mov_b32 s3, exec_lo
	s_clause 0x3
	global_load_b32 v2, v1, s[4:5]
	global_load_b32 v3, v1, s[4:5] offset:1024
	global_load_b32 v4, v1, s[4:5] offset:2048
	;; [unrolled: 1-line block ×3, first 2 shown]
	s_waitcnt vmcnt(2)
	v_add_nc_u32_e32 v2, v3, v2
	s_waitcnt vmcnt(0)
	s_delay_alu instid0(VALU_DEP_1) | instskip(NEXT) | instid1(VALU_DEP_1)
	v_add3_u32 v1, v2, v4, v1
	v_mov_b32_dpp v2, v1 quad_perm:[1,0,3,2] row_mask:0xf bank_mask:0xf
	s_delay_alu instid0(VALU_DEP_1) | instskip(NEXT) | instid1(VALU_DEP_1)
	v_add_nc_u32_e32 v1, v2, v1
	v_mov_b32_dpp v2, v1 quad_perm:[2,3,0,1] row_mask:0xf bank_mask:0xf
	s_delay_alu instid0(VALU_DEP_1) | instskip(NEXT) | instid1(VALU_DEP_1)
	v_add_nc_u32_e32 v1, v1, v2
	v_mov_b32_dpp v2, v1 row_ror:4 row_mask:0xf bank_mask:0xf
	s_delay_alu instid0(VALU_DEP_1) | instskip(NEXT) | instid1(VALU_DEP_1)
	v_add_nc_u32_e32 v1, v1, v2
	v_mov_b32_dpp v2, v1 row_ror:8 row_mask:0xf bank_mask:0xf
	s_delay_alu instid0(VALU_DEP_1)
	v_add_nc_u32_e32 v1, v1, v2
	ds_swizzle_b32 v2, v1 offset:swizzle(BROADCAST,32,15)
	s_waitcnt lgkmcnt(0)
	v_dual_mov_b32 v2, 0 :: v_dual_add_nc_u32 v1, v1, v2
	ds_bpermute_b32 v1, v2, v1 offset:124
	v_mbcnt_lo_u32_b32 v2, -1, 0
	s_delay_alu instid0(VALU_DEP_1)
	v_cmpx_eq_u32_e32 0, v2
	s_cbranch_execz .LBB642_172
; %bb.171:
	v_lshrrev_b32_e32 v3, 3, v0
	s_delay_alu instid0(VALU_DEP_1)
	v_and_b32_e32 v3, 28, v3
	s_waitcnt lgkmcnt(0)
	ds_store_b32 v3, v1 offset:128
.LBB642_172:
	s_or_b32 exec_lo, exec_lo, s3
	s_delay_alu instid0(SALU_CYCLE_1)
	s_mov_b32 s3, exec_lo
	s_waitcnt lgkmcnt(0)
	s_barrier
	buffer_gl0_inv
	v_cmpx_gt_u32_e32 32, v0
	s_cbranch_execz .LBB642_174
; %bb.173:
	v_and_b32_e32 v1, 7, v2
	s_delay_alu instid0(VALU_DEP_1) | instskip(SKIP_4) | instid1(VALU_DEP_2)
	v_lshlrev_b32_e32 v3, 2, v1
	v_cmp_ne_u32_e32 vcc_lo, 7, v1
	ds_load_b32 v3, v3 offset:128
	v_add_co_ci_u32_e32 v4, vcc_lo, 0, v2, vcc_lo
	v_cmp_gt_u32_e32 vcc_lo, 6, v1
	v_lshlrev_b32_e32 v4, 2, v4
	v_cndmask_b32_e64 v5, 0, 1, vcc_lo
	v_cmp_gt_u32_e32 vcc_lo, 4, v1
	s_delay_alu instid0(VALU_DEP_2) | instskip(SKIP_1) | instid1(VALU_DEP_2)
	v_lshlrev_b32_e32 v5, 1, v5
	v_cndmask_b32_e64 v1, 0, 1, vcc_lo
	v_add_lshl_u32 v5, v5, v2, 2
	s_delay_alu instid0(VALU_DEP_2)
	v_lshlrev_b32_e32 v1, 2, v1
	s_waitcnt lgkmcnt(0)
	ds_bpermute_b32 v4, v4, v3
	v_add_lshl_u32 v1, v1, v2, 2
	s_waitcnt lgkmcnt(0)
	v_add_nc_u32_e32 v3, v4, v3
	ds_bpermute_b32 v4, v5, v3
	s_waitcnt lgkmcnt(0)
	v_add_nc_u32_e32 v3, v4, v3
	ds_bpermute_b32 v1, v1, v3
	s_waitcnt lgkmcnt(0)
	v_add_nc_u32_e32 v1, v1, v3
.LBB642_174:
	s_or_b32 exec_lo, exec_lo, s3
	s_mov_b32 s3, 0
	s_branch .LBB642_180
.LBB642_175:
                                        ; implicit-def: $vgpr1
	s_cbranch_execnz .LBB642_215
	s_branch .LBB642_224
.LBB642_176:
                                        ; implicit-def: $vgpr1
	s_cbranch_execz .LBB642_178
	s_branch .LBB642_195
.LBB642_177:
                                        ; implicit-def: $vgpr1
.LBB642_178:
	s_branch .LBB642_224
.LBB642_179:
	s_mov_b32 s3, -1
                                        ; implicit-def: $vgpr1
.LBB642_180:
	s_delay_alu instid0(SALU_CYCLE_1)
	s_and_b32 vcc_lo, exec_lo, s3
	s_cbranch_vccz .LBB642_194
; %bb.181:
	s_sub_i32 s6, s18, s2
	s_mov_b32 s2, exec_lo
                                        ; implicit-def: $vgpr1_vgpr2_vgpr3_vgpr4
	v_cmpx_gt_u32_e64 s6, v0
	s_cbranch_execz .LBB642_183
; %bb.182:
	v_lshlrev_b32_e32 v1, 2, v0
	global_load_b32 v1, v1, s[4:5]
.LBB642_183:
	s_or_b32 exec_lo, exec_lo, s2
	v_or_b32_e32 v5, 0x100, v0
	s_delay_alu instid0(VALU_DEP_1)
	v_cmp_gt_u32_e32 vcc_lo, s6, v5
	s_and_saveexec_b32 s2, vcc_lo
	s_cbranch_execz .LBB642_185
; %bb.184:
	v_lshlrev_b32_e32 v2, 2, v0
	global_load_b32 v2, v2, s[4:5] offset:1024
.LBB642_185:
	s_or_b32 exec_lo, exec_lo, s2
	v_or_b32_e32 v5, 0x200, v0
	s_delay_alu instid0(VALU_DEP_1) | instskip(NEXT) | instid1(VALU_DEP_1)
	v_cmp_gt_u32_e64 s2, s6, v5
	s_and_saveexec_b32 s3, s2
	s_cbranch_execz .LBB642_187
; %bb.186:
	v_lshlrev_b32_e32 v3, 2, v0
	global_load_b32 v3, v3, s[4:5] offset:2048
.LBB642_187:
	s_or_b32 exec_lo, exec_lo, s3
	v_or_b32_e32 v5, 0x300, v0
	s_delay_alu instid0(VALU_DEP_1) | instskip(NEXT) | instid1(VALU_DEP_1)
	v_cmp_gt_u32_e64 s3, s6, v5
	s_and_saveexec_b32 s7, s3
	s_cbranch_execz .LBB642_189
; %bb.188:
	v_lshlrev_b32_e32 v4, 2, v0
	global_load_b32 v4, v4, s[4:5] offset:3072
.LBB642_189:
	s_or_b32 exec_lo, exec_lo, s7
	s_waitcnt vmcnt(0)
	v_cndmask_b32_e32 v5, 0, v2, vcc_lo
	v_mbcnt_lo_u32_b32 v2, -1, 0
	v_cndmask_b32_e64 v3, 0, v3, s2
	v_cndmask_b32_e64 v4, 0, v4, s3
	s_min_u32 s2, s6, 0x100
	v_add_nc_u32_e32 v1, v5, v1
	v_cmp_ne_u32_e32 vcc_lo, 31, v2
	s_mov_b32 s3, exec_lo
	s_delay_alu instid0(VALU_DEP_2) | instskip(SKIP_3) | instid1(VALU_DEP_3)
	v_add3_u32 v1, v1, v3, v4
	v_and_b32_e32 v4, 0xe0, v0
	v_add_co_ci_u32_e32 v5, vcc_lo, 0, v2, vcc_lo
	v_cmp_gt_u32_e32 vcc_lo, 30, v2
	v_sub_nc_u32_e64 v4, s2, v4 clamp
	s_delay_alu instid0(VALU_DEP_3) | instskip(SKIP_4) | instid1(VALU_DEP_2)
	v_lshlrev_b32_e32 v3, 2, v5
	v_cndmask_b32_e64 v5, 0, 1, vcc_lo
	ds_bpermute_b32 v3, v3, v1
	v_add_nc_u32_e32 v6, 1, v2
	v_lshlrev_b32_e32 v5, 1, v5
	v_cmp_lt_u32_e32 vcc_lo, v6, v4
	s_delay_alu instid0(VALU_DEP_2) | instskip(SKIP_3) | instid1(VALU_DEP_2)
	v_add_lshl_u32 v5, v5, v2, 2
	s_waitcnt lgkmcnt(0)
	v_cndmask_b32_e32 v3, 0, v3, vcc_lo
	v_cmp_gt_u32_e32 vcc_lo, 28, v2
	v_add_nc_u32_e32 v1, v3, v1
	ds_bpermute_b32 v3, v5, v1
	v_add_nc_u32_e32 v6, 2, v2
	v_cndmask_b32_e64 v5, 0, 1, vcc_lo
	s_delay_alu instid0(VALU_DEP_2) | instskip(NEXT) | instid1(VALU_DEP_2)
	v_cmp_lt_u32_e32 vcc_lo, v6, v4
	v_lshlrev_b32_e32 v5, 2, v5
	s_delay_alu instid0(VALU_DEP_1) | instskip(SKIP_3) | instid1(VALU_DEP_2)
	v_add_lshl_u32 v5, v5, v2, 2
	s_waitcnt lgkmcnt(0)
	v_cndmask_b32_e32 v3, 0, v3, vcc_lo
	v_cmp_gt_u32_e32 vcc_lo, 24, v2
	v_add_nc_u32_e32 v1, v1, v3
	ds_bpermute_b32 v3, v5, v1
	v_add_nc_u32_e32 v6, 4, v2
	v_cndmask_b32_e64 v5, 0, 1, vcc_lo
	s_delay_alu instid0(VALU_DEP_2) | instskip(NEXT) | instid1(VALU_DEP_2)
	v_cmp_lt_u32_e32 vcc_lo, v6, v4
	v_lshlrev_b32_e32 v5, 3, v5
	s_delay_alu instid0(VALU_DEP_1) | instskip(SKIP_3) | instid1(VALU_DEP_2)
	v_add_lshl_u32 v5, v5, v2, 2
	s_waitcnt lgkmcnt(0)
	v_cndmask_b32_e32 v3, 0, v3, vcc_lo
	v_cmp_gt_u32_e32 vcc_lo, 16, v2
	v_add_nc_u32_e32 v1, v1, v3
	ds_bpermute_b32 v3, v5, v1
	v_add_nc_u32_e32 v6, 8, v2
	v_cndmask_b32_e64 v5, 0, 1, vcc_lo
	s_delay_alu instid0(VALU_DEP_2) | instskip(NEXT) | instid1(VALU_DEP_2)
	v_cmp_lt_u32_e32 vcc_lo, v6, v4
	v_lshlrev_b32_e32 v5, 4, v5
	s_delay_alu instid0(VALU_DEP_1) | instskip(SKIP_2) | instid1(VALU_DEP_1)
	v_add_lshl_u32 v5, v5, v2, 2
	s_waitcnt lgkmcnt(0)
	v_cndmask_b32_e32 v3, 0, v3, vcc_lo
	v_add_nc_u32_e32 v1, v1, v3
	ds_bpermute_b32 v3, v5, v1
	v_add_nc_u32_e32 v5, 16, v2
	s_delay_alu instid0(VALU_DEP_1) | instskip(SKIP_2) | instid1(VALU_DEP_1)
	v_cmp_lt_u32_e32 vcc_lo, v5, v4
	s_waitcnt lgkmcnt(0)
	v_cndmask_b32_e32 v3, 0, v3, vcc_lo
	v_add_nc_u32_e32 v1, v1, v3
	v_cmpx_eq_u32_e32 0, v2
	s_cbranch_execz .LBB642_191
; %bb.190:
	v_lshrrev_b32_e32 v3, 3, v0
	s_delay_alu instid0(VALU_DEP_1)
	v_and_b32_e32 v3, 28, v3
	ds_store_b32 v3, v1 offset:192
.LBB642_191:
	s_or_b32 exec_lo, exec_lo, s3
	s_delay_alu instid0(SALU_CYCLE_1)
	s_mov_b32 s3, exec_lo
	s_waitcnt lgkmcnt(0)
	s_barrier
	buffer_gl0_inv
	v_cmpx_gt_u32_e32 8, v0
	s_cbranch_execz .LBB642_193
; %bb.192:
	v_and_b32_e32 v3, 7, v2
	s_add_i32 s2, s2, 31
	s_delay_alu instid0(SALU_CYCLE_1) | instskip(NEXT) | instid1(VALU_DEP_1)
	s_lshr_b32 s2, s2, 5
	v_cmp_ne_u32_e32 vcc_lo, 7, v3
	v_add_nc_u32_e32 v6, 1, v3
	v_add_co_ci_u32_e32 v4, vcc_lo, 0, v2, vcc_lo
	v_cmp_gt_u32_e32 vcc_lo, 6, v3
	s_delay_alu instid0(VALU_DEP_2) | instskip(SKIP_3) | instid1(VALU_DEP_3)
	v_lshlrev_b32_e32 v4, 2, v4
	v_cndmask_b32_e64 v5, 0, 1, vcc_lo
	v_cmp_gt_u32_e32 vcc_lo, s2, v6
	v_lshlrev_b32_e32 v1, 2, v2
	v_lshlrev_b32_e32 v5, 1, v5
	ds_load_b32 v1, v1 offset:192
	v_add_lshl_u32 v5, v5, v2, 2
	s_waitcnt lgkmcnt(0)
	ds_bpermute_b32 v4, v4, v1
	s_waitcnt lgkmcnt(0)
	v_cndmask_b32_e32 v4, 0, v4, vcc_lo
	v_cmp_gt_u32_e32 vcc_lo, 4, v3
	s_delay_alu instid0(VALU_DEP_2) | instskip(SKIP_3) | instid1(VALU_DEP_1)
	v_add_nc_u32_e32 v1, v4, v1
	v_cndmask_b32_e64 v6, 0, 1, vcc_lo
	ds_bpermute_b32 v4, v5, v1
	v_add_nc_u32_e32 v5, 2, v3
	v_cmp_gt_u32_e32 vcc_lo, s2, v5
	v_lshlrev_b32_e32 v5, 2, v6
	s_delay_alu instid0(VALU_DEP_1) | instskip(SKIP_2) | instid1(VALU_DEP_1)
	v_add_lshl_u32 v2, v5, v2, 2
	s_waitcnt lgkmcnt(0)
	v_dual_cndmask_b32 v4, 0, v4 :: v_dual_add_nc_u32 v3, 4, v3
	v_add_nc_u32_e32 v1, v1, v4
	s_delay_alu instid0(VALU_DEP_2) | instskip(SKIP_3) | instid1(VALU_DEP_1)
	v_cmp_gt_u32_e32 vcc_lo, s2, v3
	ds_bpermute_b32 v2, v2, v1
	s_waitcnt lgkmcnt(0)
	v_cndmask_b32_e32 v2, 0, v2, vcc_lo
	v_add_nc_u32_e32 v1, v1, v2
.LBB642_193:
	s_or_b32 exec_lo, exec_lo, s3
.LBB642_194:
	v_cmp_eq_u32_e64 s2, 0, v0
	s_branch .LBB642_178
.LBB642_195:
	s_cmp_eq_u32 s24, 2
	s_cbranch_scc0 .LBB642_202
; %bb.196:
	s_mov_b32 s21, 0
	s_lshl_b32 s4, s20, 9
	s_mov_b32 s5, s21
	s_lshr_b64 s[6:7], s[18:19], 9
	s_lshl_b64 s[2:3], s[4:5], 2
	s_delay_alu instid0(SALU_CYCLE_1)
	s_add_u32 s2, s16, s2
	s_addc_u32 s3, s17, s3
	s_cmp_lg_u64 s[6:7], s[20:21]
	s_cbranch_scc0 .LBB642_203
; %bb.197:
	v_lshlrev_b32_e32 v1, 2, v0
	s_mov_b32 s5, exec_lo
	s_clause 0x1
	global_load_b32 v2, v1, s[2:3]
	global_load_b32 v1, v1, s[2:3] offset:1024
	s_waitcnt vmcnt(0)
	v_add_nc_u32_e32 v1, v1, v2
	s_delay_alu instid0(VALU_DEP_1) | instskip(NEXT) | instid1(VALU_DEP_1)
	v_mov_b32_dpp v2, v1 quad_perm:[1,0,3,2] row_mask:0xf bank_mask:0xf
	v_add_nc_u32_e32 v1, v2, v1
	s_delay_alu instid0(VALU_DEP_1) | instskip(NEXT) | instid1(VALU_DEP_1)
	v_mov_b32_dpp v2, v1 quad_perm:[2,3,0,1] row_mask:0xf bank_mask:0xf
	v_add_nc_u32_e32 v1, v1, v2
	s_delay_alu instid0(VALU_DEP_1) | instskip(NEXT) | instid1(VALU_DEP_1)
	v_mov_b32_dpp v2, v1 row_ror:4 row_mask:0xf bank_mask:0xf
	v_add_nc_u32_e32 v1, v1, v2
	s_delay_alu instid0(VALU_DEP_1) | instskip(NEXT) | instid1(VALU_DEP_1)
	v_mov_b32_dpp v2, v1 row_ror:8 row_mask:0xf bank_mask:0xf
	v_add_nc_u32_e32 v1, v1, v2
	ds_swizzle_b32 v2, v1 offset:swizzle(BROADCAST,32,15)
	s_waitcnt lgkmcnt(0)
	v_dual_mov_b32 v2, 0 :: v_dual_add_nc_u32 v1, v1, v2
	ds_bpermute_b32 v1, v2, v1 offset:124
	v_mbcnt_lo_u32_b32 v2, -1, 0
	s_delay_alu instid0(VALU_DEP_1)
	v_cmpx_eq_u32_e32 0, v2
	s_cbranch_execz .LBB642_199
; %bb.198:
	v_lshrrev_b32_e32 v3, 3, v0
	s_delay_alu instid0(VALU_DEP_1)
	v_and_b32_e32 v3, 28, v3
	s_waitcnt lgkmcnt(0)
	ds_store_b32 v3, v1 offset:64
.LBB642_199:
	s_or_b32 exec_lo, exec_lo, s5
	s_delay_alu instid0(SALU_CYCLE_1)
	s_mov_b32 s5, exec_lo
	s_waitcnt lgkmcnt(0)
	s_barrier
	buffer_gl0_inv
	v_cmpx_gt_u32_e32 32, v0
	s_cbranch_execz .LBB642_201
; %bb.200:
	v_and_b32_e32 v1, 7, v2
	s_delay_alu instid0(VALU_DEP_1) | instskip(SKIP_4) | instid1(VALU_DEP_2)
	v_lshlrev_b32_e32 v3, 2, v1
	v_cmp_ne_u32_e32 vcc_lo, 7, v1
	ds_load_b32 v3, v3 offset:64
	v_add_co_ci_u32_e32 v4, vcc_lo, 0, v2, vcc_lo
	v_cmp_gt_u32_e32 vcc_lo, 6, v1
	v_lshlrev_b32_e32 v4, 2, v4
	v_cndmask_b32_e64 v5, 0, 1, vcc_lo
	v_cmp_gt_u32_e32 vcc_lo, 4, v1
	s_delay_alu instid0(VALU_DEP_2) | instskip(SKIP_1) | instid1(VALU_DEP_2)
	v_lshlrev_b32_e32 v5, 1, v5
	v_cndmask_b32_e64 v1, 0, 1, vcc_lo
	v_add_lshl_u32 v5, v5, v2, 2
	s_delay_alu instid0(VALU_DEP_2)
	v_lshlrev_b32_e32 v1, 2, v1
	s_waitcnt lgkmcnt(0)
	ds_bpermute_b32 v4, v4, v3
	v_add_lshl_u32 v1, v1, v2, 2
	s_waitcnt lgkmcnt(0)
	v_add_nc_u32_e32 v3, v4, v3
	ds_bpermute_b32 v4, v5, v3
	s_waitcnt lgkmcnt(0)
	v_add_nc_u32_e32 v3, v4, v3
	ds_bpermute_b32 v1, v1, v3
	s_waitcnt lgkmcnt(0)
	v_add_nc_u32_e32 v1, v1, v3
.LBB642_201:
	s_or_b32 exec_lo, exec_lo, s5
	s_mov_b32 s5, 0
	s_branch .LBB642_204
.LBB642_202:
                                        ; implicit-def: $vgpr1
	s_branch .LBB642_224
.LBB642_203:
	s_mov_b32 s5, -1
                                        ; implicit-def: $vgpr1
.LBB642_204:
	s_delay_alu instid0(SALU_CYCLE_1)
	s_and_b32 vcc_lo, exec_lo, s5
	s_cbranch_vccz .LBB642_214
; %bb.205:
	s_sub_i32 s4, s18, s4
	s_mov_b32 s5, exec_lo
                                        ; implicit-def: $vgpr1_vgpr2
	v_cmpx_gt_u32_e64 s4, v0
	s_cbranch_execz .LBB642_207
; %bb.206:
	v_lshlrev_b32_e32 v1, 2, v0
	global_load_b32 v1, v1, s[2:3]
.LBB642_207:
	s_or_b32 exec_lo, exec_lo, s5
	v_or_b32_e32 v3, 0x100, v0
	s_delay_alu instid0(VALU_DEP_1)
	v_cmp_gt_u32_e32 vcc_lo, s4, v3
	s_and_saveexec_b32 s5, vcc_lo
	s_cbranch_execz .LBB642_209
; %bb.208:
	v_lshlrev_b32_e32 v2, 2, v0
	global_load_b32 v2, v2, s[2:3] offset:1024
.LBB642_209:
	s_or_b32 exec_lo, exec_lo, s5
	v_mbcnt_lo_u32_b32 v3, -1, 0
	s_waitcnt vmcnt(0)
	v_cndmask_b32_e32 v2, 0, v2, vcc_lo
	s_min_u32 s2, s4, 0x100
	s_mov_b32 s3, exec_lo
	v_cmp_ne_u32_e32 vcc_lo, 31, v3
	v_add_nc_u32_e32 v6, 1, v3
	v_add_co_ci_u32_e32 v4, vcc_lo, 0, v3, vcc_lo
	v_cmp_gt_u32_e32 vcc_lo, 30, v3
	v_cndmask_b32_e64 v5, 0, 1, vcc_lo
	s_delay_alu instid0(VALU_DEP_1) | instskip(SKIP_3) | instid1(VALU_DEP_4)
	v_lshlrev_b32_e32 v5, 1, v5
	v_add_nc_u32_e32 v1, v2, v1
	v_lshlrev_b32_e32 v2, 2, v4
	v_and_b32_e32 v4, 0xe0, v0
	v_add_lshl_u32 v5, v5, v3, 2
	ds_bpermute_b32 v2, v2, v1
	v_sub_nc_u32_e64 v4, s2, v4 clamp
	s_delay_alu instid0(VALU_DEP_1) | instskip(SKIP_4) | instid1(VALU_DEP_2)
	v_cmp_lt_u32_e32 vcc_lo, v6, v4
	v_add_nc_u32_e32 v6, 2, v3
	s_waitcnt lgkmcnt(0)
	v_cndmask_b32_e32 v2, 0, v2, vcc_lo
	v_cmp_gt_u32_e32 vcc_lo, 28, v3
	v_add_nc_u32_e32 v1, v2, v1
	ds_bpermute_b32 v2, v5, v1
	v_cndmask_b32_e64 v5, 0, 1, vcc_lo
	v_cmp_lt_u32_e32 vcc_lo, v6, v4
	v_add_nc_u32_e32 v6, 4, v3
	s_delay_alu instid0(VALU_DEP_3) | instskip(NEXT) | instid1(VALU_DEP_1)
	v_lshlrev_b32_e32 v5, 2, v5
	v_add_lshl_u32 v5, v5, v3, 2
	s_waitcnt lgkmcnt(0)
	v_cndmask_b32_e32 v2, 0, v2, vcc_lo
	v_cmp_gt_u32_e32 vcc_lo, 24, v3
	s_delay_alu instid0(VALU_DEP_2) | instskip(SKIP_4) | instid1(VALU_DEP_3)
	v_add_nc_u32_e32 v1, v1, v2
	ds_bpermute_b32 v2, v5, v1
	v_cndmask_b32_e64 v5, 0, 1, vcc_lo
	v_cmp_lt_u32_e32 vcc_lo, v6, v4
	v_add_nc_u32_e32 v6, 8, v3
	v_lshlrev_b32_e32 v5, 3, v5
	s_delay_alu instid0(VALU_DEP_1) | instskip(SKIP_3) | instid1(VALU_DEP_2)
	v_add_lshl_u32 v5, v5, v3, 2
	s_waitcnt lgkmcnt(0)
	v_cndmask_b32_e32 v2, 0, v2, vcc_lo
	v_cmp_gt_u32_e32 vcc_lo, 16, v3
	v_add_nc_u32_e32 v1, v1, v2
	ds_bpermute_b32 v2, v5, v1
	v_cndmask_b32_e64 v5, 0, 1, vcc_lo
	v_cmp_lt_u32_e32 vcc_lo, v6, v4
	s_delay_alu instid0(VALU_DEP_2) | instskip(NEXT) | instid1(VALU_DEP_1)
	v_lshlrev_b32_e32 v5, 4, v5
	v_add_lshl_u32 v5, v5, v3, 2
	s_waitcnt lgkmcnt(0)
	v_cndmask_b32_e32 v2, 0, v2, vcc_lo
	s_delay_alu instid0(VALU_DEP_1) | instskip(SKIP_2) | instid1(VALU_DEP_1)
	v_add_nc_u32_e32 v1, v1, v2
	ds_bpermute_b32 v2, v5, v1
	v_add_nc_u32_e32 v5, 16, v3
	v_cmp_lt_u32_e32 vcc_lo, v5, v4
	s_waitcnt lgkmcnt(0)
	v_cndmask_b32_e32 v2, 0, v2, vcc_lo
	s_delay_alu instid0(VALU_DEP_1)
	v_add_nc_u32_e32 v1, v1, v2
	v_cmpx_eq_u32_e32 0, v3
	s_cbranch_execz .LBB642_211
; %bb.210:
	v_lshrrev_b32_e32 v2, 3, v0
	s_delay_alu instid0(VALU_DEP_1)
	v_and_b32_e32 v2, 28, v2
	ds_store_b32 v2, v1 offset:192
.LBB642_211:
	s_or_b32 exec_lo, exec_lo, s3
	s_delay_alu instid0(SALU_CYCLE_1)
	s_mov_b32 s3, exec_lo
	s_waitcnt lgkmcnt(0)
	s_barrier
	buffer_gl0_inv
	v_cmpx_gt_u32_e32 8, v0
	s_cbranch_execz .LBB642_213
; %bb.212:
	v_and_b32_e32 v2, 7, v3
	s_add_i32 s2, s2, 31
	s_delay_alu instid0(SALU_CYCLE_1) | instskip(NEXT) | instid1(VALU_DEP_1)
	s_lshr_b32 s2, s2, 5
	v_cmp_ne_u32_e32 vcc_lo, 7, v2
	v_add_nc_u32_e32 v6, 1, v2
	v_add_co_ci_u32_e32 v4, vcc_lo, 0, v3, vcc_lo
	v_cmp_gt_u32_e32 vcc_lo, 6, v2
	s_delay_alu instid0(VALU_DEP_2) | instskip(SKIP_3) | instid1(VALU_DEP_3)
	v_lshlrev_b32_e32 v4, 2, v4
	v_cndmask_b32_e64 v5, 0, 1, vcc_lo
	v_cmp_gt_u32_e32 vcc_lo, s2, v6
	v_lshlrev_b32_e32 v1, 2, v3
	v_lshlrev_b32_e32 v5, 1, v5
	ds_load_b32 v1, v1 offset:192
	v_add_lshl_u32 v5, v5, v3, 2
	s_waitcnt lgkmcnt(0)
	ds_bpermute_b32 v4, v4, v1
	s_waitcnt lgkmcnt(0)
	v_cndmask_b32_e32 v4, 0, v4, vcc_lo
	v_cmp_gt_u32_e32 vcc_lo, 4, v2
	s_delay_alu instid0(VALU_DEP_2) | instskip(SKIP_4) | instid1(VALU_DEP_2)
	v_add_nc_u32_e32 v1, v4, v1
	v_cndmask_b32_e64 v6, 0, 1, vcc_lo
	ds_bpermute_b32 v4, v5, v1
	v_add_nc_u32_e32 v5, 2, v2
	v_add_nc_u32_e32 v2, 4, v2
	v_cmp_gt_u32_e32 vcc_lo, s2, v5
	v_lshlrev_b32_e32 v5, 2, v6
	s_delay_alu instid0(VALU_DEP_1) | instskip(SKIP_3) | instid1(VALU_DEP_2)
	v_add_lshl_u32 v3, v5, v3, 2
	s_waitcnt lgkmcnt(0)
	v_cndmask_b32_e32 v4, 0, v4, vcc_lo
	v_cmp_gt_u32_e32 vcc_lo, s2, v2
	v_add_nc_u32_e32 v1, v1, v4
	ds_bpermute_b32 v3, v3, v1
	s_waitcnt lgkmcnt(0)
	v_cndmask_b32_e32 v2, 0, v3, vcc_lo
	s_delay_alu instid0(VALU_DEP_1)
	v_add_nc_u32_e32 v1, v1, v2
.LBB642_213:
	s_or_b32 exec_lo, exec_lo, s3
.LBB642_214:
	v_cmp_eq_u32_e64 s2, 0, v0
	s_branch .LBB642_224
.LBB642_215:
	s_cmp_eq_u32 s24, 1
	s_cbranch_scc0 .LBB642_223
; %bb.216:
	s_mov_b32 s3, 0
	v_mbcnt_lo_u32_b32 v2, -1, 0
	s_lshr_b64 s[4:5], s[18:19], 8
	s_mov_b32 s21, s3
	s_lshl_b32 s2, s20, 8
	s_cmp_lg_u64 s[4:5], s[20:21]
	s_cbranch_scc0 .LBB642_227
; %bb.217:
	s_lshl_b64 s[4:5], s[2:3], 2
	v_lshlrev_b32_e32 v1, 2, v0
	s_add_u32 s4, s16, s4
	s_addc_u32 s5, s17, s5
	global_load_b32 v1, v1, s[4:5]
	s_mov_b32 s4, exec_lo
	s_waitcnt vmcnt(0)
	v_mov_b32_dpp v3, v1 quad_perm:[1,0,3,2] row_mask:0xf bank_mask:0xf
	s_delay_alu instid0(VALU_DEP_1) | instskip(NEXT) | instid1(VALU_DEP_1)
	v_add_nc_u32_e32 v1, v3, v1
	v_mov_b32_dpp v3, v1 quad_perm:[2,3,0,1] row_mask:0xf bank_mask:0xf
	s_delay_alu instid0(VALU_DEP_1) | instskip(NEXT) | instid1(VALU_DEP_1)
	v_add_nc_u32_e32 v1, v1, v3
	v_mov_b32_dpp v3, v1 row_ror:4 row_mask:0xf bank_mask:0xf
	s_delay_alu instid0(VALU_DEP_1) | instskip(NEXT) | instid1(VALU_DEP_1)
	v_add_nc_u32_e32 v1, v1, v3
	v_mov_b32_dpp v3, v1 row_ror:8 row_mask:0xf bank_mask:0xf
	s_delay_alu instid0(VALU_DEP_1)
	v_add_nc_u32_e32 v1, v1, v3
	ds_swizzle_b32 v3, v1 offset:swizzle(BROADCAST,32,15)
	s_waitcnt lgkmcnt(0)
	v_add_nc_u32_e32 v1, v1, v3
	v_mov_b32_e32 v3, 0
	ds_bpermute_b32 v1, v3, v1 offset:124
	v_cmpx_eq_u32_e32 0, v2
	s_cbranch_execz .LBB642_219
; %bb.218:
	v_lshrrev_b32_e32 v3, 3, v0
	s_delay_alu instid0(VALU_DEP_1)
	v_and_b32_e32 v3, 28, v3
	s_waitcnt lgkmcnt(0)
	ds_store_b32 v3, v1 offset:32
.LBB642_219:
	s_or_b32 exec_lo, exec_lo, s4
	s_delay_alu instid0(SALU_CYCLE_1)
	s_mov_b32 s4, exec_lo
	s_waitcnt lgkmcnt(0)
	s_barrier
	buffer_gl0_inv
	v_cmpx_gt_u32_e32 32, v0
	s_cbranch_execz .LBB642_221
; %bb.220:
	v_and_b32_e32 v1, 7, v2
	s_delay_alu instid0(VALU_DEP_1) | instskip(SKIP_4) | instid1(VALU_DEP_2)
	v_lshlrev_b32_e32 v3, 2, v1
	v_cmp_ne_u32_e32 vcc_lo, 7, v1
	ds_load_b32 v3, v3 offset:32
	v_add_co_ci_u32_e32 v4, vcc_lo, 0, v2, vcc_lo
	v_cmp_gt_u32_e32 vcc_lo, 6, v1
	v_lshlrev_b32_e32 v4, 2, v4
	v_cndmask_b32_e64 v5, 0, 1, vcc_lo
	v_cmp_gt_u32_e32 vcc_lo, 4, v1
	s_delay_alu instid0(VALU_DEP_2) | instskip(SKIP_1) | instid1(VALU_DEP_2)
	v_lshlrev_b32_e32 v5, 1, v5
	v_cndmask_b32_e64 v1, 0, 1, vcc_lo
	v_add_lshl_u32 v5, v5, v2, 2
	s_delay_alu instid0(VALU_DEP_2)
	v_lshlrev_b32_e32 v1, 2, v1
	s_waitcnt lgkmcnt(0)
	ds_bpermute_b32 v4, v4, v3
	v_add_lshl_u32 v1, v1, v2, 2
	s_waitcnt lgkmcnt(0)
	v_add_nc_u32_e32 v3, v4, v3
	ds_bpermute_b32 v4, v5, v3
	s_waitcnt lgkmcnt(0)
	v_add_nc_u32_e32 v3, v4, v3
	ds_bpermute_b32 v1, v1, v3
	s_waitcnt lgkmcnt(0)
	v_add_nc_u32_e32 v1, v1, v3
.LBB642_221:
	s_or_b32 exec_lo, exec_lo, s4
.LBB642_222:
	v_cmp_eq_u32_e64 s2, 0, v0
	s_delay_alu instid0(VALU_DEP_1)
	s_and_saveexec_b32 s3, s2
	s_cbranch_execnz .LBB642_225
	s_branch .LBB642_226
.LBB642_223:
                                        ; implicit-def: $vgpr1
                                        ; implicit-def: $sgpr20_sgpr21
.LBB642_224:
	s_delay_alu instid0(VALU_DEP_1)
	s_and_saveexec_b32 s3, s2
	s_cbranch_execz .LBB642_226
.LBB642_225:
	s_clause 0x1
	s_load_b64 s[2:3], s[0:1], 0x18
	s_load_b32 s4, s[0:1], 0x20
	s_lshl_b64 s[0:1], s[20:21], 2
	s_waitcnt lgkmcnt(0)
	s_add_u32 s0, s2, s0
	s_addc_u32 s1, s3, s1
	s_cmp_lg_u64 s[18:19], 0
	s_cselect_b32 vcc_lo, -1, 0
	v_dual_cndmask_b32 v0, 0, v1 :: v_dual_mov_b32 v1, 0
	s_delay_alu instid0(VALU_DEP_1)
	v_add_nc_u32_e32 v0, s4, v0
	global_store_b32 v1, v0, s[0:1]
.LBB642_226:
	s_nop 0
	s_sendmsg sendmsg(MSG_DEALLOC_VGPRS)
	s_endpgm
.LBB642_227:
                                        ; implicit-def: $vgpr1
	s_cbranch_execz .LBB642_222
; %bb.228:
	s_sub_i32 s4, s18, s2
	s_mov_b32 s5, exec_lo
                                        ; implicit-def: $vgpr1
	v_cmpx_gt_u32_e64 s4, v0
	s_cbranch_execz .LBB642_230
; %bb.229:
	s_lshl_b64 s[2:3], s[2:3], 2
	v_lshlrev_b32_e32 v1, 2, v0
	s_add_u32 s2, s16, s2
	s_addc_u32 s3, s17, s3
	global_load_b32 v1, v1, s[2:3]
.LBB642_230:
	s_or_b32 exec_lo, exec_lo, s5
	v_cmp_ne_u32_e32 vcc_lo, 31, v2
	s_min_u32 s2, s4, 0x100
	v_add_nc_u32_e32 v5, 1, v2
	s_mov_b32 s3, exec_lo
	v_add_co_ci_u32_e32 v3, vcc_lo, 0, v2, vcc_lo
	v_cmp_gt_u32_e32 vcc_lo, 30, v2
	s_delay_alu instid0(VALU_DEP_2)
	v_lshlrev_b32_e32 v3, 2, v3
	v_cndmask_b32_e64 v6, 0, 1, vcc_lo
	s_waitcnt vmcnt(0)
	ds_bpermute_b32 v3, v3, v1
	v_and_b32_e32 v4, 0xe0, v0
	v_lshlrev_b32_e32 v6, 1, v6
	s_delay_alu instid0(VALU_DEP_2) | instskip(NEXT) | instid1(VALU_DEP_1)
	v_sub_nc_u32_e64 v4, s2, v4 clamp
	v_cmp_lt_u32_e32 vcc_lo, v5, v4
	s_delay_alu instid0(VALU_DEP_3) | instskip(SKIP_3) | instid1(VALU_DEP_2)
	v_add_lshl_u32 v5, v6, v2, 2
	s_waitcnt lgkmcnt(0)
	v_dual_cndmask_b32 v3, 0, v3 :: v_dual_add_nc_u32 v6, 2, v2
	v_cmp_gt_u32_e32 vcc_lo, 28, v2
	v_add_nc_u32_e32 v1, v3, v1
	ds_bpermute_b32 v3, v5, v1
	v_cndmask_b32_e64 v5, 0, 1, vcc_lo
	v_cmp_lt_u32_e32 vcc_lo, v6, v4
	v_add_nc_u32_e32 v6, 4, v2
	s_delay_alu instid0(VALU_DEP_3) | instskip(NEXT) | instid1(VALU_DEP_1)
	v_lshlrev_b32_e32 v5, 2, v5
	v_add_lshl_u32 v5, v5, v2, 2
	s_waitcnt lgkmcnt(0)
	v_cndmask_b32_e32 v3, 0, v3, vcc_lo
	v_cmp_gt_u32_e32 vcc_lo, 24, v2
	s_delay_alu instid0(VALU_DEP_2) | instskip(SKIP_4) | instid1(VALU_DEP_3)
	v_add_nc_u32_e32 v1, v1, v3
	ds_bpermute_b32 v3, v5, v1
	v_cndmask_b32_e64 v5, 0, 1, vcc_lo
	v_cmp_lt_u32_e32 vcc_lo, v6, v4
	v_add_nc_u32_e32 v6, 8, v2
	v_lshlrev_b32_e32 v5, 3, v5
	s_delay_alu instid0(VALU_DEP_1) | instskip(SKIP_3) | instid1(VALU_DEP_2)
	v_add_lshl_u32 v5, v5, v2, 2
	s_waitcnt lgkmcnt(0)
	v_cndmask_b32_e32 v3, 0, v3, vcc_lo
	v_cmp_gt_u32_e32 vcc_lo, 16, v2
	v_add_nc_u32_e32 v1, v1, v3
	ds_bpermute_b32 v3, v5, v1
	v_cndmask_b32_e64 v5, 0, 1, vcc_lo
	v_cmp_lt_u32_e32 vcc_lo, v6, v4
	s_delay_alu instid0(VALU_DEP_2) | instskip(NEXT) | instid1(VALU_DEP_1)
	v_lshlrev_b32_e32 v5, 4, v5
	v_add_lshl_u32 v5, v5, v2, 2
	s_waitcnt lgkmcnt(0)
	v_cndmask_b32_e32 v3, 0, v3, vcc_lo
	s_delay_alu instid0(VALU_DEP_1) | instskip(SKIP_2) | instid1(VALU_DEP_1)
	v_add_nc_u32_e32 v1, v1, v3
	ds_bpermute_b32 v3, v5, v1
	v_add_nc_u32_e32 v5, 16, v2
	v_cmp_lt_u32_e32 vcc_lo, v5, v4
	s_waitcnt lgkmcnt(0)
	v_cndmask_b32_e32 v3, 0, v3, vcc_lo
	s_delay_alu instid0(VALU_DEP_1)
	v_add_nc_u32_e32 v1, v1, v3
	v_cmpx_eq_u32_e32 0, v2
	s_cbranch_execz .LBB642_232
; %bb.231:
	v_lshrrev_b32_e32 v3, 3, v0
	s_delay_alu instid0(VALU_DEP_1)
	v_and_b32_e32 v3, 28, v3
	ds_store_b32 v3, v1 offset:192
.LBB642_232:
	s_or_b32 exec_lo, exec_lo, s3
	s_delay_alu instid0(SALU_CYCLE_1)
	s_mov_b32 s3, exec_lo
	s_waitcnt lgkmcnt(0)
	s_barrier
	buffer_gl0_inv
	v_cmpx_gt_u32_e32 8, v0
	s_cbranch_execz .LBB642_234
; %bb.233:
	v_and_b32_e32 v3, 7, v2
	s_add_i32 s2, s2, 31
	s_delay_alu instid0(SALU_CYCLE_1) | instskip(NEXT) | instid1(VALU_DEP_1)
	s_lshr_b32 s2, s2, 5
	v_cmp_ne_u32_e32 vcc_lo, 7, v3
	v_add_nc_u32_e32 v6, 1, v3
	v_add_co_ci_u32_e32 v4, vcc_lo, 0, v2, vcc_lo
	v_cmp_gt_u32_e32 vcc_lo, 6, v3
	s_delay_alu instid0(VALU_DEP_2) | instskip(SKIP_3) | instid1(VALU_DEP_3)
	v_lshlrev_b32_e32 v4, 2, v4
	v_cndmask_b32_e64 v5, 0, 1, vcc_lo
	v_cmp_gt_u32_e32 vcc_lo, s2, v6
	v_lshlrev_b32_e32 v1, 2, v2
	v_lshlrev_b32_e32 v5, 1, v5
	ds_load_b32 v1, v1 offset:192
	v_add_lshl_u32 v5, v5, v2, 2
	s_waitcnt lgkmcnt(0)
	ds_bpermute_b32 v4, v4, v1
	s_waitcnt lgkmcnt(0)
	v_cndmask_b32_e32 v4, 0, v4, vcc_lo
	v_cmp_gt_u32_e32 vcc_lo, 4, v3
	s_delay_alu instid0(VALU_DEP_2) | instskip(SKIP_3) | instid1(VALU_DEP_1)
	v_add_nc_u32_e32 v1, v4, v1
	v_cndmask_b32_e64 v6, 0, 1, vcc_lo
	ds_bpermute_b32 v4, v5, v1
	v_add_nc_u32_e32 v5, 2, v3
	v_cmp_gt_u32_e32 vcc_lo, s2, v5
	v_lshlrev_b32_e32 v5, 2, v6
	s_delay_alu instid0(VALU_DEP_1) | instskip(SKIP_2) | instid1(VALU_DEP_1)
	v_add_lshl_u32 v2, v5, v2, 2
	s_waitcnt lgkmcnt(0)
	v_dual_cndmask_b32 v4, 0, v4 :: v_dual_add_nc_u32 v3, 4, v3
	v_add_nc_u32_e32 v1, v1, v4
	s_delay_alu instid0(VALU_DEP_2) | instskip(SKIP_3) | instid1(VALU_DEP_1)
	v_cmp_gt_u32_e32 vcc_lo, s2, v3
	ds_bpermute_b32 v2, v2, v1
	s_waitcnt lgkmcnt(0)
	v_cndmask_b32_e32 v2, 0, v2, vcc_lo
	v_add_nc_u32_e32 v1, v1, v2
.LBB642_234:
	s_or_b32 exec_lo, exec_lo, s3
	v_cmp_eq_u32_e64 s2, 0, v0
	s_delay_alu instid0(VALU_DEP_1)
	s_and_saveexec_b32 s3, s2
	s_cbranch_execnz .LBB642_225
	s_branch .LBB642_226
	.section	.rodata,"a",@progbits
	.p2align	6, 0x0
	.amdhsa_kernel _ZN7rocprim17ROCPRIM_400000_NS6detail17trampoline_kernelINS0_14default_configENS1_22reduce_config_selectorIiEEZNS1_11reduce_implILb1ES3_PiS7_iN6hipcub16HIPCUB_304000_NS6detail34convert_binary_result_type_wrapperINS9_3SumENS9_22TransformInputIteratorIbN2at6native12_GLOBAL__N_19NonZeroOpIN3c107complexINSI_4HalfEEEEEPKSL_lEEiEEEE10hipError_tPvRmT1_T2_T3_mT4_P12ihipStream_tbEUlT_E1_NS1_11comp_targetILNS1_3genE9ELNS1_11target_archE1100ELNS1_3gpuE3ELNS1_3repE0EEENS1_30default_config_static_selectorELNS0_4arch9wavefront6targetE0EEEvSU_
		.amdhsa_group_segment_fixed_size 224
		.amdhsa_private_segment_fixed_size 0
		.amdhsa_kernarg_size 40
		.amdhsa_user_sgpr_count 15
		.amdhsa_user_sgpr_dispatch_ptr 0
		.amdhsa_user_sgpr_queue_ptr 0
		.amdhsa_user_sgpr_kernarg_segment_ptr 1
		.amdhsa_user_sgpr_dispatch_id 0
		.amdhsa_user_sgpr_private_segment_size 0
		.amdhsa_wavefront_size32 1
		.amdhsa_uses_dynamic_stack 0
		.amdhsa_enable_private_segment 0
		.amdhsa_system_sgpr_workgroup_id_x 1
		.amdhsa_system_sgpr_workgroup_id_y 0
		.amdhsa_system_sgpr_workgroup_id_z 0
		.amdhsa_system_sgpr_workgroup_info 0
		.amdhsa_system_vgpr_workitem_id 0
		.amdhsa_next_free_vgpr 34
		.amdhsa_next_free_sgpr 27
		.amdhsa_reserve_vcc 1
		.amdhsa_float_round_mode_32 0
		.amdhsa_float_round_mode_16_64 0
		.amdhsa_float_denorm_mode_32 3
		.amdhsa_float_denorm_mode_16_64 3
		.amdhsa_dx10_clamp 1
		.amdhsa_ieee_mode 1
		.amdhsa_fp16_overflow 0
		.amdhsa_workgroup_processor_mode 1
		.amdhsa_memory_ordered 1
		.amdhsa_forward_progress 0
		.amdhsa_shared_vgpr_count 0
		.amdhsa_exception_fp_ieee_invalid_op 0
		.amdhsa_exception_fp_denorm_src 0
		.amdhsa_exception_fp_ieee_div_zero 0
		.amdhsa_exception_fp_ieee_overflow 0
		.amdhsa_exception_fp_ieee_underflow 0
		.amdhsa_exception_fp_ieee_inexact 0
		.amdhsa_exception_int_div_zero 0
	.end_amdhsa_kernel
	.section	.text._ZN7rocprim17ROCPRIM_400000_NS6detail17trampoline_kernelINS0_14default_configENS1_22reduce_config_selectorIiEEZNS1_11reduce_implILb1ES3_PiS7_iN6hipcub16HIPCUB_304000_NS6detail34convert_binary_result_type_wrapperINS9_3SumENS9_22TransformInputIteratorIbN2at6native12_GLOBAL__N_19NonZeroOpIN3c107complexINSI_4HalfEEEEEPKSL_lEEiEEEE10hipError_tPvRmT1_T2_T3_mT4_P12ihipStream_tbEUlT_E1_NS1_11comp_targetILNS1_3genE9ELNS1_11target_archE1100ELNS1_3gpuE3ELNS1_3repE0EEENS1_30default_config_static_selectorELNS0_4arch9wavefront6targetE0EEEvSU_,"axG",@progbits,_ZN7rocprim17ROCPRIM_400000_NS6detail17trampoline_kernelINS0_14default_configENS1_22reduce_config_selectorIiEEZNS1_11reduce_implILb1ES3_PiS7_iN6hipcub16HIPCUB_304000_NS6detail34convert_binary_result_type_wrapperINS9_3SumENS9_22TransformInputIteratorIbN2at6native12_GLOBAL__N_19NonZeroOpIN3c107complexINSI_4HalfEEEEEPKSL_lEEiEEEE10hipError_tPvRmT1_T2_T3_mT4_P12ihipStream_tbEUlT_E1_NS1_11comp_targetILNS1_3genE9ELNS1_11target_archE1100ELNS1_3gpuE3ELNS1_3repE0EEENS1_30default_config_static_selectorELNS0_4arch9wavefront6targetE0EEEvSU_,comdat
.Lfunc_end642:
	.size	_ZN7rocprim17ROCPRIM_400000_NS6detail17trampoline_kernelINS0_14default_configENS1_22reduce_config_selectorIiEEZNS1_11reduce_implILb1ES3_PiS7_iN6hipcub16HIPCUB_304000_NS6detail34convert_binary_result_type_wrapperINS9_3SumENS9_22TransformInputIteratorIbN2at6native12_GLOBAL__N_19NonZeroOpIN3c107complexINSI_4HalfEEEEEPKSL_lEEiEEEE10hipError_tPvRmT1_T2_T3_mT4_P12ihipStream_tbEUlT_E1_NS1_11comp_targetILNS1_3genE9ELNS1_11target_archE1100ELNS1_3gpuE3ELNS1_3repE0EEENS1_30default_config_static_selectorELNS0_4arch9wavefront6targetE0EEEvSU_, .Lfunc_end642-_ZN7rocprim17ROCPRIM_400000_NS6detail17trampoline_kernelINS0_14default_configENS1_22reduce_config_selectorIiEEZNS1_11reduce_implILb1ES3_PiS7_iN6hipcub16HIPCUB_304000_NS6detail34convert_binary_result_type_wrapperINS9_3SumENS9_22TransformInputIteratorIbN2at6native12_GLOBAL__N_19NonZeroOpIN3c107complexINSI_4HalfEEEEEPKSL_lEEiEEEE10hipError_tPvRmT1_T2_T3_mT4_P12ihipStream_tbEUlT_E1_NS1_11comp_targetILNS1_3genE9ELNS1_11target_archE1100ELNS1_3gpuE3ELNS1_3repE0EEENS1_30default_config_static_selectorELNS0_4arch9wavefront6targetE0EEEvSU_
                                        ; -- End function
	.section	.AMDGPU.csdata,"",@progbits
; Kernel info:
; codeLenInByte = 10768
; NumSgprs: 29
; NumVgprs: 34
; ScratchSize: 0
; MemoryBound: 0
; FloatMode: 240
; IeeeMode: 1
; LDSByteSize: 224 bytes/workgroup (compile time only)
; SGPRBlocks: 3
; VGPRBlocks: 4
; NumSGPRsForWavesPerEU: 29
; NumVGPRsForWavesPerEU: 34
; Occupancy: 16
; WaveLimiterHint : 1
; COMPUTE_PGM_RSRC2:SCRATCH_EN: 0
; COMPUTE_PGM_RSRC2:USER_SGPR: 15
; COMPUTE_PGM_RSRC2:TRAP_HANDLER: 0
; COMPUTE_PGM_RSRC2:TGID_X_EN: 1
; COMPUTE_PGM_RSRC2:TGID_Y_EN: 0
; COMPUTE_PGM_RSRC2:TGID_Z_EN: 0
; COMPUTE_PGM_RSRC2:TIDIG_COMP_CNT: 0
	.section	.text._ZN7rocprim17ROCPRIM_400000_NS6detail17trampoline_kernelINS0_14default_configENS1_22reduce_config_selectorIiEEZNS1_11reduce_implILb1ES3_PiS7_iN6hipcub16HIPCUB_304000_NS6detail34convert_binary_result_type_wrapperINS9_3SumENS9_22TransformInputIteratorIbN2at6native12_GLOBAL__N_19NonZeroOpIN3c107complexINSI_4HalfEEEEEPKSL_lEEiEEEE10hipError_tPvRmT1_T2_T3_mT4_P12ihipStream_tbEUlT_E1_NS1_11comp_targetILNS1_3genE8ELNS1_11target_archE1030ELNS1_3gpuE2ELNS1_3repE0EEENS1_30default_config_static_selectorELNS0_4arch9wavefront6targetE0EEEvSU_,"axG",@progbits,_ZN7rocprim17ROCPRIM_400000_NS6detail17trampoline_kernelINS0_14default_configENS1_22reduce_config_selectorIiEEZNS1_11reduce_implILb1ES3_PiS7_iN6hipcub16HIPCUB_304000_NS6detail34convert_binary_result_type_wrapperINS9_3SumENS9_22TransformInputIteratorIbN2at6native12_GLOBAL__N_19NonZeroOpIN3c107complexINSI_4HalfEEEEEPKSL_lEEiEEEE10hipError_tPvRmT1_T2_T3_mT4_P12ihipStream_tbEUlT_E1_NS1_11comp_targetILNS1_3genE8ELNS1_11target_archE1030ELNS1_3gpuE2ELNS1_3repE0EEENS1_30default_config_static_selectorELNS0_4arch9wavefront6targetE0EEEvSU_,comdat
	.globl	_ZN7rocprim17ROCPRIM_400000_NS6detail17trampoline_kernelINS0_14default_configENS1_22reduce_config_selectorIiEEZNS1_11reduce_implILb1ES3_PiS7_iN6hipcub16HIPCUB_304000_NS6detail34convert_binary_result_type_wrapperINS9_3SumENS9_22TransformInputIteratorIbN2at6native12_GLOBAL__N_19NonZeroOpIN3c107complexINSI_4HalfEEEEEPKSL_lEEiEEEE10hipError_tPvRmT1_T2_T3_mT4_P12ihipStream_tbEUlT_E1_NS1_11comp_targetILNS1_3genE8ELNS1_11target_archE1030ELNS1_3gpuE2ELNS1_3repE0EEENS1_30default_config_static_selectorELNS0_4arch9wavefront6targetE0EEEvSU_ ; -- Begin function _ZN7rocprim17ROCPRIM_400000_NS6detail17trampoline_kernelINS0_14default_configENS1_22reduce_config_selectorIiEEZNS1_11reduce_implILb1ES3_PiS7_iN6hipcub16HIPCUB_304000_NS6detail34convert_binary_result_type_wrapperINS9_3SumENS9_22TransformInputIteratorIbN2at6native12_GLOBAL__N_19NonZeroOpIN3c107complexINSI_4HalfEEEEEPKSL_lEEiEEEE10hipError_tPvRmT1_T2_T3_mT4_P12ihipStream_tbEUlT_E1_NS1_11comp_targetILNS1_3genE8ELNS1_11target_archE1030ELNS1_3gpuE2ELNS1_3repE0EEENS1_30default_config_static_selectorELNS0_4arch9wavefront6targetE0EEEvSU_
	.p2align	8
	.type	_ZN7rocprim17ROCPRIM_400000_NS6detail17trampoline_kernelINS0_14default_configENS1_22reduce_config_selectorIiEEZNS1_11reduce_implILb1ES3_PiS7_iN6hipcub16HIPCUB_304000_NS6detail34convert_binary_result_type_wrapperINS9_3SumENS9_22TransformInputIteratorIbN2at6native12_GLOBAL__N_19NonZeroOpIN3c107complexINSI_4HalfEEEEEPKSL_lEEiEEEE10hipError_tPvRmT1_T2_T3_mT4_P12ihipStream_tbEUlT_E1_NS1_11comp_targetILNS1_3genE8ELNS1_11target_archE1030ELNS1_3gpuE2ELNS1_3repE0EEENS1_30default_config_static_selectorELNS0_4arch9wavefront6targetE0EEEvSU_,@function
_ZN7rocprim17ROCPRIM_400000_NS6detail17trampoline_kernelINS0_14default_configENS1_22reduce_config_selectorIiEEZNS1_11reduce_implILb1ES3_PiS7_iN6hipcub16HIPCUB_304000_NS6detail34convert_binary_result_type_wrapperINS9_3SumENS9_22TransformInputIteratorIbN2at6native12_GLOBAL__N_19NonZeroOpIN3c107complexINSI_4HalfEEEEEPKSL_lEEiEEEE10hipError_tPvRmT1_T2_T3_mT4_P12ihipStream_tbEUlT_E1_NS1_11comp_targetILNS1_3genE8ELNS1_11target_archE1030ELNS1_3gpuE2ELNS1_3repE0EEENS1_30default_config_static_selectorELNS0_4arch9wavefront6targetE0EEEvSU_: ; @_ZN7rocprim17ROCPRIM_400000_NS6detail17trampoline_kernelINS0_14default_configENS1_22reduce_config_selectorIiEEZNS1_11reduce_implILb1ES3_PiS7_iN6hipcub16HIPCUB_304000_NS6detail34convert_binary_result_type_wrapperINS9_3SumENS9_22TransformInputIteratorIbN2at6native12_GLOBAL__N_19NonZeroOpIN3c107complexINSI_4HalfEEEEEPKSL_lEEiEEEE10hipError_tPvRmT1_T2_T3_mT4_P12ihipStream_tbEUlT_E1_NS1_11comp_targetILNS1_3genE8ELNS1_11target_archE1030ELNS1_3gpuE2ELNS1_3repE0EEENS1_30default_config_static_selectorELNS0_4arch9wavefront6targetE0EEEvSU_
; %bb.0:
	.section	.rodata,"a",@progbits
	.p2align	6, 0x0
	.amdhsa_kernel _ZN7rocprim17ROCPRIM_400000_NS6detail17trampoline_kernelINS0_14default_configENS1_22reduce_config_selectorIiEEZNS1_11reduce_implILb1ES3_PiS7_iN6hipcub16HIPCUB_304000_NS6detail34convert_binary_result_type_wrapperINS9_3SumENS9_22TransformInputIteratorIbN2at6native12_GLOBAL__N_19NonZeroOpIN3c107complexINSI_4HalfEEEEEPKSL_lEEiEEEE10hipError_tPvRmT1_T2_T3_mT4_P12ihipStream_tbEUlT_E1_NS1_11comp_targetILNS1_3genE8ELNS1_11target_archE1030ELNS1_3gpuE2ELNS1_3repE0EEENS1_30default_config_static_selectorELNS0_4arch9wavefront6targetE0EEEvSU_
		.amdhsa_group_segment_fixed_size 0
		.amdhsa_private_segment_fixed_size 0
		.amdhsa_kernarg_size 40
		.amdhsa_user_sgpr_count 15
		.amdhsa_user_sgpr_dispatch_ptr 0
		.amdhsa_user_sgpr_queue_ptr 0
		.amdhsa_user_sgpr_kernarg_segment_ptr 1
		.amdhsa_user_sgpr_dispatch_id 0
		.amdhsa_user_sgpr_private_segment_size 0
		.amdhsa_wavefront_size32 1
		.amdhsa_uses_dynamic_stack 0
		.amdhsa_enable_private_segment 0
		.amdhsa_system_sgpr_workgroup_id_x 1
		.amdhsa_system_sgpr_workgroup_id_y 0
		.amdhsa_system_sgpr_workgroup_id_z 0
		.amdhsa_system_sgpr_workgroup_info 0
		.amdhsa_system_vgpr_workitem_id 0
		.amdhsa_next_free_vgpr 1
		.amdhsa_next_free_sgpr 1
		.amdhsa_reserve_vcc 0
		.amdhsa_float_round_mode_32 0
		.amdhsa_float_round_mode_16_64 0
		.amdhsa_float_denorm_mode_32 3
		.amdhsa_float_denorm_mode_16_64 3
		.amdhsa_dx10_clamp 1
		.amdhsa_ieee_mode 1
		.amdhsa_fp16_overflow 0
		.amdhsa_workgroup_processor_mode 1
		.amdhsa_memory_ordered 1
		.amdhsa_forward_progress 0
		.amdhsa_shared_vgpr_count 0
		.amdhsa_exception_fp_ieee_invalid_op 0
		.amdhsa_exception_fp_denorm_src 0
		.amdhsa_exception_fp_ieee_div_zero 0
		.amdhsa_exception_fp_ieee_overflow 0
		.amdhsa_exception_fp_ieee_underflow 0
		.amdhsa_exception_fp_ieee_inexact 0
		.amdhsa_exception_int_div_zero 0
	.end_amdhsa_kernel
	.section	.text._ZN7rocprim17ROCPRIM_400000_NS6detail17trampoline_kernelINS0_14default_configENS1_22reduce_config_selectorIiEEZNS1_11reduce_implILb1ES3_PiS7_iN6hipcub16HIPCUB_304000_NS6detail34convert_binary_result_type_wrapperINS9_3SumENS9_22TransformInputIteratorIbN2at6native12_GLOBAL__N_19NonZeroOpIN3c107complexINSI_4HalfEEEEEPKSL_lEEiEEEE10hipError_tPvRmT1_T2_T3_mT4_P12ihipStream_tbEUlT_E1_NS1_11comp_targetILNS1_3genE8ELNS1_11target_archE1030ELNS1_3gpuE2ELNS1_3repE0EEENS1_30default_config_static_selectorELNS0_4arch9wavefront6targetE0EEEvSU_,"axG",@progbits,_ZN7rocprim17ROCPRIM_400000_NS6detail17trampoline_kernelINS0_14default_configENS1_22reduce_config_selectorIiEEZNS1_11reduce_implILb1ES3_PiS7_iN6hipcub16HIPCUB_304000_NS6detail34convert_binary_result_type_wrapperINS9_3SumENS9_22TransformInputIteratorIbN2at6native12_GLOBAL__N_19NonZeroOpIN3c107complexINSI_4HalfEEEEEPKSL_lEEiEEEE10hipError_tPvRmT1_T2_T3_mT4_P12ihipStream_tbEUlT_E1_NS1_11comp_targetILNS1_3genE8ELNS1_11target_archE1030ELNS1_3gpuE2ELNS1_3repE0EEENS1_30default_config_static_selectorELNS0_4arch9wavefront6targetE0EEEvSU_,comdat
.Lfunc_end643:
	.size	_ZN7rocprim17ROCPRIM_400000_NS6detail17trampoline_kernelINS0_14default_configENS1_22reduce_config_selectorIiEEZNS1_11reduce_implILb1ES3_PiS7_iN6hipcub16HIPCUB_304000_NS6detail34convert_binary_result_type_wrapperINS9_3SumENS9_22TransformInputIteratorIbN2at6native12_GLOBAL__N_19NonZeroOpIN3c107complexINSI_4HalfEEEEEPKSL_lEEiEEEE10hipError_tPvRmT1_T2_T3_mT4_P12ihipStream_tbEUlT_E1_NS1_11comp_targetILNS1_3genE8ELNS1_11target_archE1030ELNS1_3gpuE2ELNS1_3repE0EEENS1_30default_config_static_selectorELNS0_4arch9wavefront6targetE0EEEvSU_, .Lfunc_end643-_ZN7rocprim17ROCPRIM_400000_NS6detail17trampoline_kernelINS0_14default_configENS1_22reduce_config_selectorIiEEZNS1_11reduce_implILb1ES3_PiS7_iN6hipcub16HIPCUB_304000_NS6detail34convert_binary_result_type_wrapperINS9_3SumENS9_22TransformInputIteratorIbN2at6native12_GLOBAL__N_19NonZeroOpIN3c107complexINSI_4HalfEEEEEPKSL_lEEiEEEE10hipError_tPvRmT1_T2_T3_mT4_P12ihipStream_tbEUlT_E1_NS1_11comp_targetILNS1_3genE8ELNS1_11target_archE1030ELNS1_3gpuE2ELNS1_3repE0EEENS1_30default_config_static_selectorELNS0_4arch9wavefront6targetE0EEEvSU_
                                        ; -- End function
	.section	.AMDGPU.csdata,"",@progbits
; Kernel info:
; codeLenInByte = 0
; NumSgprs: 0
; NumVgprs: 0
; ScratchSize: 0
; MemoryBound: 0
; FloatMode: 240
; IeeeMode: 1
; LDSByteSize: 0 bytes/workgroup (compile time only)
; SGPRBlocks: 0
; VGPRBlocks: 0
; NumSGPRsForWavesPerEU: 1
; NumVGPRsForWavesPerEU: 1
; Occupancy: 16
; WaveLimiterHint : 0
; COMPUTE_PGM_RSRC2:SCRATCH_EN: 0
; COMPUTE_PGM_RSRC2:USER_SGPR: 15
; COMPUTE_PGM_RSRC2:TRAP_HANDLER: 0
; COMPUTE_PGM_RSRC2:TGID_X_EN: 1
; COMPUTE_PGM_RSRC2:TGID_Y_EN: 0
; COMPUTE_PGM_RSRC2:TGID_Z_EN: 0
; COMPUTE_PGM_RSRC2:TIDIG_COMP_CNT: 0
	.section	.text._ZN7rocprim17ROCPRIM_400000_NS6detail17trampoline_kernelINS0_14default_configENS1_22reduce_config_selectorIbEEZNS1_11reduce_implILb1ES3_N6hipcub16HIPCUB_304000_NS22TransformInputIteratorIbN2at6native12_GLOBAL__N_19NonZeroOpIN3c107complexINSE_4HalfEEEEEPKSH_lEEPiiNS8_6detail34convert_binary_result_type_wrapperINS8_3SumESL_iEEEE10hipError_tPvRmT1_T2_T3_mT4_P12ihipStream_tbEUlT_E0_NS1_11comp_targetILNS1_3genE0ELNS1_11target_archE4294967295ELNS1_3gpuE0ELNS1_3repE0EEENS1_30default_config_static_selectorELNS0_4arch9wavefront6targetE0EEEvSU_,"axG",@progbits,_ZN7rocprim17ROCPRIM_400000_NS6detail17trampoline_kernelINS0_14default_configENS1_22reduce_config_selectorIbEEZNS1_11reduce_implILb1ES3_N6hipcub16HIPCUB_304000_NS22TransformInputIteratorIbN2at6native12_GLOBAL__N_19NonZeroOpIN3c107complexINSE_4HalfEEEEEPKSH_lEEPiiNS8_6detail34convert_binary_result_type_wrapperINS8_3SumESL_iEEEE10hipError_tPvRmT1_T2_T3_mT4_P12ihipStream_tbEUlT_E0_NS1_11comp_targetILNS1_3genE0ELNS1_11target_archE4294967295ELNS1_3gpuE0ELNS1_3repE0EEENS1_30default_config_static_selectorELNS0_4arch9wavefront6targetE0EEEvSU_,comdat
	.globl	_ZN7rocprim17ROCPRIM_400000_NS6detail17trampoline_kernelINS0_14default_configENS1_22reduce_config_selectorIbEEZNS1_11reduce_implILb1ES3_N6hipcub16HIPCUB_304000_NS22TransformInputIteratorIbN2at6native12_GLOBAL__N_19NonZeroOpIN3c107complexINSE_4HalfEEEEEPKSH_lEEPiiNS8_6detail34convert_binary_result_type_wrapperINS8_3SumESL_iEEEE10hipError_tPvRmT1_T2_T3_mT4_P12ihipStream_tbEUlT_E0_NS1_11comp_targetILNS1_3genE0ELNS1_11target_archE4294967295ELNS1_3gpuE0ELNS1_3repE0EEENS1_30default_config_static_selectorELNS0_4arch9wavefront6targetE0EEEvSU_ ; -- Begin function _ZN7rocprim17ROCPRIM_400000_NS6detail17trampoline_kernelINS0_14default_configENS1_22reduce_config_selectorIbEEZNS1_11reduce_implILb1ES3_N6hipcub16HIPCUB_304000_NS22TransformInputIteratorIbN2at6native12_GLOBAL__N_19NonZeroOpIN3c107complexINSE_4HalfEEEEEPKSH_lEEPiiNS8_6detail34convert_binary_result_type_wrapperINS8_3SumESL_iEEEE10hipError_tPvRmT1_T2_T3_mT4_P12ihipStream_tbEUlT_E0_NS1_11comp_targetILNS1_3genE0ELNS1_11target_archE4294967295ELNS1_3gpuE0ELNS1_3repE0EEENS1_30default_config_static_selectorELNS0_4arch9wavefront6targetE0EEEvSU_
	.p2align	8
	.type	_ZN7rocprim17ROCPRIM_400000_NS6detail17trampoline_kernelINS0_14default_configENS1_22reduce_config_selectorIbEEZNS1_11reduce_implILb1ES3_N6hipcub16HIPCUB_304000_NS22TransformInputIteratorIbN2at6native12_GLOBAL__N_19NonZeroOpIN3c107complexINSE_4HalfEEEEEPKSH_lEEPiiNS8_6detail34convert_binary_result_type_wrapperINS8_3SumESL_iEEEE10hipError_tPvRmT1_T2_T3_mT4_P12ihipStream_tbEUlT_E0_NS1_11comp_targetILNS1_3genE0ELNS1_11target_archE4294967295ELNS1_3gpuE0ELNS1_3repE0EEENS1_30default_config_static_selectorELNS0_4arch9wavefront6targetE0EEEvSU_,@function
_ZN7rocprim17ROCPRIM_400000_NS6detail17trampoline_kernelINS0_14default_configENS1_22reduce_config_selectorIbEEZNS1_11reduce_implILb1ES3_N6hipcub16HIPCUB_304000_NS22TransformInputIteratorIbN2at6native12_GLOBAL__N_19NonZeroOpIN3c107complexINSE_4HalfEEEEEPKSH_lEEPiiNS8_6detail34convert_binary_result_type_wrapperINS8_3SumESL_iEEEE10hipError_tPvRmT1_T2_T3_mT4_P12ihipStream_tbEUlT_E0_NS1_11comp_targetILNS1_3genE0ELNS1_11target_archE4294967295ELNS1_3gpuE0ELNS1_3repE0EEENS1_30default_config_static_selectorELNS0_4arch9wavefront6targetE0EEEvSU_: ; @_ZN7rocprim17ROCPRIM_400000_NS6detail17trampoline_kernelINS0_14default_configENS1_22reduce_config_selectorIbEEZNS1_11reduce_implILb1ES3_N6hipcub16HIPCUB_304000_NS22TransformInputIteratorIbN2at6native12_GLOBAL__N_19NonZeroOpIN3c107complexINSE_4HalfEEEEEPKSH_lEEPiiNS8_6detail34convert_binary_result_type_wrapperINS8_3SumESL_iEEEE10hipError_tPvRmT1_T2_T3_mT4_P12ihipStream_tbEUlT_E0_NS1_11comp_targetILNS1_3genE0ELNS1_11target_archE4294967295ELNS1_3gpuE0ELNS1_3repE0EEENS1_30default_config_static_selectorELNS0_4arch9wavefront6targetE0EEEvSU_
; %bb.0:
	.section	.rodata,"a",@progbits
	.p2align	6, 0x0
	.amdhsa_kernel _ZN7rocprim17ROCPRIM_400000_NS6detail17trampoline_kernelINS0_14default_configENS1_22reduce_config_selectorIbEEZNS1_11reduce_implILb1ES3_N6hipcub16HIPCUB_304000_NS22TransformInputIteratorIbN2at6native12_GLOBAL__N_19NonZeroOpIN3c107complexINSE_4HalfEEEEEPKSH_lEEPiiNS8_6detail34convert_binary_result_type_wrapperINS8_3SumESL_iEEEE10hipError_tPvRmT1_T2_T3_mT4_P12ihipStream_tbEUlT_E0_NS1_11comp_targetILNS1_3genE0ELNS1_11target_archE4294967295ELNS1_3gpuE0ELNS1_3repE0EEENS1_30default_config_static_selectorELNS0_4arch9wavefront6targetE0EEEvSU_
		.amdhsa_group_segment_fixed_size 0
		.amdhsa_private_segment_fixed_size 0
		.amdhsa_kernarg_size 64
		.amdhsa_user_sgpr_count 15
		.amdhsa_user_sgpr_dispatch_ptr 0
		.amdhsa_user_sgpr_queue_ptr 0
		.amdhsa_user_sgpr_kernarg_segment_ptr 1
		.amdhsa_user_sgpr_dispatch_id 0
		.amdhsa_user_sgpr_private_segment_size 0
		.amdhsa_wavefront_size32 1
		.amdhsa_uses_dynamic_stack 0
		.amdhsa_enable_private_segment 0
		.amdhsa_system_sgpr_workgroup_id_x 1
		.amdhsa_system_sgpr_workgroup_id_y 0
		.amdhsa_system_sgpr_workgroup_id_z 0
		.amdhsa_system_sgpr_workgroup_info 0
		.amdhsa_system_vgpr_workitem_id 0
		.amdhsa_next_free_vgpr 1
		.amdhsa_next_free_sgpr 1
		.amdhsa_reserve_vcc 0
		.amdhsa_float_round_mode_32 0
		.amdhsa_float_round_mode_16_64 0
		.amdhsa_float_denorm_mode_32 3
		.amdhsa_float_denorm_mode_16_64 3
		.amdhsa_dx10_clamp 1
		.amdhsa_ieee_mode 1
		.amdhsa_fp16_overflow 0
		.amdhsa_workgroup_processor_mode 1
		.amdhsa_memory_ordered 1
		.amdhsa_forward_progress 0
		.amdhsa_shared_vgpr_count 0
		.amdhsa_exception_fp_ieee_invalid_op 0
		.amdhsa_exception_fp_denorm_src 0
		.amdhsa_exception_fp_ieee_div_zero 0
		.amdhsa_exception_fp_ieee_overflow 0
		.amdhsa_exception_fp_ieee_underflow 0
		.amdhsa_exception_fp_ieee_inexact 0
		.amdhsa_exception_int_div_zero 0
	.end_amdhsa_kernel
	.section	.text._ZN7rocprim17ROCPRIM_400000_NS6detail17trampoline_kernelINS0_14default_configENS1_22reduce_config_selectorIbEEZNS1_11reduce_implILb1ES3_N6hipcub16HIPCUB_304000_NS22TransformInputIteratorIbN2at6native12_GLOBAL__N_19NonZeroOpIN3c107complexINSE_4HalfEEEEEPKSH_lEEPiiNS8_6detail34convert_binary_result_type_wrapperINS8_3SumESL_iEEEE10hipError_tPvRmT1_T2_T3_mT4_P12ihipStream_tbEUlT_E0_NS1_11comp_targetILNS1_3genE0ELNS1_11target_archE4294967295ELNS1_3gpuE0ELNS1_3repE0EEENS1_30default_config_static_selectorELNS0_4arch9wavefront6targetE0EEEvSU_,"axG",@progbits,_ZN7rocprim17ROCPRIM_400000_NS6detail17trampoline_kernelINS0_14default_configENS1_22reduce_config_selectorIbEEZNS1_11reduce_implILb1ES3_N6hipcub16HIPCUB_304000_NS22TransformInputIteratorIbN2at6native12_GLOBAL__N_19NonZeroOpIN3c107complexINSE_4HalfEEEEEPKSH_lEEPiiNS8_6detail34convert_binary_result_type_wrapperINS8_3SumESL_iEEEE10hipError_tPvRmT1_T2_T3_mT4_P12ihipStream_tbEUlT_E0_NS1_11comp_targetILNS1_3genE0ELNS1_11target_archE4294967295ELNS1_3gpuE0ELNS1_3repE0EEENS1_30default_config_static_selectorELNS0_4arch9wavefront6targetE0EEEvSU_,comdat
.Lfunc_end644:
	.size	_ZN7rocprim17ROCPRIM_400000_NS6detail17trampoline_kernelINS0_14default_configENS1_22reduce_config_selectorIbEEZNS1_11reduce_implILb1ES3_N6hipcub16HIPCUB_304000_NS22TransformInputIteratorIbN2at6native12_GLOBAL__N_19NonZeroOpIN3c107complexINSE_4HalfEEEEEPKSH_lEEPiiNS8_6detail34convert_binary_result_type_wrapperINS8_3SumESL_iEEEE10hipError_tPvRmT1_T2_T3_mT4_P12ihipStream_tbEUlT_E0_NS1_11comp_targetILNS1_3genE0ELNS1_11target_archE4294967295ELNS1_3gpuE0ELNS1_3repE0EEENS1_30default_config_static_selectorELNS0_4arch9wavefront6targetE0EEEvSU_, .Lfunc_end644-_ZN7rocprim17ROCPRIM_400000_NS6detail17trampoline_kernelINS0_14default_configENS1_22reduce_config_selectorIbEEZNS1_11reduce_implILb1ES3_N6hipcub16HIPCUB_304000_NS22TransformInputIteratorIbN2at6native12_GLOBAL__N_19NonZeroOpIN3c107complexINSE_4HalfEEEEEPKSH_lEEPiiNS8_6detail34convert_binary_result_type_wrapperINS8_3SumESL_iEEEE10hipError_tPvRmT1_T2_T3_mT4_P12ihipStream_tbEUlT_E0_NS1_11comp_targetILNS1_3genE0ELNS1_11target_archE4294967295ELNS1_3gpuE0ELNS1_3repE0EEENS1_30default_config_static_selectorELNS0_4arch9wavefront6targetE0EEEvSU_
                                        ; -- End function
	.section	.AMDGPU.csdata,"",@progbits
; Kernel info:
; codeLenInByte = 0
; NumSgprs: 0
; NumVgprs: 0
; ScratchSize: 0
; MemoryBound: 0
; FloatMode: 240
; IeeeMode: 1
; LDSByteSize: 0 bytes/workgroup (compile time only)
; SGPRBlocks: 0
; VGPRBlocks: 0
; NumSGPRsForWavesPerEU: 1
; NumVGPRsForWavesPerEU: 1
; Occupancy: 16
; WaveLimiterHint : 0
; COMPUTE_PGM_RSRC2:SCRATCH_EN: 0
; COMPUTE_PGM_RSRC2:USER_SGPR: 15
; COMPUTE_PGM_RSRC2:TRAP_HANDLER: 0
; COMPUTE_PGM_RSRC2:TGID_X_EN: 1
; COMPUTE_PGM_RSRC2:TGID_Y_EN: 0
; COMPUTE_PGM_RSRC2:TGID_Z_EN: 0
; COMPUTE_PGM_RSRC2:TIDIG_COMP_CNT: 0
	.section	.text._ZN7rocprim17ROCPRIM_400000_NS6detail17trampoline_kernelINS0_14default_configENS1_22reduce_config_selectorIbEEZNS1_11reduce_implILb1ES3_N6hipcub16HIPCUB_304000_NS22TransformInputIteratorIbN2at6native12_GLOBAL__N_19NonZeroOpIN3c107complexINSE_4HalfEEEEEPKSH_lEEPiiNS8_6detail34convert_binary_result_type_wrapperINS8_3SumESL_iEEEE10hipError_tPvRmT1_T2_T3_mT4_P12ihipStream_tbEUlT_E0_NS1_11comp_targetILNS1_3genE5ELNS1_11target_archE942ELNS1_3gpuE9ELNS1_3repE0EEENS1_30default_config_static_selectorELNS0_4arch9wavefront6targetE0EEEvSU_,"axG",@progbits,_ZN7rocprim17ROCPRIM_400000_NS6detail17trampoline_kernelINS0_14default_configENS1_22reduce_config_selectorIbEEZNS1_11reduce_implILb1ES3_N6hipcub16HIPCUB_304000_NS22TransformInputIteratorIbN2at6native12_GLOBAL__N_19NonZeroOpIN3c107complexINSE_4HalfEEEEEPKSH_lEEPiiNS8_6detail34convert_binary_result_type_wrapperINS8_3SumESL_iEEEE10hipError_tPvRmT1_T2_T3_mT4_P12ihipStream_tbEUlT_E0_NS1_11comp_targetILNS1_3genE5ELNS1_11target_archE942ELNS1_3gpuE9ELNS1_3repE0EEENS1_30default_config_static_selectorELNS0_4arch9wavefront6targetE0EEEvSU_,comdat
	.globl	_ZN7rocprim17ROCPRIM_400000_NS6detail17trampoline_kernelINS0_14default_configENS1_22reduce_config_selectorIbEEZNS1_11reduce_implILb1ES3_N6hipcub16HIPCUB_304000_NS22TransformInputIteratorIbN2at6native12_GLOBAL__N_19NonZeroOpIN3c107complexINSE_4HalfEEEEEPKSH_lEEPiiNS8_6detail34convert_binary_result_type_wrapperINS8_3SumESL_iEEEE10hipError_tPvRmT1_T2_T3_mT4_P12ihipStream_tbEUlT_E0_NS1_11comp_targetILNS1_3genE5ELNS1_11target_archE942ELNS1_3gpuE9ELNS1_3repE0EEENS1_30default_config_static_selectorELNS0_4arch9wavefront6targetE0EEEvSU_ ; -- Begin function _ZN7rocprim17ROCPRIM_400000_NS6detail17trampoline_kernelINS0_14default_configENS1_22reduce_config_selectorIbEEZNS1_11reduce_implILb1ES3_N6hipcub16HIPCUB_304000_NS22TransformInputIteratorIbN2at6native12_GLOBAL__N_19NonZeroOpIN3c107complexINSE_4HalfEEEEEPKSH_lEEPiiNS8_6detail34convert_binary_result_type_wrapperINS8_3SumESL_iEEEE10hipError_tPvRmT1_T2_T3_mT4_P12ihipStream_tbEUlT_E0_NS1_11comp_targetILNS1_3genE5ELNS1_11target_archE942ELNS1_3gpuE9ELNS1_3repE0EEENS1_30default_config_static_selectorELNS0_4arch9wavefront6targetE0EEEvSU_
	.p2align	8
	.type	_ZN7rocprim17ROCPRIM_400000_NS6detail17trampoline_kernelINS0_14default_configENS1_22reduce_config_selectorIbEEZNS1_11reduce_implILb1ES3_N6hipcub16HIPCUB_304000_NS22TransformInputIteratorIbN2at6native12_GLOBAL__N_19NonZeroOpIN3c107complexINSE_4HalfEEEEEPKSH_lEEPiiNS8_6detail34convert_binary_result_type_wrapperINS8_3SumESL_iEEEE10hipError_tPvRmT1_T2_T3_mT4_P12ihipStream_tbEUlT_E0_NS1_11comp_targetILNS1_3genE5ELNS1_11target_archE942ELNS1_3gpuE9ELNS1_3repE0EEENS1_30default_config_static_selectorELNS0_4arch9wavefront6targetE0EEEvSU_,@function
_ZN7rocprim17ROCPRIM_400000_NS6detail17trampoline_kernelINS0_14default_configENS1_22reduce_config_selectorIbEEZNS1_11reduce_implILb1ES3_N6hipcub16HIPCUB_304000_NS22TransformInputIteratorIbN2at6native12_GLOBAL__N_19NonZeroOpIN3c107complexINSE_4HalfEEEEEPKSH_lEEPiiNS8_6detail34convert_binary_result_type_wrapperINS8_3SumESL_iEEEE10hipError_tPvRmT1_T2_T3_mT4_P12ihipStream_tbEUlT_E0_NS1_11comp_targetILNS1_3genE5ELNS1_11target_archE942ELNS1_3gpuE9ELNS1_3repE0EEENS1_30default_config_static_selectorELNS0_4arch9wavefront6targetE0EEEvSU_: ; @_ZN7rocprim17ROCPRIM_400000_NS6detail17trampoline_kernelINS0_14default_configENS1_22reduce_config_selectorIbEEZNS1_11reduce_implILb1ES3_N6hipcub16HIPCUB_304000_NS22TransformInputIteratorIbN2at6native12_GLOBAL__N_19NonZeroOpIN3c107complexINSE_4HalfEEEEEPKSH_lEEPiiNS8_6detail34convert_binary_result_type_wrapperINS8_3SumESL_iEEEE10hipError_tPvRmT1_T2_T3_mT4_P12ihipStream_tbEUlT_E0_NS1_11comp_targetILNS1_3genE5ELNS1_11target_archE942ELNS1_3gpuE9ELNS1_3repE0EEENS1_30default_config_static_selectorELNS0_4arch9wavefront6targetE0EEEvSU_
; %bb.0:
	.section	.rodata,"a",@progbits
	.p2align	6, 0x0
	.amdhsa_kernel _ZN7rocprim17ROCPRIM_400000_NS6detail17trampoline_kernelINS0_14default_configENS1_22reduce_config_selectorIbEEZNS1_11reduce_implILb1ES3_N6hipcub16HIPCUB_304000_NS22TransformInputIteratorIbN2at6native12_GLOBAL__N_19NonZeroOpIN3c107complexINSE_4HalfEEEEEPKSH_lEEPiiNS8_6detail34convert_binary_result_type_wrapperINS8_3SumESL_iEEEE10hipError_tPvRmT1_T2_T3_mT4_P12ihipStream_tbEUlT_E0_NS1_11comp_targetILNS1_3genE5ELNS1_11target_archE942ELNS1_3gpuE9ELNS1_3repE0EEENS1_30default_config_static_selectorELNS0_4arch9wavefront6targetE0EEEvSU_
		.amdhsa_group_segment_fixed_size 0
		.amdhsa_private_segment_fixed_size 0
		.amdhsa_kernarg_size 64
		.amdhsa_user_sgpr_count 15
		.amdhsa_user_sgpr_dispatch_ptr 0
		.amdhsa_user_sgpr_queue_ptr 0
		.amdhsa_user_sgpr_kernarg_segment_ptr 1
		.amdhsa_user_sgpr_dispatch_id 0
		.amdhsa_user_sgpr_private_segment_size 0
		.amdhsa_wavefront_size32 1
		.amdhsa_uses_dynamic_stack 0
		.amdhsa_enable_private_segment 0
		.amdhsa_system_sgpr_workgroup_id_x 1
		.amdhsa_system_sgpr_workgroup_id_y 0
		.amdhsa_system_sgpr_workgroup_id_z 0
		.amdhsa_system_sgpr_workgroup_info 0
		.amdhsa_system_vgpr_workitem_id 0
		.amdhsa_next_free_vgpr 1
		.amdhsa_next_free_sgpr 1
		.amdhsa_reserve_vcc 0
		.amdhsa_float_round_mode_32 0
		.amdhsa_float_round_mode_16_64 0
		.amdhsa_float_denorm_mode_32 3
		.amdhsa_float_denorm_mode_16_64 3
		.amdhsa_dx10_clamp 1
		.amdhsa_ieee_mode 1
		.amdhsa_fp16_overflow 0
		.amdhsa_workgroup_processor_mode 1
		.amdhsa_memory_ordered 1
		.amdhsa_forward_progress 0
		.amdhsa_shared_vgpr_count 0
		.amdhsa_exception_fp_ieee_invalid_op 0
		.amdhsa_exception_fp_denorm_src 0
		.amdhsa_exception_fp_ieee_div_zero 0
		.amdhsa_exception_fp_ieee_overflow 0
		.amdhsa_exception_fp_ieee_underflow 0
		.amdhsa_exception_fp_ieee_inexact 0
		.amdhsa_exception_int_div_zero 0
	.end_amdhsa_kernel
	.section	.text._ZN7rocprim17ROCPRIM_400000_NS6detail17trampoline_kernelINS0_14default_configENS1_22reduce_config_selectorIbEEZNS1_11reduce_implILb1ES3_N6hipcub16HIPCUB_304000_NS22TransformInputIteratorIbN2at6native12_GLOBAL__N_19NonZeroOpIN3c107complexINSE_4HalfEEEEEPKSH_lEEPiiNS8_6detail34convert_binary_result_type_wrapperINS8_3SumESL_iEEEE10hipError_tPvRmT1_T2_T3_mT4_P12ihipStream_tbEUlT_E0_NS1_11comp_targetILNS1_3genE5ELNS1_11target_archE942ELNS1_3gpuE9ELNS1_3repE0EEENS1_30default_config_static_selectorELNS0_4arch9wavefront6targetE0EEEvSU_,"axG",@progbits,_ZN7rocprim17ROCPRIM_400000_NS6detail17trampoline_kernelINS0_14default_configENS1_22reduce_config_selectorIbEEZNS1_11reduce_implILb1ES3_N6hipcub16HIPCUB_304000_NS22TransformInputIteratorIbN2at6native12_GLOBAL__N_19NonZeroOpIN3c107complexINSE_4HalfEEEEEPKSH_lEEPiiNS8_6detail34convert_binary_result_type_wrapperINS8_3SumESL_iEEEE10hipError_tPvRmT1_T2_T3_mT4_P12ihipStream_tbEUlT_E0_NS1_11comp_targetILNS1_3genE5ELNS1_11target_archE942ELNS1_3gpuE9ELNS1_3repE0EEENS1_30default_config_static_selectorELNS0_4arch9wavefront6targetE0EEEvSU_,comdat
.Lfunc_end645:
	.size	_ZN7rocprim17ROCPRIM_400000_NS6detail17trampoline_kernelINS0_14default_configENS1_22reduce_config_selectorIbEEZNS1_11reduce_implILb1ES3_N6hipcub16HIPCUB_304000_NS22TransformInputIteratorIbN2at6native12_GLOBAL__N_19NonZeroOpIN3c107complexINSE_4HalfEEEEEPKSH_lEEPiiNS8_6detail34convert_binary_result_type_wrapperINS8_3SumESL_iEEEE10hipError_tPvRmT1_T2_T3_mT4_P12ihipStream_tbEUlT_E0_NS1_11comp_targetILNS1_3genE5ELNS1_11target_archE942ELNS1_3gpuE9ELNS1_3repE0EEENS1_30default_config_static_selectorELNS0_4arch9wavefront6targetE0EEEvSU_, .Lfunc_end645-_ZN7rocprim17ROCPRIM_400000_NS6detail17trampoline_kernelINS0_14default_configENS1_22reduce_config_selectorIbEEZNS1_11reduce_implILb1ES3_N6hipcub16HIPCUB_304000_NS22TransformInputIteratorIbN2at6native12_GLOBAL__N_19NonZeroOpIN3c107complexINSE_4HalfEEEEEPKSH_lEEPiiNS8_6detail34convert_binary_result_type_wrapperINS8_3SumESL_iEEEE10hipError_tPvRmT1_T2_T3_mT4_P12ihipStream_tbEUlT_E0_NS1_11comp_targetILNS1_3genE5ELNS1_11target_archE942ELNS1_3gpuE9ELNS1_3repE0EEENS1_30default_config_static_selectorELNS0_4arch9wavefront6targetE0EEEvSU_
                                        ; -- End function
	.section	.AMDGPU.csdata,"",@progbits
; Kernel info:
; codeLenInByte = 0
; NumSgprs: 0
; NumVgprs: 0
; ScratchSize: 0
; MemoryBound: 0
; FloatMode: 240
; IeeeMode: 1
; LDSByteSize: 0 bytes/workgroup (compile time only)
; SGPRBlocks: 0
; VGPRBlocks: 0
; NumSGPRsForWavesPerEU: 1
; NumVGPRsForWavesPerEU: 1
; Occupancy: 16
; WaveLimiterHint : 0
; COMPUTE_PGM_RSRC2:SCRATCH_EN: 0
; COMPUTE_PGM_RSRC2:USER_SGPR: 15
; COMPUTE_PGM_RSRC2:TRAP_HANDLER: 0
; COMPUTE_PGM_RSRC2:TGID_X_EN: 1
; COMPUTE_PGM_RSRC2:TGID_Y_EN: 0
; COMPUTE_PGM_RSRC2:TGID_Z_EN: 0
; COMPUTE_PGM_RSRC2:TIDIG_COMP_CNT: 0
	.section	.text._ZN7rocprim17ROCPRIM_400000_NS6detail17trampoline_kernelINS0_14default_configENS1_22reduce_config_selectorIbEEZNS1_11reduce_implILb1ES3_N6hipcub16HIPCUB_304000_NS22TransformInputIteratorIbN2at6native12_GLOBAL__N_19NonZeroOpIN3c107complexINSE_4HalfEEEEEPKSH_lEEPiiNS8_6detail34convert_binary_result_type_wrapperINS8_3SumESL_iEEEE10hipError_tPvRmT1_T2_T3_mT4_P12ihipStream_tbEUlT_E0_NS1_11comp_targetILNS1_3genE4ELNS1_11target_archE910ELNS1_3gpuE8ELNS1_3repE0EEENS1_30default_config_static_selectorELNS0_4arch9wavefront6targetE0EEEvSU_,"axG",@progbits,_ZN7rocprim17ROCPRIM_400000_NS6detail17trampoline_kernelINS0_14default_configENS1_22reduce_config_selectorIbEEZNS1_11reduce_implILb1ES3_N6hipcub16HIPCUB_304000_NS22TransformInputIteratorIbN2at6native12_GLOBAL__N_19NonZeroOpIN3c107complexINSE_4HalfEEEEEPKSH_lEEPiiNS8_6detail34convert_binary_result_type_wrapperINS8_3SumESL_iEEEE10hipError_tPvRmT1_T2_T3_mT4_P12ihipStream_tbEUlT_E0_NS1_11comp_targetILNS1_3genE4ELNS1_11target_archE910ELNS1_3gpuE8ELNS1_3repE0EEENS1_30default_config_static_selectorELNS0_4arch9wavefront6targetE0EEEvSU_,comdat
	.globl	_ZN7rocprim17ROCPRIM_400000_NS6detail17trampoline_kernelINS0_14default_configENS1_22reduce_config_selectorIbEEZNS1_11reduce_implILb1ES3_N6hipcub16HIPCUB_304000_NS22TransformInputIteratorIbN2at6native12_GLOBAL__N_19NonZeroOpIN3c107complexINSE_4HalfEEEEEPKSH_lEEPiiNS8_6detail34convert_binary_result_type_wrapperINS8_3SumESL_iEEEE10hipError_tPvRmT1_T2_T3_mT4_P12ihipStream_tbEUlT_E0_NS1_11comp_targetILNS1_3genE4ELNS1_11target_archE910ELNS1_3gpuE8ELNS1_3repE0EEENS1_30default_config_static_selectorELNS0_4arch9wavefront6targetE0EEEvSU_ ; -- Begin function _ZN7rocprim17ROCPRIM_400000_NS6detail17trampoline_kernelINS0_14default_configENS1_22reduce_config_selectorIbEEZNS1_11reduce_implILb1ES3_N6hipcub16HIPCUB_304000_NS22TransformInputIteratorIbN2at6native12_GLOBAL__N_19NonZeroOpIN3c107complexINSE_4HalfEEEEEPKSH_lEEPiiNS8_6detail34convert_binary_result_type_wrapperINS8_3SumESL_iEEEE10hipError_tPvRmT1_T2_T3_mT4_P12ihipStream_tbEUlT_E0_NS1_11comp_targetILNS1_3genE4ELNS1_11target_archE910ELNS1_3gpuE8ELNS1_3repE0EEENS1_30default_config_static_selectorELNS0_4arch9wavefront6targetE0EEEvSU_
	.p2align	8
	.type	_ZN7rocprim17ROCPRIM_400000_NS6detail17trampoline_kernelINS0_14default_configENS1_22reduce_config_selectorIbEEZNS1_11reduce_implILb1ES3_N6hipcub16HIPCUB_304000_NS22TransformInputIteratorIbN2at6native12_GLOBAL__N_19NonZeroOpIN3c107complexINSE_4HalfEEEEEPKSH_lEEPiiNS8_6detail34convert_binary_result_type_wrapperINS8_3SumESL_iEEEE10hipError_tPvRmT1_T2_T3_mT4_P12ihipStream_tbEUlT_E0_NS1_11comp_targetILNS1_3genE4ELNS1_11target_archE910ELNS1_3gpuE8ELNS1_3repE0EEENS1_30default_config_static_selectorELNS0_4arch9wavefront6targetE0EEEvSU_,@function
_ZN7rocprim17ROCPRIM_400000_NS6detail17trampoline_kernelINS0_14default_configENS1_22reduce_config_selectorIbEEZNS1_11reduce_implILb1ES3_N6hipcub16HIPCUB_304000_NS22TransformInputIteratorIbN2at6native12_GLOBAL__N_19NonZeroOpIN3c107complexINSE_4HalfEEEEEPKSH_lEEPiiNS8_6detail34convert_binary_result_type_wrapperINS8_3SumESL_iEEEE10hipError_tPvRmT1_T2_T3_mT4_P12ihipStream_tbEUlT_E0_NS1_11comp_targetILNS1_3genE4ELNS1_11target_archE910ELNS1_3gpuE8ELNS1_3repE0EEENS1_30default_config_static_selectorELNS0_4arch9wavefront6targetE0EEEvSU_: ; @_ZN7rocprim17ROCPRIM_400000_NS6detail17trampoline_kernelINS0_14default_configENS1_22reduce_config_selectorIbEEZNS1_11reduce_implILb1ES3_N6hipcub16HIPCUB_304000_NS22TransformInputIteratorIbN2at6native12_GLOBAL__N_19NonZeroOpIN3c107complexINSE_4HalfEEEEEPKSH_lEEPiiNS8_6detail34convert_binary_result_type_wrapperINS8_3SumESL_iEEEE10hipError_tPvRmT1_T2_T3_mT4_P12ihipStream_tbEUlT_E0_NS1_11comp_targetILNS1_3genE4ELNS1_11target_archE910ELNS1_3gpuE8ELNS1_3repE0EEENS1_30default_config_static_selectorELNS0_4arch9wavefront6targetE0EEEvSU_
; %bb.0:
	.section	.rodata,"a",@progbits
	.p2align	6, 0x0
	.amdhsa_kernel _ZN7rocprim17ROCPRIM_400000_NS6detail17trampoline_kernelINS0_14default_configENS1_22reduce_config_selectorIbEEZNS1_11reduce_implILb1ES3_N6hipcub16HIPCUB_304000_NS22TransformInputIteratorIbN2at6native12_GLOBAL__N_19NonZeroOpIN3c107complexINSE_4HalfEEEEEPKSH_lEEPiiNS8_6detail34convert_binary_result_type_wrapperINS8_3SumESL_iEEEE10hipError_tPvRmT1_T2_T3_mT4_P12ihipStream_tbEUlT_E0_NS1_11comp_targetILNS1_3genE4ELNS1_11target_archE910ELNS1_3gpuE8ELNS1_3repE0EEENS1_30default_config_static_selectorELNS0_4arch9wavefront6targetE0EEEvSU_
		.amdhsa_group_segment_fixed_size 0
		.amdhsa_private_segment_fixed_size 0
		.amdhsa_kernarg_size 64
		.amdhsa_user_sgpr_count 15
		.amdhsa_user_sgpr_dispatch_ptr 0
		.amdhsa_user_sgpr_queue_ptr 0
		.amdhsa_user_sgpr_kernarg_segment_ptr 1
		.amdhsa_user_sgpr_dispatch_id 0
		.amdhsa_user_sgpr_private_segment_size 0
		.amdhsa_wavefront_size32 1
		.amdhsa_uses_dynamic_stack 0
		.amdhsa_enable_private_segment 0
		.amdhsa_system_sgpr_workgroup_id_x 1
		.amdhsa_system_sgpr_workgroup_id_y 0
		.amdhsa_system_sgpr_workgroup_id_z 0
		.amdhsa_system_sgpr_workgroup_info 0
		.amdhsa_system_vgpr_workitem_id 0
		.amdhsa_next_free_vgpr 1
		.amdhsa_next_free_sgpr 1
		.amdhsa_reserve_vcc 0
		.amdhsa_float_round_mode_32 0
		.amdhsa_float_round_mode_16_64 0
		.amdhsa_float_denorm_mode_32 3
		.amdhsa_float_denorm_mode_16_64 3
		.amdhsa_dx10_clamp 1
		.amdhsa_ieee_mode 1
		.amdhsa_fp16_overflow 0
		.amdhsa_workgroup_processor_mode 1
		.amdhsa_memory_ordered 1
		.amdhsa_forward_progress 0
		.amdhsa_shared_vgpr_count 0
		.amdhsa_exception_fp_ieee_invalid_op 0
		.amdhsa_exception_fp_denorm_src 0
		.amdhsa_exception_fp_ieee_div_zero 0
		.amdhsa_exception_fp_ieee_overflow 0
		.amdhsa_exception_fp_ieee_underflow 0
		.amdhsa_exception_fp_ieee_inexact 0
		.amdhsa_exception_int_div_zero 0
	.end_amdhsa_kernel
	.section	.text._ZN7rocprim17ROCPRIM_400000_NS6detail17trampoline_kernelINS0_14default_configENS1_22reduce_config_selectorIbEEZNS1_11reduce_implILb1ES3_N6hipcub16HIPCUB_304000_NS22TransformInputIteratorIbN2at6native12_GLOBAL__N_19NonZeroOpIN3c107complexINSE_4HalfEEEEEPKSH_lEEPiiNS8_6detail34convert_binary_result_type_wrapperINS8_3SumESL_iEEEE10hipError_tPvRmT1_T2_T3_mT4_P12ihipStream_tbEUlT_E0_NS1_11comp_targetILNS1_3genE4ELNS1_11target_archE910ELNS1_3gpuE8ELNS1_3repE0EEENS1_30default_config_static_selectorELNS0_4arch9wavefront6targetE0EEEvSU_,"axG",@progbits,_ZN7rocprim17ROCPRIM_400000_NS6detail17trampoline_kernelINS0_14default_configENS1_22reduce_config_selectorIbEEZNS1_11reduce_implILb1ES3_N6hipcub16HIPCUB_304000_NS22TransformInputIteratorIbN2at6native12_GLOBAL__N_19NonZeroOpIN3c107complexINSE_4HalfEEEEEPKSH_lEEPiiNS8_6detail34convert_binary_result_type_wrapperINS8_3SumESL_iEEEE10hipError_tPvRmT1_T2_T3_mT4_P12ihipStream_tbEUlT_E0_NS1_11comp_targetILNS1_3genE4ELNS1_11target_archE910ELNS1_3gpuE8ELNS1_3repE0EEENS1_30default_config_static_selectorELNS0_4arch9wavefront6targetE0EEEvSU_,comdat
.Lfunc_end646:
	.size	_ZN7rocprim17ROCPRIM_400000_NS6detail17trampoline_kernelINS0_14default_configENS1_22reduce_config_selectorIbEEZNS1_11reduce_implILb1ES3_N6hipcub16HIPCUB_304000_NS22TransformInputIteratorIbN2at6native12_GLOBAL__N_19NonZeroOpIN3c107complexINSE_4HalfEEEEEPKSH_lEEPiiNS8_6detail34convert_binary_result_type_wrapperINS8_3SumESL_iEEEE10hipError_tPvRmT1_T2_T3_mT4_P12ihipStream_tbEUlT_E0_NS1_11comp_targetILNS1_3genE4ELNS1_11target_archE910ELNS1_3gpuE8ELNS1_3repE0EEENS1_30default_config_static_selectorELNS0_4arch9wavefront6targetE0EEEvSU_, .Lfunc_end646-_ZN7rocprim17ROCPRIM_400000_NS6detail17trampoline_kernelINS0_14default_configENS1_22reduce_config_selectorIbEEZNS1_11reduce_implILb1ES3_N6hipcub16HIPCUB_304000_NS22TransformInputIteratorIbN2at6native12_GLOBAL__N_19NonZeroOpIN3c107complexINSE_4HalfEEEEEPKSH_lEEPiiNS8_6detail34convert_binary_result_type_wrapperINS8_3SumESL_iEEEE10hipError_tPvRmT1_T2_T3_mT4_P12ihipStream_tbEUlT_E0_NS1_11comp_targetILNS1_3genE4ELNS1_11target_archE910ELNS1_3gpuE8ELNS1_3repE0EEENS1_30default_config_static_selectorELNS0_4arch9wavefront6targetE0EEEvSU_
                                        ; -- End function
	.section	.AMDGPU.csdata,"",@progbits
; Kernel info:
; codeLenInByte = 0
; NumSgprs: 0
; NumVgprs: 0
; ScratchSize: 0
; MemoryBound: 0
; FloatMode: 240
; IeeeMode: 1
; LDSByteSize: 0 bytes/workgroup (compile time only)
; SGPRBlocks: 0
; VGPRBlocks: 0
; NumSGPRsForWavesPerEU: 1
; NumVGPRsForWavesPerEU: 1
; Occupancy: 16
; WaveLimiterHint : 0
; COMPUTE_PGM_RSRC2:SCRATCH_EN: 0
; COMPUTE_PGM_RSRC2:USER_SGPR: 15
; COMPUTE_PGM_RSRC2:TRAP_HANDLER: 0
; COMPUTE_PGM_RSRC2:TGID_X_EN: 1
; COMPUTE_PGM_RSRC2:TGID_Y_EN: 0
; COMPUTE_PGM_RSRC2:TGID_Z_EN: 0
; COMPUTE_PGM_RSRC2:TIDIG_COMP_CNT: 0
	.section	.text._ZN7rocprim17ROCPRIM_400000_NS6detail17trampoline_kernelINS0_14default_configENS1_22reduce_config_selectorIbEEZNS1_11reduce_implILb1ES3_N6hipcub16HIPCUB_304000_NS22TransformInputIteratorIbN2at6native12_GLOBAL__N_19NonZeroOpIN3c107complexINSE_4HalfEEEEEPKSH_lEEPiiNS8_6detail34convert_binary_result_type_wrapperINS8_3SumESL_iEEEE10hipError_tPvRmT1_T2_T3_mT4_P12ihipStream_tbEUlT_E0_NS1_11comp_targetILNS1_3genE3ELNS1_11target_archE908ELNS1_3gpuE7ELNS1_3repE0EEENS1_30default_config_static_selectorELNS0_4arch9wavefront6targetE0EEEvSU_,"axG",@progbits,_ZN7rocprim17ROCPRIM_400000_NS6detail17trampoline_kernelINS0_14default_configENS1_22reduce_config_selectorIbEEZNS1_11reduce_implILb1ES3_N6hipcub16HIPCUB_304000_NS22TransformInputIteratorIbN2at6native12_GLOBAL__N_19NonZeroOpIN3c107complexINSE_4HalfEEEEEPKSH_lEEPiiNS8_6detail34convert_binary_result_type_wrapperINS8_3SumESL_iEEEE10hipError_tPvRmT1_T2_T3_mT4_P12ihipStream_tbEUlT_E0_NS1_11comp_targetILNS1_3genE3ELNS1_11target_archE908ELNS1_3gpuE7ELNS1_3repE0EEENS1_30default_config_static_selectorELNS0_4arch9wavefront6targetE0EEEvSU_,comdat
	.globl	_ZN7rocprim17ROCPRIM_400000_NS6detail17trampoline_kernelINS0_14default_configENS1_22reduce_config_selectorIbEEZNS1_11reduce_implILb1ES3_N6hipcub16HIPCUB_304000_NS22TransformInputIteratorIbN2at6native12_GLOBAL__N_19NonZeroOpIN3c107complexINSE_4HalfEEEEEPKSH_lEEPiiNS8_6detail34convert_binary_result_type_wrapperINS8_3SumESL_iEEEE10hipError_tPvRmT1_T2_T3_mT4_P12ihipStream_tbEUlT_E0_NS1_11comp_targetILNS1_3genE3ELNS1_11target_archE908ELNS1_3gpuE7ELNS1_3repE0EEENS1_30default_config_static_selectorELNS0_4arch9wavefront6targetE0EEEvSU_ ; -- Begin function _ZN7rocprim17ROCPRIM_400000_NS6detail17trampoline_kernelINS0_14default_configENS1_22reduce_config_selectorIbEEZNS1_11reduce_implILb1ES3_N6hipcub16HIPCUB_304000_NS22TransformInputIteratorIbN2at6native12_GLOBAL__N_19NonZeroOpIN3c107complexINSE_4HalfEEEEEPKSH_lEEPiiNS8_6detail34convert_binary_result_type_wrapperINS8_3SumESL_iEEEE10hipError_tPvRmT1_T2_T3_mT4_P12ihipStream_tbEUlT_E0_NS1_11comp_targetILNS1_3genE3ELNS1_11target_archE908ELNS1_3gpuE7ELNS1_3repE0EEENS1_30default_config_static_selectorELNS0_4arch9wavefront6targetE0EEEvSU_
	.p2align	8
	.type	_ZN7rocprim17ROCPRIM_400000_NS6detail17trampoline_kernelINS0_14default_configENS1_22reduce_config_selectorIbEEZNS1_11reduce_implILb1ES3_N6hipcub16HIPCUB_304000_NS22TransformInputIteratorIbN2at6native12_GLOBAL__N_19NonZeroOpIN3c107complexINSE_4HalfEEEEEPKSH_lEEPiiNS8_6detail34convert_binary_result_type_wrapperINS8_3SumESL_iEEEE10hipError_tPvRmT1_T2_T3_mT4_P12ihipStream_tbEUlT_E0_NS1_11comp_targetILNS1_3genE3ELNS1_11target_archE908ELNS1_3gpuE7ELNS1_3repE0EEENS1_30default_config_static_selectorELNS0_4arch9wavefront6targetE0EEEvSU_,@function
_ZN7rocprim17ROCPRIM_400000_NS6detail17trampoline_kernelINS0_14default_configENS1_22reduce_config_selectorIbEEZNS1_11reduce_implILb1ES3_N6hipcub16HIPCUB_304000_NS22TransformInputIteratorIbN2at6native12_GLOBAL__N_19NonZeroOpIN3c107complexINSE_4HalfEEEEEPKSH_lEEPiiNS8_6detail34convert_binary_result_type_wrapperINS8_3SumESL_iEEEE10hipError_tPvRmT1_T2_T3_mT4_P12ihipStream_tbEUlT_E0_NS1_11comp_targetILNS1_3genE3ELNS1_11target_archE908ELNS1_3gpuE7ELNS1_3repE0EEENS1_30default_config_static_selectorELNS0_4arch9wavefront6targetE0EEEvSU_: ; @_ZN7rocprim17ROCPRIM_400000_NS6detail17trampoline_kernelINS0_14default_configENS1_22reduce_config_selectorIbEEZNS1_11reduce_implILb1ES3_N6hipcub16HIPCUB_304000_NS22TransformInputIteratorIbN2at6native12_GLOBAL__N_19NonZeroOpIN3c107complexINSE_4HalfEEEEEPKSH_lEEPiiNS8_6detail34convert_binary_result_type_wrapperINS8_3SumESL_iEEEE10hipError_tPvRmT1_T2_T3_mT4_P12ihipStream_tbEUlT_E0_NS1_11comp_targetILNS1_3genE3ELNS1_11target_archE908ELNS1_3gpuE7ELNS1_3repE0EEENS1_30default_config_static_selectorELNS0_4arch9wavefront6targetE0EEEvSU_
; %bb.0:
	.section	.rodata,"a",@progbits
	.p2align	6, 0x0
	.amdhsa_kernel _ZN7rocprim17ROCPRIM_400000_NS6detail17trampoline_kernelINS0_14default_configENS1_22reduce_config_selectorIbEEZNS1_11reduce_implILb1ES3_N6hipcub16HIPCUB_304000_NS22TransformInputIteratorIbN2at6native12_GLOBAL__N_19NonZeroOpIN3c107complexINSE_4HalfEEEEEPKSH_lEEPiiNS8_6detail34convert_binary_result_type_wrapperINS8_3SumESL_iEEEE10hipError_tPvRmT1_T2_T3_mT4_P12ihipStream_tbEUlT_E0_NS1_11comp_targetILNS1_3genE3ELNS1_11target_archE908ELNS1_3gpuE7ELNS1_3repE0EEENS1_30default_config_static_selectorELNS0_4arch9wavefront6targetE0EEEvSU_
		.amdhsa_group_segment_fixed_size 0
		.amdhsa_private_segment_fixed_size 0
		.amdhsa_kernarg_size 64
		.amdhsa_user_sgpr_count 15
		.amdhsa_user_sgpr_dispatch_ptr 0
		.amdhsa_user_sgpr_queue_ptr 0
		.amdhsa_user_sgpr_kernarg_segment_ptr 1
		.amdhsa_user_sgpr_dispatch_id 0
		.amdhsa_user_sgpr_private_segment_size 0
		.amdhsa_wavefront_size32 1
		.amdhsa_uses_dynamic_stack 0
		.amdhsa_enable_private_segment 0
		.amdhsa_system_sgpr_workgroup_id_x 1
		.amdhsa_system_sgpr_workgroup_id_y 0
		.amdhsa_system_sgpr_workgroup_id_z 0
		.amdhsa_system_sgpr_workgroup_info 0
		.amdhsa_system_vgpr_workitem_id 0
		.amdhsa_next_free_vgpr 1
		.amdhsa_next_free_sgpr 1
		.amdhsa_reserve_vcc 0
		.amdhsa_float_round_mode_32 0
		.amdhsa_float_round_mode_16_64 0
		.amdhsa_float_denorm_mode_32 3
		.amdhsa_float_denorm_mode_16_64 3
		.amdhsa_dx10_clamp 1
		.amdhsa_ieee_mode 1
		.amdhsa_fp16_overflow 0
		.amdhsa_workgroup_processor_mode 1
		.amdhsa_memory_ordered 1
		.amdhsa_forward_progress 0
		.amdhsa_shared_vgpr_count 0
		.amdhsa_exception_fp_ieee_invalid_op 0
		.amdhsa_exception_fp_denorm_src 0
		.amdhsa_exception_fp_ieee_div_zero 0
		.amdhsa_exception_fp_ieee_overflow 0
		.amdhsa_exception_fp_ieee_underflow 0
		.amdhsa_exception_fp_ieee_inexact 0
		.amdhsa_exception_int_div_zero 0
	.end_amdhsa_kernel
	.section	.text._ZN7rocprim17ROCPRIM_400000_NS6detail17trampoline_kernelINS0_14default_configENS1_22reduce_config_selectorIbEEZNS1_11reduce_implILb1ES3_N6hipcub16HIPCUB_304000_NS22TransformInputIteratorIbN2at6native12_GLOBAL__N_19NonZeroOpIN3c107complexINSE_4HalfEEEEEPKSH_lEEPiiNS8_6detail34convert_binary_result_type_wrapperINS8_3SumESL_iEEEE10hipError_tPvRmT1_T2_T3_mT4_P12ihipStream_tbEUlT_E0_NS1_11comp_targetILNS1_3genE3ELNS1_11target_archE908ELNS1_3gpuE7ELNS1_3repE0EEENS1_30default_config_static_selectorELNS0_4arch9wavefront6targetE0EEEvSU_,"axG",@progbits,_ZN7rocprim17ROCPRIM_400000_NS6detail17trampoline_kernelINS0_14default_configENS1_22reduce_config_selectorIbEEZNS1_11reduce_implILb1ES3_N6hipcub16HIPCUB_304000_NS22TransformInputIteratorIbN2at6native12_GLOBAL__N_19NonZeroOpIN3c107complexINSE_4HalfEEEEEPKSH_lEEPiiNS8_6detail34convert_binary_result_type_wrapperINS8_3SumESL_iEEEE10hipError_tPvRmT1_T2_T3_mT4_P12ihipStream_tbEUlT_E0_NS1_11comp_targetILNS1_3genE3ELNS1_11target_archE908ELNS1_3gpuE7ELNS1_3repE0EEENS1_30default_config_static_selectorELNS0_4arch9wavefront6targetE0EEEvSU_,comdat
.Lfunc_end647:
	.size	_ZN7rocprim17ROCPRIM_400000_NS6detail17trampoline_kernelINS0_14default_configENS1_22reduce_config_selectorIbEEZNS1_11reduce_implILb1ES3_N6hipcub16HIPCUB_304000_NS22TransformInputIteratorIbN2at6native12_GLOBAL__N_19NonZeroOpIN3c107complexINSE_4HalfEEEEEPKSH_lEEPiiNS8_6detail34convert_binary_result_type_wrapperINS8_3SumESL_iEEEE10hipError_tPvRmT1_T2_T3_mT4_P12ihipStream_tbEUlT_E0_NS1_11comp_targetILNS1_3genE3ELNS1_11target_archE908ELNS1_3gpuE7ELNS1_3repE0EEENS1_30default_config_static_selectorELNS0_4arch9wavefront6targetE0EEEvSU_, .Lfunc_end647-_ZN7rocprim17ROCPRIM_400000_NS6detail17trampoline_kernelINS0_14default_configENS1_22reduce_config_selectorIbEEZNS1_11reduce_implILb1ES3_N6hipcub16HIPCUB_304000_NS22TransformInputIteratorIbN2at6native12_GLOBAL__N_19NonZeroOpIN3c107complexINSE_4HalfEEEEEPKSH_lEEPiiNS8_6detail34convert_binary_result_type_wrapperINS8_3SumESL_iEEEE10hipError_tPvRmT1_T2_T3_mT4_P12ihipStream_tbEUlT_E0_NS1_11comp_targetILNS1_3genE3ELNS1_11target_archE908ELNS1_3gpuE7ELNS1_3repE0EEENS1_30default_config_static_selectorELNS0_4arch9wavefront6targetE0EEEvSU_
                                        ; -- End function
	.section	.AMDGPU.csdata,"",@progbits
; Kernel info:
; codeLenInByte = 0
; NumSgprs: 0
; NumVgprs: 0
; ScratchSize: 0
; MemoryBound: 0
; FloatMode: 240
; IeeeMode: 1
; LDSByteSize: 0 bytes/workgroup (compile time only)
; SGPRBlocks: 0
; VGPRBlocks: 0
; NumSGPRsForWavesPerEU: 1
; NumVGPRsForWavesPerEU: 1
; Occupancy: 16
; WaveLimiterHint : 0
; COMPUTE_PGM_RSRC2:SCRATCH_EN: 0
; COMPUTE_PGM_RSRC2:USER_SGPR: 15
; COMPUTE_PGM_RSRC2:TRAP_HANDLER: 0
; COMPUTE_PGM_RSRC2:TGID_X_EN: 1
; COMPUTE_PGM_RSRC2:TGID_Y_EN: 0
; COMPUTE_PGM_RSRC2:TGID_Z_EN: 0
; COMPUTE_PGM_RSRC2:TIDIG_COMP_CNT: 0
	.section	.text._ZN7rocprim17ROCPRIM_400000_NS6detail17trampoline_kernelINS0_14default_configENS1_22reduce_config_selectorIbEEZNS1_11reduce_implILb1ES3_N6hipcub16HIPCUB_304000_NS22TransformInputIteratorIbN2at6native12_GLOBAL__N_19NonZeroOpIN3c107complexINSE_4HalfEEEEEPKSH_lEEPiiNS8_6detail34convert_binary_result_type_wrapperINS8_3SumESL_iEEEE10hipError_tPvRmT1_T2_T3_mT4_P12ihipStream_tbEUlT_E0_NS1_11comp_targetILNS1_3genE2ELNS1_11target_archE906ELNS1_3gpuE6ELNS1_3repE0EEENS1_30default_config_static_selectorELNS0_4arch9wavefront6targetE0EEEvSU_,"axG",@progbits,_ZN7rocprim17ROCPRIM_400000_NS6detail17trampoline_kernelINS0_14default_configENS1_22reduce_config_selectorIbEEZNS1_11reduce_implILb1ES3_N6hipcub16HIPCUB_304000_NS22TransformInputIteratorIbN2at6native12_GLOBAL__N_19NonZeroOpIN3c107complexINSE_4HalfEEEEEPKSH_lEEPiiNS8_6detail34convert_binary_result_type_wrapperINS8_3SumESL_iEEEE10hipError_tPvRmT1_T2_T3_mT4_P12ihipStream_tbEUlT_E0_NS1_11comp_targetILNS1_3genE2ELNS1_11target_archE906ELNS1_3gpuE6ELNS1_3repE0EEENS1_30default_config_static_selectorELNS0_4arch9wavefront6targetE0EEEvSU_,comdat
	.globl	_ZN7rocprim17ROCPRIM_400000_NS6detail17trampoline_kernelINS0_14default_configENS1_22reduce_config_selectorIbEEZNS1_11reduce_implILb1ES3_N6hipcub16HIPCUB_304000_NS22TransformInputIteratorIbN2at6native12_GLOBAL__N_19NonZeroOpIN3c107complexINSE_4HalfEEEEEPKSH_lEEPiiNS8_6detail34convert_binary_result_type_wrapperINS8_3SumESL_iEEEE10hipError_tPvRmT1_T2_T3_mT4_P12ihipStream_tbEUlT_E0_NS1_11comp_targetILNS1_3genE2ELNS1_11target_archE906ELNS1_3gpuE6ELNS1_3repE0EEENS1_30default_config_static_selectorELNS0_4arch9wavefront6targetE0EEEvSU_ ; -- Begin function _ZN7rocprim17ROCPRIM_400000_NS6detail17trampoline_kernelINS0_14default_configENS1_22reduce_config_selectorIbEEZNS1_11reduce_implILb1ES3_N6hipcub16HIPCUB_304000_NS22TransformInputIteratorIbN2at6native12_GLOBAL__N_19NonZeroOpIN3c107complexINSE_4HalfEEEEEPKSH_lEEPiiNS8_6detail34convert_binary_result_type_wrapperINS8_3SumESL_iEEEE10hipError_tPvRmT1_T2_T3_mT4_P12ihipStream_tbEUlT_E0_NS1_11comp_targetILNS1_3genE2ELNS1_11target_archE906ELNS1_3gpuE6ELNS1_3repE0EEENS1_30default_config_static_selectorELNS0_4arch9wavefront6targetE0EEEvSU_
	.p2align	8
	.type	_ZN7rocprim17ROCPRIM_400000_NS6detail17trampoline_kernelINS0_14default_configENS1_22reduce_config_selectorIbEEZNS1_11reduce_implILb1ES3_N6hipcub16HIPCUB_304000_NS22TransformInputIteratorIbN2at6native12_GLOBAL__N_19NonZeroOpIN3c107complexINSE_4HalfEEEEEPKSH_lEEPiiNS8_6detail34convert_binary_result_type_wrapperINS8_3SumESL_iEEEE10hipError_tPvRmT1_T2_T3_mT4_P12ihipStream_tbEUlT_E0_NS1_11comp_targetILNS1_3genE2ELNS1_11target_archE906ELNS1_3gpuE6ELNS1_3repE0EEENS1_30default_config_static_selectorELNS0_4arch9wavefront6targetE0EEEvSU_,@function
_ZN7rocprim17ROCPRIM_400000_NS6detail17trampoline_kernelINS0_14default_configENS1_22reduce_config_selectorIbEEZNS1_11reduce_implILb1ES3_N6hipcub16HIPCUB_304000_NS22TransformInputIteratorIbN2at6native12_GLOBAL__N_19NonZeroOpIN3c107complexINSE_4HalfEEEEEPKSH_lEEPiiNS8_6detail34convert_binary_result_type_wrapperINS8_3SumESL_iEEEE10hipError_tPvRmT1_T2_T3_mT4_P12ihipStream_tbEUlT_E0_NS1_11comp_targetILNS1_3genE2ELNS1_11target_archE906ELNS1_3gpuE6ELNS1_3repE0EEENS1_30default_config_static_selectorELNS0_4arch9wavefront6targetE0EEEvSU_: ; @_ZN7rocprim17ROCPRIM_400000_NS6detail17trampoline_kernelINS0_14default_configENS1_22reduce_config_selectorIbEEZNS1_11reduce_implILb1ES3_N6hipcub16HIPCUB_304000_NS22TransformInputIteratorIbN2at6native12_GLOBAL__N_19NonZeroOpIN3c107complexINSE_4HalfEEEEEPKSH_lEEPiiNS8_6detail34convert_binary_result_type_wrapperINS8_3SumESL_iEEEE10hipError_tPvRmT1_T2_T3_mT4_P12ihipStream_tbEUlT_E0_NS1_11comp_targetILNS1_3genE2ELNS1_11target_archE906ELNS1_3gpuE6ELNS1_3repE0EEENS1_30default_config_static_selectorELNS0_4arch9wavefront6targetE0EEEvSU_
; %bb.0:
	.section	.rodata,"a",@progbits
	.p2align	6, 0x0
	.amdhsa_kernel _ZN7rocprim17ROCPRIM_400000_NS6detail17trampoline_kernelINS0_14default_configENS1_22reduce_config_selectorIbEEZNS1_11reduce_implILb1ES3_N6hipcub16HIPCUB_304000_NS22TransformInputIteratorIbN2at6native12_GLOBAL__N_19NonZeroOpIN3c107complexINSE_4HalfEEEEEPKSH_lEEPiiNS8_6detail34convert_binary_result_type_wrapperINS8_3SumESL_iEEEE10hipError_tPvRmT1_T2_T3_mT4_P12ihipStream_tbEUlT_E0_NS1_11comp_targetILNS1_3genE2ELNS1_11target_archE906ELNS1_3gpuE6ELNS1_3repE0EEENS1_30default_config_static_selectorELNS0_4arch9wavefront6targetE0EEEvSU_
		.amdhsa_group_segment_fixed_size 0
		.amdhsa_private_segment_fixed_size 0
		.amdhsa_kernarg_size 64
		.amdhsa_user_sgpr_count 15
		.amdhsa_user_sgpr_dispatch_ptr 0
		.amdhsa_user_sgpr_queue_ptr 0
		.amdhsa_user_sgpr_kernarg_segment_ptr 1
		.amdhsa_user_sgpr_dispatch_id 0
		.amdhsa_user_sgpr_private_segment_size 0
		.amdhsa_wavefront_size32 1
		.amdhsa_uses_dynamic_stack 0
		.amdhsa_enable_private_segment 0
		.amdhsa_system_sgpr_workgroup_id_x 1
		.amdhsa_system_sgpr_workgroup_id_y 0
		.amdhsa_system_sgpr_workgroup_id_z 0
		.amdhsa_system_sgpr_workgroup_info 0
		.amdhsa_system_vgpr_workitem_id 0
		.amdhsa_next_free_vgpr 1
		.amdhsa_next_free_sgpr 1
		.amdhsa_reserve_vcc 0
		.amdhsa_float_round_mode_32 0
		.amdhsa_float_round_mode_16_64 0
		.amdhsa_float_denorm_mode_32 3
		.amdhsa_float_denorm_mode_16_64 3
		.amdhsa_dx10_clamp 1
		.amdhsa_ieee_mode 1
		.amdhsa_fp16_overflow 0
		.amdhsa_workgroup_processor_mode 1
		.amdhsa_memory_ordered 1
		.amdhsa_forward_progress 0
		.amdhsa_shared_vgpr_count 0
		.amdhsa_exception_fp_ieee_invalid_op 0
		.amdhsa_exception_fp_denorm_src 0
		.amdhsa_exception_fp_ieee_div_zero 0
		.amdhsa_exception_fp_ieee_overflow 0
		.amdhsa_exception_fp_ieee_underflow 0
		.amdhsa_exception_fp_ieee_inexact 0
		.amdhsa_exception_int_div_zero 0
	.end_amdhsa_kernel
	.section	.text._ZN7rocprim17ROCPRIM_400000_NS6detail17trampoline_kernelINS0_14default_configENS1_22reduce_config_selectorIbEEZNS1_11reduce_implILb1ES3_N6hipcub16HIPCUB_304000_NS22TransformInputIteratorIbN2at6native12_GLOBAL__N_19NonZeroOpIN3c107complexINSE_4HalfEEEEEPKSH_lEEPiiNS8_6detail34convert_binary_result_type_wrapperINS8_3SumESL_iEEEE10hipError_tPvRmT1_T2_T3_mT4_P12ihipStream_tbEUlT_E0_NS1_11comp_targetILNS1_3genE2ELNS1_11target_archE906ELNS1_3gpuE6ELNS1_3repE0EEENS1_30default_config_static_selectorELNS0_4arch9wavefront6targetE0EEEvSU_,"axG",@progbits,_ZN7rocprim17ROCPRIM_400000_NS6detail17trampoline_kernelINS0_14default_configENS1_22reduce_config_selectorIbEEZNS1_11reduce_implILb1ES3_N6hipcub16HIPCUB_304000_NS22TransformInputIteratorIbN2at6native12_GLOBAL__N_19NonZeroOpIN3c107complexINSE_4HalfEEEEEPKSH_lEEPiiNS8_6detail34convert_binary_result_type_wrapperINS8_3SumESL_iEEEE10hipError_tPvRmT1_T2_T3_mT4_P12ihipStream_tbEUlT_E0_NS1_11comp_targetILNS1_3genE2ELNS1_11target_archE906ELNS1_3gpuE6ELNS1_3repE0EEENS1_30default_config_static_selectorELNS0_4arch9wavefront6targetE0EEEvSU_,comdat
.Lfunc_end648:
	.size	_ZN7rocprim17ROCPRIM_400000_NS6detail17trampoline_kernelINS0_14default_configENS1_22reduce_config_selectorIbEEZNS1_11reduce_implILb1ES3_N6hipcub16HIPCUB_304000_NS22TransformInputIteratorIbN2at6native12_GLOBAL__N_19NonZeroOpIN3c107complexINSE_4HalfEEEEEPKSH_lEEPiiNS8_6detail34convert_binary_result_type_wrapperINS8_3SumESL_iEEEE10hipError_tPvRmT1_T2_T3_mT4_P12ihipStream_tbEUlT_E0_NS1_11comp_targetILNS1_3genE2ELNS1_11target_archE906ELNS1_3gpuE6ELNS1_3repE0EEENS1_30default_config_static_selectorELNS0_4arch9wavefront6targetE0EEEvSU_, .Lfunc_end648-_ZN7rocprim17ROCPRIM_400000_NS6detail17trampoline_kernelINS0_14default_configENS1_22reduce_config_selectorIbEEZNS1_11reduce_implILb1ES3_N6hipcub16HIPCUB_304000_NS22TransformInputIteratorIbN2at6native12_GLOBAL__N_19NonZeroOpIN3c107complexINSE_4HalfEEEEEPKSH_lEEPiiNS8_6detail34convert_binary_result_type_wrapperINS8_3SumESL_iEEEE10hipError_tPvRmT1_T2_T3_mT4_P12ihipStream_tbEUlT_E0_NS1_11comp_targetILNS1_3genE2ELNS1_11target_archE906ELNS1_3gpuE6ELNS1_3repE0EEENS1_30default_config_static_selectorELNS0_4arch9wavefront6targetE0EEEvSU_
                                        ; -- End function
	.section	.AMDGPU.csdata,"",@progbits
; Kernel info:
; codeLenInByte = 0
; NumSgprs: 0
; NumVgprs: 0
; ScratchSize: 0
; MemoryBound: 0
; FloatMode: 240
; IeeeMode: 1
; LDSByteSize: 0 bytes/workgroup (compile time only)
; SGPRBlocks: 0
; VGPRBlocks: 0
; NumSGPRsForWavesPerEU: 1
; NumVGPRsForWavesPerEU: 1
; Occupancy: 16
; WaveLimiterHint : 0
; COMPUTE_PGM_RSRC2:SCRATCH_EN: 0
; COMPUTE_PGM_RSRC2:USER_SGPR: 15
; COMPUTE_PGM_RSRC2:TRAP_HANDLER: 0
; COMPUTE_PGM_RSRC2:TGID_X_EN: 1
; COMPUTE_PGM_RSRC2:TGID_Y_EN: 0
; COMPUTE_PGM_RSRC2:TGID_Z_EN: 0
; COMPUTE_PGM_RSRC2:TIDIG_COMP_CNT: 0
	.section	.text._ZN7rocprim17ROCPRIM_400000_NS6detail17trampoline_kernelINS0_14default_configENS1_22reduce_config_selectorIbEEZNS1_11reduce_implILb1ES3_N6hipcub16HIPCUB_304000_NS22TransformInputIteratorIbN2at6native12_GLOBAL__N_19NonZeroOpIN3c107complexINSE_4HalfEEEEEPKSH_lEEPiiNS8_6detail34convert_binary_result_type_wrapperINS8_3SumESL_iEEEE10hipError_tPvRmT1_T2_T3_mT4_P12ihipStream_tbEUlT_E0_NS1_11comp_targetILNS1_3genE10ELNS1_11target_archE1201ELNS1_3gpuE5ELNS1_3repE0EEENS1_30default_config_static_selectorELNS0_4arch9wavefront6targetE0EEEvSU_,"axG",@progbits,_ZN7rocprim17ROCPRIM_400000_NS6detail17trampoline_kernelINS0_14default_configENS1_22reduce_config_selectorIbEEZNS1_11reduce_implILb1ES3_N6hipcub16HIPCUB_304000_NS22TransformInputIteratorIbN2at6native12_GLOBAL__N_19NonZeroOpIN3c107complexINSE_4HalfEEEEEPKSH_lEEPiiNS8_6detail34convert_binary_result_type_wrapperINS8_3SumESL_iEEEE10hipError_tPvRmT1_T2_T3_mT4_P12ihipStream_tbEUlT_E0_NS1_11comp_targetILNS1_3genE10ELNS1_11target_archE1201ELNS1_3gpuE5ELNS1_3repE0EEENS1_30default_config_static_selectorELNS0_4arch9wavefront6targetE0EEEvSU_,comdat
	.globl	_ZN7rocprim17ROCPRIM_400000_NS6detail17trampoline_kernelINS0_14default_configENS1_22reduce_config_selectorIbEEZNS1_11reduce_implILb1ES3_N6hipcub16HIPCUB_304000_NS22TransformInputIteratorIbN2at6native12_GLOBAL__N_19NonZeroOpIN3c107complexINSE_4HalfEEEEEPKSH_lEEPiiNS8_6detail34convert_binary_result_type_wrapperINS8_3SumESL_iEEEE10hipError_tPvRmT1_T2_T3_mT4_P12ihipStream_tbEUlT_E0_NS1_11comp_targetILNS1_3genE10ELNS1_11target_archE1201ELNS1_3gpuE5ELNS1_3repE0EEENS1_30default_config_static_selectorELNS0_4arch9wavefront6targetE0EEEvSU_ ; -- Begin function _ZN7rocprim17ROCPRIM_400000_NS6detail17trampoline_kernelINS0_14default_configENS1_22reduce_config_selectorIbEEZNS1_11reduce_implILb1ES3_N6hipcub16HIPCUB_304000_NS22TransformInputIteratorIbN2at6native12_GLOBAL__N_19NonZeroOpIN3c107complexINSE_4HalfEEEEEPKSH_lEEPiiNS8_6detail34convert_binary_result_type_wrapperINS8_3SumESL_iEEEE10hipError_tPvRmT1_T2_T3_mT4_P12ihipStream_tbEUlT_E0_NS1_11comp_targetILNS1_3genE10ELNS1_11target_archE1201ELNS1_3gpuE5ELNS1_3repE0EEENS1_30default_config_static_selectorELNS0_4arch9wavefront6targetE0EEEvSU_
	.p2align	8
	.type	_ZN7rocprim17ROCPRIM_400000_NS6detail17trampoline_kernelINS0_14default_configENS1_22reduce_config_selectorIbEEZNS1_11reduce_implILb1ES3_N6hipcub16HIPCUB_304000_NS22TransformInputIteratorIbN2at6native12_GLOBAL__N_19NonZeroOpIN3c107complexINSE_4HalfEEEEEPKSH_lEEPiiNS8_6detail34convert_binary_result_type_wrapperINS8_3SumESL_iEEEE10hipError_tPvRmT1_T2_T3_mT4_P12ihipStream_tbEUlT_E0_NS1_11comp_targetILNS1_3genE10ELNS1_11target_archE1201ELNS1_3gpuE5ELNS1_3repE0EEENS1_30default_config_static_selectorELNS0_4arch9wavefront6targetE0EEEvSU_,@function
_ZN7rocprim17ROCPRIM_400000_NS6detail17trampoline_kernelINS0_14default_configENS1_22reduce_config_selectorIbEEZNS1_11reduce_implILb1ES3_N6hipcub16HIPCUB_304000_NS22TransformInputIteratorIbN2at6native12_GLOBAL__N_19NonZeroOpIN3c107complexINSE_4HalfEEEEEPKSH_lEEPiiNS8_6detail34convert_binary_result_type_wrapperINS8_3SumESL_iEEEE10hipError_tPvRmT1_T2_T3_mT4_P12ihipStream_tbEUlT_E0_NS1_11comp_targetILNS1_3genE10ELNS1_11target_archE1201ELNS1_3gpuE5ELNS1_3repE0EEENS1_30default_config_static_selectorELNS0_4arch9wavefront6targetE0EEEvSU_: ; @_ZN7rocprim17ROCPRIM_400000_NS6detail17trampoline_kernelINS0_14default_configENS1_22reduce_config_selectorIbEEZNS1_11reduce_implILb1ES3_N6hipcub16HIPCUB_304000_NS22TransformInputIteratorIbN2at6native12_GLOBAL__N_19NonZeroOpIN3c107complexINSE_4HalfEEEEEPKSH_lEEPiiNS8_6detail34convert_binary_result_type_wrapperINS8_3SumESL_iEEEE10hipError_tPvRmT1_T2_T3_mT4_P12ihipStream_tbEUlT_E0_NS1_11comp_targetILNS1_3genE10ELNS1_11target_archE1201ELNS1_3gpuE5ELNS1_3repE0EEENS1_30default_config_static_selectorELNS0_4arch9wavefront6targetE0EEEvSU_
; %bb.0:
	.section	.rodata,"a",@progbits
	.p2align	6, 0x0
	.amdhsa_kernel _ZN7rocprim17ROCPRIM_400000_NS6detail17trampoline_kernelINS0_14default_configENS1_22reduce_config_selectorIbEEZNS1_11reduce_implILb1ES3_N6hipcub16HIPCUB_304000_NS22TransformInputIteratorIbN2at6native12_GLOBAL__N_19NonZeroOpIN3c107complexINSE_4HalfEEEEEPKSH_lEEPiiNS8_6detail34convert_binary_result_type_wrapperINS8_3SumESL_iEEEE10hipError_tPvRmT1_T2_T3_mT4_P12ihipStream_tbEUlT_E0_NS1_11comp_targetILNS1_3genE10ELNS1_11target_archE1201ELNS1_3gpuE5ELNS1_3repE0EEENS1_30default_config_static_selectorELNS0_4arch9wavefront6targetE0EEEvSU_
		.amdhsa_group_segment_fixed_size 0
		.amdhsa_private_segment_fixed_size 0
		.amdhsa_kernarg_size 64
		.amdhsa_user_sgpr_count 15
		.amdhsa_user_sgpr_dispatch_ptr 0
		.amdhsa_user_sgpr_queue_ptr 0
		.amdhsa_user_sgpr_kernarg_segment_ptr 1
		.amdhsa_user_sgpr_dispatch_id 0
		.amdhsa_user_sgpr_private_segment_size 0
		.amdhsa_wavefront_size32 1
		.amdhsa_uses_dynamic_stack 0
		.amdhsa_enable_private_segment 0
		.amdhsa_system_sgpr_workgroup_id_x 1
		.amdhsa_system_sgpr_workgroup_id_y 0
		.amdhsa_system_sgpr_workgroup_id_z 0
		.amdhsa_system_sgpr_workgroup_info 0
		.amdhsa_system_vgpr_workitem_id 0
		.amdhsa_next_free_vgpr 1
		.amdhsa_next_free_sgpr 1
		.amdhsa_reserve_vcc 0
		.amdhsa_float_round_mode_32 0
		.amdhsa_float_round_mode_16_64 0
		.amdhsa_float_denorm_mode_32 3
		.amdhsa_float_denorm_mode_16_64 3
		.amdhsa_dx10_clamp 1
		.amdhsa_ieee_mode 1
		.amdhsa_fp16_overflow 0
		.amdhsa_workgroup_processor_mode 1
		.amdhsa_memory_ordered 1
		.amdhsa_forward_progress 0
		.amdhsa_shared_vgpr_count 0
		.amdhsa_exception_fp_ieee_invalid_op 0
		.amdhsa_exception_fp_denorm_src 0
		.amdhsa_exception_fp_ieee_div_zero 0
		.amdhsa_exception_fp_ieee_overflow 0
		.amdhsa_exception_fp_ieee_underflow 0
		.amdhsa_exception_fp_ieee_inexact 0
		.amdhsa_exception_int_div_zero 0
	.end_amdhsa_kernel
	.section	.text._ZN7rocprim17ROCPRIM_400000_NS6detail17trampoline_kernelINS0_14default_configENS1_22reduce_config_selectorIbEEZNS1_11reduce_implILb1ES3_N6hipcub16HIPCUB_304000_NS22TransformInputIteratorIbN2at6native12_GLOBAL__N_19NonZeroOpIN3c107complexINSE_4HalfEEEEEPKSH_lEEPiiNS8_6detail34convert_binary_result_type_wrapperINS8_3SumESL_iEEEE10hipError_tPvRmT1_T2_T3_mT4_P12ihipStream_tbEUlT_E0_NS1_11comp_targetILNS1_3genE10ELNS1_11target_archE1201ELNS1_3gpuE5ELNS1_3repE0EEENS1_30default_config_static_selectorELNS0_4arch9wavefront6targetE0EEEvSU_,"axG",@progbits,_ZN7rocprim17ROCPRIM_400000_NS6detail17trampoline_kernelINS0_14default_configENS1_22reduce_config_selectorIbEEZNS1_11reduce_implILb1ES3_N6hipcub16HIPCUB_304000_NS22TransformInputIteratorIbN2at6native12_GLOBAL__N_19NonZeroOpIN3c107complexINSE_4HalfEEEEEPKSH_lEEPiiNS8_6detail34convert_binary_result_type_wrapperINS8_3SumESL_iEEEE10hipError_tPvRmT1_T2_T3_mT4_P12ihipStream_tbEUlT_E0_NS1_11comp_targetILNS1_3genE10ELNS1_11target_archE1201ELNS1_3gpuE5ELNS1_3repE0EEENS1_30default_config_static_selectorELNS0_4arch9wavefront6targetE0EEEvSU_,comdat
.Lfunc_end649:
	.size	_ZN7rocprim17ROCPRIM_400000_NS6detail17trampoline_kernelINS0_14default_configENS1_22reduce_config_selectorIbEEZNS1_11reduce_implILb1ES3_N6hipcub16HIPCUB_304000_NS22TransformInputIteratorIbN2at6native12_GLOBAL__N_19NonZeroOpIN3c107complexINSE_4HalfEEEEEPKSH_lEEPiiNS8_6detail34convert_binary_result_type_wrapperINS8_3SumESL_iEEEE10hipError_tPvRmT1_T2_T3_mT4_P12ihipStream_tbEUlT_E0_NS1_11comp_targetILNS1_3genE10ELNS1_11target_archE1201ELNS1_3gpuE5ELNS1_3repE0EEENS1_30default_config_static_selectorELNS0_4arch9wavefront6targetE0EEEvSU_, .Lfunc_end649-_ZN7rocprim17ROCPRIM_400000_NS6detail17trampoline_kernelINS0_14default_configENS1_22reduce_config_selectorIbEEZNS1_11reduce_implILb1ES3_N6hipcub16HIPCUB_304000_NS22TransformInputIteratorIbN2at6native12_GLOBAL__N_19NonZeroOpIN3c107complexINSE_4HalfEEEEEPKSH_lEEPiiNS8_6detail34convert_binary_result_type_wrapperINS8_3SumESL_iEEEE10hipError_tPvRmT1_T2_T3_mT4_P12ihipStream_tbEUlT_E0_NS1_11comp_targetILNS1_3genE10ELNS1_11target_archE1201ELNS1_3gpuE5ELNS1_3repE0EEENS1_30default_config_static_selectorELNS0_4arch9wavefront6targetE0EEEvSU_
                                        ; -- End function
	.section	.AMDGPU.csdata,"",@progbits
; Kernel info:
; codeLenInByte = 0
; NumSgprs: 0
; NumVgprs: 0
; ScratchSize: 0
; MemoryBound: 0
; FloatMode: 240
; IeeeMode: 1
; LDSByteSize: 0 bytes/workgroup (compile time only)
; SGPRBlocks: 0
; VGPRBlocks: 0
; NumSGPRsForWavesPerEU: 1
; NumVGPRsForWavesPerEU: 1
; Occupancy: 16
; WaveLimiterHint : 0
; COMPUTE_PGM_RSRC2:SCRATCH_EN: 0
; COMPUTE_PGM_RSRC2:USER_SGPR: 15
; COMPUTE_PGM_RSRC2:TRAP_HANDLER: 0
; COMPUTE_PGM_RSRC2:TGID_X_EN: 1
; COMPUTE_PGM_RSRC2:TGID_Y_EN: 0
; COMPUTE_PGM_RSRC2:TGID_Z_EN: 0
; COMPUTE_PGM_RSRC2:TIDIG_COMP_CNT: 0
	.section	.text._ZN7rocprim17ROCPRIM_400000_NS6detail17trampoline_kernelINS0_14default_configENS1_22reduce_config_selectorIbEEZNS1_11reduce_implILb1ES3_N6hipcub16HIPCUB_304000_NS22TransformInputIteratorIbN2at6native12_GLOBAL__N_19NonZeroOpIN3c107complexINSE_4HalfEEEEEPKSH_lEEPiiNS8_6detail34convert_binary_result_type_wrapperINS8_3SumESL_iEEEE10hipError_tPvRmT1_T2_T3_mT4_P12ihipStream_tbEUlT_E0_NS1_11comp_targetILNS1_3genE10ELNS1_11target_archE1200ELNS1_3gpuE4ELNS1_3repE0EEENS1_30default_config_static_selectorELNS0_4arch9wavefront6targetE0EEEvSU_,"axG",@progbits,_ZN7rocprim17ROCPRIM_400000_NS6detail17trampoline_kernelINS0_14default_configENS1_22reduce_config_selectorIbEEZNS1_11reduce_implILb1ES3_N6hipcub16HIPCUB_304000_NS22TransformInputIteratorIbN2at6native12_GLOBAL__N_19NonZeroOpIN3c107complexINSE_4HalfEEEEEPKSH_lEEPiiNS8_6detail34convert_binary_result_type_wrapperINS8_3SumESL_iEEEE10hipError_tPvRmT1_T2_T3_mT4_P12ihipStream_tbEUlT_E0_NS1_11comp_targetILNS1_3genE10ELNS1_11target_archE1200ELNS1_3gpuE4ELNS1_3repE0EEENS1_30default_config_static_selectorELNS0_4arch9wavefront6targetE0EEEvSU_,comdat
	.globl	_ZN7rocprim17ROCPRIM_400000_NS6detail17trampoline_kernelINS0_14default_configENS1_22reduce_config_selectorIbEEZNS1_11reduce_implILb1ES3_N6hipcub16HIPCUB_304000_NS22TransformInputIteratorIbN2at6native12_GLOBAL__N_19NonZeroOpIN3c107complexINSE_4HalfEEEEEPKSH_lEEPiiNS8_6detail34convert_binary_result_type_wrapperINS8_3SumESL_iEEEE10hipError_tPvRmT1_T2_T3_mT4_P12ihipStream_tbEUlT_E0_NS1_11comp_targetILNS1_3genE10ELNS1_11target_archE1200ELNS1_3gpuE4ELNS1_3repE0EEENS1_30default_config_static_selectorELNS0_4arch9wavefront6targetE0EEEvSU_ ; -- Begin function _ZN7rocprim17ROCPRIM_400000_NS6detail17trampoline_kernelINS0_14default_configENS1_22reduce_config_selectorIbEEZNS1_11reduce_implILb1ES3_N6hipcub16HIPCUB_304000_NS22TransformInputIteratorIbN2at6native12_GLOBAL__N_19NonZeroOpIN3c107complexINSE_4HalfEEEEEPKSH_lEEPiiNS8_6detail34convert_binary_result_type_wrapperINS8_3SumESL_iEEEE10hipError_tPvRmT1_T2_T3_mT4_P12ihipStream_tbEUlT_E0_NS1_11comp_targetILNS1_3genE10ELNS1_11target_archE1200ELNS1_3gpuE4ELNS1_3repE0EEENS1_30default_config_static_selectorELNS0_4arch9wavefront6targetE0EEEvSU_
	.p2align	8
	.type	_ZN7rocprim17ROCPRIM_400000_NS6detail17trampoline_kernelINS0_14default_configENS1_22reduce_config_selectorIbEEZNS1_11reduce_implILb1ES3_N6hipcub16HIPCUB_304000_NS22TransformInputIteratorIbN2at6native12_GLOBAL__N_19NonZeroOpIN3c107complexINSE_4HalfEEEEEPKSH_lEEPiiNS8_6detail34convert_binary_result_type_wrapperINS8_3SumESL_iEEEE10hipError_tPvRmT1_T2_T3_mT4_P12ihipStream_tbEUlT_E0_NS1_11comp_targetILNS1_3genE10ELNS1_11target_archE1200ELNS1_3gpuE4ELNS1_3repE0EEENS1_30default_config_static_selectorELNS0_4arch9wavefront6targetE0EEEvSU_,@function
_ZN7rocprim17ROCPRIM_400000_NS6detail17trampoline_kernelINS0_14default_configENS1_22reduce_config_selectorIbEEZNS1_11reduce_implILb1ES3_N6hipcub16HIPCUB_304000_NS22TransformInputIteratorIbN2at6native12_GLOBAL__N_19NonZeroOpIN3c107complexINSE_4HalfEEEEEPKSH_lEEPiiNS8_6detail34convert_binary_result_type_wrapperINS8_3SumESL_iEEEE10hipError_tPvRmT1_T2_T3_mT4_P12ihipStream_tbEUlT_E0_NS1_11comp_targetILNS1_3genE10ELNS1_11target_archE1200ELNS1_3gpuE4ELNS1_3repE0EEENS1_30default_config_static_selectorELNS0_4arch9wavefront6targetE0EEEvSU_: ; @_ZN7rocprim17ROCPRIM_400000_NS6detail17trampoline_kernelINS0_14default_configENS1_22reduce_config_selectorIbEEZNS1_11reduce_implILb1ES3_N6hipcub16HIPCUB_304000_NS22TransformInputIteratorIbN2at6native12_GLOBAL__N_19NonZeroOpIN3c107complexINSE_4HalfEEEEEPKSH_lEEPiiNS8_6detail34convert_binary_result_type_wrapperINS8_3SumESL_iEEEE10hipError_tPvRmT1_T2_T3_mT4_P12ihipStream_tbEUlT_E0_NS1_11comp_targetILNS1_3genE10ELNS1_11target_archE1200ELNS1_3gpuE4ELNS1_3repE0EEENS1_30default_config_static_selectorELNS0_4arch9wavefront6targetE0EEEvSU_
; %bb.0:
	.section	.rodata,"a",@progbits
	.p2align	6, 0x0
	.amdhsa_kernel _ZN7rocprim17ROCPRIM_400000_NS6detail17trampoline_kernelINS0_14default_configENS1_22reduce_config_selectorIbEEZNS1_11reduce_implILb1ES3_N6hipcub16HIPCUB_304000_NS22TransformInputIteratorIbN2at6native12_GLOBAL__N_19NonZeroOpIN3c107complexINSE_4HalfEEEEEPKSH_lEEPiiNS8_6detail34convert_binary_result_type_wrapperINS8_3SumESL_iEEEE10hipError_tPvRmT1_T2_T3_mT4_P12ihipStream_tbEUlT_E0_NS1_11comp_targetILNS1_3genE10ELNS1_11target_archE1200ELNS1_3gpuE4ELNS1_3repE0EEENS1_30default_config_static_selectorELNS0_4arch9wavefront6targetE0EEEvSU_
		.amdhsa_group_segment_fixed_size 0
		.amdhsa_private_segment_fixed_size 0
		.amdhsa_kernarg_size 64
		.amdhsa_user_sgpr_count 15
		.amdhsa_user_sgpr_dispatch_ptr 0
		.amdhsa_user_sgpr_queue_ptr 0
		.amdhsa_user_sgpr_kernarg_segment_ptr 1
		.amdhsa_user_sgpr_dispatch_id 0
		.amdhsa_user_sgpr_private_segment_size 0
		.amdhsa_wavefront_size32 1
		.amdhsa_uses_dynamic_stack 0
		.amdhsa_enable_private_segment 0
		.amdhsa_system_sgpr_workgroup_id_x 1
		.amdhsa_system_sgpr_workgroup_id_y 0
		.amdhsa_system_sgpr_workgroup_id_z 0
		.amdhsa_system_sgpr_workgroup_info 0
		.amdhsa_system_vgpr_workitem_id 0
		.amdhsa_next_free_vgpr 1
		.amdhsa_next_free_sgpr 1
		.amdhsa_reserve_vcc 0
		.amdhsa_float_round_mode_32 0
		.amdhsa_float_round_mode_16_64 0
		.amdhsa_float_denorm_mode_32 3
		.amdhsa_float_denorm_mode_16_64 3
		.amdhsa_dx10_clamp 1
		.amdhsa_ieee_mode 1
		.amdhsa_fp16_overflow 0
		.amdhsa_workgroup_processor_mode 1
		.amdhsa_memory_ordered 1
		.amdhsa_forward_progress 0
		.amdhsa_shared_vgpr_count 0
		.amdhsa_exception_fp_ieee_invalid_op 0
		.amdhsa_exception_fp_denorm_src 0
		.amdhsa_exception_fp_ieee_div_zero 0
		.amdhsa_exception_fp_ieee_overflow 0
		.amdhsa_exception_fp_ieee_underflow 0
		.amdhsa_exception_fp_ieee_inexact 0
		.amdhsa_exception_int_div_zero 0
	.end_amdhsa_kernel
	.section	.text._ZN7rocprim17ROCPRIM_400000_NS6detail17trampoline_kernelINS0_14default_configENS1_22reduce_config_selectorIbEEZNS1_11reduce_implILb1ES3_N6hipcub16HIPCUB_304000_NS22TransformInputIteratorIbN2at6native12_GLOBAL__N_19NonZeroOpIN3c107complexINSE_4HalfEEEEEPKSH_lEEPiiNS8_6detail34convert_binary_result_type_wrapperINS8_3SumESL_iEEEE10hipError_tPvRmT1_T2_T3_mT4_P12ihipStream_tbEUlT_E0_NS1_11comp_targetILNS1_3genE10ELNS1_11target_archE1200ELNS1_3gpuE4ELNS1_3repE0EEENS1_30default_config_static_selectorELNS0_4arch9wavefront6targetE0EEEvSU_,"axG",@progbits,_ZN7rocprim17ROCPRIM_400000_NS6detail17trampoline_kernelINS0_14default_configENS1_22reduce_config_selectorIbEEZNS1_11reduce_implILb1ES3_N6hipcub16HIPCUB_304000_NS22TransformInputIteratorIbN2at6native12_GLOBAL__N_19NonZeroOpIN3c107complexINSE_4HalfEEEEEPKSH_lEEPiiNS8_6detail34convert_binary_result_type_wrapperINS8_3SumESL_iEEEE10hipError_tPvRmT1_T2_T3_mT4_P12ihipStream_tbEUlT_E0_NS1_11comp_targetILNS1_3genE10ELNS1_11target_archE1200ELNS1_3gpuE4ELNS1_3repE0EEENS1_30default_config_static_selectorELNS0_4arch9wavefront6targetE0EEEvSU_,comdat
.Lfunc_end650:
	.size	_ZN7rocprim17ROCPRIM_400000_NS6detail17trampoline_kernelINS0_14default_configENS1_22reduce_config_selectorIbEEZNS1_11reduce_implILb1ES3_N6hipcub16HIPCUB_304000_NS22TransformInputIteratorIbN2at6native12_GLOBAL__N_19NonZeroOpIN3c107complexINSE_4HalfEEEEEPKSH_lEEPiiNS8_6detail34convert_binary_result_type_wrapperINS8_3SumESL_iEEEE10hipError_tPvRmT1_T2_T3_mT4_P12ihipStream_tbEUlT_E0_NS1_11comp_targetILNS1_3genE10ELNS1_11target_archE1200ELNS1_3gpuE4ELNS1_3repE0EEENS1_30default_config_static_selectorELNS0_4arch9wavefront6targetE0EEEvSU_, .Lfunc_end650-_ZN7rocprim17ROCPRIM_400000_NS6detail17trampoline_kernelINS0_14default_configENS1_22reduce_config_selectorIbEEZNS1_11reduce_implILb1ES3_N6hipcub16HIPCUB_304000_NS22TransformInputIteratorIbN2at6native12_GLOBAL__N_19NonZeroOpIN3c107complexINSE_4HalfEEEEEPKSH_lEEPiiNS8_6detail34convert_binary_result_type_wrapperINS8_3SumESL_iEEEE10hipError_tPvRmT1_T2_T3_mT4_P12ihipStream_tbEUlT_E0_NS1_11comp_targetILNS1_3genE10ELNS1_11target_archE1200ELNS1_3gpuE4ELNS1_3repE0EEENS1_30default_config_static_selectorELNS0_4arch9wavefront6targetE0EEEvSU_
                                        ; -- End function
	.section	.AMDGPU.csdata,"",@progbits
; Kernel info:
; codeLenInByte = 0
; NumSgprs: 0
; NumVgprs: 0
; ScratchSize: 0
; MemoryBound: 0
; FloatMode: 240
; IeeeMode: 1
; LDSByteSize: 0 bytes/workgroup (compile time only)
; SGPRBlocks: 0
; VGPRBlocks: 0
; NumSGPRsForWavesPerEU: 1
; NumVGPRsForWavesPerEU: 1
; Occupancy: 16
; WaveLimiterHint : 0
; COMPUTE_PGM_RSRC2:SCRATCH_EN: 0
; COMPUTE_PGM_RSRC2:USER_SGPR: 15
; COMPUTE_PGM_RSRC2:TRAP_HANDLER: 0
; COMPUTE_PGM_RSRC2:TGID_X_EN: 1
; COMPUTE_PGM_RSRC2:TGID_Y_EN: 0
; COMPUTE_PGM_RSRC2:TGID_Z_EN: 0
; COMPUTE_PGM_RSRC2:TIDIG_COMP_CNT: 0
	.section	.text._ZN7rocprim17ROCPRIM_400000_NS6detail17trampoline_kernelINS0_14default_configENS1_22reduce_config_selectorIbEEZNS1_11reduce_implILb1ES3_N6hipcub16HIPCUB_304000_NS22TransformInputIteratorIbN2at6native12_GLOBAL__N_19NonZeroOpIN3c107complexINSE_4HalfEEEEEPKSH_lEEPiiNS8_6detail34convert_binary_result_type_wrapperINS8_3SumESL_iEEEE10hipError_tPvRmT1_T2_T3_mT4_P12ihipStream_tbEUlT_E0_NS1_11comp_targetILNS1_3genE9ELNS1_11target_archE1100ELNS1_3gpuE3ELNS1_3repE0EEENS1_30default_config_static_selectorELNS0_4arch9wavefront6targetE0EEEvSU_,"axG",@progbits,_ZN7rocprim17ROCPRIM_400000_NS6detail17trampoline_kernelINS0_14default_configENS1_22reduce_config_selectorIbEEZNS1_11reduce_implILb1ES3_N6hipcub16HIPCUB_304000_NS22TransformInputIteratorIbN2at6native12_GLOBAL__N_19NonZeroOpIN3c107complexINSE_4HalfEEEEEPKSH_lEEPiiNS8_6detail34convert_binary_result_type_wrapperINS8_3SumESL_iEEEE10hipError_tPvRmT1_T2_T3_mT4_P12ihipStream_tbEUlT_E0_NS1_11comp_targetILNS1_3genE9ELNS1_11target_archE1100ELNS1_3gpuE3ELNS1_3repE0EEENS1_30default_config_static_selectorELNS0_4arch9wavefront6targetE0EEEvSU_,comdat
	.globl	_ZN7rocprim17ROCPRIM_400000_NS6detail17trampoline_kernelINS0_14default_configENS1_22reduce_config_selectorIbEEZNS1_11reduce_implILb1ES3_N6hipcub16HIPCUB_304000_NS22TransformInputIteratorIbN2at6native12_GLOBAL__N_19NonZeroOpIN3c107complexINSE_4HalfEEEEEPKSH_lEEPiiNS8_6detail34convert_binary_result_type_wrapperINS8_3SumESL_iEEEE10hipError_tPvRmT1_T2_T3_mT4_P12ihipStream_tbEUlT_E0_NS1_11comp_targetILNS1_3genE9ELNS1_11target_archE1100ELNS1_3gpuE3ELNS1_3repE0EEENS1_30default_config_static_selectorELNS0_4arch9wavefront6targetE0EEEvSU_ ; -- Begin function _ZN7rocprim17ROCPRIM_400000_NS6detail17trampoline_kernelINS0_14default_configENS1_22reduce_config_selectorIbEEZNS1_11reduce_implILb1ES3_N6hipcub16HIPCUB_304000_NS22TransformInputIteratorIbN2at6native12_GLOBAL__N_19NonZeroOpIN3c107complexINSE_4HalfEEEEEPKSH_lEEPiiNS8_6detail34convert_binary_result_type_wrapperINS8_3SumESL_iEEEE10hipError_tPvRmT1_T2_T3_mT4_P12ihipStream_tbEUlT_E0_NS1_11comp_targetILNS1_3genE9ELNS1_11target_archE1100ELNS1_3gpuE3ELNS1_3repE0EEENS1_30default_config_static_selectorELNS0_4arch9wavefront6targetE0EEEvSU_
	.p2align	8
	.type	_ZN7rocprim17ROCPRIM_400000_NS6detail17trampoline_kernelINS0_14default_configENS1_22reduce_config_selectorIbEEZNS1_11reduce_implILb1ES3_N6hipcub16HIPCUB_304000_NS22TransformInputIteratorIbN2at6native12_GLOBAL__N_19NonZeroOpIN3c107complexINSE_4HalfEEEEEPKSH_lEEPiiNS8_6detail34convert_binary_result_type_wrapperINS8_3SumESL_iEEEE10hipError_tPvRmT1_T2_T3_mT4_P12ihipStream_tbEUlT_E0_NS1_11comp_targetILNS1_3genE9ELNS1_11target_archE1100ELNS1_3gpuE3ELNS1_3repE0EEENS1_30default_config_static_selectorELNS0_4arch9wavefront6targetE0EEEvSU_,@function
_ZN7rocprim17ROCPRIM_400000_NS6detail17trampoline_kernelINS0_14default_configENS1_22reduce_config_selectorIbEEZNS1_11reduce_implILb1ES3_N6hipcub16HIPCUB_304000_NS22TransformInputIteratorIbN2at6native12_GLOBAL__N_19NonZeroOpIN3c107complexINSE_4HalfEEEEEPKSH_lEEPiiNS8_6detail34convert_binary_result_type_wrapperINS8_3SumESL_iEEEE10hipError_tPvRmT1_T2_T3_mT4_P12ihipStream_tbEUlT_E0_NS1_11comp_targetILNS1_3genE9ELNS1_11target_archE1100ELNS1_3gpuE3ELNS1_3repE0EEENS1_30default_config_static_selectorELNS0_4arch9wavefront6targetE0EEEvSU_: ; @_ZN7rocprim17ROCPRIM_400000_NS6detail17trampoline_kernelINS0_14default_configENS1_22reduce_config_selectorIbEEZNS1_11reduce_implILb1ES3_N6hipcub16HIPCUB_304000_NS22TransformInputIteratorIbN2at6native12_GLOBAL__N_19NonZeroOpIN3c107complexINSE_4HalfEEEEEPKSH_lEEPiiNS8_6detail34convert_binary_result_type_wrapperINS8_3SumESL_iEEEE10hipError_tPvRmT1_T2_T3_mT4_P12ihipStream_tbEUlT_E0_NS1_11comp_targetILNS1_3genE9ELNS1_11target_archE1100ELNS1_3gpuE3ELNS1_3repE0EEENS1_30default_config_static_selectorELNS0_4arch9wavefront6targetE0EEEvSU_
; %bb.0:
	s_clause 0x2
	s_load_b256 s[16:23], s[0:1], 0x10
	s_load_b64 s[4:5], s[0:1], 0x0
	s_load_b64 s[26:27], s[0:1], 0x30
	s_mov_b32 s3, 0
	v_lshlrev_b32_e32 v18, 2, v0
	v_mbcnt_lo_u32_b32 v17, -1, 0
	s_mov_b32 s24, s15
	s_mov_b32 s25, s3
	s_waitcnt lgkmcnt(0)
	s_lshl_b64 s[6:7], s[16:17], 2
	s_delay_alu instid0(SALU_CYCLE_1) | instskip(SKIP_4) | instid1(SALU_CYCLE_1)
	s_add_u32 s8, s4, s6
	s_addc_u32 s9, s5, s7
	s_lshl_b32 s2, s15, 11
	s_lshr_b64 s[6:7], s[18:19], 11
	s_lshl_b64 s[4:5], s[2:3], 2
	s_add_u32 s16, s8, s4
	s_addc_u32 s17, s9, s5
	s_cmp_lg_u64 s[6:7], s[24:25]
	s_cbranch_scc0 .LBB651_6
; %bb.1:
	s_clause 0x7
	global_load_b32 v3, v18, s[16:17]
	global_load_b32 v4, v18, s[16:17] offset:512
	global_load_b32 v5, v18, s[16:17] offset:1024
	;; [unrolled: 1-line block ×7, first 2 shown]
	v_add_co_u32 v1, s3, s16, v18
	s_delay_alu instid0(VALU_DEP_1) | instskip(SKIP_1) | instid1(VALU_DEP_2)
	v_add_co_ci_u32_e64 v2, null, s17, 0, s3
	s_mov_b32 s3, exec_lo
	v_add_co_u32 v1, vcc_lo, 0x1000, v1
	s_delay_alu instid0(VALU_DEP_2)
	v_add_co_ci_u32_e32 v2, vcc_lo, 0, v2, vcc_lo
	s_clause 0x7
	global_load_b32 v11, v[1:2], off
	global_load_b32 v12, v[1:2], off offset:512
	global_load_b32 v13, v[1:2], off offset:1024
	;; [unrolled: 1-line block ×7, first 2 shown]
	s_waitcnt vmcnt(15)
	v_lshrrev_b32_e32 v2, 16, v3
	s_waitcnt vmcnt(14)
	v_lshrrev_b32_e32 v20, 16, v4
	;; [unrolled: 2-line block ×5, first 2 shown]
	v_or_b32_e32 v2, v3, v2
	v_or_b32_e32 v3, v4, v20
	;; [unrolled: 1-line block ×3, first 2 shown]
	s_waitcnt vmcnt(10)
	v_lshrrev_b32_e32 v24, 16, v8
	s_waitcnt vmcnt(9)
	v_lshrrev_b32_e32 v25, 16, v9
	v_and_b32_e32 v2, 0x7fff, v2
	v_or_b32_e32 v5, v6, v22
	v_or_b32_e32 v6, v7, v23
	v_and_b32_e32 v4, 0x7fff, v4
	v_or_b32_e32 v7, v8, v24
	v_cmp_ne_u16_e32 vcc_lo, 0, v2
	v_or_b32_e32 v8, v9, v25
	v_and_b32_e32 v6, 0x7fff, v6
	v_and_b32_e32 v3, 0x7fff, v3
	s_waitcnt vmcnt(8)
	v_lshrrev_b32_e32 v26, 16, v10
	v_cndmask_b32_e64 v2, 0, 1, vcc_lo
	v_cmp_ne_u16_e32 vcc_lo, 0, v4
	v_and_b32_e32 v8, 0x7fff, v8
	v_and_b32_e32 v5, 0x7fff, v5
	v_or_b32_e32 v9, v10, v26
	s_waitcnt vmcnt(7)
	v_lshrrev_b32_e32 v10, 16, v11
	v_cndmask_b32_e64 v4, 0, 1, vcc_lo
	v_cmp_ne_u16_e32 vcc_lo, 0, v6
	v_and_b32_e32 v7, 0x7fff, v7
	s_waitcnt vmcnt(6)
	v_lshrrev_b32_e32 v20, 16, v12
	v_or_b32_e32 v10, v11, v10
	s_waitcnt vmcnt(5)
	v_lshrrev_b32_e32 v21, 16, v13
	v_cndmask_b32_e64 v6, 0, 1, vcc_lo
	v_cmp_ne_u16_e32 vcc_lo, 0, v8
	v_and_b32_e32 v9, 0x7fff, v9
	v_and_b32_e32 v10, 0x7fff, v10
	v_or_b32_e32 v11, v12, v20
	v_or_b32_e32 v12, v13, v21
	v_cndmask_b32_e64 v8, 0, 1, vcc_lo
	v_cmp_ne_u16_e32 vcc_lo, 0, v3
	s_waitcnt vmcnt(4)
	v_lshrrev_b32_e32 v22, 16, v14
	s_waitcnt vmcnt(3)
	v_lshrrev_b32_e32 v23, 16, v15
	v_and_b32_e32 v12, 0x7fff, v12
	v_and_b32_e32 v11, 0x7fff, v11
	v_add_co_ci_u32_e32 v2, vcc_lo, 0, v2, vcc_lo
	v_cmp_ne_u16_e32 vcc_lo, 0, v5
	v_or_b32_e32 v13, v14, v22
	v_or_b32_e32 v14, v15, v23
	s_waitcnt vmcnt(2)
	v_lshrrev_b32_e32 v24, 16, v16
	s_waitcnt vmcnt(1)
	v_lshrrev_b32_e32 v25, 16, v19
	v_add_co_ci_u32_e32 v2, vcc_lo, v2, v4, vcc_lo
	v_cmp_ne_u16_e32 vcc_lo, 0, v7
	v_and_b32_e32 v3, 0x7fff, v13
	v_and_b32_e32 v13, 0x7fff, v14
	v_or_b32_e32 v15, v16, v24
	v_or_b32_e32 v16, v19, v25
	v_add_co_ci_u32_e32 v2, vcc_lo, v2, v6, vcc_lo
	v_cmp_ne_u16_e32 vcc_lo, 0, v10
	s_waitcnt vmcnt(0)
	v_lshrrev_b32_e32 v26, 16, v1
	v_and_b32_e32 v5, 0x7fff, v16
	v_and_b32_e32 v4, 0x7fff, v15
	v_cndmask_b32_e64 v6, 0, 1, vcc_lo
	v_cmp_ne_u16_e32 vcc_lo, 0, v9
	v_or_b32_e32 v1, v1, v26
	v_add_co_ci_u32_e32 v2, vcc_lo, v2, v8, vcc_lo
	v_cmp_ne_u16_e32 vcc_lo, 0, v12
	s_delay_alu instid0(VALU_DEP_3)
	v_and_b32_e32 v1, 0x7fff, v1
	v_cndmask_b32_e64 v7, 0, 1, vcc_lo
	v_cmp_ne_u16_e32 vcc_lo, 0, v11
	v_add_co_ci_u32_e32 v2, vcc_lo, v2, v6, vcc_lo
	v_cmp_ne_u16_e32 vcc_lo, 0, v13
	v_cndmask_b32_e64 v6, 0, 1, vcc_lo
	v_cmp_ne_u16_e32 vcc_lo, 0, v3
	s_delay_alu instid0(VALU_DEP_4) | instskip(SKIP_3) | instid1(VALU_DEP_4)
	v_add_co_ci_u32_e32 v2, vcc_lo, v2, v7, vcc_lo
	v_cmp_ne_u16_e32 vcc_lo, 0, v5
	v_cndmask_b32_e64 v3, 0, 1, vcc_lo
	v_cmp_ne_u16_e32 vcc_lo, 0, v4
	v_add_co_ci_u32_e32 v2, vcc_lo, v2, v6, vcc_lo
	v_cmp_ne_u16_e32 vcc_lo, 0, v1
	s_delay_alu instid0(VALU_DEP_2) | instskip(SKIP_1) | instid1(VALU_DEP_2)
	v_add_co_ci_u32_e32 v1, vcc_lo, v2, v3, vcc_lo
	v_mov_b32_e32 v3, 0
	v_mov_b32_dpp v2, v1 quad_perm:[1,0,3,2] row_mask:0xf bank_mask:0xf
	s_delay_alu instid0(VALU_DEP_1) | instskip(NEXT) | instid1(VALU_DEP_1)
	v_add_nc_u32_e32 v1, v1, v2
	v_mov_b32_dpp v2, v1 quad_perm:[2,3,0,1] row_mask:0xf bank_mask:0xf
	s_delay_alu instid0(VALU_DEP_1) | instskip(NEXT) | instid1(VALU_DEP_1)
	v_add_nc_u32_e32 v1, v1, v2
	v_mov_b32_dpp v2, v1 row_ror:4 row_mask:0xf bank_mask:0xf
	s_delay_alu instid0(VALU_DEP_1) | instskip(NEXT) | instid1(VALU_DEP_1)
	v_add_nc_u32_e32 v1, v1, v2
	v_mov_b32_dpp v2, v1 row_ror:8 row_mask:0xf bank_mask:0xf
	s_delay_alu instid0(VALU_DEP_1)
	v_add_nc_u32_e32 v1, v1, v2
	ds_swizzle_b32 v2, v1 offset:swizzle(BROADCAST,32,15)
	s_waitcnt lgkmcnt(0)
	v_add_nc_u32_e32 v1, v1, v2
	ds_bpermute_b32 v1, v3, v1 offset:124
	v_cmpx_eq_u32_e32 0, v17
	s_cbranch_execz .LBB651_3
; %bb.2:
	v_lshrrev_b32_e32 v2, 3, v0
	s_delay_alu instid0(VALU_DEP_1)
	v_and_b32_e32 v2, 12, v2
	s_waitcnt lgkmcnt(0)
	ds_store_b32 v2, v1
.LBB651_3:
	s_or_b32 exec_lo, exec_lo, s3
	s_delay_alu instid0(SALU_CYCLE_1)
	s_mov_b32 s3, exec_lo
	s_waitcnt lgkmcnt(0)
	s_barrier
	buffer_gl0_inv
	v_cmpx_gt_u32_e32 32, v0
	s_cbranch_execz .LBB651_5
; %bb.4:
	v_and_b32_e32 v1, 3, v17
	s_delay_alu instid0(VALU_DEP_1) | instskip(SKIP_4) | instid1(VALU_DEP_2)
	v_lshlrev_b32_e32 v2, 2, v1
	v_cmp_ne_u32_e32 vcc_lo, 3, v1
	ds_load_b32 v2, v2
	v_add_co_ci_u32_e32 v3, vcc_lo, 0, v17, vcc_lo
	v_cmp_gt_u32_e32 vcc_lo, 2, v1
	v_lshlrev_b32_e32 v3, 2, v3
	v_cndmask_b32_e64 v1, 0, 1, vcc_lo
	s_delay_alu instid0(VALU_DEP_1) | instskip(NEXT) | instid1(VALU_DEP_1)
	v_lshlrev_b32_e32 v1, 1, v1
	v_add_lshl_u32 v1, v1, v17, 2
	s_waitcnt lgkmcnt(0)
	ds_bpermute_b32 v3, v3, v2
	s_waitcnt lgkmcnt(0)
	v_add_nc_u32_e32 v2, v3, v2
	ds_bpermute_b32 v1, v1, v2
	s_waitcnt lgkmcnt(0)
	v_add_nc_u32_e32 v1, v1, v2
.LBB651_5:
	s_or_b32 exec_lo, exec_lo, s3
	s_branch .LBB651_44
.LBB651_6:
                                        ; implicit-def: $vgpr1
	s_cbranch_execz .LBB651_44
; %bb.7:
	s_sub_i32 s28, s18, s2
	s_mov_b32 s2, exec_lo
                                        ; implicit-def: $vgpr1_vgpr2_vgpr3_vgpr4_vgpr5_vgpr6_vgpr7_vgpr8_vgpr9_vgpr10_vgpr11_vgpr12_vgpr13_vgpr14_vgpr15_vgpr16
	v_cmpx_gt_u32_e64 s28, v0
	s_cbranch_execz .LBB651_9
; %bb.8:
	global_load_b32 v1, v18, s[16:17]
	s_waitcnt vmcnt(0)
	v_lshrrev_b32_e32 v2, 16, v1
	s_delay_alu instid0(VALU_DEP_1) | instskip(NEXT) | instid1(VALU_DEP_1)
	v_or_b32_e32 v1, v1, v2
	v_and_b32_e32 v1, 0x7fff, v1
	s_delay_alu instid0(VALU_DEP_1)
	v_cmp_ne_u16_e32 vcc_lo, 0, v1
	v_cndmask_b32_e64 v1, 0, 1, vcc_lo
.LBB651_9:
	s_or_b32 exec_lo, exec_lo, s2
	v_or_b32_e32 v19, 0x80, v0
	s_delay_alu instid0(VALU_DEP_1)
	v_cmp_gt_u32_e32 vcc_lo, s28, v19
	s_and_saveexec_b32 s3, vcc_lo
	s_cbranch_execz .LBB651_11
; %bb.10:
	global_load_b32 v2, v18, s[16:17] offset:512
	s_waitcnt vmcnt(0)
	v_lshrrev_b32_e32 v19, 16, v2
	s_delay_alu instid0(VALU_DEP_1) | instskip(NEXT) | instid1(VALU_DEP_1)
	v_or_b32_e32 v2, v2, v19
	v_and_b32_e32 v2, 0x7fff, v2
	s_delay_alu instid0(VALU_DEP_1) | instskip(NEXT) | instid1(VALU_DEP_1)
	v_cmp_ne_u16_e64 s2, 0, v2
	v_cndmask_b32_e64 v2, 0, 1, s2
.LBB651_11:
	s_or_b32 exec_lo, exec_lo, s3
	v_or_b32_e32 v19, 0x100, v0
	s_delay_alu instid0(VALU_DEP_1) | instskip(NEXT) | instid1(VALU_DEP_1)
	v_cmp_gt_u32_e64 s2, s28, v19
	s_and_saveexec_b32 s4, s2
	s_cbranch_execz .LBB651_13
; %bb.12:
	global_load_b32 v3, v18, s[16:17] offset:1024
	s_waitcnt vmcnt(0)
	v_lshrrev_b32_e32 v19, 16, v3
	s_delay_alu instid0(VALU_DEP_1) | instskip(NEXT) | instid1(VALU_DEP_1)
	v_or_b32_e32 v3, v3, v19
	v_and_b32_e32 v3, 0x7fff, v3
	s_delay_alu instid0(VALU_DEP_1) | instskip(NEXT) | instid1(VALU_DEP_1)
	v_cmp_ne_u16_e64 s3, 0, v3
	v_cndmask_b32_e64 v3, 0, 1, s3
.LBB651_13:
	s_or_b32 exec_lo, exec_lo, s4
	v_or_b32_e32 v19, 0x180, v0
	s_delay_alu instid0(VALU_DEP_1) | instskip(NEXT) | instid1(VALU_DEP_1)
	v_cmp_gt_u32_e64 s3, s28, v19
	s_and_saveexec_b32 s5, s3
	;; [unrolled: 17-line block ×7, first 2 shown]
	s_cbranch_execz .LBB651_25
; %bb.24:
	v_lshlrev_b32_e32 v9, 2, v18
	global_load_b32 v9, v9, s[16:17]
	s_waitcnt vmcnt(0)
	v_lshrrev_b32_e32 v18, 16, v9
	s_delay_alu instid0(VALU_DEP_1) | instskip(NEXT) | instid1(VALU_DEP_1)
	v_or_b32_e32 v9, v9, v18
	v_and_b32_e32 v9, 0x7fff, v9
	s_delay_alu instid0(VALU_DEP_1) | instskip(NEXT) | instid1(VALU_DEP_1)
	v_cmp_ne_u16_e64 s9, 0, v9
	v_cndmask_b32_e64 v9, 0, 1, s9
.LBB651_25:
	s_or_b32 exec_lo, exec_lo, s10
	v_or_b32_e32 v18, 0x480, v0
	s_delay_alu instid0(VALU_DEP_1) | instskip(NEXT) | instid1(VALU_DEP_1)
	v_cmp_gt_u32_e64 s9, s28, v18
	s_and_saveexec_b32 s11, s9
	s_cbranch_execz .LBB651_27
; %bb.26:
	v_lshlrev_b32_e32 v10, 2, v18
	global_load_b32 v10, v10, s[16:17]
	s_waitcnt vmcnt(0)
	v_lshrrev_b32_e32 v18, 16, v10
	s_delay_alu instid0(VALU_DEP_1) | instskip(NEXT) | instid1(VALU_DEP_1)
	v_or_b32_e32 v10, v10, v18
	v_and_b32_e32 v10, 0x7fff, v10
	s_delay_alu instid0(VALU_DEP_1) | instskip(NEXT) | instid1(VALU_DEP_1)
	v_cmp_ne_u16_e64 s10, 0, v10
	v_cndmask_b32_e64 v10, 0, 1, s10
.LBB651_27:
	s_or_b32 exec_lo, exec_lo, s11
	v_or_b32_e32 v18, 0x500, v0
	s_delay_alu instid0(VALU_DEP_1) | instskip(NEXT) | instid1(VALU_DEP_1)
	v_cmp_gt_u32_e64 s10, s28, v18
	s_and_saveexec_b32 s12, s10
	;; [unrolled: 18-line block ×7, first 2 shown]
	s_cbranch_execz .LBB651_39
; %bb.38:
	v_lshlrev_b32_e32 v16, 2, v18
	global_load_b32 v16, v16, s[16:17]
	s_waitcnt vmcnt(0)
	v_lshrrev_b32_e32 v18, 16, v16
	s_delay_alu instid0(VALU_DEP_1) | instskip(NEXT) | instid1(VALU_DEP_1)
	v_or_b32_e32 v16, v16, v18
	v_and_b32_e32 v16, 0x7fff, v16
	s_delay_alu instid0(VALU_DEP_1) | instskip(NEXT) | instid1(VALU_DEP_1)
	v_cmp_ne_u16_e64 s16, 0, v16
	v_cndmask_b32_e64 v16, 0, 1, s16
.LBB651_39:
	s_or_b32 exec_lo, exec_lo, s29
	v_cndmask_b32_e32 v2, 0, v2, vcc_lo
	v_cndmask_b32_e64 v3, 0, v3, s2
	v_cndmask_b32_e64 v4, 0, v4, s3
	v_cmp_ne_u32_e32 vcc_lo, 31, v17
	s_min_u32 s2, s28, 0x80
	v_add_nc_u32_e32 v1, v2, v1
	v_cndmask_b32_e64 v2, 0, v5, s4
	v_cndmask_b32_e64 v5, 0, v6, s5
	;; [unrolled: 1-line block ×3, first 2 shown]
	s_mov_b32 s3, exec_lo
	v_add3_u32 v1, v1, v3, v4
	v_cndmask_b32_e64 v3, 0, v7, s6
	v_cndmask_b32_e64 v4, 0, v8, s7
	s_delay_alu instid0(VALU_DEP_3) | instskip(SKIP_2) | instid1(VALU_DEP_3)
	v_add3_u32 v1, v1, v2, v5
	v_cndmask_b32_e64 v2, 0, v9, s8
	v_cndmask_b32_e64 v5, 0, v10, s9
	v_add3_u32 v1, v1, v3, v4
	v_cndmask_b32_e64 v3, 0, v11, s10
	v_cndmask_b32_e64 v4, 0, v12, s11
	s_delay_alu instid0(VALU_DEP_3) | instskip(SKIP_2) | instid1(VALU_DEP_3)
	v_add3_u32 v1, v1, v2, v5
	v_cndmask_b32_e64 v2, 0, v13, s12
	v_cndmask_b32_e64 v5, 0, v14, s13
	v_add3_u32 v1, v1, v3, v4
	v_cndmask_b32_e64 v3, 0, v16, s15
	v_add_co_ci_u32_e32 v4, vcc_lo, 0, v17, vcc_lo
	v_cmp_gt_u32_e32 vcc_lo, 30, v17
	s_delay_alu instid0(VALU_DEP_4) | instskip(NEXT) | instid1(VALU_DEP_3)
	v_add3_u32 v1, v1, v2, v5
	v_lshlrev_b32_e32 v2, 2, v4
	v_add_nc_u32_e32 v4, 1, v17
	v_cndmask_b32_e64 v5, 0, 1, vcc_lo
	s_delay_alu instid0(VALU_DEP_4) | instskip(SKIP_1) | instid1(VALU_DEP_3)
	v_add3_u32 v1, v1, v6, v3
	v_and_b32_e32 v3, 0x60, v0
	v_lshlrev_b32_e32 v5, 1, v5
	ds_bpermute_b32 v2, v2, v1
	v_sub_nc_u32_e64 v3, s2, v3 clamp
	s_delay_alu instid0(VALU_DEP_1) | instskip(SKIP_4) | instid1(VALU_DEP_2)
	v_cmp_lt_u32_e32 vcc_lo, v4, v3
	v_add_lshl_u32 v4, v5, v17, 2
	s_waitcnt lgkmcnt(0)
	v_dual_cndmask_b32 v2, 0, v2 :: v_dual_add_nc_u32 v5, 2, v17
	v_cmp_gt_u32_e32 vcc_lo, 28, v17
	v_add_nc_u32_e32 v1, v1, v2
	ds_bpermute_b32 v2, v4, v1
	v_cndmask_b32_e64 v4, 0, 1, vcc_lo
	v_cmp_lt_u32_e32 vcc_lo, v5, v3
	v_add_nc_u32_e32 v5, 4, v17
	s_delay_alu instid0(VALU_DEP_3) | instskip(NEXT) | instid1(VALU_DEP_1)
	v_lshlrev_b32_e32 v4, 2, v4
	v_add_lshl_u32 v4, v4, v17, 2
	s_waitcnt lgkmcnt(0)
	v_cndmask_b32_e32 v2, 0, v2, vcc_lo
	v_cmp_gt_u32_e32 vcc_lo, 24, v17
	s_delay_alu instid0(VALU_DEP_2) | instskip(SKIP_4) | instid1(VALU_DEP_3)
	v_add_nc_u32_e32 v1, v1, v2
	ds_bpermute_b32 v2, v4, v1
	v_cndmask_b32_e64 v4, 0, 1, vcc_lo
	v_cmp_lt_u32_e32 vcc_lo, v5, v3
	v_add_nc_u32_e32 v5, 8, v17
	v_lshlrev_b32_e32 v4, 3, v4
	s_delay_alu instid0(VALU_DEP_1) | instskip(SKIP_3) | instid1(VALU_DEP_2)
	v_add_lshl_u32 v4, v4, v17, 2
	s_waitcnt lgkmcnt(0)
	v_cndmask_b32_e32 v2, 0, v2, vcc_lo
	v_cmp_gt_u32_e32 vcc_lo, 16, v17
	v_add_nc_u32_e32 v1, v1, v2
	ds_bpermute_b32 v2, v4, v1
	v_cndmask_b32_e64 v4, 0, 1, vcc_lo
	v_cmp_lt_u32_e32 vcc_lo, v5, v3
	s_delay_alu instid0(VALU_DEP_2) | instskip(NEXT) | instid1(VALU_DEP_1)
	v_lshlrev_b32_e32 v4, 4, v4
	v_add_lshl_u32 v4, v4, v17, 2
	s_waitcnt lgkmcnt(0)
	v_cndmask_b32_e32 v2, 0, v2, vcc_lo
	s_delay_alu instid0(VALU_DEP_1) | instskip(SKIP_2) | instid1(VALU_DEP_1)
	v_add_nc_u32_e32 v1, v1, v2
	ds_bpermute_b32 v2, v4, v1
	v_add_nc_u32_e32 v4, 16, v17
	v_cmp_lt_u32_e32 vcc_lo, v4, v3
	s_waitcnt lgkmcnt(0)
	v_cndmask_b32_e32 v2, 0, v2, vcc_lo
	s_delay_alu instid0(VALU_DEP_1)
	v_add_nc_u32_e32 v1, v1, v2
	v_cmpx_eq_u32_e32 0, v17
	s_cbranch_execz .LBB651_41
; %bb.40:
	v_lshrrev_b32_e32 v2, 3, v0
	s_delay_alu instid0(VALU_DEP_1)
	v_and_b32_e32 v2, 12, v2
	ds_store_b32 v2, v1 offset:16
.LBB651_41:
	s_or_b32 exec_lo, exec_lo, s3
	s_delay_alu instid0(SALU_CYCLE_1)
	s_mov_b32 s3, exec_lo
	s_waitcnt lgkmcnt(0)
	s_barrier
	buffer_gl0_inv
	v_cmpx_gt_u32_e32 4, v0
	s_cbranch_execz .LBB651_43
; %bb.42:
	v_lshlrev_b32_e32 v1, 2, v17
	v_and_b32_e32 v2, 3, v17
	s_add_i32 s2, s2, 31
	s_delay_alu instid0(SALU_CYCLE_1)
	s_lshr_b32 s2, s2, 5
	ds_load_b32 v1, v1 offset:16
	v_cmp_ne_u32_e32 vcc_lo, 3, v2
	v_add_nc_u32_e32 v4, 1, v2
	v_add_co_ci_u32_e32 v3, vcc_lo, 0, v17, vcc_lo
	v_cmp_gt_u32_e32 vcc_lo, 2, v2
	s_delay_alu instid0(VALU_DEP_2) | instskip(SKIP_2) | instid1(VALU_DEP_2)
	v_lshlrev_b32_e32 v3, 2, v3
	v_cndmask_b32_e64 v5, 0, 1, vcc_lo
	v_cmp_gt_u32_e32 vcc_lo, s2, v4
	v_lshlrev_b32_e32 v4, 1, v5
	s_waitcnt lgkmcnt(0)
	ds_bpermute_b32 v3, v3, v1
	s_waitcnt lgkmcnt(0)
	v_dual_cndmask_b32 v3, 0, v3 :: v_dual_add_nc_u32 v2, 2, v2
	s_delay_alu instid0(VALU_DEP_1) | instskip(SKIP_1) | instid1(VALU_DEP_3)
	v_add_nc_u32_e32 v1, v3, v1
	v_add_lshl_u32 v3, v4, v17, 2
	v_cmp_gt_u32_e32 vcc_lo, s2, v2
	ds_bpermute_b32 v3, v3, v1
	s_waitcnt lgkmcnt(0)
	v_cndmask_b32_e32 v2, 0, v3, vcc_lo
	s_delay_alu instid0(VALU_DEP_1)
	v_add_nc_u32_e32 v1, v1, v2
.LBB651_43:
	s_or_b32 exec_lo, exec_lo, s3
.LBB651_44:
	s_load_b32 s0, s[0:1], 0x38
	s_mov_b32 s1, exec_lo
	v_cmpx_eq_u32_e32 0, v0
	s_cbranch_execz .LBB651_46
; %bb.45:
	s_mul_i32 s1, s26, s23
	s_mul_hi_u32 s2, s26, s22
	s_mul_i32 s3, s27, s22
	s_add_i32 s1, s2, s1
	s_mul_i32 s2, s26, s22
	s_add_i32 s3, s1, s3
	s_delay_alu instid0(SALU_CYCLE_1) | instskip(NEXT) | instid1(SALU_CYCLE_1)
	s_lshl_b64 s[2:3], s[2:3], 2
	s_add_u32 s2, s20, s2
	s_addc_u32 s3, s21, s3
	s_cmp_eq_u64 s[18:19], 0
	s_cselect_b32 s1, -1, 0
	s_waitcnt lgkmcnt(0)
	v_cndmask_b32_e64 v0, v1, s0, s1
	s_lshl_b64 s[0:1], s[24:25], 2
	v_mov_b32_e32 v1, 0
	s_add_u32 s0, s2, s0
	s_addc_u32 s1, s3, s1
	global_store_b32 v1, v0, s[0:1]
.LBB651_46:
	s_nop 0
	s_sendmsg sendmsg(MSG_DEALLOC_VGPRS)
	s_endpgm
	.section	.rodata,"a",@progbits
	.p2align	6, 0x0
	.amdhsa_kernel _ZN7rocprim17ROCPRIM_400000_NS6detail17trampoline_kernelINS0_14default_configENS1_22reduce_config_selectorIbEEZNS1_11reduce_implILb1ES3_N6hipcub16HIPCUB_304000_NS22TransformInputIteratorIbN2at6native12_GLOBAL__N_19NonZeroOpIN3c107complexINSE_4HalfEEEEEPKSH_lEEPiiNS8_6detail34convert_binary_result_type_wrapperINS8_3SumESL_iEEEE10hipError_tPvRmT1_T2_T3_mT4_P12ihipStream_tbEUlT_E0_NS1_11comp_targetILNS1_3genE9ELNS1_11target_archE1100ELNS1_3gpuE3ELNS1_3repE0EEENS1_30default_config_static_selectorELNS0_4arch9wavefront6targetE0EEEvSU_
		.amdhsa_group_segment_fixed_size 32
		.amdhsa_private_segment_fixed_size 0
		.amdhsa_kernarg_size 64
		.amdhsa_user_sgpr_count 15
		.amdhsa_user_sgpr_dispatch_ptr 0
		.amdhsa_user_sgpr_queue_ptr 0
		.amdhsa_user_sgpr_kernarg_segment_ptr 1
		.amdhsa_user_sgpr_dispatch_id 0
		.amdhsa_user_sgpr_private_segment_size 0
		.amdhsa_wavefront_size32 1
		.amdhsa_uses_dynamic_stack 0
		.amdhsa_enable_private_segment 0
		.amdhsa_system_sgpr_workgroup_id_x 1
		.amdhsa_system_sgpr_workgroup_id_y 0
		.amdhsa_system_sgpr_workgroup_id_z 0
		.amdhsa_system_sgpr_workgroup_info 0
		.amdhsa_system_vgpr_workitem_id 0
		.amdhsa_next_free_vgpr 27
		.amdhsa_next_free_sgpr 30
		.amdhsa_reserve_vcc 1
		.amdhsa_float_round_mode_32 0
		.amdhsa_float_round_mode_16_64 0
		.amdhsa_float_denorm_mode_32 3
		.amdhsa_float_denorm_mode_16_64 3
		.amdhsa_dx10_clamp 1
		.amdhsa_ieee_mode 1
		.amdhsa_fp16_overflow 0
		.amdhsa_workgroup_processor_mode 1
		.amdhsa_memory_ordered 1
		.amdhsa_forward_progress 0
		.amdhsa_shared_vgpr_count 0
		.amdhsa_exception_fp_ieee_invalid_op 0
		.amdhsa_exception_fp_denorm_src 0
		.amdhsa_exception_fp_ieee_div_zero 0
		.amdhsa_exception_fp_ieee_overflow 0
		.amdhsa_exception_fp_ieee_underflow 0
		.amdhsa_exception_fp_ieee_inexact 0
		.amdhsa_exception_int_div_zero 0
	.end_amdhsa_kernel
	.section	.text._ZN7rocprim17ROCPRIM_400000_NS6detail17trampoline_kernelINS0_14default_configENS1_22reduce_config_selectorIbEEZNS1_11reduce_implILb1ES3_N6hipcub16HIPCUB_304000_NS22TransformInputIteratorIbN2at6native12_GLOBAL__N_19NonZeroOpIN3c107complexINSE_4HalfEEEEEPKSH_lEEPiiNS8_6detail34convert_binary_result_type_wrapperINS8_3SumESL_iEEEE10hipError_tPvRmT1_T2_T3_mT4_P12ihipStream_tbEUlT_E0_NS1_11comp_targetILNS1_3genE9ELNS1_11target_archE1100ELNS1_3gpuE3ELNS1_3repE0EEENS1_30default_config_static_selectorELNS0_4arch9wavefront6targetE0EEEvSU_,"axG",@progbits,_ZN7rocprim17ROCPRIM_400000_NS6detail17trampoline_kernelINS0_14default_configENS1_22reduce_config_selectorIbEEZNS1_11reduce_implILb1ES3_N6hipcub16HIPCUB_304000_NS22TransformInputIteratorIbN2at6native12_GLOBAL__N_19NonZeroOpIN3c107complexINSE_4HalfEEEEEPKSH_lEEPiiNS8_6detail34convert_binary_result_type_wrapperINS8_3SumESL_iEEEE10hipError_tPvRmT1_T2_T3_mT4_P12ihipStream_tbEUlT_E0_NS1_11comp_targetILNS1_3genE9ELNS1_11target_archE1100ELNS1_3gpuE3ELNS1_3repE0EEENS1_30default_config_static_selectorELNS0_4arch9wavefront6targetE0EEEvSU_,comdat
.Lfunc_end651:
	.size	_ZN7rocprim17ROCPRIM_400000_NS6detail17trampoline_kernelINS0_14default_configENS1_22reduce_config_selectorIbEEZNS1_11reduce_implILb1ES3_N6hipcub16HIPCUB_304000_NS22TransformInputIteratorIbN2at6native12_GLOBAL__N_19NonZeroOpIN3c107complexINSE_4HalfEEEEEPKSH_lEEPiiNS8_6detail34convert_binary_result_type_wrapperINS8_3SumESL_iEEEE10hipError_tPvRmT1_T2_T3_mT4_P12ihipStream_tbEUlT_E0_NS1_11comp_targetILNS1_3genE9ELNS1_11target_archE1100ELNS1_3gpuE3ELNS1_3repE0EEENS1_30default_config_static_selectorELNS0_4arch9wavefront6targetE0EEEvSU_, .Lfunc_end651-_ZN7rocprim17ROCPRIM_400000_NS6detail17trampoline_kernelINS0_14default_configENS1_22reduce_config_selectorIbEEZNS1_11reduce_implILb1ES3_N6hipcub16HIPCUB_304000_NS22TransformInputIteratorIbN2at6native12_GLOBAL__N_19NonZeroOpIN3c107complexINSE_4HalfEEEEEPKSH_lEEPiiNS8_6detail34convert_binary_result_type_wrapperINS8_3SumESL_iEEEE10hipError_tPvRmT1_T2_T3_mT4_P12ihipStream_tbEUlT_E0_NS1_11comp_targetILNS1_3genE9ELNS1_11target_archE1100ELNS1_3gpuE3ELNS1_3repE0EEENS1_30default_config_static_selectorELNS0_4arch9wavefront6targetE0EEEvSU_
                                        ; -- End function
	.section	.AMDGPU.csdata,"",@progbits
; Kernel info:
; codeLenInByte = 3216
; NumSgprs: 32
; NumVgprs: 27
; ScratchSize: 0
; MemoryBound: 0
; FloatMode: 240
; IeeeMode: 1
; LDSByteSize: 32 bytes/workgroup (compile time only)
; SGPRBlocks: 3
; VGPRBlocks: 3
; NumSGPRsForWavesPerEU: 32
; NumVGPRsForWavesPerEU: 27
; Occupancy: 16
; WaveLimiterHint : 1
; COMPUTE_PGM_RSRC2:SCRATCH_EN: 0
; COMPUTE_PGM_RSRC2:USER_SGPR: 15
; COMPUTE_PGM_RSRC2:TRAP_HANDLER: 0
; COMPUTE_PGM_RSRC2:TGID_X_EN: 1
; COMPUTE_PGM_RSRC2:TGID_Y_EN: 0
; COMPUTE_PGM_RSRC2:TGID_Z_EN: 0
; COMPUTE_PGM_RSRC2:TIDIG_COMP_CNT: 0
	.section	.text._ZN7rocprim17ROCPRIM_400000_NS6detail17trampoline_kernelINS0_14default_configENS1_22reduce_config_selectorIbEEZNS1_11reduce_implILb1ES3_N6hipcub16HIPCUB_304000_NS22TransformInputIteratorIbN2at6native12_GLOBAL__N_19NonZeroOpIN3c107complexINSE_4HalfEEEEEPKSH_lEEPiiNS8_6detail34convert_binary_result_type_wrapperINS8_3SumESL_iEEEE10hipError_tPvRmT1_T2_T3_mT4_P12ihipStream_tbEUlT_E0_NS1_11comp_targetILNS1_3genE8ELNS1_11target_archE1030ELNS1_3gpuE2ELNS1_3repE0EEENS1_30default_config_static_selectorELNS0_4arch9wavefront6targetE0EEEvSU_,"axG",@progbits,_ZN7rocprim17ROCPRIM_400000_NS6detail17trampoline_kernelINS0_14default_configENS1_22reduce_config_selectorIbEEZNS1_11reduce_implILb1ES3_N6hipcub16HIPCUB_304000_NS22TransformInputIteratorIbN2at6native12_GLOBAL__N_19NonZeroOpIN3c107complexINSE_4HalfEEEEEPKSH_lEEPiiNS8_6detail34convert_binary_result_type_wrapperINS8_3SumESL_iEEEE10hipError_tPvRmT1_T2_T3_mT4_P12ihipStream_tbEUlT_E0_NS1_11comp_targetILNS1_3genE8ELNS1_11target_archE1030ELNS1_3gpuE2ELNS1_3repE0EEENS1_30default_config_static_selectorELNS0_4arch9wavefront6targetE0EEEvSU_,comdat
	.globl	_ZN7rocprim17ROCPRIM_400000_NS6detail17trampoline_kernelINS0_14default_configENS1_22reduce_config_selectorIbEEZNS1_11reduce_implILb1ES3_N6hipcub16HIPCUB_304000_NS22TransformInputIteratorIbN2at6native12_GLOBAL__N_19NonZeroOpIN3c107complexINSE_4HalfEEEEEPKSH_lEEPiiNS8_6detail34convert_binary_result_type_wrapperINS8_3SumESL_iEEEE10hipError_tPvRmT1_T2_T3_mT4_P12ihipStream_tbEUlT_E0_NS1_11comp_targetILNS1_3genE8ELNS1_11target_archE1030ELNS1_3gpuE2ELNS1_3repE0EEENS1_30default_config_static_selectorELNS0_4arch9wavefront6targetE0EEEvSU_ ; -- Begin function _ZN7rocprim17ROCPRIM_400000_NS6detail17trampoline_kernelINS0_14default_configENS1_22reduce_config_selectorIbEEZNS1_11reduce_implILb1ES3_N6hipcub16HIPCUB_304000_NS22TransformInputIteratorIbN2at6native12_GLOBAL__N_19NonZeroOpIN3c107complexINSE_4HalfEEEEEPKSH_lEEPiiNS8_6detail34convert_binary_result_type_wrapperINS8_3SumESL_iEEEE10hipError_tPvRmT1_T2_T3_mT4_P12ihipStream_tbEUlT_E0_NS1_11comp_targetILNS1_3genE8ELNS1_11target_archE1030ELNS1_3gpuE2ELNS1_3repE0EEENS1_30default_config_static_selectorELNS0_4arch9wavefront6targetE0EEEvSU_
	.p2align	8
	.type	_ZN7rocprim17ROCPRIM_400000_NS6detail17trampoline_kernelINS0_14default_configENS1_22reduce_config_selectorIbEEZNS1_11reduce_implILb1ES3_N6hipcub16HIPCUB_304000_NS22TransformInputIteratorIbN2at6native12_GLOBAL__N_19NonZeroOpIN3c107complexINSE_4HalfEEEEEPKSH_lEEPiiNS8_6detail34convert_binary_result_type_wrapperINS8_3SumESL_iEEEE10hipError_tPvRmT1_T2_T3_mT4_P12ihipStream_tbEUlT_E0_NS1_11comp_targetILNS1_3genE8ELNS1_11target_archE1030ELNS1_3gpuE2ELNS1_3repE0EEENS1_30default_config_static_selectorELNS0_4arch9wavefront6targetE0EEEvSU_,@function
_ZN7rocprim17ROCPRIM_400000_NS6detail17trampoline_kernelINS0_14default_configENS1_22reduce_config_selectorIbEEZNS1_11reduce_implILb1ES3_N6hipcub16HIPCUB_304000_NS22TransformInputIteratorIbN2at6native12_GLOBAL__N_19NonZeroOpIN3c107complexINSE_4HalfEEEEEPKSH_lEEPiiNS8_6detail34convert_binary_result_type_wrapperINS8_3SumESL_iEEEE10hipError_tPvRmT1_T2_T3_mT4_P12ihipStream_tbEUlT_E0_NS1_11comp_targetILNS1_3genE8ELNS1_11target_archE1030ELNS1_3gpuE2ELNS1_3repE0EEENS1_30default_config_static_selectorELNS0_4arch9wavefront6targetE0EEEvSU_: ; @_ZN7rocprim17ROCPRIM_400000_NS6detail17trampoline_kernelINS0_14default_configENS1_22reduce_config_selectorIbEEZNS1_11reduce_implILb1ES3_N6hipcub16HIPCUB_304000_NS22TransformInputIteratorIbN2at6native12_GLOBAL__N_19NonZeroOpIN3c107complexINSE_4HalfEEEEEPKSH_lEEPiiNS8_6detail34convert_binary_result_type_wrapperINS8_3SumESL_iEEEE10hipError_tPvRmT1_T2_T3_mT4_P12ihipStream_tbEUlT_E0_NS1_11comp_targetILNS1_3genE8ELNS1_11target_archE1030ELNS1_3gpuE2ELNS1_3repE0EEENS1_30default_config_static_selectorELNS0_4arch9wavefront6targetE0EEEvSU_
; %bb.0:
	.section	.rodata,"a",@progbits
	.p2align	6, 0x0
	.amdhsa_kernel _ZN7rocprim17ROCPRIM_400000_NS6detail17trampoline_kernelINS0_14default_configENS1_22reduce_config_selectorIbEEZNS1_11reduce_implILb1ES3_N6hipcub16HIPCUB_304000_NS22TransformInputIteratorIbN2at6native12_GLOBAL__N_19NonZeroOpIN3c107complexINSE_4HalfEEEEEPKSH_lEEPiiNS8_6detail34convert_binary_result_type_wrapperINS8_3SumESL_iEEEE10hipError_tPvRmT1_T2_T3_mT4_P12ihipStream_tbEUlT_E0_NS1_11comp_targetILNS1_3genE8ELNS1_11target_archE1030ELNS1_3gpuE2ELNS1_3repE0EEENS1_30default_config_static_selectorELNS0_4arch9wavefront6targetE0EEEvSU_
		.amdhsa_group_segment_fixed_size 0
		.amdhsa_private_segment_fixed_size 0
		.amdhsa_kernarg_size 64
		.amdhsa_user_sgpr_count 15
		.amdhsa_user_sgpr_dispatch_ptr 0
		.amdhsa_user_sgpr_queue_ptr 0
		.amdhsa_user_sgpr_kernarg_segment_ptr 1
		.amdhsa_user_sgpr_dispatch_id 0
		.amdhsa_user_sgpr_private_segment_size 0
		.amdhsa_wavefront_size32 1
		.amdhsa_uses_dynamic_stack 0
		.amdhsa_enable_private_segment 0
		.amdhsa_system_sgpr_workgroup_id_x 1
		.amdhsa_system_sgpr_workgroup_id_y 0
		.amdhsa_system_sgpr_workgroup_id_z 0
		.amdhsa_system_sgpr_workgroup_info 0
		.amdhsa_system_vgpr_workitem_id 0
		.amdhsa_next_free_vgpr 1
		.amdhsa_next_free_sgpr 1
		.amdhsa_reserve_vcc 0
		.amdhsa_float_round_mode_32 0
		.amdhsa_float_round_mode_16_64 0
		.amdhsa_float_denorm_mode_32 3
		.amdhsa_float_denorm_mode_16_64 3
		.amdhsa_dx10_clamp 1
		.amdhsa_ieee_mode 1
		.amdhsa_fp16_overflow 0
		.amdhsa_workgroup_processor_mode 1
		.amdhsa_memory_ordered 1
		.amdhsa_forward_progress 0
		.amdhsa_shared_vgpr_count 0
		.amdhsa_exception_fp_ieee_invalid_op 0
		.amdhsa_exception_fp_denorm_src 0
		.amdhsa_exception_fp_ieee_div_zero 0
		.amdhsa_exception_fp_ieee_overflow 0
		.amdhsa_exception_fp_ieee_underflow 0
		.amdhsa_exception_fp_ieee_inexact 0
		.amdhsa_exception_int_div_zero 0
	.end_amdhsa_kernel
	.section	.text._ZN7rocprim17ROCPRIM_400000_NS6detail17trampoline_kernelINS0_14default_configENS1_22reduce_config_selectorIbEEZNS1_11reduce_implILb1ES3_N6hipcub16HIPCUB_304000_NS22TransformInputIteratorIbN2at6native12_GLOBAL__N_19NonZeroOpIN3c107complexINSE_4HalfEEEEEPKSH_lEEPiiNS8_6detail34convert_binary_result_type_wrapperINS8_3SumESL_iEEEE10hipError_tPvRmT1_T2_T3_mT4_P12ihipStream_tbEUlT_E0_NS1_11comp_targetILNS1_3genE8ELNS1_11target_archE1030ELNS1_3gpuE2ELNS1_3repE0EEENS1_30default_config_static_selectorELNS0_4arch9wavefront6targetE0EEEvSU_,"axG",@progbits,_ZN7rocprim17ROCPRIM_400000_NS6detail17trampoline_kernelINS0_14default_configENS1_22reduce_config_selectorIbEEZNS1_11reduce_implILb1ES3_N6hipcub16HIPCUB_304000_NS22TransformInputIteratorIbN2at6native12_GLOBAL__N_19NonZeroOpIN3c107complexINSE_4HalfEEEEEPKSH_lEEPiiNS8_6detail34convert_binary_result_type_wrapperINS8_3SumESL_iEEEE10hipError_tPvRmT1_T2_T3_mT4_P12ihipStream_tbEUlT_E0_NS1_11comp_targetILNS1_3genE8ELNS1_11target_archE1030ELNS1_3gpuE2ELNS1_3repE0EEENS1_30default_config_static_selectorELNS0_4arch9wavefront6targetE0EEEvSU_,comdat
.Lfunc_end652:
	.size	_ZN7rocprim17ROCPRIM_400000_NS6detail17trampoline_kernelINS0_14default_configENS1_22reduce_config_selectorIbEEZNS1_11reduce_implILb1ES3_N6hipcub16HIPCUB_304000_NS22TransformInputIteratorIbN2at6native12_GLOBAL__N_19NonZeroOpIN3c107complexINSE_4HalfEEEEEPKSH_lEEPiiNS8_6detail34convert_binary_result_type_wrapperINS8_3SumESL_iEEEE10hipError_tPvRmT1_T2_T3_mT4_P12ihipStream_tbEUlT_E0_NS1_11comp_targetILNS1_3genE8ELNS1_11target_archE1030ELNS1_3gpuE2ELNS1_3repE0EEENS1_30default_config_static_selectorELNS0_4arch9wavefront6targetE0EEEvSU_, .Lfunc_end652-_ZN7rocprim17ROCPRIM_400000_NS6detail17trampoline_kernelINS0_14default_configENS1_22reduce_config_selectorIbEEZNS1_11reduce_implILb1ES3_N6hipcub16HIPCUB_304000_NS22TransformInputIteratorIbN2at6native12_GLOBAL__N_19NonZeroOpIN3c107complexINSE_4HalfEEEEEPKSH_lEEPiiNS8_6detail34convert_binary_result_type_wrapperINS8_3SumESL_iEEEE10hipError_tPvRmT1_T2_T3_mT4_P12ihipStream_tbEUlT_E0_NS1_11comp_targetILNS1_3genE8ELNS1_11target_archE1030ELNS1_3gpuE2ELNS1_3repE0EEENS1_30default_config_static_selectorELNS0_4arch9wavefront6targetE0EEEvSU_
                                        ; -- End function
	.section	.AMDGPU.csdata,"",@progbits
; Kernel info:
; codeLenInByte = 0
; NumSgprs: 0
; NumVgprs: 0
; ScratchSize: 0
; MemoryBound: 0
; FloatMode: 240
; IeeeMode: 1
; LDSByteSize: 0 bytes/workgroup (compile time only)
; SGPRBlocks: 0
; VGPRBlocks: 0
; NumSGPRsForWavesPerEU: 1
; NumVGPRsForWavesPerEU: 1
; Occupancy: 16
; WaveLimiterHint : 0
; COMPUTE_PGM_RSRC2:SCRATCH_EN: 0
; COMPUTE_PGM_RSRC2:USER_SGPR: 15
; COMPUTE_PGM_RSRC2:TRAP_HANDLER: 0
; COMPUTE_PGM_RSRC2:TGID_X_EN: 1
; COMPUTE_PGM_RSRC2:TGID_Y_EN: 0
; COMPUTE_PGM_RSRC2:TGID_Z_EN: 0
; COMPUTE_PGM_RSRC2:TIDIG_COMP_CNT: 0
	.section	.text._ZN7rocprim17ROCPRIM_400000_NS6detail17trampoline_kernelINS0_14default_configENS1_22reduce_config_selectorIbEEZNS1_11reduce_implILb1ES3_N6hipcub16HIPCUB_304000_NS22TransformInputIteratorIbN2at6native12_GLOBAL__N_19NonZeroOpIN3c107complexINSE_4HalfEEEEEPKSH_lEEPiiNS8_6detail34convert_binary_result_type_wrapperINS8_3SumESL_iEEEE10hipError_tPvRmT1_T2_T3_mT4_P12ihipStream_tbEUlT_E1_NS1_11comp_targetILNS1_3genE0ELNS1_11target_archE4294967295ELNS1_3gpuE0ELNS1_3repE0EEENS1_30default_config_static_selectorELNS0_4arch9wavefront6targetE0EEEvSU_,"axG",@progbits,_ZN7rocprim17ROCPRIM_400000_NS6detail17trampoline_kernelINS0_14default_configENS1_22reduce_config_selectorIbEEZNS1_11reduce_implILb1ES3_N6hipcub16HIPCUB_304000_NS22TransformInputIteratorIbN2at6native12_GLOBAL__N_19NonZeroOpIN3c107complexINSE_4HalfEEEEEPKSH_lEEPiiNS8_6detail34convert_binary_result_type_wrapperINS8_3SumESL_iEEEE10hipError_tPvRmT1_T2_T3_mT4_P12ihipStream_tbEUlT_E1_NS1_11comp_targetILNS1_3genE0ELNS1_11target_archE4294967295ELNS1_3gpuE0ELNS1_3repE0EEENS1_30default_config_static_selectorELNS0_4arch9wavefront6targetE0EEEvSU_,comdat
	.globl	_ZN7rocprim17ROCPRIM_400000_NS6detail17trampoline_kernelINS0_14default_configENS1_22reduce_config_selectorIbEEZNS1_11reduce_implILb1ES3_N6hipcub16HIPCUB_304000_NS22TransformInputIteratorIbN2at6native12_GLOBAL__N_19NonZeroOpIN3c107complexINSE_4HalfEEEEEPKSH_lEEPiiNS8_6detail34convert_binary_result_type_wrapperINS8_3SumESL_iEEEE10hipError_tPvRmT1_T2_T3_mT4_P12ihipStream_tbEUlT_E1_NS1_11comp_targetILNS1_3genE0ELNS1_11target_archE4294967295ELNS1_3gpuE0ELNS1_3repE0EEENS1_30default_config_static_selectorELNS0_4arch9wavefront6targetE0EEEvSU_ ; -- Begin function _ZN7rocprim17ROCPRIM_400000_NS6detail17trampoline_kernelINS0_14default_configENS1_22reduce_config_selectorIbEEZNS1_11reduce_implILb1ES3_N6hipcub16HIPCUB_304000_NS22TransformInputIteratorIbN2at6native12_GLOBAL__N_19NonZeroOpIN3c107complexINSE_4HalfEEEEEPKSH_lEEPiiNS8_6detail34convert_binary_result_type_wrapperINS8_3SumESL_iEEEE10hipError_tPvRmT1_T2_T3_mT4_P12ihipStream_tbEUlT_E1_NS1_11comp_targetILNS1_3genE0ELNS1_11target_archE4294967295ELNS1_3gpuE0ELNS1_3repE0EEENS1_30default_config_static_selectorELNS0_4arch9wavefront6targetE0EEEvSU_
	.p2align	8
	.type	_ZN7rocprim17ROCPRIM_400000_NS6detail17trampoline_kernelINS0_14default_configENS1_22reduce_config_selectorIbEEZNS1_11reduce_implILb1ES3_N6hipcub16HIPCUB_304000_NS22TransformInputIteratorIbN2at6native12_GLOBAL__N_19NonZeroOpIN3c107complexINSE_4HalfEEEEEPKSH_lEEPiiNS8_6detail34convert_binary_result_type_wrapperINS8_3SumESL_iEEEE10hipError_tPvRmT1_T2_T3_mT4_P12ihipStream_tbEUlT_E1_NS1_11comp_targetILNS1_3genE0ELNS1_11target_archE4294967295ELNS1_3gpuE0ELNS1_3repE0EEENS1_30default_config_static_selectorELNS0_4arch9wavefront6targetE0EEEvSU_,@function
_ZN7rocprim17ROCPRIM_400000_NS6detail17trampoline_kernelINS0_14default_configENS1_22reduce_config_selectorIbEEZNS1_11reduce_implILb1ES3_N6hipcub16HIPCUB_304000_NS22TransformInputIteratorIbN2at6native12_GLOBAL__N_19NonZeroOpIN3c107complexINSE_4HalfEEEEEPKSH_lEEPiiNS8_6detail34convert_binary_result_type_wrapperINS8_3SumESL_iEEEE10hipError_tPvRmT1_T2_T3_mT4_P12ihipStream_tbEUlT_E1_NS1_11comp_targetILNS1_3genE0ELNS1_11target_archE4294967295ELNS1_3gpuE0ELNS1_3repE0EEENS1_30default_config_static_selectorELNS0_4arch9wavefront6targetE0EEEvSU_: ; @_ZN7rocprim17ROCPRIM_400000_NS6detail17trampoline_kernelINS0_14default_configENS1_22reduce_config_selectorIbEEZNS1_11reduce_implILb1ES3_N6hipcub16HIPCUB_304000_NS22TransformInputIteratorIbN2at6native12_GLOBAL__N_19NonZeroOpIN3c107complexINSE_4HalfEEEEEPKSH_lEEPiiNS8_6detail34convert_binary_result_type_wrapperINS8_3SumESL_iEEEE10hipError_tPvRmT1_T2_T3_mT4_P12ihipStream_tbEUlT_E1_NS1_11comp_targetILNS1_3genE0ELNS1_11target_archE4294967295ELNS1_3gpuE0ELNS1_3repE0EEENS1_30default_config_static_selectorELNS0_4arch9wavefront6targetE0EEEvSU_
; %bb.0:
	.section	.rodata,"a",@progbits
	.p2align	6, 0x0
	.amdhsa_kernel _ZN7rocprim17ROCPRIM_400000_NS6detail17trampoline_kernelINS0_14default_configENS1_22reduce_config_selectorIbEEZNS1_11reduce_implILb1ES3_N6hipcub16HIPCUB_304000_NS22TransformInputIteratorIbN2at6native12_GLOBAL__N_19NonZeroOpIN3c107complexINSE_4HalfEEEEEPKSH_lEEPiiNS8_6detail34convert_binary_result_type_wrapperINS8_3SumESL_iEEEE10hipError_tPvRmT1_T2_T3_mT4_P12ihipStream_tbEUlT_E1_NS1_11comp_targetILNS1_3genE0ELNS1_11target_archE4294967295ELNS1_3gpuE0ELNS1_3repE0EEENS1_30default_config_static_selectorELNS0_4arch9wavefront6targetE0EEEvSU_
		.amdhsa_group_segment_fixed_size 0
		.amdhsa_private_segment_fixed_size 0
		.amdhsa_kernarg_size 48
		.amdhsa_user_sgpr_count 15
		.amdhsa_user_sgpr_dispatch_ptr 0
		.amdhsa_user_sgpr_queue_ptr 0
		.amdhsa_user_sgpr_kernarg_segment_ptr 1
		.amdhsa_user_sgpr_dispatch_id 0
		.amdhsa_user_sgpr_private_segment_size 0
		.amdhsa_wavefront_size32 1
		.amdhsa_uses_dynamic_stack 0
		.amdhsa_enable_private_segment 0
		.amdhsa_system_sgpr_workgroup_id_x 1
		.amdhsa_system_sgpr_workgroup_id_y 0
		.amdhsa_system_sgpr_workgroup_id_z 0
		.amdhsa_system_sgpr_workgroup_info 0
		.amdhsa_system_vgpr_workitem_id 0
		.amdhsa_next_free_vgpr 1
		.amdhsa_next_free_sgpr 1
		.amdhsa_reserve_vcc 0
		.amdhsa_float_round_mode_32 0
		.amdhsa_float_round_mode_16_64 0
		.amdhsa_float_denorm_mode_32 3
		.amdhsa_float_denorm_mode_16_64 3
		.amdhsa_dx10_clamp 1
		.amdhsa_ieee_mode 1
		.amdhsa_fp16_overflow 0
		.amdhsa_workgroup_processor_mode 1
		.amdhsa_memory_ordered 1
		.amdhsa_forward_progress 0
		.amdhsa_shared_vgpr_count 0
		.amdhsa_exception_fp_ieee_invalid_op 0
		.amdhsa_exception_fp_denorm_src 0
		.amdhsa_exception_fp_ieee_div_zero 0
		.amdhsa_exception_fp_ieee_overflow 0
		.amdhsa_exception_fp_ieee_underflow 0
		.amdhsa_exception_fp_ieee_inexact 0
		.amdhsa_exception_int_div_zero 0
	.end_amdhsa_kernel
	.section	.text._ZN7rocprim17ROCPRIM_400000_NS6detail17trampoline_kernelINS0_14default_configENS1_22reduce_config_selectorIbEEZNS1_11reduce_implILb1ES3_N6hipcub16HIPCUB_304000_NS22TransformInputIteratorIbN2at6native12_GLOBAL__N_19NonZeroOpIN3c107complexINSE_4HalfEEEEEPKSH_lEEPiiNS8_6detail34convert_binary_result_type_wrapperINS8_3SumESL_iEEEE10hipError_tPvRmT1_T2_T3_mT4_P12ihipStream_tbEUlT_E1_NS1_11comp_targetILNS1_3genE0ELNS1_11target_archE4294967295ELNS1_3gpuE0ELNS1_3repE0EEENS1_30default_config_static_selectorELNS0_4arch9wavefront6targetE0EEEvSU_,"axG",@progbits,_ZN7rocprim17ROCPRIM_400000_NS6detail17trampoline_kernelINS0_14default_configENS1_22reduce_config_selectorIbEEZNS1_11reduce_implILb1ES3_N6hipcub16HIPCUB_304000_NS22TransformInputIteratorIbN2at6native12_GLOBAL__N_19NonZeroOpIN3c107complexINSE_4HalfEEEEEPKSH_lEEPiiNS8_6detail34convert_binary_result_type_wrapperINS8_3SumESL_iEEEE10hipError_tPvRmT1_T2_T3_mT4_P12ihipStream_tbEUlT_E1_NS1_11comp_targetILNS1_3genE0ELNS1_11target_archE4294967295ELNS1_3gpuE0ELNS1_3repE0EEENS1_30default_config_static_selectorELNS0_4arch9wavefront6targetE0EEEvSU_,comdat
.Lfunc_end653:
	.size	_ZN7rocprim17ROCPRIM_400000_NS6detail17trampoline_kernelINS0_14default_configENS1_22reduce_config_selectorIbEEZNS1_11reduce_implILb1ES3_N6hipcub16HIPCUB_304000_NS22TransformInputIteratorIbN2at6native12_GLOBAL__N_19NonZeroOpIN3c107complexINSE_4HalfEEEEEPKSH_lEEPiiNS8_6detail34convert_binary_result_type_wrapperINS8_3SumESL_iEEEE10hipError_tPvRmT1_T2_T3_mT4_P12ihipStream_tbEUlT_E1_NS1_11comp_targetILNS1_3genE0ELNS1_11target_archE4294967295ELNS1_3gpuE0ELNS1_3repE0EEENS1_30default_config_static_selectorELNS0_4arch9wavefront6targetE0EEEvSU_, .Lfunc_end653-_ZN7rocprim17ROCPRIM_400000_NS6detail17trampoline_kernelINS0_14default_configENS1_22reduce_config_selectorIbEEZNS1_11reduce_implILb1ES3_N6hipcub16HIPCUB_304000_NS22TransformInputIteratorIbN2at6native12_GLOBAL__N_19NonZeroOpIN3c107complexINSE_4HalfEEEEEPKSH_lEEPiiNS8_6detail34convert_binary_result_type_wrapperINS8_3SumESL_iEEEE10hipError_tPvRmT1_T2_T3_mT4_P12ihipStream_tbEUlT_E1_NS1_11comp_targetILNS1_3genE0ELNS1_11target_archE4294967295ELNS1_3gpuE0ELNS1_3repE0EEENS1_30default_config_static_selectorELNS0_4arch9wavefront6targetE0EEEvSU_
                                        ; -- End function
	.section	.AMDGPU.csdata,"",@progbits
; Kernel info:
; codeLenInByte = 0
; NumSgprs: 0
; NumVgprs: 0
; ScratchSize: 0
; MemoryBound: 0
; FloatMode: 240
; IeeeMode: 1
; LDSByteSize: 0 bytes/workgroup (compile time only)
; SGPRBlocks: 0
; VGPRBlocks: 0
; NumSGPRsForWavesPerEU: 1
; NumVGPRsForWavesPerEU: 1
; Occupancy: 16
; WaveLimiterHint : 0
; COMPUTE_PGM_RSRC2:SCRATCH_EN: 0
; COMPUTE_PGM_RSRC2:USER_SGPR: 15
; COMPUTE_PGM_RSRC2:TRAP_HANDLER: 0
; COMPUTE_PGM_RSRC2:TGID_X_EN: 1
; COMPUTE_PGM_RSRC2:TGID_Y_EN: 0
; COMPUTE_PGM_RSRC2:TGID_Z_EN: 0
; COMPUTE_PGM_RSRC2:TIDIG_COMP_CNT: 0
	.section	.text._ZN7rocprim17ROCPRIM_400000_NS6detail17trampoline_kernelINS0_14default_configENS1_22reduce_config_selectorIbEEZNS1_11reduce_implILb1ES3_N6hipcub16HIPCUB_304000_NS22TransformInputIteratorIbN2at6native12_GLOBAL__N_19NonZeroOpIN3c107complexINSE_4HalfEEEEEPKSH_lEEPiiNS8_6detail34convert_binary_result_type_wrapperINS8_3SumESL_iEEEE10hipError_tPvRmT1_T2_T3_mT4_P12ihipStream_tbEUlT_E1_NS1_11comp_targetILNS1_3genE5ELNS1_11target_archE942ELNS1_3gpuE9ELNS1_3repE0EEENS1_30default_config_static_selectorELNS0_4arch9wavefront6targetE0EEEvSU_,"axG",@progbits,_ZN7rocprim17ROCPRIM_400000_NS6detail17trampoline_kernelINS0_14default_configENS1_22reduce_config_selectorIbEEZNS1_11reduce_implILb1ES3_N6hipcub16HIPCUB_304000_NS22TransformInputIteratorIbN2at6native12_GLOBAL__N_19NonZeroOpIN3c107complexINSE_4HalfEEEEEPKSH_lEEPiiNS8_6detail34convert_binary_result_type_wrapperINS8_3SumESL_iEEEE10hipError_tPvRmT1_T2_T3_mT4_P12ihipStream_tbEUlT_E1_NS1_11comp_targetILNS1_3genE5ELNS1_11target_archE942ELNS1_3gpuE9ELNS1_3repE0EEENS1_30default_config_static_selectorELNS0_4arch9wavefront6targetE0EEEvSU_,comdat
	.globl	_ZN7rocprim17ROCPRIM_400000_NS6detail17trampoline_kernelINS0_14default_configENS1_22reduce_config_selectorIbEEZNS1_11reduce_implILb1ES3_N6hipcub16HIPCUB_304000_NS22TransformInputIteratorIbN2at6native12_GLOBAL__N_19NonZeroOpIN3c107complexINSE_4HalfEEEEEPKSH_lEEPiiNS8_6detail34convert_binary_result_type_wrapperINS8_3SumESL_iEEEE10hipError_tPvRmT1_T2_T3_mT4_P12ihipStream_tbEUlT_E1_NS1_11comp_targetILNS1_3genE5ELNS1_11target_archE942ELNS1_3gpuE9ELNS1_3repE0EEENS1_30default_config_static_selectorELNS0_4arch9wavefront6targetE0EEEvSU_ ; -- Begin function _ZN7rocprim17ROCPRIM_400000_NS6detail17trampoline_kernelINS0_14default_configENS1_22reduce_config_selectorIbEEZNS1_11reduce_implILb1ES3_N6hipcub16HIPCUB_304000_NS22TransformInputIteratorIbN2at6native12_GLOBAL__N_19NonZeroOpIN3c107complexINSE_4HalfEEEEEPKSH_lEEPiiNS8_6detail34convert_binary_result_type_wrapperINS8_3SumESL_iEEEE10hipError_tPvRmT1_T2_T3_mT4_P12ihipStream_tbEUlT_E1_NS1_11comp_targetILNS1_3genE5ELNS1_11target_archE942ELNS1_3gpuE9ELNS1_3repE0EEENS1_30default_config_static_selectorELNS0_4arch9wavefront6targetE0EEEvSU_
	.p2align	8
	.type	_ZN7rocprim17ROCPRIM_400000_NS6detail17trampoline_kernelINS0_14default_configENS1_22reduce_config_selectorIbEEZNS1_11reduce_implILb1ES3_N6hipcub16HIPCUB_304000_NS22TransformInputIteratorIbN2at6native12_GLOBAL__N_19NonZeroOpIN3c107complexINSE_4HalfEEEEEPKSH_lEEPiiNS8_6detail34convert_binary_result_type_wrapperINS8_3SumESL_iEEEE10hipError_tPvRmT1_T2_T3_mT4_P12ihipStream_tbEUlT_E1_NS1_11comp_targetILNS1_3genE5ELNS1_11target_archE942ELNS1_3gpuE9ELNS1_3repE0EEENS1_30default_config_static_selectorELNS0_4arch9wavefront6targetE0EEEvSU_,@function
_ZN7rocprim17ROCPRIM_400000_NS6detail17trampoline_kernelINS0_14default_configENS1_22reduce_config_selectorIbEEZNS1_11reduce_implILb1ES3_N6hipcub16HIPCUB_304000_NS22TransformInputIteratorIbN2at6native12_GLOBAL__N_19NonZeroOpIN3c107complexINSE_4HalfEEEEEPKSH_lEEPiiNS8_6detail34convert_binary_result_type_wrapperINS8_3SumESL_iEEEE10hipError_tPvRmT1_T2_T3_mT4_P12ihipStream_tbEUlT_E1_NS1_11comp_targetILNS1_3genE5ELNS1_11target_archE942ELNS1_3gpuE9ELNS1_3repE0EEENS1_30default_config_static_selectorELNS0_4arch9wavefront6targetE0EEEvSU_: ; @_ZN7rocprim17ROCPRIM_400000_NS6detail17trampoline_kernelINS0_14default_configENS1_22reduce_config_selectorIbEEZNS1_11reduce_implILb1ES3_N6hipcub16HIPCUB_304000_NS22TransformInputIteratorIbN2at6native12_GLOBAL__N_19NonZeroOpIN3c107complexINSE_4HalfEEEEEPKSH_lEEPiiNS8_6detail34convert_binary_result_type_wrapperINS8_3SumESL_iEEEE10hipError_tPvRmT1_T2_T3_mT4_P12ihipStream_tbEUlT_E1_NS1_11comp_targetILNS1_3genE5ELNS1_11target_archE942ELNS1_3gpuE9ELNS1_3repE0EEENS1_30default_config_static_selectorELNS0_4arch9wavefront6targetE0EEEvSU_
; %bb.0:
	.section	.rodata,"a",@progbits
	.p2align	6, 0x0
	.amdhsa_kernel _ZN7rocprim17ROCPRIM_400000_NS6detail17trampoline_kernelINS0_14default_configENS1_22reduce_config_selectorIbEEZNS1_11reduce_implILb1ES3_N6hipcub16HIPCUB_304000_NS22TransformInputIteratorIbN2at6native12_GLOBAL__N_19NonZeroOpIN3c107complexINSE_4HalfEEEEEPKSH_lEEPiiNS8_6detail34convert_binary_result_type_wrapperINS8_3SumESL_iEEEE10hipError_tPvRmT1_T2_T3_mT4_P12ihipStream_tbEUlT_E1_NS1_11comp_targetILNS1_3genE5ELNS1_11target_archE942ELNS1_3gpuE9ELNS1_3repE0EEENS1_30default_config_static_selectorELNS0_4arch9wavefront6targetE0EEEvSU_
		.amdhsa_group_segment_fixed_size 0
		.amdhsa_private_segment_fixed_size 0
		.amdhsa_kernarg_size 48
		.amdhsa_user_sgpr_count 15
		.amdhsa_user_sgpr_dispatch_ptr 0
		.amdhsa_user_sgpr_queue_ptr 0
		.amdhsa_user_sgpr_kernarg_segment_ptr 1
		.amdhsa_user_sgpr_dispatch_id 0
		.amdhsa_user_sgpr_private_segment_size 0
		.amdhsa_wavefront_size32 1
		.amdhsa_uses_dynamic_stack 0
		.amdhsa_enable_private_segment 0
		.amdhsa_system_sgpr_workgroup_id_x 1
		.amdhsa_system_sgpr_workgroup_id_y 0
		.amdhsa_system_sgpr_workgroup_id_z 0
		.amdhsa_system_sgpr_workgroup_info 0
		.amdhsa_system_vgpr_workitem_id 0
		.amdhsa_next_free_vgpr 1
		.amdhsa_next_free_sgpr 1
		.amdhsa_reserve_vcc 0
		.amdhsa_float_round_mode_32 0
		.amdhsa_float_round_mode_16_64 0
		.amdhsa_float_denorm_mode_32 3
		.amdhsa_float_denorm_mode_16_64 3
		.amdhsa_dx10_clamp 1
		.amdhsa_ieee_mode 1
		.amdhsa_fp16_overflow 0
		.amdhsa_workgroup_processor_mode 1
		.amdhsa_memory_ordered 1
		.amdhsa_forward_progress 0
		.amdhsa_shared_vgpr_count 0
		.amdhsa_exception_fp_ieee_invalid_op 0
		.amdhsa_exception_fp_denorm_src 0
		.amdhsa_exception_fp_ieee_div_zero 0
		.amdhsa_exception_fp_ieee_overflow 0
		.amdhsa_exception_fp_ieee_underflow 0
		.amdhsa_exception_fp_ieee_inexact 0
		.amdhsa_exception_int_div_zero 0
	.end_amdhsa_kernel
	.section	.text._ZN7rocprim17ROCPRIM_400000_NS6detail17trampoline_kernelINS0_14default_configENS1_22reduce_config_selectorIbEEZNS1_11reduce_implILb1ES3_N6hipcub16HIPCUB_304000_NS22TransformInputIteratorIbN2at6native12_GLOBAL__N_19NonZeroOpIN3c107complexINSE_4HalfEEEEEPKSH_lEEPiiNS8_6detail34convert_binary_result_type_wrapperINS8_3SumESL_iEEEE10hipError_tPvRmT1_T2_T3_mT4_P12ihipStream_tbEUlT_E1_NS1_11comp_targetILNS1_3genE5ELNS1_11target_archE942ELNS1_3gpuE9ELNS1_3repE0EEENS1_30default_config_static_selectorELNS0_4arch9wavefront6targetE0EEEvSU_,"axG",@progbits,_ZN7rocprim17ROCPRIM_400000_NS6detail17trampoline_kernelINS0_14default_configENS1_22reduce_config_selectorIbEEZNS1_11reduce_implILb1ES3_N6hipcub16HIPCUB_304000_NS22TransformInputIteratorIbN2at6native12_GLOBAL__N_19NonZeroOpIN3c107complexINSE_4HalfEEEEEPKSH_lEEPiiNS8_6detail34convert_binary_result_type_wrapperINS8_3SumESL_iEEEE10hipError_tPvRmT1_T2_T3_mT4_P12ihipStream_tbEUlT_E1_NS1_11comp_targetILNS1_3genE5ELNS1_11target_archE942ELNS1_3gpuE9ELNS1_3repE0EEENS1_30default_config_static_selectorELNS0_4arch9wavefront6targetE0EEEvSU_,comdat
.Lfunc_end654:
	.size	_ZN7rocprim17ROCPRIM_400000_NS6detail17trampoline_kernelINS0_14default_configENS1_22reduce_config_selectorIbEEZNS1_11reduce_implILb1ES3_N6hipcub16HIPCUB_304000_NS22TransformInputIteratorIbN2at6native12_GLOBAL__N_19NonZeroOpIN3c107complexINSE_4HalfEEEEEPKSH_lEEPiiNS8_6detail34convert_binary_result_type_wrapperINS8_3SumESL_iEEEE10hipError_tPvRmT1_T2_T3_mT4_P12ihipStream_tbEUlT_E1_NS1_11comp_targetILNS1_3genE5ELNS1_11target_archE942ELNS1_3gpuE9ELNS1_3repE0EEENS1_30default_config_static_selectorELNS0_4arch9wavefront6targetE0EEEvSU_, .Lfunc_end654-_ZN7rocprim17ROCPRIM_400000_NS6detail17trampoline_kernelINS0_14default_configENS1_22reduce_config_selectorIbEEZNS1_11reduce_implILb1ES3_N6hipcub16HIPCUB_304000_NS22TransformInputIteratorIbN2at6native12_GLOBAL__N_19NonZeroOpIN3c107complexINSE_4HalfEEEEEPKSH_lEEPiiNS8_6detail34convert_binary_result_type_wrapperINS8_3SumESL_iEEEE10hipError_tPvRmT1_T2_T3_mT4_P12ihipStream_tbEUlT_E1_NS1_11comp_targetILNS1_3genE5ELNS1_11target_archE942ELNS1_3gpuE9ELNS1_3repE0EEENS1_30default_config_static_selectorELNS0_4arch9wavefront6targetE0EEEvSU_
                                        ; -- End function
	.section	.AMDGPU.csdata,"",@progbits
; Kernel info:
; codeLenInByte = 0
; NumSgprs: 0
; NumVgprs: 0
; ScratchSize: 0
; MemoryBound: 0
; FloatMode: 240
; IeeeMode: 1
; LDSByteSize: 0 bytes/workgroup (compile time only)
; SGPRBlocks: 0
; VGPRBlocks: 0
; NumSGPRsForWavesPerEU: 1
; NumVGPRsForWavesPerEU: 1
; Occupancy: 16
; WaveLimiterHint : 0
; COMPUTE_PGM_RSRC2:SCRATCH_EN: 0
; COMPUTE_PGM_RSRC2:USER_SGPR: 15
; COMPUTE_PGM_RSRC2:TRAP_HANDLER: 0
; COMPUTE_PGM_RSRC2:TGID_X_EN: 1
; COMPUTE_PGM_RSRC2:TGID_Y_EN: 0
; COMPUTE_PGM_RSRC2:TGID_Z_EN: 0
; COMPUTE_PGM_RSRC2:TIDIG_COMP_CNT: 0
	.section	.text._ZN7rocprim17ROCPRIM_400000_NS6detail17trampoline_kernelINS0_14default_configENS1_22reduce_config_selectorIbEEZNS1_11reduce_implILb1ES3_N6hipcub16HIPCUB_304000_NS22TransformInputIteratorIbN2at6native12_GLOBAL__N_19NonZeroOpIN3c107complexINSE_4HalfEEEEEPKSH_lEEPiiNS8_6detail34convert_binary_result_type_wrapperINS8_3SumESL_iEEEE10hipError_tPvRmT1_T2_T3_mT4_P12ihipStream_tbEUlT_E1_NS1_11comp_targetILNS1_3genE4ELNS1_11target_archE910ELNS1_3gpuE8ELNS1_3repE0EEENS1_30default_config_static_selectorELNS0_4arch9wavefront6targetE0EEEvSU_,"axG",@progbits,_ZN7rocprim17ROCPRIM_400000_NS6detail17trampoline_kernelINS0_14default_configENS1_22reduce_config_selectorIbEEZNS1_11reduce_implILb1ES3_N6hipcub16HIPCUB_304000_NS22TransformInputIteratorIbN2at6native12_GLOBAL__N_19NonZeroOpIN3c107complexINSE_4HalfEEEEEPKSH_lEEPiiNS8_6detail34convert_binary_result_type_wrapperINS8_3SumESL_iEEEE10hipError_tPvRmT1_T2_T3_mT4_P12ihipStream_tbEUlT_E1_NS1_11comp_targetILNS1_3genE4ELNS1_11target_archE910ELNS1_3gpuE8ELNS1_3repE0EEENS1_30default_config_static_selectorELNS0_4arch9wavefront6targetE0EEEvSU_,comdat
	.globl	_ZN7rocprim17ROCPRIM_400000_NS6detail17trampoline_kernelINS0_14default_configENS1_22reduce_config_selectorIbEEZNS1_11reduce_implILb1ES3_N6hipcub16HIPCUB_304000_NS22TransformInputIteratorIbN2at6native12_GLOBAL__N_19NonZeroOpIN3c107complexINSE_4HalfEEEEEPKSH_lEEPiiNS8_6detail34convert_binary_result_type_wrapperINS8_3SumESL_iEEEE10hipError_tPvRmT1_T2_T3_mT4_P12ihipStream_tbEUlT_E1_NS1_11comp_targetILNS1_3genE4ELNS1_11target_archE910ELNS1_3gpuE8ELNS1_3repE0EEENS1_30default_config_static_selectorELNS0_4arch9wavefront6targetE0EEEvSU_ ; -- Begin function _ZN7rocprim17ROCPRIM_400000_NS6detail17trampoline_kernelINS0_14default_configENS1_22reduce_config_selectorIbEEZNS1_11reduce_implILb1ES3_N6hipcub16HIPCUB_304000_NS22TransformInputIteratorIbN2at6native12_GLOBAL__N_19NonZeroOpIN3c107complexINSE_4HalfEEEEEPKSH_lEEPiiNS8_6detail34convert_binary_result_type_wrapperINS8_3SumESL_iEEEE10hipError_tPvRmT1_T2_T3_mT4_P12ihipStream_tbEUlT_E1_NS1_11comp_targetILNS1_3genE4ELNS1_11target_archE910ELNS1_3gpuE8ELNS1_3repE0EEENS1_30default_config_static_selectorELNS0_4arch9wavefront6targetE0EEEvSU_
	.p2align	8
	.type	_ZN7rocprim17ROCPRIM_400000_NS6detail17trampoline_kernelINS0_14default_configENS1_22reduce_config_selectorIbEEZNS1_11reduce_implILb1ES3_N6hipcub16HIPCUB_304000_NS22TransformInputIteratorIbN2at6native12_GLOBAL__N_19NonZeroOpIN3c107complexINSE_4HalfEEEEEPKSH_lEEPiiNS8_6detail34convert_binary_result_type_wrapperINS8_3SumESL_iEEEE10hipError_tPvRmT1_T2_T3_mT4_P12ihipStream_tbEUlT_E1_NS1_11comp_targetILNS1_3genE4ELNS1_11target_archE910ELNS1_3gpuE8ELNS1_3repE0EEENS1_30default_config_static_selectorELNS0_4arch9wavefront6targetE0EEEvSU_,@function
_ZN7rocprim17ROCPRIM_400000_NS6detail17trampoline_kernelINS0_14default_configENS1_22reduce_config_selectorIbEEZNS1_11reduce_implILb1ES3_N6hipcub16HIPCUB_304000_NS22TransformInputIteratorIbN2at6native12_GLOBAL__N_19NonZeroOpIN3c107complexINSE_4HalfEEEEEPKSH_lEEPiiNS8_6detail34convert_binary_result_type_wrapperINS8_3SumESL_iEEEE10hipError_tPvRmT1_T2_T3_mT4_P12ihipStream_tbEUlT_E1_NS1_11comp_targetILNS1_3genE4ELNS1_11target_archE910ELNS1_3gpuE8ELNS1_3repE0EEENS1_30default_config_static_selectorELNS0_4arch9wavefront6targetE0EEEvSU_: ; @_ZN7rocprim17ROCPRIM_400000_NS6detail17trampoline_kernelINS0_14default_configENS1_22reduce_config_selectorIbEEZNS1_11reduce_implILb1ES3_N6hipcub16HIPCUB_304000_NS22TransformInputIteratorIbN2at6native12_GLOBAL__N_19NonZeroOpIN3c107complexINSE_4HalfEEEEEPKSH_lEEPiiNS8_6detail34convert_binary_result_type_wrapperINS8_3SumESL_iEEEE10hipError_tPvRmT1_T2_T3_mT4_P12ihipStream_tbEUlT_E1_NS1_11comp_targetILNS1_3genE4ELNS1_11target_archE910ELNS1_3gpuE8ELNS1_3repE0EEENS1_30default_config_static_selectorELNS0_4arch9wavefront6targetE0EEEvSU_
; %bb.0:
	.section	.rodata,"a",@progbits
	.p2align	6, 0x0
	.amdhsa_kernel _ZN7rocprim17ROCPRIM_400000_NS6detail17trampoline_kernelINS0_14default_configENS1_22reduce_config_selectorIbEEZNS1_11reduce_implILb1ES3_N6hipcub16HIPCUB_304000_NS22TransformInputIteratorIbN2at6native12_GLOBAL__N_19NonZeroOpIN3c107complexINSE_4HalfEEEEEPKSH_lEEPiiNS8_6detail34convert_binary_result_type_wrapperINS8_3SumESL_iEEEE10hipError_tPvRmT1_T2_T3_mT4_P12ihipStream_tbEUlT_E1_NS1_11comp_targetILNS1_3genE4ELNS1_11target_archE910ELNS1_3gpuE8ELNS1_3repE0EEENS1_30default_config_static_selectorELNS0_4arch9wavefront6targetE0EEEvSU_
		.amdhsa_group_segment_fixed_size 0
		.amdhsa_private_segment_fixed_size 0
		.amdhsa_kernarg_size 48
		.amdhsa_user_sgpr_count 15
		.amdhsa_user_sgpr_dispatch_ptr 0
		.amdhsa_user_sgpr_queue_ptr 0
		.amdhsa_user_sgpr_kernarg_segment_ptr 1
		.amdhsa_user_sgpr_dispatch_id 0
		.amdhsa_user_sgpr_private_segment_size 0
		.amdhsa_wavefront_size32 1
		.amdhsa_uses_dynamic_stack 0
		.amdhsa_enable_private_segment 0
		.amdhsa_system_sgpr_workgroup_id_x 1
		.amdhsa_system_sgpr_workgroup_id_y 0
		.amdhsa_system_sgpr_workgroup_id_z 0
		.amdhsa_system_sgpr_workgroup_info 0
		.amdhsa_system_vgpr_workitem_id 0
		.amdhsa_next_free_vgpr 1
		.amdhsa_next_free_sgpr 1
		.amdhsa_reserve_vcc 0
		.amdhsa_float_round_mode_32 0
		.amdhsa_float_round_mode_16_64 0
		.amdhsa_float_denorm_mode_32 3
		.amdhsa_float_denorm_mode_16_64 3
		.amdhsa_dx10_clamp 1
		.amdhsa_ieee_mode 1
		.amdhsa_fp16_overflow 0
		.amdhsa_workgroup_processor_mode 1
		.amdhsa_memory_ordered 1
		.amdhsa_forward_progress 0
		.amdhsa_shared_vgpr_count 0
		.amdhsa_exception_fp_ieee_invalid_op 0
		.amdhsa_exception_fp_denorm_src 0
		.amdhsa_exception_fp_ieee_div_zero 0
		.amdhsa_exception_fp_ieee_overflow 0
		.amdhsa_exception_fp_ieee_underflow 0
		.amdhsa_exception_fp_ieee_inexact 0
		.amdhsa_exception_int_div_zero 0
	.end_amdhsa_kernel
	.section	.text._ZN7rocprim17ROCPRIM_400000_NS6detail17trampoline_kernelINS0_14default_configENS1_22reduce_config_selectorIbEEZNS1_11reduce_implILb1ES3_N6hipcub16HIPCUB_304000_NS22TransformInputIteratorIbN2at6native12_GLOBAL__N_19NonZeroOpIN3c107complexINSE_4HalfEEEEEPKSH_lEEPiiNS8_6detail34convert_binary_result_type_wrapperINS8_3SumESL_iEEEE10hipError_tPvRmT1_T2_T3_mT4_P12ihipStream_tbEUlT_E1_NS1_11comp_targetILNS1_3genE4ELNS1_11target_archE910ELNS1_3gpuE8ELNS1_3repE0EEENS1_30default_config_static_selectorELNS0_4arch9wavefront6targetE0EEEvSU_,"axG",@progbits,_ZN7rocprim17ROCPRIM_400000_NS6detail17trampoline_kernelINS0_14default_configENS1_22reduce_config_selectorIbEEZNS1_11reduce_implILb1ES3_N6hipcub16HIPCUB_304000_NS22TransformInputIteratorIbN2at6native12_GLOBAL__N_19NonZeroOpIN3c107complexINSE_4HalfEEEEEPKSH_lEEPiiNS8_6detail34convert_binary_result_type_wrapperINS8_3SumESL_iEEEE10hipError_tPvRmT1_T2_T3_mT4_P12ihipStream_tbEUlT_E1_NS1_11comp_targetILNS1_3genE4ELNS1_11target_archE910ELNS1_3gpuE8ELNS1_3repE0EEENS1_30default_config_static_selectorELNS0_4arch9wavefront6targetE0EEEvSU_,comdat
.Lfunc_end655:
	.size	_ZN7rocprim17ROCPRIM_400000_NS6detail17trampoline_kernelINS0_14default_configENS1_22reduce_config_selectorIbEEZNS1_11reduce_implILb1ES3_N6hipcub16HIPCUB_304000_NS22TransformInputIteratorIbN2at6native12_GLOBAL__N_19NonZeroOpIN3c107complexINSE_4HalfEEEEEPKSH_lEEPiiNS8_6detail34convert_binary_result_type_wrapperINS8_3SumESL_iEEEE10hipError_tPvRmT1_T2_T3_mT4_P12ihipStream_tbEUlT_E1_NS1_11comp_targetILNS1_3genE4ELNS1_11target_archE910ELNS1_3gpuE8ELNS1_3repE0EEENS1_30default_config_static_selectorELNS0_4arch9wavefront6targetE0EEEvSU_, .Lfunc_end655-_ZN7rocprim17ROCPRIM_400000_NS6detail17trampoline_kernelINS0_14default_configENS1_22reduce_config_selectorIbEEZNS1_11reduce_implILb1ES3_N6hipcub16HIPCUB_304000_NS22TransformInputIteratorIbN2at6native12_GLOBAL__N_19NonZeroOpIN3c107complexINSE_4HalfEEEEEPKSH_lEEPiiNS8_6detail34convert_binary_result_type_wrapperINS8_3SumESL_iEEEE10hipError_tPvRmT1_T2_T3_mT4_P12ihipStream_tbEUlT_E1_NS1_11comp_targetILNS1_3genE4ELNS1_11target_archE910ELNS1_3gpuE8ELNS1_3repE0EEENS1_30default_config_static_selectorELNS0_4arch9wavefront6targetE0EEEvSU_
                                        ; -- End function
	.section	.AMDGPU.csdata,"",@progbits
; Kernel info:
; codeLenInByte = 0
; NumSgprs: 0
; NumVgprs: 0
; ScratchSize: 0
; MemoryBound: 0
; FloatMode: 240
; IeeeMode: 1
; LDSByteSize: 0 bytes/workgroup (compile time only)
; SGPRBlocks: 0
; VGPRBlocks: 0
; NumSGPRsForWavesPerEU: 1
; NumVGPRsForWavesPerEU: 1
; Occupancy: 16
; WaveLimiterHint : 0
; COMPUTE_PGM_RSRC2:SCRATCH_EN: 0
; COMPUTE_PGM_RSRC2:USER_SGPR: 15
; COMPUTE_PGM_RSRC2:TRAP_HANDLER: 0
; COMPUTE_PGM_RSRC2:TGID_X_EN: 1
; COMPUTE_PGM_RSRC2:TGID_Y_EN: 0
; COMPUTE_PGM_RSRC2:TGID_Z_EN: 0
; COMPUTE_PGM_RSRC2:TIDIG_COMP_CNT: 0
	.section	.text._ZN7rocprim17ROCPRIM_400000_NS6detail17trampoline_kernelINS0_14default_configENS1_22reduce_config_selectorIbEEZNS1_11reduce_implILb1ES3_N6hipcub16HIPCUB_304000_NS22TransformInputIteratorIbN2at6native12_GLOBAL__N_19NonZeroOpIN3c107complexINSE_4HalfEEEEEPKSH_lEEPiiNS8_6detail34convert_binary_result_type_wrapperINS8_3SumESL_iEEEE10hipError_tPvRmT1_T2_T3_mT4_P12ihipStream_tbEUlT_E1_NS1_11comp_targetILNS1_3genE3ELNS1_11target_archE908ELNS1_3gpuE7ELNS1_3repE0EEENS1_30default_config_static_selectorELNS0_4arch9wavefront6targetE0EEEvSU_,"axG",@progbits,_ZN7rocprim17ROCPRIM_400000_NS6detail17trampoline_kernelINS0_14default_configENS1_22reduce_config_selectorIbEEZNS1_11reduce_implILb1ES3_N6hipcub16HIPCUB_304000_NS22TransformInputIteratorIbN2at6native12_GLOBAL__N_19NonZeroOpIN3c107complexINSE_4HalfEEEEEPKSH_lEEPiiNS8_6detail34convert_binary_result_type_wrapperINS8_3SumESL_iEEEE10hipError_tPvRmT1_T2_T3_mT4_P12ihipStream_tbEUlT_E1_NS1_11comp_targetILNS1_3genE3ELNS1_11target_archE908ELNS1_3gpuE7ELNS1_3repE0EEENS1_30default_config_static_selectorELNS0_4arch9wavefront6targetE0EEEvSU_,comdat
	.globl	_ZN7rocprim17ROCPRIM_400000_NS6detail17trampoline_kernelINS0_14default_configENS1_22reduce_config_selectorIbEEZNS1_11reduce_implILb1ES3_N6hipcub16HIPCUB_304000_NS22TransformInputIteratorIbN2at6native12_GLOBAL__N_19NonZeroOpIN3c107complexINSE_4HalfEEEEEPKSH_lEEPiiNS8_6detail34convert_binary_result_type_wrapperINS8_3SumESL_iEEEE10hipError_tPvRmT1_T2_T3_mT4_P12ihipStream_tbEUlT_E1_NS1_11comp_targetILNS1_3genE3ELNS1_11target_archE908ELNS1_3gpuE7ELNS1_3repE0EEENS1_30default_config_static_selectorELNS0_4arch9wavefront6targetE0EEEvSU_ ; -- Begin function _ZN7rocprim17ROCPRIM_400000_NS6detail17trampoline_kernelINS0_14default_configENS1_22reduce_config_selectorIbEEZNS1_11reduce_implILb1ES3_N6hipcub16HIPCUB_304000_NS22TransformInputIteratorIbN2at6native12_GLOBAL__N_19NonZeroOpIN3c107complexINSE_4HalfEEEEEPKSH_lEEPiiNS8_6detail34convert_binary_result_type_wrapperINS8_3SumESL_iEEEE10hipError_tPvRmT1_T2_T3_mT4_P12ihipStream_tbEUlT_E1_NS1_11comp_targetILNS1_3genE3ELNS1_11target_archE908ELNS1_3gpuE7ELNS1_3repE0EEENS1_30default_config_static_selectorELNS0_4arch9wavefront6targetE0EEEvSU_
	.p2align	8
	.type	_ZN7rocprim17ROCPRIM_400000_NS6detail17trampoline_kernelINS0_14default_configENS1_22reduce_config_selectorIbEEZNS1_11reduce_implILb1ES3_N6hipcub16HIPCUB_304000_NS22TransformInputIteratorIbN2at6native12_GLOBAL__N_19NonZeroOpIN3c107complexINSE_4HalfEEEEEPKSH_lEEPiiNS8_6detail34convert_binary_result_type_wrapperINS8_3SumESL_iEEEE10hipError_tPvRmT1_T2_T3_mT4_P12ihipStream_tbEUlT_E1_NS1_11comp_targetILNS1_3genE3ELNS1_11target_archE908ELNS1_3gpuE7ELNS1_3repE0EEENS1_30default_config_static_selectorELNS0_4arch9wavefront6targetE0EEEvSU_,@function
_ZN7rocprim17ROCPRIM_400000_NS6detail17trampoline_kernelINS0_14default_configENS1_22reduce_config_selectorIbEEZNS1_11reduce_implILb1ES3_N6hipcub16HIPCUB_304000_NS22TransformInputIteratorIbN2at6native12_GLOBAL__N_19NonZeroOpIN3c107complexINSE_4HalfEEEEEPKSH_lEEPiiNS8_6detail34convert_binary_result_type_wrapperINS8_3SumESL_iEEEE10hipError_tPvRmT1_T2_T3_mT4_P12ihipStream_tbEUlT_E1_NS1_11comp_targetILNS1_3genE3ELNS1_11target_archE908ELNS1_3gpuE7ELNS1_3repE0EEENS1_30default_config_static_selectorELNS0_4arch9wavefront6targetE0EEEvSU_: ; @_ZN7rocprim17ROCPRIM_400000_NS6detail17trampoline_kernelINS0_14default_configENS1_22reduce_config_selectorIbEEZNS1_11reduce_implILb1ES3_N6hipcub16HIPCUB_304000_NS22TransformInputIteratorIbN2at6native12_GLOBAL__N_19NonZeroOpIN3c107complexINSE_4HalfEEEEEPKSH_lEEPiiNS8_6detail34convert_binary_result_type_wrapperINS8_3SumESL_iEEEE10hipError_tPvRmT1_T2_T3_mT4_P12ihipStream_tbEUlT_E1_NS1_11comp_targetILNS1_3genE3ELNS1_11target_archE908ELNS1_3gpuE7ELNS1_3repE0EEENS1_30default_config_static_selectorELNS0_4arch9wavefront6targetE0EEEvSU_
; %bb.0:
	.section	.rodata,"a",@progbits
	.p2align	6, 0x0
	.amdhsa_kernel _ZN7rocprim17ROCPRIM_400000_NS6detail17trampoline_kernelINS0_14default_configENS1_22reduce_config_selectorIbEEZNS1_11reduce_implILb1ES3_N6hipcub16HIPCUB_304000_NS22TransformInputIteratorIbN2at6native12_GLOBAL__N_19NonZeroOpIN3c107complexINSE_4HalfEEEEEPKSH_lEEPiiNS8_6detail34convert_binary_result_type_wrapperINS8_3SumESL_iEEEE10hipError_tPvRmT1_T2_T3_mT4_P12ihipStream_tbEUlT_E1_NS1_11comp_targetILNS1_3genE3ELNS1_11target_archE908ELNS1_3gpuE7ELNS1_3repE0EEENS1_30default_config_static_selectorELNS0_4arch9wavefront6targetE0EEEvSU_
		.amdhsa_group_segment_fixed_size 0
		.amdhsa_private_segment_fixed_size 0
		.amdhsa_kernarg_size 48
		.amdhsa_user_sgpr_count 15
		.amdhsa_user_sgpr_dispatch_ptr 0
		.amdhsa_user_sgpr_queue_ptr 0
		.amdhsa_user_sgpr_kernarg_segment_ptr 1
		.amdhsa_user_sgpr_dispatch_id 0
		.amdhsa_user_sgpr_private_segment_size 0
		.amdhsa_wavefront_size32 1
		.amdhsa_uses_dynamic_stack 0
		.amdhsa_enable_private_segment 0
		.amdhsa_system_sgpr_workgroup_id_x 1
		.amdhsa_system_sgpr_workgroup_id_y 0
		.amdhsa_system_sgpr_workgroup_id_z 0
		.amdhsa_system_sgpr_workgroup_info 0
		.amdhsa_system_vgpr_workitem_id 0
		.amdhsa_next_free_vgpr 1
		.amdhsa_next_free_sgpr 1
		.amdhsa_reserve_vcc 0
		.amdhsa_float_round_mode_32 0
		.amdhsa_float_round_mode_16_64 0
		.amdhsa_float_denorm_mode_32 3
		.amdhsa_float_denorm_mode_16_64 3
		.amdhsa_dx10_clamp 1
		.amdhsa_ieee_mode 1
		.amdhsa_fp16_overflow 0
		.amdhsa_workgroup_processor_mode 1
		.amdhsa_memory_ordered 1
		.amdhsa_forward_progress 0
		.amdhsa_shared_vgpr_count 0
		.amdhsa_exception_fp_ieee_invalid_op 0
		.amdhsa_exception_fp_denorm_src 0
		.amdhsa_exception_fp_ieee_div_zero 0
		.amdhsa_exception_fp_ieee_overflow 0
		.amdhsa_exception_fp_ieee_underflow 0
		.amdhsa_exception_fp_ieee_inexact 0
		.amdhsa_exception_int_div_zero 0
	.end_amdhsa_kernel
	.section	.text._ZN7rocprim17ROCPRIM_400000_NS6detail17trampoline_kernelINS0_14default_configENS1_22reduce_config_selectorIbEEZNS1_11reduce_implILb1ES3_N6hipcub16HIPCUB_304000_NS22TransformInputIteratorIbN2at6native12_GLOBAL__N_19NonZeroOpIN3c107complexINSE_4HalfEEEEEPKSH_lEEPiiNS8_6detail34convert_binary_result_type_wrapperINS8_3SumESL_iEEEE10hipError_tPvRmT1_T2_T3_mT4_P12ihipStream_tbEUlT_E1_NS1_11comp_targetILNS1_3genE3ELNS1_11target_archE908ELNS1_3gpuE7ELNS1_3repE0EEENS1_30default_config_static_selectorELNS0_4arch9wavefront6targetE0EEEvSU_,"axG",@progbits,_ZN7rocprim17ROCPRIM_400000_NS6detail17trampoline_kernelINS0_14default_configENS1_22reduce_config_selectorIbEEZNS1_11reduce_implILb1ES3_N6hipcub16HIPCUB_304000_NS22TransformInputIteratorIbN2at6native12_GLOBAL__N_19NonZeroOpIN3c107complexINSE_4HalfEEEEEPKSH_lEEPiiNS8_6detail34convert_binary_result_type_wrapperINS8_3SumESL_iEEEE10hipError_tPvRmT1_T2_T3_mT4_P12ihipStream_tbEUlT_E1_NS1_11comp_targetILNS1_3genE3ELNS1_11target_archE908ELNS1_3gpuE7ELNS1_3repE0EEENS1_30default_config_static_selectorELNS0_4arch9wavefront6targetE0EEEvSU_,comdat
.Lfunc_end656:
	.size	_ZN7rocprim17ROCPRIM_400000_NS6detail17trampoline_kernelINS0_14default_configENS1_22reduce_config_selectorIbEEZNS1_11reduce_implILb1ES3_N6hipcub16HIPCUB_304000_NS22TransformInputIteratorIbN2at6native12_GLOBAL__N_19NonZeroOpIN3c107complexINSE_4HalfEEEEEPKSH_lEEPiiNS8_6detail34convert_binary_result_type_wrapperINS8_3SumESL_iEEEE10hipError_tPvRmT1_T2_T3_mT4_P12ihipStream_tbEUlT_E1_NS1_11comp_targetILNS1_3genE3ELNS1_11target_archE908ELNS1_3gpuE7ELNS1_3repE0EEENS1_30default_config_static_selectorELNS0_4arch9wavefront6targetE0EEEvSU_, .Lfunc_end656-_ZN7rocprim17ROCPRIM_400000_NS6detail17trampoline_kernelINS0_14default_configENS1_22reduce_config_selectorIbEEZNS1_11reduce_implILb1ES3_N6hipcub16HIPCUB_304000_NS22TransformInputIteratorIbN2at6native12_GLOBAL__N_19NonZeroOpIN3c107complexINSE_4HalfEEEEEPKSH_lEEPiiNS8_6detail34convert_binary_result_type_wrapperINS8_3SumESL_iEEEE10hipError_tPvRmT1_T2_T3_mT4_P12ihipStream_tbEUlT_E1_NS1_11comp_targetILNS1_3genE3ELNS1_11target_archE908ELNS1_3gpuE7ELNS1_3repE0EEENS1_30default_config_static_selectorELNS0_4arch9wavefront6targetE0EEEvSU_
                                        ; -- End function
	.section	.AMDGPU.csdata,"",@progbits
; Kernel info:
; codeLenInByte = 0
; NumSgprs: 0
; NumVgprs: 0
; ScratchSize: 0
; MemoryBound: 0
; FloatMode: 240
; IeeeMode: 1
; LDSByteSize: 0 bytes/workgroup (compile time only)
; SGPRBlocks: 0
; VGPRBlocks: 0
; NumSGPRsForWavesPerEU: 1
; NumVGPRsForWavesPerEU: 1
; Occupancy: 16
; WaveLimiterHint : 0
; COMPUTE_PGM_RSRC2:SCRATCH_EN: 0
; COMPUTE_PGM_RSRC2:USER_SGPR: 15
; COMPUTE_PGM_RSRC2:TRAP_HANDLER: 0
; COMPUTE_PGM_RSRC2:TGID_X_EN: 1
; COMPUTE_PGM_RSRC2:TGID_Y_EN: 0
; COMPUTE_PGM_RSRC2:TGID_Z_EN: 0
; COMPUTE_PGM_RSRC2:TIDIG_COMP_CNT: 0
	.section	.text._ZN7rocprim17ROCPRIM_400000_NS6detail17trampoline_kernelINS0_14default_configENS1_22reduce_config_selectorIbEEZNS1_11reduce_implILb1ES3_N6hipcub16HIPCUB_304000_NS22TransformInputIteratorIbN2at6native12_GLOBAL__N_19NonZeroOpIN3c107complexINSE_4HalfEEEEEPKSH_lEEPiiNS8_6detail34convert_binary_result_type_wrapperINS8_3SumESL_iEEEE10hipError_tPvRmT1_T2_T3_mT4_P12ihipStream_tbEUlT_E1_NS1_11comp_targetILNS1_3genE2ELNS1_11target_archE906ELNS1_3gpuE6ELNS1_3repE0EEENS1_30default_config_static_selectorELNS0_4arch9wavefront6targetE0EEEvSU_,"axG",@progbits,_ZN7rocprim17ROCPRIM_400000_NS6detail17trampoline_kernelINS0_14default_configENS1_22reduce_config_selectorIbEEZNS1_11reduce_implILb1ES3_N6hipcub16HIPCUB_304000_NS22TransformInputIteratorIbN2at6native12_GLOBAL__N_19NonZeroOpIN3c107complexINSE_4HalfEEEEEPKSH_lEEPiiNS8_6detail34convert_binary_result_type_wrapperINS8_3SumESL_iEEEE10hipError_tPvRmT1_T2_T3_mT4_P12ihipStream_tbEUlT_E1_NS1_11comp_targetILNS1_3genE2ELNS1_11target_archE906ELNS1_3gpuE6ELNS1_3repE0EEENS1_30default_config_static_selectorELNS0_4arch9wavefront6targetE0EEEvSU_,comdat
	.globl	_ZN7rocprim17ROCPRIM_400000_NS6detail17trampoline_kernelINS0_14default_configENS1_22reduce_config_selectorIbEEZNS1_11reduce_implILb1ES3_N6hipcub16HIPCUB_304000_NS22TransformInputIteratorIbN2at6native12_GLOBAL__N_19NonZeroOpIN3c107complexINSE_4HalfEEEEEPKSH_lEEPiiNS8_6detail34convert_binary_result_type_wrapperINS8_3SumESL_iEEEE10hipError_tPvRmT1_T2_T3_mT4_P12ihipStream_tbEUlT_E1_NS1_11comp_targetILNS1_3genE2ELNS1_11target_archE906ELNS1_3gpuE6ELNS1_3repE0EEENS1_30default_config_static_selectorELNS0_4arch9wavefront6targetE0EEEvSU_ ; -- Begin function _ZN7rocprim17ROCPRIM_400000_NS6detail17trampoline_kernelINS0_14default_configENS1_22reduce_config_selectorIbEEZNS1_11reduce_implILb1ES3_N6hipcub16HIPCUB_304000_NS22TransformInputIteratorIbN2at6native12_GLOBAL__N_19NonZeroOpIN3c107complexINSE_4HalfEEEEEPKSH_lEEPiiNS8_6detail34convert_binary_result_type_wrapperINS8_3SumESL_iEEEE10hipError_tPvRmT1_T2_T3_mT4_P12ihipStream_tbEUlT_E1_NS1_11comp_targetILNS1_3genE2ELNS1_11target_archE906ELNS1_3gpuE6ELNS1_3repE0EEENS1_30default_config_static_selectorELNS0_4arch9wavefront6targetE0EEEvSU_
	.p2align	8
	.type	_ZN7rocprim17ROCPRIM_400000_NS6detail17trampoline_kernelINS0_14default_configENS1_22reduce_config_selectorIbEEZNS1_11reduce_implILb1ES3_N6hipcub16HIPCUB_304000_NS22TransformInputIteratorIbN2at6native12_GLOBAL__N_19NonZeroOpIN3c107complexINSE_4HalfEEEEEPKSH_lEEPiiNS8_6detail34convert_binary_result_type_wrapperINS8_3SumESL_iEEEE10hipError_tPvRmT1_T2_T3_mT4_P12ihipStream_tbEUlT_E1_NS1_11comp_targetILNS1_3genE2ELNS1_11target_archE906ELNS1_3gpuE6ELNS1_3repE0EEENS1_30default_config_static_selectorELNS0_4arch9wavefront6targetE0EEEvSU_,@function
_ZN7rocprim17ROCPRIM_400000_NS6detail17trampoline_kernelINS0_14default_configENS1_22reduce_config_selectorIbEEZNS1_11reduce_implILb1ES3_N6hipcub16HIPCUB_304000_NS22TransformInputIteratorIbN2at6native12_GLOBAL__N_19NonZeroOpIN3c107complexINSE_4HalfEEEEEPKSH_lEEPiiNS8_6detail34convert_binary_result_type_wrapperINS8_3SumESL_iEEEE10hipError_tPvRmT1_T2_T3_mT4_P12ihipStream_tbEUlT_E1_NS1_11comp_targetILNS1_3genE2ELNS1_11target_archE906ELNS1_3gpuE6ELNS1_3repE0EEENS1_30default_config_static_selectorELNS0_4arch9wavefront6targetE0EEEvSU_: ; @_ZN7rocprim17ROCPRIM_400000_NS6detail17trampoline_kernelINS0_14default_configENS1_22reduce_config_selectorIbEEZNS1_11reduce_implILb1ES3_N6hipcub16HIPCUB_304000_NS22TransformInputIteratorIbN2at6native12_GLOBAL__N_19NonZeroOpIN3c107complexINSE_4HalfEEEEEPKSH_lEEPiiNS8_6detail34convert_binary_result_type_wrapperINS8_3SumESL_iEEEE10hipError_tPvRmT1_T2_T3_mT4_P12ihipStream_tbEUlT_E1_NS1_11comp_targetILNS1_3genE2ELNS1_11target_archE906ELNS1_3gpuE6ELNS1_3repE0EEENS1_30default_config_static_selectorELNS0_4arch9wavefront6targetE0EEEvSU_
; %bb.0:
	.section	.rodata,"a",@progbits
	.p2align	6, 0x0
	.amdhsa_kernel _ZN7rocprim17ROCPRIM_400000_NS6detail17trampoline_kernelINS0_14default_configENS1_22reduce_config_selectorIbEEZNS1_11reduce_implILb1ES3_N6hipcub16HIPCUB_304000_NS22TransformInputIteratorIbN2at6native12_GLOBAL__N_19NonZeroOpIN3c107complexINSE_4HalfEEEEEPKSH_lEEPiiNS8_6detail34convert_binary_result_type_wrapperINS8_3SumESL_iEEEE10hipError_tPvRmT1_T2_T3_mT4_P12ihipStream_tbEUlT_E1_NS1_11comp_targetILNS1_3genE2ELNS1_11target_archE906ELNS1_3gpuE6ELNS1_3repE0EEENS1_30default_config_static_selectorELNS0_4arch9wavefront6targetE0EEEvSU_
		.amdhsa_group_segment_fixed_size 0
		.amdhsa_private_segment_fixed_size 0
		.amdhsa_kernarg_size 48
		.amdhsa_user_sgpr_count 15
		.amdhsa_user_sgpr_dispatch_ptr 0
		.amdhsa_user_sgpr_queue_ptr 0
		.amdhsa_user_sgpr_kernarg_segment_ptr 1
		.amdhsa_user_sgpr_dispatch_id 0
		.amdhsa_user_sgpr_private_segment_size 0
		.amdhsa_wavefront_size32 1
		.amdhsa_uses_dynamic_stack 0
		.amdhsa_enable_private_segment 0
		.amdhsa_system_sgpr_workgroup_id_x 1
		.amdhsa_system_sgpr_workgroup_id_y 0
		.amdhsa_system_sgpr_workgroup_id_z 0
		.amdhsa_system_sgpr_workgroup_info 0
		.amdhsa_system_vgpr_workitem_id 0
		.amdhsa_next_free_vgpr 1
		.amdhsa_next_free_sgpr 1
		.amdhsa_reserve_vcc 0
		.amdhsa_float_round_mode_32 0
		.amdhsa_float_round_mode_16_64 0
		.amdhsa_float_denorm_mode_32 3
		.amdhsa_float_denorm_mode_16_64 3
		.amdhsa_dx10_clamp 1
		.amdhsa_ieee_mode 1
		.amdhsa_fp16_overflow 0
		.amdhsa_workgroup_processor_mode 1
		.amdhsa_memory_ordered 1
		.amdhsa_forward_progress 0
		.amdhsa_shared_vgpr_count 0
		.amdhsa_exception_fp_ieee_invalid_op 0
		.amdhsa_exception_fp_denorm_src 0
		.amdhsa_exception_fp_ieee_div_zero 0
		.amdhsa_exception_fp_ieee_overflow 0
		.amdhsa_exception_fp_ieee_underflow 0
		.amdhsa_exception_fp_ieee_inexact 0
		.amdhsa_exception_int_div_zero 0
	.end_amdhsa_kernel
	.section	.text._ZN7rocprim17ROCPRIM_400000_NS6detail17trampoline_kernelINS0_14default_configENS1_22reduce_config_selectorIbEEZNS1_11reduce_implILb1ES3_N6hipcub16HIPCUB_304000_NS22TransformInputIteratorIbN2at6native12_GLOBAL__N_19NonZeroOpIN3c107complexINSE_4HalfEEEEEPKSH_lEEPiiNS8_6detail34convert_binary_result_type_wrapperINS8_3SumESL_iEEEE10hipError_tPvRmT1_T2_T3_mT4_P12ihipStream_tbEUlT_E1_NS1_11comp_targetILNS1_3genE2ELNS1_11target_archE906ELNS1_3gpuE6ELNS1_3repE0EEENS1_30default_config_static_selectorELNS0_4arch9wavefront6targetE0EEEvSU_,"axG",@progbits,_ZN7rocprim17ROCPRIM_400000_NS6detail17trampoline_kernelINS0_14default_configENS1_22reduce_config_selectorIbEEZNS1_11reduce_implILb1ES3_N6hipcub16HIPCUB_304000_NS22TransformInputIteratorIbN2at6native12_GLOBAL__N_19NonZeroOpIN3c107complexINSE_4HalfEEEEEPKSH_lEEPiiNS8_6detail34convert_binary_result_type_wrapperINS8_3SumESL_iEEEE10hipError_tPvRmT1_T2_T3_mT4_P12ihipStream_tbEUlT_E1_NS1_11comp_targetILNS1_3genE2ELNS1_11target_archE906ELNS1_3gpuE6ELNS1_3repE0EEENS1_30default_config_static_selectorELNS0_4arch9wavefront6targetE0EEEvSU_,comdat
.Lfunc_end657:
	.size	_ZN7rocprim17ROCPRIM_400000_NS6detail17trampoline_kernelINS0_14default_configENS1_22reduce_config_selectorIbEEZNS1_11reduce_implILb1ES3_N6hipcub16HIPCUB_304000_NS22TransformInputIteratorIbN2at6native12_GLOBAL__N_19NonZeroOpIN3c107complexINSE_4HalfEEEEEPKSH_lEEPiiNS8_6detail34convert_binary_result_type_wrapperINS8_3SumESL_iEEEE10hipError_tPvRmT1_T2_T3_mT4_P12ihipStream_tbEUlT_E1_NS1_11comp_targetILNS1_3genE2ELNS1_11target_archE906ELNS1_3gpuE6ELNS1_3repE0EEENS1_30default_config_static_selectorELNS0_4arch9wavefront6targetE0EEEvSU_, .Lfunc_end657-_ZN7rocprim17ROCPRIM_400000_NS6detail17trampoline_kernelINS0_14default_configENS1_22reduce_config_selectorIbEEZNS1_11reduce_implILb1ES3_N6hipcub16HIPCUB_304000_NS22TransformInputIteratorIbN2at6native12_GLOBAL__N_19NonZeroOpIN3c107complexINSE_4HalfEEEEEPKSH_lEEPiiNS8_6detail34convert_binary_result_type_wrapperINS8_3SumESL_iEEEE10hipError_tPvRmT1_T2_T3_mT4_P12ihipStream_tbEUlT_E1_NS1_11comp_targetILNS1_3genE2ELNS1_11target_archE906ELNS1_3gpuE6ELNS1_3repE0EEENS1_30default_config_static_selectorELNS0_4arch9wavefront6targetE0EEEvSU_
                                        ; -- End function
	.section	.AMDGPU.csdata,"",@progbits
; Kernel info:
; codeLenInByte = 0
; NumSgprs: 0
; NumVgprs: 0
; ScratchSize: 0
; MemoryBound: 0
; FloatMode: 240
; IeeeMode: 1
; LDSByteSize: 0 bytes/workgroup (compile time only)
; SGPRBlocks: 0
; VGPRBlocks: 0
; NumSGPRsForWavesPerEU: 1
; NumVGPRsForWavesPerEU: 1
; Occupancy: 16
; WaveLimiterHint : 0
; COMPUTE_PGM_RSRC2:SCRATCH_EN: 0
; COMPUTE_PGM_RSRC2:USER_SGPR: 15
; COMPUTE_PGM_RSRC2:TRAP_HANDLER: 0
; COMPUTE_PGM_RSRC2:TGID_X_EN: 1
; COMPUTE_PGM_RSRC2:TGID_Y_EN: 0
; COMPUTE_PGM_RSRC2:TGID_Z_EN: 0
; COMPUTE_PGM_RSRC2:TIDIG_COMP_CNT: 0
	.section	.text._ZN7rocprim17ROCPRIM_400000_NS6detail17trampoline_kernelINS0_14default_configENS1_22reduce_config_selectorIbEEZNS1_11reduce_implILb1ES3_N6hipcub16HIPCUB_304000_NS22TransformInputIteratorIbN2at6native12_GLOBAL__N_19NonZeroOpIN3c107complexINSE_4HalfEEEEEPKSH_lEEPiiNS8_6detail34convert_binary_result_type_wrapperINS8_3SumESL_iEEEE10hipError_tPvRmT1_T2_T3_mT4_P12ihipStream_tbEUlT_E1_NS1_11comp_targetILNS1_3genE10ELNS1_11target_archE1201ELNS1_3gpuE5ELNS1_3repE0EEENS1_30default_config_static_selectorELNS0_4arch9wavefront6targetE0EEEvSU_,"axG",@progbits,_ZN7rocprim17ROCPRIM_400000_NS6detail17trampoline_kernelINS0_14default_configENS1_22reduce_config_selectorIbEEZNS1_11reduce_implILb1ES3_N6hipcub16HIPCUB_304000_NS22TransformInputIteratorIbN2at6native12_GLOBAL__N_19NonZeroOpIN3c107complexINSE_4HalfEEEEEPKSH_lEEPiiNS8_6detail34convert_binary_result_type_wrapperINS8_3SumESL_iEEEE10hipError_tPvRmT1_T2_T3_mT4_P12ihipStream_tbEUlT_E1_NS1_11comp_targetILNS1_3genE10ELNS1_11target_archE1201ELNS1_3gpuE5ELNS1_3repE0EEENS1_30default_config_static_selectorELNS0_4arch9wavefront6targetE0EEEvSU_,comdat
	.globl	_ZN7rocprim17ROCPRIM_400000_NS6detail17trampoline_kernelINS0_14default_configENS1_22reduce_config_selectorIbEEZNS1_11reduce_implILb1ES3_N6hipcub16HIPCUB_304000_NS22TransformInputIteratorIbN2at6native12_GLOBAL__N_19NonZeroOpIN3c107complexINSE_4HalfEEEEEPKSH_lEEPiiNS8_6detail34convert_binary_result_type_wrapperINS8_3SumESL_iEEEE10hipError_tPvRmT1_T2_T3_mT4_P12ihipStream_tbEUlT_E1_NS1_11comp_targetILNS1_3genE10ELNS1_11target_archE1201ELNS1_3gpuE5ELNS1_3repE0EEENS1_30default_config_static_selectorELNS0_4arch9wavefront6targetE0EEEvSU_ ; -- Begin function _ZN7rocprim17ROCPRIM_400000_NS6detail17trampoline_kernelINS0_14default_configENS1_22reduce_config_selectorIbEEZNS1_11reduce_implILb1ES3_N6hipcub16HIPCUB_304000_NS22TransformInputIteratorIbN2at6native12_GLOBAL__N_19NonZeroOpIN3c107complexINSE_4HalfEEEEEPKSH_lEEPiiNS8_6detail34convert_binary_result_type_wrapperINS8_3SumESL_iEEEE10hipError_tPvRmT1_T2_T3_mT4_P12ihipStream_tbEUlT_E1_NS1_11comp_targetILNS1_3genE10ELNS1_11target_archE1201ELNS1_3gpuE5ELNS1_3repE0EEENS1_30default_config_static_selectorELNS0_4arch9wavefront6targetE0EEEvSU_
	.p2align	8
	.type	_ZN7rocprim17ROCPRIM_400000_NS6detail17trampoline_kernelINS0_14default_configENS1_22reduce_config_selectorIbEEZNS1_11reduce_implILb1ES3_N6hipcub16HIPCUB_304000_NS22TransformInputIteratorIbN2at6native12_GLOBAL__N_19NonZeroOpIN3c107complexINSE_4HalfEEEEEPKSH_lEEPiiNS8_6detail34convert_binary_result_type_wrapperINS8_3SumESL_iEEEE10hipError_tPvRmT1_T2_T3_mT4_P12ihipStream_tbEUlT_E1_NS1_11comp_targetILNS1_3genE10ELNS1_11target_archE1201ELNS1_3gpuE5ELNS1_3repE0EEENS1_30default_config_static_selectorELNS0_4arch9wavefront6targetE0EEEvSU_,@function
_ZN7rocprim17ROCPRIM_400000_NS6detail17trampoline_kernelINS0_14default_configENS1_22reduce_config_selectorIbEEZNS1_11reduce_implILb1ES3_N6hipcub16HIPCUB_304000_NS22TransformInputIteratorIbN2at6native12_GLOBAL__N_19NonZeroOpIN3c107complexINSE_4HalfEEEEEPKSH_lEEPiiNS8_6detail34convert_binary_result_type_wrapperINS8_3SumESL_iEEEE10hipError_tPvRmT1_T2_T3_mT4_P12ihipStream_tbEUlT_E1_NS1_11comp_targetILNS1_3genE10ELNS1_11target_archE1201ELNS1_3gpuE5ELNS1_3repE0EEENS1_30default_config_static_selectorELNS0_4arch9wavefront6targetE0EEEvSU_: ; @_ZN7rocprim17ROCPRIM_400000_NS6detail17trampoline_kernelINS0_14default_configENS1_22reduce_config_selectorIbEEZNS1_11reduce_implILb1ES3_N6hipcub16HIPCUB_304000_NS22TransformInputIteratorIbN2at6native12_GLOBAL__N_19NonZeroOpIN3c107complexINSE_4HalfEEEEEPKSH_lEEPiiNS8_6detail34convert_binary_result_type_wrapperINS8_3SumESL_iEEEE10hipError_tPvRmT1_T2_T3_mT4_P12ihipStream_tbEUlT_E1_NS1_11comp_targetILNS1_3genE10ELNS1_11target_archE1201ELNS1_3gpuE5ELNS1_3repE0EEENS1_30default_config_static_selectorELNS0_4arch9wavefront6targetE0EEEvSU_
; %bb.0:
	.section	.rodata,"a",@progbits
	.p2align	6, 0x0
	.amdhsa_kernel _ZN7rocprim17ROCPRIM_400000_NS6detail17trampoline_kernelINS0_14default_configENS1_22reduce_config_selectorIbEEZNS1_11reduce_implILb1ES3_N6hipcub16HIPCUB_304000_NS22TransformInputIteratorIbN2at6native12_GLOBAL__N_19NonZeroOpIN3c107complexINSE_4HalfEEEEEPKSH_lEEPiiNS8_6detail34convert_binary_result_type_wrapperINS8_3SumESL_iEEEE10hipError_tPvRmT1_T2_T3_mT4_P12ihipStream_tbEUlT_E1_NS1_11comp_targetILNS1_3genE10ELNS1_11target_archE1201ELNS1_3gpuE5ELNS1_3repE0EEENS1_30default_config_static_selectorELNS0_4arch9wavefront6targetE0EEEvSU_
		.amdhsa_group_segment_fixed_size 0
		.amdhsa_private_segment_fixed_size 0
		.amdhsa_kernarg_size 48
		.amdhsa_user_sgpr_count 15
		.amdhsa_user_sgpr_dispatch_ptr 0
		.amdhsa_user_sgpr_queue_ptr 0
		.amdhsa_user_sgpr_kernarg_segment_ptr 1
		.amdhsa_user_sgpr_dispatch_id 0
		.amdhsa_user_sgpr_private_segment_size 0
		.amdhsa_wavefront_size32 1
		.amdhsa_uses_dynamic_stack 0
		.amdhsa_enable_private_segment 0
		.amdhsa_system_sgpr_workgroup_id_x 1
		.amdhsa_system_sgpr_workgroup_id_y 0
		.amdhsa_system_sgpr_workgroup_id_z 0
		.amdhsa_system_sgpr_workgroup_info 0
		.amdhsa_system_vgpr_workitem_id 0
		.amdhsa_next_free_vgpr 1
		.amdhsa_next_free_sgpr 1
		.amdhsa_reserve_vcc 0
		.amdhsa_float_round_mode_32 0
		.amdhsa_float_round_mode_16_64 0
		.amdhsa_float_denorm_mode_32 3
		.amdhsa_float_denorm_mode_16_64 3
		.amdhsa_dx10_clamp 1
		.amdhsa_ieee_mode 1
		.amdhsa_fp16_overflow 0
		.amdhsa_workgroup_processor_mode 1
		.amdhsa_memory_ordered 1
		.amdhsa_forward_progress 0
		.amdhsa_shared_vgpr_count 0
		.amdhsa_exception_fp_ieee_invalid_op 0
		.amdhsa_exception_fp_denorm_src 0
		.amdhsa_exception_fp_ieee_div_zero 0
		.amdhsa_exception_fp_ieee_overflow 0
		.amdhsa_exception_fp_ieee_underflow 0
		.amdhsa_exception_fp_ieee_inexact 0
		.amdhsa_exception_int_div_zero 0
	.end_amdhsa_kernel
	.section	.text._ZN7rocprim17ROCPRIM_400000_NS6detail17trampoline_kernelINS0_14default_configENS1_22reduce_config_selectorIbEEZNS1_11reduce_implILb1ES3_N6hipcub16HIPCUB_304000_NS22TransformInputIteratorIbN2at6native12_GLOBAL__N_19NonZeroOpIN3c107complexINSE_4HalfEEEEEPKSH_lEEPiiNS8_6detail34convert_binary_result_type_wrapperINS8_3SumESL_iEEEE10hipError_tPvRmT1_T2_T3_mT4_P12ihipStream_tbEUlT_E1_NS1_11comp_targetILNS1_3genE10ELNS1_11target_archE1201ELNS1_3gpuE5ELNS1_3repE0EEENS1_30default_config_static_selectorELNS0_4arch9wavefront6targetE0EEEvSU_,"axG",@progbits,_ZN7rocprim17ROCPRIM_400000_NS6detail17trampoline_kernelINS0_14default_configENS1_22reduce_config_selectorIbEEZNS1_11reduce_implILb1ES3_N6hipcub16HIPCUB_304000_NS22TransformInputIteratorIbN2at6native12_GLOBAL__N_19NonZeroOpIN3c107complexINSE_4HalfEEEEEPKSH_lEEPiiNS8_6detail34convert_binary_result_type_wrapperINS8_3SumESL_iEEEE10hipError_tPvRmT1_T2_T3_mT4_P12ihipStream_tbEUlT_E1_NS1_11comp_targetILNS1_3genE10ELNS1_11target_archE1201ELNS1_3gpuE5ELNS1_3repE0EEENS1_30default_config_static_selectorELNS0_4arch9wavefront6targetE0EEEvSU_,comdat
.Lfunc_end658:
	.size	_ZN7rocprim17ROCPRIM_400000_NS6detail17trampoline_kernelINS0_14default_configENS1_22reduce_config_selectorIbEEZNS1_11reduce_implILb1ES3_N6hipcub16HIPCUB_304000_NS22TransformInputIteratorIbN2at6native12_GLOBAL__N_19NonZeroOpIN3c107complexINSE_4HalfEEEEEPKSH_lEEPiiNS8_6detail34convert_binary_result_type_wrapperINS8_3SumESL_iEEEE10hipError_tPvRmT1_T2_T3_mT4_P12ihipStream_tbEUlT_E1_NS1_11comp_targetILNS1_3genE10ELNS1_11target_archE1201ELNS1_3gpuE5ELNS1_3repE0EEENS1_30default_config_static_selectorELNS0_4arch9wavefront6targetE0EEEvSU_, .Lfunc_end658-_ZN7rocprim17ROCPRIM_400000_NS6detail17trampoline_kernelINS0_14default_configENS1_22reduce_config_selectorIbEEZNS1_11reduce_implILb1ES3_N6hipcub16HIPCUB_304000_NS22TransformInputIteratorIbN2at6native12_GLOBAL__N_19NonZeroOpIN3c107complexINSE_4HalfEEEEEPKSH_lEEPiiNS8_6detail34convert_binary_result_type_wrapperINS8_3SumESL_iEEEE10hipError_tPvRmT1_T2_T3_mT4_P12ihipStream_tbEUlT_E1_NS1_11comp_targetILNS1_3genE10ELNS1_11target_archE1201ELNS1_3gpuE5ELNS1_3repE0EEENS1_30default_config_static_selectorELNS0_4arch9wavefront6targetE0EEEvSU_
                                        ; -- End function
	.section	.AMDGPU.csdata,"",@progbits
; Kernel info:
; codeLenInByte = 0
; NumSgprs: 0
; NumVgprs: 0
; ScratchSize: 0
; MemoryBound: 0
; FloatMode: 240
; IeeeMode: 1
; LDSByteSize: 0 bytes/workgroup (compile time only)
; SGPRBlocks: 0
; VGPRBlocks: 0
; NumSGPRsForWavesPerEU: 1
; NumVGPRsForWavesPerEU: 1
; Occupancy: 16
; WaveLimiterHint : 0
; COMPUTE_PGM_RSRC2:SCRATCH_EN: 0
; COMPUTE_PGM_RSRC2:USER_SGPR: 15
; COMPUTE_PGM_RSRC2:TRAP_HANDLER: 0
; COMPUTE_PGM_RSRC2:TGID_X_EN: 1
; COMPUTE_PGM_RSRC2:TGID_Y_EN: 0
; COMPUTE_PGM_RSRC2:TGID_Z_EN: 0
; COMPUTE_PGM_RSRC2:TIDIG_COMP_CNT: 0
	.section	.text._ZN7rocprim17ROCPRIM_400000_NS6detail17trampoline_kernelINS0_14default_configENS1_22reduce_config_selectorIbEEZNS1_11reduce_implILb1ES3_N6hipcub16HIPCUB_304000_NS22TransformInputIteratorIbN2at6native12_GLOBAL__N_19NonZeroOpIN3c107complexINSE_4HalfEEEEEPKSH_lEEPiiNS8_6detail34convert_binary_result_type_wrapperINS8_3SumESL_iEEEE10hipError_tPvRmT1_T2_T3_mT4_P12ihipStream_tbEUlT_E1_NS1_11comp_targetILNS1_3genE10ELNS1_11target_archE1200ELNS1_3gpuE4ELNS1_3repE0EEENS1_30default_config_static_selectorELNS0_4arch9wavefront6targetE0EEEvSU_,"axG",@progbits,_ZN7rocprim17ROCPRIM_400000_NS6detail17trampoline_kernelINS0_14default_configENS1_22reduce_config_selectorIbEEZNS1_11reduce_implILb1ES3_N6hipcub16HIPCUB_304000_NS22TransformInputIteratorIbN2at6native12_GLOBAL__N_19NonZeroOpIN3c107complexINSE_4HalfEEEEEPKSH_lEEPiiNS8_6detail34convert_binary_result_type_wrapperINS8_3SumESL_iEEEE10hipError_tPvRmT1_T2_T3_mT4_P12ihipStream_tbEUlT_E1_NS1_11comp_targetILNS1_3genE10ELNS1_11target_archE1200ELNS1_3gpuE4ELNS1_3repE0EEENS1_30default_config_static_selectorELNS0_4arch9wavefront6targetE0EEEvSU_,comdat
	.globl	_ZN7rocprim17ROCPRIM_400000_NS6detail17trampoline_kernelINS0_14default_configENS1_22reduce_config_selectorIbEEZNS1_11reduce_implILb1ES3_N6hipcub16HIPCUB_304000_NS22TransformInputIteratorIbN2at6native12_GLOBAL__N_19NonZeroOpIN3c107complexINSE_4HalfEEEEEPKSH_lEEPiiNS8_6detail34convert_binary_result_type_wrapperINS8_3SumESL_iEEEE10hipError_tPvRmT1_T2_T3_mT4_P12ihipStream_tbEUlT_E1_NS1_11comp_targetILNS1_3genE10ELNS1_11target_archE1200ELNS1_3gpuE4ELNS1_3repE0EEENS1_30default_config_static_selectorELNS0_4arch9wavefront6targetE0EEEvSU_ ; -- Begin function _ZN7rocprim17ROCPRIM_400000_NS6detail17trampoline_kernelINS0_14default_configENS1_22reduce_config_selectorIbEEZNS1_11reduce_implILb1ES3_N6hipcub16HIPCUB_304000_NS22TransformInputIteratorIbN2at6native12_GLOBAL__N_19NonZeroOpIN3c107complexINSE_4HalfEEEEEPKSH_lEEPiiNS8_6detail34convert_binary_result_type_wrapperINS8_3SumESL_iEEEE10hipError_tPvRmT1_T2_T3_mT4_P12ihipStream_tbEUlT_E1_NS1_11comp_targetILNS1_3genE10ELNS1_11target_archE1200ELNS1_3gpuE4ELNS1_3repE0EEENS1_30default_config_static_selectorELNS0_4arch9wavefront6targetE0EEEvSU_
	.p2align	8
	.type	_ZN7rocprim17ROCPRIM_400000_NS6detail17trampoline_kernelINS0_14default_configENS1_22reduce_config_selectorIbEEZNS1_11reduce_implILb1ES3_N6hipcub16HIPCUB_304000_NS22TransformInputIteratorIbN2at6native12_GLOBAL__N_19NonZeroOpIN3c107complexINSE_4HalfEEEEEPKSH_lEEPiiNS8_6detail34convert_binary_result_type_wrapperINS8_3SumESL_iEEEE10hipError_tPvRmT1_T2_T3_mT4_P12ihipStream_tbEUlT_E1_NS1_11comp_targetILNS1_3genE10ELNS1_11target_archE1200ELNS1_3gpuE4ELNS1_3repE0EEENS1_30default_config_static_selectorELNS0_4arch9wavefront6targetE0EEEvSU_,@function
_ZN7rocprim17ROCPRIM_400000_NS6detail17trampoline_kernelINS0_14default_configENS1_22reduce_config_selectorIbEEZNS1_11reduce_implILb1ES3_N6hipcub16HIPCUB_304000_NS22TransformInputIteratorIbN2at6native12_GLOBAL__N_19NonZeroOpIN3c107complexINSE_4HalfEEEEEPKSH_lEEPiiNS8_6detail34convert_binary_result_type_wrapperINS8_3SumESL_iEEEE10hipError_tPvRmT1_T2_T3_mT4_P12ihipStream_tbEUlT_E1_NS1_11comp_targetILNS1_3genE10ELNS1_11target_archE1200ELNS1_3gpuE4ELNS1_3repE0EEENS1_30default_config_static_selectorELNS0_4arch9wavefront6targetE0EEEvSU_: ; @_ZN7rocprim17ROCPRIM_400000_NS6detail17trampoline_kernelINS0_14default_configENS1_22reduce_config_selectorIbEEZNS1_11reduce_implILb1ES3_N6hipcub16HIPCUB_304000_NS22TransformInputIteratorIbN2at6native12_GLOBAL__N_19NonZeroOpIN3c107complexINSE_4HalfEEEEEPKSH_lEEPiiNS8_6detail34convert_binary_result_type_wrapperINS8_3SumESL_iEEEE10hipError_tPvRmT1_T2_T3_mT4_P12ihipStream_tbEUlT_E1_NS1_11comp_targetILNS1_3genE10ELNS1_11target_archE1200ELNS1_3gpuE4ELNS1_3repE0EEENS1_30default_config_static_selectorELNS0_4arch9wavefront6targetE0EEEvSU_
; %bb.0:
	.section	.rodata,"a",@progbits
	.p2align	6, 0x0
	.amdhsa_kernel _ZN7rocprim17ROCPRIM_400000_NS6detail17trampoline_kernelINS0_14default_configENS1_22reduce_config_selectorIbEEZNS1_11reduce_implILb1ES3_N6hipcub16HIPCUB_304000_NS22TransformInputIteratorIbN2at6native12_GLOBAL__N_19NonZeroOpIN3c107complexINSE_4HalfEEEEEPKSH_lEEPiiNS8_6detail34convert_binary_result_type_wrapperINS8_3SumESL_iEEEE10hipError_tPvRmT1_T2_T3_mT4_P12ihipStream_tbEUlT_E1_NS1_11comp_targetILNS1_3genE10ELNS1_11target_archE1200ELNS1_3gpuE4ELNS1_3repE0EEENS1_30default_config_static_selectorELNS0_4arch9wavefront6targetE0EEEvSU_
		.amdhsa_group_segment_fixed_size 0
		.amdhsa_private_segment_fixed_size 0
		.amdhsa_kernarg_size 48
		.amdhsa_user_sgpr_count 15
		.amdhsa_user_sgpr_dispatch_ptr 0
		.amdhsa_user_sgpr_queue_ptr 0
		.amdhsa_user_sgpr_kernarg_segment_ptr 1
		.amdhsa_user_sgpr_dispatch_id 0
		.amdhsa_user_sgpr_private_segment_size 0
		.amdhsa_wavefront_size32 1
		.amdhsa_uses_dynamic_stack 0
		.amdhsa_enable_private_segment 0
		.amdhsa_system_sgpr_workgroup_id_x 1
		.amdhsa_system_sgpr_workgroup_id_y 0
		.amdhsa_system_sgpr_workgroup_id_z 0
		.amdhsa_system_sgpr_workgroup_info 0
		.amdhsa_system_vgpr_workitem_id 0
		.amdhsa_next_free_vgpr 1
		.amdhsa_next_free_sgpr 1
		.amdhsa_reserve_vcc 0
		.amdhsa_float_round_mode_32 0
		.amdhsa_float_round_mode_16_64 0
		.amdhsa_float_denorm_mode_32 3
		.amdhsa_float_denorm_mode_16_64 3
		.amdhsa_dx10_clamp 1
		.amdhsa_ieee_mode 1
		.amdhsa_fp16_overflow 0
		.amdhsa_workgroup_processor_mode 1
		.amdhsa_memory_ordered 1
		.amdhsa_forward_progress 0
		.amdhsa_shared_vgpr_count 0
		.amdhsa_exception_fp_ieee_invalid_op 0
		.amdhsa_exception_fp_denorm_src 0
		.amdhsa_exception_fp_ieee_div_zero 0
		.amdhsa_exception_fp_ieee_overflow 0
		.amdhsa_exception_fp_ieee_underflow 0
		.amdhsa_exception_fp_ieee_inexact 0
		.amdhsa_exception_int_div_zero 0
	.end_amdhsa_kernel
	.section	.text._ZN7rocprim17ROCPRIM_400000_NS6detail17trampoline_kernelINS0_14default_configENS1_22reduce_config_selectorIbEEZNS1_11reduce_implILb1ES3_N6hipcub16HIPCUB_304000_NS22TransformInputIteratorIbN2at6native12_GLOBAL__N_19NonZeroOpIN3c107complexINSE_4HalfEEEEEPKSH_lEEPiiNS8_6detail34convert_binary_result_type_wrapperINS8_3SumESL_iEEEE10hipError_tPvRmT1_T2_T3_mT4_P12ihipStream_tbEUlT_E1_NS1_11comp_targetILNS1_3genE10ELNS1_11target_archE1200ELNS1_3gpuE4ELNS1_3repE0EEENS1_30default_config_static_selectorELNS0_4arch9wavefront6targetE0EEEvSU_,"axG",@progbits,_ZN7rocprim17ROCPRIM_400000_NS6detail17trampoline_kernelINS0_14default_configENS1_22reduce_config_selectorIbEEZNS1_11reduce_implILb1ES3_N6hipcub16HIPCUB_304000_NS22TransformInputIteratorIbN2at6native12_GLOBAL__N_19NonZeroOpIN3c107complexINSE_4HalfEEEEEPKSH_lEEPiiNS8_6detail34convert_binary_result_type_wrapperINS8_3SumESL_iEEEE10hipError_tPvRmT1_T2_T3_mT4_P12ihipStream_tbEUlT_E1_NS1_11comp_targetILNS1_3genE10ELNS1_11target_archE1200ELNS1_3gpuE4ELNS1_3repE0EEENS1_30default_config_static_selectorELNS0_4arch9wavefront6targetE0EEEvSU_,comdat
.Lfunc_end659:
	.size	_ZN7rocprim17ROCPRIM_400000_NS6detail17trampoline_kernelINS0_14default_configENS1_22reduce_config_selectorIbEEZNS1_11reduce_implILb1ES3_N6hipcub16HIPCUB_304000_NS22TransformInputIteratorIbN2at6native12_GLOBAL__N_19NonZeroOpIN3c107complexINSE_4HalfEEEEEPKSH_lEEPiiNS8_6detail34convert_binary_result_type_wrapperINS8_3SumESL_iEEEE10hipError_tPvRmT1_T2_T3_mT4_P12ihipStream_tbEUlT_E1_NS1_11comp_targetILNS1_3genE10ELNS1_11target_archE1200ELNS1_3gpuE4ELNS1_3repE0EEENS1_30default_config_static_selectorELNS0_4arch9wavefront6targetE0EEEvSU_, .Lfunc_end659-_ZN7rocprim17ROCPRIM_400000_NS6detail17trampoline_kernelINS0_14default_configENS1_22reduce_config_selectorIbEEZNS1_11reduce_implILb1ES3_N6hipcub16HIPCUB_304000_NS22TransformInputIteratorIbN2at6native12_GLOBAL__N_19NonZeroOpIN3c107complexINSE_4HalfEEEEEPKSH_lEEPiiNS8_6detail34convert_binary_result_type_wrapperINS8_3SumESL_iEEEE10hipError_tPvRmT1_T2_T3_mT4_P12ihipStream_tbEUlT_E1_NS1_11comp_targetILNS1_3genE10ELNS1_11target_archE1200ELNS1_3gpuE4ELNS1_3repE0EEENS1_30default_config_static_selectorELNS0_4arch9wavefront6targetE0EEEvSU_
                                        ; -- End function
	.section	.AMDGPU.csdata,"",@progbits
; Kernel info:
; codeLenInByte = 0
; NumSgprs: 0
; NumVgprs: 0
; ScratchSize: 0
; MemoryBound: 0
; FloatMode: 240
; IeeeMode: 1
; LDSByteSize: 0 bytes/workgroup (compile time only)
; SGPRBlocks: 0
; VGPRBlocks: 0
; NumSGPRsForWavesPerEU: 1
; NumVGPRsForWavesPerEU: 1
; Occupancy: 16
; WaveLimiterHint : 0
; COMPUTE_PGM_RSRC2:SCRATCH_EN: 0
; COMPUTE_PGM_RSRC2:USER_SGPR: 15
; COMPUTE_PGM_RSRC2:TRAP_HANDLER: 0
; COMPUTE_PGM_RSRC2:TGID_X_EN: 1
; COMPUTE_PGM_RSRC2:TGID_Y_EN: 0
; COMPUTE_PGM_RSRC2:TGID_Z_EN: 0
; COMPUTE_PGM_RSRC2:TIDIG_COMP_CNT: 0
	.section	.text._ZN7rocprim17ROCPRIM_400000_NS6detail17trampoline_kernelINS0_14default_configENS1_22reduce_config_selectorIbEEZNS1_11reduce_implILb1ES3_N6hipcub16HIPCUB_304000_NS22TransformInputIteratorIbN2at6native12_GLOBAL__N_19NonZeroOpIN3c107complexINSE_4HalfEEEEEPKSH_lEEPiiNS8_6detail34convert_binary_result_type_wrapperINS8_3SumESL_iEEEE10hipError_tPvRmT1_T2_T3_mT4_P12ihipStream_tbEUlT_E1_NS1_11comp_targetILNS1_3genE9ELNS1_11target_archE1100ELNS1_3gpuE3ELNS1_3repE0EEENS1_30default_config_static_selectorELNS0_4arch9wavefront6targetE0EEEvSU_,"axG",@progbits,_ZN7rocprim17ROCPRIM_400000_NS6detail17trampoline_kernelINS0_14default_configENS1_22reduce_config_selectorIbEEZNS1_11reduce_implILb1ES3_N6hipcub16HIPCUB_304000_NS22TransformInputIteratorIbN2at6native12_GLOBAL__N_19NonZeroOpIN3c107complexINSE_4HalfEEEEEPKSH_lEEPiiNS8_6detail34convert_binary_result_type_wrapperINS8_3SumESL_iEEEE10hipError_tPvRmT1_T2_T3_mT4_P12ihipStream_tbEUlT_E1_NS1_11comp_targetILNS1_3genE9ELNS1_11target_archE1100ELNS1_3gpuE3ELNS1_3repE0EEENS1_30default_config_static_selectorELNS0_4arch9wavefront6targetE0EEEvSU_,comdat
	.globl	_ZN7rocprim17ROCPRIM_400000_NS6detail17trampoline_kernelINS0_14default_configENS1_22reduce_config_selectorIbEEZNS1_11reduce_implILb1ES3_N6hipcub16HIPCUB_304000_NS22TransformInputIteratorIbN2at6native12_GLOBAL__N_19NonZeroOpIN3c107complexINSE_4HalfEEEEEPKSH_lEEPiiNS8_6detail34convert_binary_result_type_wrapperINS8_3SumESL_iEEEE10hipError_tPvRmT1_T2_T3_mT4_P12ihipStream_tbEUlT_E1_NS1_11comp_targetILNS1_3genE9ELNS1_11target_archE1100ELNS1_3gpuE3ELNS1_3repE0EEENS1_30default_config_static_selectorELNS0_4arch9wavefront6targetE0EEEvSU_ ; -- Begin function _ZN7rocprim17ROCPRIM_400000_NS6detail17trampoline_kernelINS0_14default_configENS1_22reduce_config_selectorIbEEZNS1_11reduce_implILb1ES3_N6hipcub16HIPCUB_304000_NS22TransformInputIteratorIbN2at6native12_GLOBAL__N_19NonZeroOpIN3c107complexINSE_4HalfEEEEEPKSH_lEEPiiNS8_6detail34convert_binary_result_type_wrapperINS8_3SumESL_iEEEE10hipError_tPvRmT1_T2_T3_mT4_P12ihipStream_tbEUlT_E1_NS1_11comp_targetILNS1_3genE9ELNS1_11target_archE1100ELNS1_3gpuE3ELNS1_3repE0EEENS1_30default_config_static_selectorELNS0_4arch9wavefront6targetE0EEEvSU_
	.p2align	8
	.type	_ZN7rocprim17ROCPRIM_400000_NS6detail17trampoline_kernelINS0_14default_configENS1_22reduce_config_selectorIbEEZNS1_11reduce_implILb1ES3_N6hipcub16HIPCUB_304000_NS22TransformInputIteratorIbN2at6native12_GLOBAL__N_19NonZeroOpIN3c107complexINSE_4HalfEEEEEPKSH_lEEPiiNS8_6detail34convert_binary_result_type_wrapperINS8_3SumESL_iEEEE10hipError_tPvRmT1_T2_T3_mT4_P12ihipStream_tbEUlT_E1_NS1_11comp_targetILNS1_3genE9ELNS1_11target_archE1100ELNS1_3gpuE3ELNS1_3repE0EEENS1_30default_config_static_selectorELNS0_4arch9wavefront6targetE0EEEvSU_,@function
_ZN7rocprim17ROCPRIM_400000_NS6detail17trampoline_kernelINS0_14default_configENS1_22reduce_config_selectorIbEEZNS1_11reduce_implILb1ES3_N6hipcub16HIPCUB_304000_NS22TransformInputIteratorIbN2at6native12_GLOBAL__N_19NonZeroOpIN3c107complexINSE_4HalfEEEEEPKSH_lEEPiiNS8_6detail34convert_binary_result_type_wrapperINS8_3SumESL_iEEEE10hipError_tPvRmT1_T2_T3_mT4_P12ihipStream_tbEUlT_E1_NS1_11comp_targetILNS1_3genE9ELNS1_11target_archE1100ELNS1_3gpuE3ELNS1_3repE0EEENS1_30default_config_static_selectorELNS0_4arch9wavefront6targetE0EEEvSU_: ; @_ZN7rocprim17ROCPRIM_400000_NS6detail17trampoline_kernelINS0_14default_configENS1_22reduce_config_selectorIbEEZNS1_11reduce_implILb1ES3_N6hipcub16HIPCUB_304000_NS22TransformInputIteratorIbN2at6native12_GLOBAL__N_19NonZeroOpIN3c107complexINSE_4HalfEEEEEPKSH_lEEPiiNS8_6detail34convert_binary_result_type_wrapperINS8_3SumESL_iEEEE10hipError_tPvRmT1_T2_T3_mT4_P12ihipStream_tbEUlT_E1_NS1_11comp_targetILNS1_3genE9ELNS1_11target_archE1100ELNS1_3gpuE3ELNS1_3repE0EEENS1_30default_config_static_selectorELNS0_4arch9wavefront6targetE0EEEvSU_
; %bb.0:
	s_clause 0x2
	s_load_b32 s26, s[0:1], 0x4
	s_load_b64 s[24:25], s[0:1], 0x8
	s_load_b128 s[20:23], s[0:1], 0x18
	s_mov_b32 s18, s15
	s_waitcnt lgkmcnt(0)
	s_cmp_lt_i32 s26, 16
	s_cbranch_scc1 .LBB660_12
; %bb.1:
	s_cmp_gt_i32 s26, 63
	s_cbranch_scc0 .LBB660_13
; %bb.2:
	s_cmpk_gt_i32 s26, 0x7f
	s_cbranch_scc0 .LBB660_22
; %bb.3:
	s_cmpk_eq_i32 s26, 0x80
	s_mov_b32 s6, 0
	s_cbranch_scc0 .LBB660_23
; %bb.4:
	s_mov_b32 s19, 0
	s_lshl_b32 s4, s18, 14
	s_mov_b32 s5, s19
	s_lshr_b64 s[8:9], s[20:21], 14
	s_lshl_b64 s[2:3], s[4:5], 2
	s_delay_alu instid0(SALU_CYCLE_1)
	s_add_u32 s2, s24, s2
	s_addc_u32 s3, s25, s3
	s_cmp_lg_u64 s[8:9], s[18:19]
	s_cbranch_scc0 .LBB660_34
; %bb.5:
	v_lshlrev_b32_e32 v10, 2, v0
	s_delay_alu instid0(VALU_DEP_1)
	v_add_co_u32 v1, s5, s2, v10
	s_clause 0x7
	global_load_b32 v3, v10, s[2:3]
	global_load_b32 v4, v10, s[2:3] offset:512
	global_load_b32 v5, v10, s[2:3] offset:1024
	;; [unrolled: 1-line block ×7, first 2 shown]
	v_add_co_ci_u32_e64 v2, null, s3, 0, s5
	v_add_co_u32 v12, vcc_lo, 0x1000, v1
	s_mov_b32 s5, exec_lo
	s_delay_alu instid0(VALU_DEP_2)
	v_add_co_ci_u32_e32 v13, vcc_lo, 0, v2, vcc_lo
	v_add_co_u32 v14, vcc_lo, v1, 0x2000
	v_add_co_ci_u32_e32 v15, vcc_lo, 0, v2, vcc_lo
	v_add_co_u32 v26, vcc_lo, 0x2000, v1
	v_add_co_ci_u32_e32 v27, vcc_lo, 0, v2, vcc_lo
	s_clause 0x9
	global_load_b32 v17, v[14:15], off offset:-4096
	global_load_b32 v11, v[14:15], off
	global_load_b32 v20, v[12:13], off offset:512
	global_load_b32 v19, v[12:13], off offset:1024
	;; [unrolled: 1-line block ×8, first 2 shown]
	v_add_co_u32 v29, vcc_lo, 0x3000, v1
	v_add_co_ci_u32_e32 v30, vcc_lo, 0, v2, vcc_lo
	v_add_co_u32 v31, vcc_lo, v1, 0x4000
	v_add_co_ci_u32_e32 v32, vcc_lo, 0, v2, vcc_lo
	v_add_co_u32 v33, vcc_lo, 0x4000, v1
	s_clause 0x7
	global_load_b32 v21, v[26:27], off offset:1024
	global_load_b32 v22, v[26:27], off offset:1536
	;; [unrolled: 1-line block ×8, first 2 shown]
	v_add_co_ci_u32_e32 v34, vcc_lo, 0, v2, vcc_lo
	s_clause 0xc
	global_load_b32 v39, v[31:32], off offset:-4096
	global_load_b32 v35, v[31:32], off
	global_load_b32 v40, v[29:30], off offset:1536
	global_load_b32 v41, v[29:30], off offset:2048
	;; [unrolled: 1-line block ×11, first 2 shown]
	v_add_co_u32 v36, vcc_lo, v1, 0x6000
	v_add_co_ci_u32_e32 v37, vcc_lo, 0, v2, vcc_lo
	v_add_co_u32 v45, vcc_lo, 0x5000, v1
	v_add_co_ci_u32_e32 v46, vcc_lo, 0, v2, vcc_lo
	s_clause 0x9
	global_load_b32 v58, v[33:34], off offset:3584
	global_load_b32 v59, v[36:37], off offset:-4096
	global_load_b32 v29, v[45:46], off offset:512
	global_load_b32 v62, v[45:46], off offset:1024
	;; [unrolled: 1-line block ×7, first 2 shown]
	global_load_b32 v36, v[36:37], off
	v_add_co_u32 v60, vcc_lo, 0x6000, v1
	v_add_co_ci_u32_e32 v61, vcc_lo, 0, v2, vcc_lo
	s_clause 0x5
	global_load_b32 v37, v[60:61], off offset:512
	global_load_b32 v45, v[60:61], off offset:1024
	;; [unrolled: 1-line block ×6, first 2 shown]
	v_add_co_u32 v63, vcc_lo, v1, 0x8000
	v_add_co_ci_u32_e32 v64, vcc_lo, 0, v2, vcc_lo
	s_clause 0x1
	global_load_b32 v51, v[60:61], off offset:3584
	global_load_b32 v53, v[63:64], off offset:-4096
	v_add_co_u32 v70, vcc_lo, 0x7000, v1
	v_add_co_ci_u32_e32 v71, vcc_lo, 0, v2, vcc_lo
	s_clause 0x5
	global_load_b32 v55, v[70:71], off offset:1024
	global_load_b32 v61, v[70:71], off offset:1536
	;; [unrolled: 1-line block ×6, first 2 shown]
	v_add_co_u32 v72, vcc_lo, 0x8000, v1
	v_add_co_ci_u32_e32 v73, vcc_lo, 0, v2, vcc_lo
	s_clause 0x1
	global_load_b32 v69, v[63:64], off
	global_load_b32 v68, v[70:71], off offset:3584
	v_add_co_u32 v74, vcc_lo, 0x9000, v1
	global_load_b32 v86, v[72:73], off offset:512
	v_add_co_ci_u32_e32 v75, vcc_lo, 0, v2, vcc_lo
	v_add_co_u32 v76, vcc_lo, v1, 0xa000
	v_add_co_ci_u32_e32 v77, vcc_lo, 0, v2, vcc_lo
	v_add_co_u32 v78, vcc_lo, 0xa000, v1
	;; [unrolled: 2-line block ×6, first 2 shown]
	v_add_co_ci_u32_e32 v85, vcc_lo, 0, v2, vcc_lo
	s_clause 0x1f
	global_load_b32 v87, v[72:73], off offset:1024
	global_load_b32 v88, v[72:73], off offset:1536
	;; [unrolled: 1-line block ×22, first 2 shown]
	global_load_b32 v103, v[76:77], off offset:-4096
	global_load_b32 v76, v[76:77], off
	global_load_b32 v77, v[82:83], off offset:-4096
	global_load_b32 v82, v[82:83], off
	global_load_b32 v83, v[80:81], off offset:1536
	global_load_b32 v104, v[80:81], off offset:2048
	;; [unrolled: 1-line block ×6, first 2 shown]
	s_clause 0x6
	global_load_b32 v107, v[70:71], off offset:1024
	global_load_b32 v108, v[70:71], off offset:1536
	;; [unrolled: 1-line block ×7, first 2 shown]
	s_waitcnt vmcnt(62)
	v_lshrrev_b32_e32 v112, 16, v3
	v_lshrrev_b32_e32 v113, 16, v4
	;; [unrolled: 1-line block ×5, first 2 shown]
	v_or_b32_e32 v3, v3, v112
	v_lshrrev_b32_e32 v118, 16, v9
	v_or_b32_e32 v4, v4, v113
	v_or_b32_e32 v5, v5, v114
	;; [unrolled: 1-line block ×3, first 2 shown]
	v_and_b32_e32 v3, 0x7fff, v3
	v_or_b32_e32 v7, v7, v116
	v_or_b32_e32 v9, v9, v118
	v_and_b32_e32 v112, 0x7fff, v4
	v_and_b32_e32 v4, 0x7fff, v5
	v_cmp_ne_u16_e32 vcc_lo, 0, v3
	v_and_b32_e32 v113, 0x7fff, v6
	v_and_b32_e32 v5, 0x7fff, v7
	;; [unrolled: 1-line block ×3, first 2 shown]
	v_lshrrev_b32_e32 v9, 16, v17
	v_cndmask_b32_e64 v140, 0, 1, vcc_lo
	v_cmp_ne_u16_e32 vcc_lo, 0, v4
	v_lshrrev_b32_e32 v114, 16, v19
	v_lshrrev_b32_e32 v116, 16, v16
	v_or_b32_e32 v9, v17, v9
	v_lshrrev_b32_e32 v119, 16, v10
	v_cndmask_b32_e64 v141, 0, 1, vcc_lo
	v_cmp_ne_u16_e32 vcc_lo, 0, v5
	v_or_b32_e32 v19, v19, v114
	v_and_b32_e32 v9, 0x7fff, v9
	v_lshrrev_b32_e32 v118, 16, v14
	v_or_b32_e32 v16, v16, v116
	v_cndmask_b32_e64 v142, 0, 1, vcc_lo
	v_cmp_ne_u16_e32 vcc_lo, 0, v6
	v_and_b32_e32 v19, 0x7fff, v19
	v_lshrrev_b32_e32 v117, 16, v8
	v_or_b32_e32 v10, v10, v119
	v_lshrrev_b32_e32 v119, 16, v12
	v_cndmask_b32_e64 v143, 0, 1, vcc_lo
	v_cmp_ne_u16_e32 vcc_lo, 0, v9
	v_lshrrev_b32_e32 v120, 16, v11
	v_or_b32_e32 v14, v14, v118
	v_and_b32_e32 v16, 0x7fff, v16
	v_or_b32_e32 v8, v8, v117
	v_cndmask_b32_e64 v9, 0, 1, vcc_lo
	v_cmp_ne_u16_e32 vcc_lo, 0, v19
	v_lshrrev_b32_e32 v122, 16, v21
	v_lshrrev_b32_e32 v17, 16, v54
	v_or_b32_e32 v3, v12, v119
	v_or_b32_e32 v4, v11, v120
	v_and_b32_e32 v14, 0x7fff, v14
	v_cndmask_b32_e64 v19, 0, 1, vcc_lo
	v_cmp_ne_u16_e32 vcc_lo, 0, v16
	v_and_b32_e32 v7, 0x7fff, v8
	v_and_b32_e32 v8, 0x7fff, v10
	v_lshrrev_b32_e32 v10, 16, v20
	v_lshrrev_b32_e32 v115, 16, v18
	;; [unrolled: 1-line block ×15, first 2 shown]
	v_or_b32_e32 v6, v21, v122
	v_or_b32_e32 v17, v54, v17
	v_and_b32_e32 v54, 0x7fff, v3
	v_and_b32_e32 v3, 0x7fff, v4
	v_cndmask_b32_e64 v16, 0, 1, vcc_lo
	v_cmp_ne_u16_e32 vcc_lo, 0, v14
	v_lshrrev_b32_e32 v128, 16, v39
	v_lshrrev_b32_e32 v132, 16, v41
	;; [unrolled: 1-line block ×5, first 2 shown]
	v_or_b32_e32 v10, v20, v10
	v_lshrrev_b32_e32 v20, 16, v56
	v_or_b32_e32 v18, v18, v115
	v_lshrrev_b32_e32 v115, 16, v58
	v_or_b32_e32 v5, v13, v121
	v_or_b32_e32 v11, v22, v123
	;; [unrolled: 1-line block ×13, first 2 shown]
	v_and_b32_e32 v4, 0x7fff, v6
	v_cndmask_b32_e64 v14, 0, 1, vcc_lo
	v_cmp_ne_u16_e32 vcc_lo, 0, v3
	v_or_b32_e32 v23, v39, v128
	v_or_b32_e32 v27, v41, v132
	;; [unrolled: 1-line block ×7, first 2 shown]
	v_and_b32_e32 v56, 0x7fff, v5
	v_and_b32_e32 v5, 0x7fff, v12
	;; [unrolled: 1-line block ×10, first 2 shown]
	v_cndmask_b32_e64 v44, 0, 1, vcc_lo
	v_cmp_ne_u16_e32 vcc_lo, 0, v4
	v_and_b32_e32 v6, 0x7fff, v21
	v_and_b32_e32 v21, 0x7fff, v23
	;; [unrolled: 1-line block ×8, first 2 shown]
	v_cndmask_b32_e64 v48, 0, 1, vcc_lo
	v_cmp_ne_u16_e32 vcc_lo, 0, v5
	v_lshrrev_b32_e32 v136, 16, v35
	v_and_b32_e32 v17, 0x7fff, v17
	v_lshrrev_b32_e32 v117, 16, v15
	v_lshrrev_b32_e32 v116, 16, v59
	v_cndmask_b32_e64 v57, 0, 1, vcc_lo
	v_cmp_ne_u16_e32 vcc_lo, 0, v6
	v_or_b32_e32 v35, v35, v136
	v_lshrrev_b32_e32 v118, 16, v62
	v_or_b32_e32 v15, v15, v117
	v_lshrrev_b32_e32 v117, 16, v29
	v_cndmask_b32_e64 v58, 0, 1, vcc_lo
	v_cmp_ne_u16_e32 vcc_lo, 0, v21
	v_and_b32_e32 v35, 0x7fff, v35
	v_or_b32_e32 v50, v59, v116
	v_or_b32_e32 v52, v62, v118
	;; [unrolled: 1-line block ×3, first 2 shown]
	v_cndmask_b32_e64 v21, 0, 1, vcc_lo
	v_cmp_ne_u16_e32 vcc_lo, 0, v23
	v_and_b32_e32 v5, 0x7fff, v50
	v_and_b32_e32 v29, 0x7fff, v52
	s_waitcnt vmcnt(60)
	v_lshrrev_b32_e32 v62, 16, v32
	s_waitcnt vmcnt(56)
	v_lshrrev_b32_e32 v115, 16, v36
	v_cndmask_b32_e64 v23, 0, 1, vcc_lo
	v_cmp_ne_u16_e32 vcc_lo, 0, v25
	s_waitcnt vmcnt(52)
	v_lshrrev_b32_e32 v117, 16, v47
	v_or_b32_e32 v32, v32, v62
	v_lshrrev_b32_e32 v62, 16, v31
	v_or_b32_e32 v36, v36, v115
	v_cndmask_b32_e64 v25, 0, 1, vcc_lo
	v_cmp_ne_u16_e32 vcc_lo, 0, v27
	v_lshrrev_b32_e32 v115, 16, v45
	v_or_b32_e32 v31, v31, v62
	v_and_b32_e32 v32, 0x7fff, v32
	v_and_b32_e32 v36, 0x7fff, v36
	v_cndmask_b32_e64 v27, 0, 1, vcc_lo
	v_cmp_ne_u16_e32 vcc_lo, 0, v35
	v_or_b32_e32 v45, v45, v115
	v_or_b32_e32 v47, v47, v117
	s_waitcnt vmcnt(50)
	v_lshrrev_b32_e32 v117, 16, v49
	s_waitcnt vmcnt(45)
	v_lshrrev_b32_e32 v119, 16, v60
	v_cndmask_b32_e64 v35, 0, 1, vcc_lo
	v_cmp_ne_u16_e32 vcc_lo, 0, v40
	v_and_b32_e32 v45, 0x7fff, v45
	v_or_b32_e32 v49, v49, v117
	v_and_b32_e32 v47, 0x7fff, v47
	s_waitcnt vmcnt(32)
	v_lshrrev_b32_e32 v122, 16, v73
	v_cndmask_b32_e64 v40, 0, 1, vcc_lo
	v_cmp_ne_u16_e32 vcc_lo, 0, v17
	v_and_b32_e32 v49, 0x7fff, v49
	s_waitcnt vmcnt(31)
	v_lshrrev_b32_e32 v123, 16, v92
	v_or_b32_e32 v73, v73, v122
	s_waitcnt vmcnt(30)
	v_lshrrev_b32_e32 v122, 16, v93
	v_cndmask_b32_e64 v17, 0, 1, vcc_lo
	v_cmp_ne_u16_e32 vcc_lo, 0, v42
	v_or_b32_e32 v92, v92, v123
	s_waitcnt vmcnt(29)
	v_lshrrev_b32_e32 v123, 16, v94
	v_or_b32_e32 v93, v93, v122
	s_waitcnt vmcnt(28)
	v_lshrrev_b32_e32 v122, 16, v95
	v_cndmask_b32_e64 v42, 0, 1, vcc_lo
	v_add_co_u32 v3, vcc_lo, v1, 0xe000
	v_add_co_ci_u32_e32 v4, vcc_lo, 0, v2, vcc_lo
	s_clause 0x1
	global_load_b32 v50, v[70:71], off offset:3584
	global_load_b32 v52, v[3:4], off offset:-4096
	v_cmp_ne_u16_e32 vcc_lo, 0, v5
	v_lshrrev_b32_e32 v5, 16, v30
	v_and_b32_e32 v70, 0x7fff, v6
	v_lshrrev_b32_e32 v71, 16, v34
	v_and_b32_e32 v92, 0x7fff, v92
	v_cndmask_b32_e64 v59, 0, 1, vcc_lo
	v_cmp_ne_u16_e32 vcc_lo, 0, v29
	v_or_b32_e32 v30, v30, v5
	v_or_b32_e32 v34, v34, v71
	v_lshrrev_b32_e32 v71, 16, v33
	v_or_b32_e32 v94, v94, v123
	v_cndmask_b32_e64 v29, 0, 1, vcc_lo
	v_add_co_u32 v5, vcc_lo, 0xd000, v1
	v_add_co_ci_u32_e32 v6, vcc_lo, 0, v2, vcc_lo
	s_clause 0x3
	global_load_b32 v62, v[5:6], off offset:512
	global_load_b32 v114, v[5:6], off offset:1024
	global_load_b32 v115, v[5:6], off offset:1536
	global_load_b32 v116, v[5:6], off offset:2048
	v_cmp_ne_u16_e32 vcc_lo, 0, v32
	v_and_b32_e32 v34, 0x7fff, v34
	v_or_b32_e32 v33, v33, v71
	v_lshrrev_b32_e32 v71, 16, v37
	global_load_b32 v3, v[3:4], off
	v_cndmask_b32_e64 v32, 0, 1, vcc_lo
	v_cmp_ne_u16_e32 vcc_lo, 0, v34
	v_lshrrev_b32_e32 v4, 16, v53
	v_or_b32_e32 v37, v37, v71
	v_lshrrev_b32_e32 v71, 16, v38
	s_clause 0x1
	global_load_b32 v117, v[5:6], off offset:2560
	global_load_b32 v118, v[5:6], off offset:3072
	v_cndmask_b32_e64 v34, 0, 1, vcc_lo
	v_cmp_ne_u16_e32 vcc_lo, 0, v36
	v_or_b32_e32 v4, v53, v4
	v_or_b32_e32 v38, v38, v71
	v_lshrrev_b32_e32 v71, 16, v46
	v_lshrrev_b32_e32 v53, 16, v55
	v_cndmask_b32_e64 v36, 0, 1, vcc_lo
	v_cmp_ne_u16_e32 vcc_lo, 0, v45
	v_and_b32_e32 v4, 0x7fff, v4
	v_or_b32_e32 v46, v46, v71
	v_lshrrev_b32_e32 v71, 16, v51
	v_or_b32_e32 v53, v55, v53
	v_cndmask_b32_e64 v45, 0, 1, vcc_lo
	v_cmp_ne_u16_e32 vcc_lo, 0, v47
	v_lshrrev_b32_e32 v55, 16, v61
	v_or_b32_e32 v51, v51, v71
	v_lshrrev_b32_e32 v71, 16, v67
	v_and_b32_e32 v53, 0x7fff, v53
	v_cndmask_b32_e64 v47, 0, 1, vcc_lo
	v_cmp_ne_u16_e32 vcc_lo, 0, v49
	v_or_b32_e32 v55, v61, v55
	v_or_b32_e32 v67, v67, v71
	v_lshrrev_b32_e32 v61, 16, v66
	global_load_b32 v5, v[5:6], off offset:3584
	v_cndmask_b32_e64 v49, 0, 1, vcc_lo
	v_cmp_ne_u16_e32 vcc_lo, 0, v4
	v_or_b32_e32 v6, v60, v119
	v_and_b32_e32 v60, 0x7fff, v67
	v_lshrrev_b32_e32 v67, 16, v65
	v_or_b32_e32 v61, v66, v61
	v_lshrrev_b32_e32 v66, 16, v69
	v_cndmask_b32_e64 v4, 0, 1, vcc_lo
	v_cmp_ne_u16_e32 vcc_lo, 0, v53
	v_and_b32_e32 v6, 0x7fff, v6
	v_or_b32_e32 v65, v65, v67
	v_or_b32_e32 v66, v69, v66
	v_lshrrev_b32_e32 v69, 16, v86
	v_cndmask_b32_e64 v53, 0, 1, vcc_lo
	v_add_co_u32 v1, vcc_lo, 0xe000, v1
	v_add_co_ci_u32_e32 v2, vcc_lo, 0, v2, vcc_lo
	v_cmp_ne_u16_e32 vcc_lo, 0, v6
	v_lshrrev_b32_e32 v119, 16, v68
	v_and_b32_e32 v65, 0x7fff, v65
	v_or_b32_e32 v69, v86, v69
	v_lshrrev_b32_e32 v86, 16, v87
	v_cndmask_b32_e64 v6, 0, 1, vcc_lo
	v_or_b32_e32 v68, v68, v119
	v_and_b32_e32 v66, 0x7fff, v66
	v_cmp_ne_u16_e32 vcc_lo, 0, v65
	v_or_b32_e32 v86, v87, v86
	v_lshrrev_b32_e32 v87, 16, v88
	v_lshrrev_b32_e32 v119, 16, v89
	s_clause 0x1
	global_load_b32 v67, v[1:2], off offset:512
	global_load_b32 v71, v[1:2], off offset:1024
	v_cndmask_b32_e64 v65, 0, 1, vcc_lo
	v_cmp_ne_u16_e32 vcc_lo, 0, v66
	v_and_b32_e32 v86, 0x7fff, v86
	v_or_b32_e32 v87, v88, v87
	v_or_b32_e32 v88, v89, v119
	v_lshrrev_b32_e32 v89, 16, v90
	v_lshrrev_b32_e32 v119, 16, v91
	v_cndmask_b32_e64 v66, 0, 1, vcc_lo
	v_cmp_ne_u16_e32 vcc_lo, 0, v86
	v_and_b32_e32 v88, 0x7fff, v88
	v_or_b32_e32 v89, v90, v89
	v_or_b32_e32 v90, v91, v119
	v_lshrrev_b32_e32 v91, 16, v72
	s_waitcnt vmcnt(28)
	v_lshrrev_b32_e32 v119, 16, v103
	v_cndmask_b32_e64 v86, 0, 1, vcc_lo
	v_cmp_ne_u16_e32 vcc_lo, 0, v88
	v_and_b32_e32 v90, 0x7fff, v90
	v_or_b32_e32 v72, v72, v91
	v_or_b32_e32 v91, v103, v119
	v_lshrrev_b32_e32 v123, 16, v96
	v_cndmask_b32_e64 v88, 0, 1, vcc_lo
	v_cmp_ne_u16_e32 vcc_lo, 0, v90
	v_and_b32_e32 v94, 0x7fff, v94
	v_and_b32_e32 v91, 0x7fff, v91
	v_or_b32_e32 v95, v95, v122
	s_waitcnt vmcnt(27)
	v_lshrrev_b32_e32 v122, 16, v76
	v_cndmask_b32_e64 v90, 0, 1, vcc_lo
	v_or_b32_e32 v96, v96, v123
	v_cmp_ne_u16_e32 vcc_lo, 0, v91
	v_lshrrev_b32_e32 v123, 16, v74
	v_or_b32_e32 v76, v76, v122
	v_lshrrev_b32_e32 v122, 16, v97
	v_and_b32_e32 v96, 0x7fff, v96
	v_cndmask_b32_e64 v91, 0, 1, vcc_lo
	v_cmp_ne_u16_e32 vcc_lo, 0, v92
	v_or_b32_e32 v74, v74, v123
	v_lshrrev_b32_e32 v123, 16, v75
	v_and_b32_e32 v76, 0x7fff, v76
	v_or_b32_e32 v97, v97, v122
	v_cndmask_b32_e64 v92, 0, 1, vcc_lo
	v_cmp_ne_u16_e32 vcc_lo, 0, v94
	v_or_b32_e32 v75, v75, v123
	v_lshrrev_b32_e32 v122, 16, v98
	v_lshrrev_b32_e32 v123, 16, v99
	v_and_b32_e32 v97, 0x7fff, v97
	v_cndmask_b32_e64 v94, 0, 1, vcc_lo
	v_cmp_ne_u16_e32 vcc_lo, 0, v96
	v_or_b32_e32 v98, v98, v122
	v_or_b32_e32 v99, v99, v123
	v_lshrrev_b32_e32 v122, 16, v100
	v_lshrrev_b32_e32 v126, 16, v101
	v_cndmask_b32_e64 v96, 0, 1, vcc_lo
	v_cmp_ne_u16_e32 vcc_lo, 0, v76
	v_and_b32_e32 v99, 0x7fff, v99
	v_or_b32_e32 v100, v100, v122
	v_or_b32_e32 v101, v101, v126
	v_lshrrev_b32_e32 v122, 16, v78
	v_cndmask_b32_e64 v76, 0, 1, vcc_lo
	v_cmp_ne_u16_e32 vcc_lo, 0, v97
	s_waitcnt vmcnt(26)
	v_lshrrev_b32_e32 v126, 16, v77
	s_clause 0x7
	global_load_b32 v120, v[1:2], off offset:1536
	global_load_b32 v121, v[1:2], off offset:2048
	;; [unrolled: 1-line block ×5, first 2 shown]
	global_load_b32 v2, v[84:85], off
	global_load_b32 v124, v[84:85], off offset:512
	global_load_b32 v125, v[84:85], off offset:1024
	v_cndmask_b32_e64 v97, 0, 1, vcc_lo
	s_clause 0x1
	global_load_b32 v123, v[84:85], off offset:1536
	global_load_b32 v127, v[84:85], off offset:2048
	v_cmp_ne_u16_e32 vcc_lo, 0, v99
	v_and_b32_e32 v101, 0x7fff, v101
	v_or_b32_e32 v78, v78, v122
	v_or_b32_e32 v77, v77, v126
	global_load_b32 v84, v[84:85], off offset:2560
	v_lshrrev_b32_e32 v85, 16, v79
	v_lshrrev_b32_e32 v122, 16, v102
	v_cndmask_b32_e64 v99, 0, 1, vcc_lo
	v_cmp_ne_u16_e32 vcc_lo, 0, v101
	v_and_b32_e32 v77, 0x7fff, v77
	v_or_b32_e32 v79, v79, v85
	s_waitcnt vmcnt(34)
	v_lshrrev_b32_e32 v85, 16, v104
	v_or_b32_e32 v102, v102, v122
	v_cndmask_b32_e64 v101, 0, 1, vcc_lo
	v_cmp_ne_u16_e32 vcc_lo, 0, v77
	v_and_b32_e32 v10, 0x7fff, v10
	v_or_b32_e32 v85, v104, v85
	s_waitcnt vmcnt(32)
	v_lshrrev_b32_e32 v104, 16, v106
	v_and_b32_e32 v102, 0x7fff, v102
	v_cndmask_b32_e64 v77, 0, 1, vcc_lo
	v_and_b32_e32 v18, 0x7fff, v18
	v_and_b32_e32 v85, 0x7fff, v85
	v_or_b32_e32 v104, v106, v104
	v_cmp_ne_u16_e32 vcc_lo, 0, v102
	v_lshrrev_b32_e32 v106, 16, v82
	v_and_b32_e32 v15, 0x7fff, v15
	v_and_b32_e32 v11, 0x7fff, v11
	;; [unrolled: 1-line block ×3, first 2 shown]
	v_cndmask_b32_e64 v102, 0, 1, vcc_lo
	v_cmp_ne_u16_e32 vcc_lo, 0, v85
	v_or_b32_e32 v82, v82, v106
	v_and_b32_e32 v20, 0x7fff, v20
	v_and_b32_e32 v30, 0x7fff, v30
	v_and_b32_e32 v31, 0x7fff, v31
	v_cndmask_b32_e64 v85, 0, 1, vcc_lo
	v_cmp_ne_u16_e32 vcc_lo, 0, v104
	v_and_b32_e32 v82, 0x7fff, v82
	v_and_b32_e32 v33, 0x7fff, v33
	;; [unrolled: 1-line block ×4, first 2 shown]
	v_cndmask_b32_e64 v104, 0, 1, vcc_lo
	v_cmp_ne_u16_e32 vcc_lo, 0, v112
	v_and_b32_e32 v46, 0x7fff, v46
	v_and_b32_e32 v51, 0x7fff, v51
	;; [unrolled: 1-line block ×4, first 2 shown]
	v_add_co_ci_u32_e32 v106, vcc_lo, 0, v140, vcc_lo
	v_cmp_ne_u16_e32 vcc_lo, 0, v113
	v_and_b32_e32 v68, 0x7fff, v68
	v_and_b32_e32 v69, 0x7fff, v69
	;; [unrolled: 1-line block ×4, first 2 shown]
	v_add_co_ci_u32_e32 v106, vcc_lo, v106, v141, vcc_lo
	v_cmp_ne_u16_e32 vcc_lo, 0, v82
	v_and_b32_e32 v72, 0x7fff, v72
	v_and_b32_e32 v73, 0x7fff, v73
	;; [unrolled: 1-line block ×4, first 2 shown]
	v_cndmask_b32_e64 v82, 0, 1, vcc_lo
	v_cmp_ne_u16_e32 vcc_lo, 0, v7
	v_and_b32_e32 v74, 0x7fff, v74
	v_and_b32_e32 v75, 0x7fff, v75
	;; [unrolled: 1-line block ×4, first 2 shown]
	v_add_co_ci_u32_e32 v7, vcc_lo, v106, v142, vcc_lo
	v_cmp_ne_u16_e32 vcc_lo, 0, v8
	s_waitcnt vmcnt(29)
	v_lshrrev_b32_e32 v106, 16, v107
	v_and_b32_e32 v78, 0x7fff, v78
	v_lshrrev_b32_e32 v122, 16, v83
	v_and_b32_e32 v79, 0x7fff, v79
	v_add_co_ci_u32_e32 v7, vcc_lo, v7, v143, vcc_lo
	v_cmp_ne_u16_e32 vcc_lo, 0, v10
	v_or_b32_e32 v8, v107, v106
	s_waitcnt vmcnt(27)
	v_lshrrev_b32_e32 v10, 16, v109
	v_or_b32_e32 v83, v83, v122
	v_lshrrev_b32_e32 v122, 16, v105
	v_add_co_ci_u32_e32 v7, vcc_lo, v7, v9, vcc_lo
	v_cmp_ne_u16_e32 vcc_lo, 0, v18
	v_and_b32_e32 v8, 0x7fff, v8
	v_or_b32_e32 v10, v109, v10
	v_and_b32_e32 v83, 0x7fff, v83
	v_or_b32_e32 v105, v105, v122
	v_add_co_ci_u32_e32 v7, vcc_lo, v7, v19, vcc_lo
	v_cmp_ne_u16_e32 vcc_lo, 0, v8
	v_and_b32_e32 v10, 0x7fff, v10
	v_lshrrev_b32_e32 v122, 16, v80
	v_and_b32_e32 v105, 0x7fff, v105
	v_lshrrev_b32_e32 v112, 16, v81
	v_cndmask_b32_e64 v8, 0, 1, vcc_lo
	v_cmp_ne_u16_e32 vcc_lo, 0, v15
	v_or_b32_e32 v80, v80, v122
	v_lshrrev_b32_e32 v15, 16, v108
	v_or_b32_e32 v81, v81, v112
	v_add_co_ci_u32_e32 v7, vcc_lo, v7, v16, vcc_lo
	v_cmp_ne_u16_e32 vcc_lo, 0, v54
	v_and_b32_e32 v80, 0x7fff, v80
	s_delay_alu instid0(VALU_DEP_4) | instskip(NEXT) | instid1(VALU_DEP_4)
	v_and_b32_e32 v9, 0x7fff, v81
	v_add_co_ci_u32_e32 v7, vcc_lo, v7, v14, vcc_lo
	v_cmp_ne_u16_e32 vcc_lo, 0, v56
	v_or_b32_e32 v14, v108, v15
	s_delay_alu instid0(VALU_DEP_3)
	v_add_co_ci_u32_e32 v7, vcc_lo, v7, v44, vcc_lo
	v_cmp_ne_u16_e32 vcc_lo, 0, v11
	s_waitcnt vmcnt(25)
	v_lshrrev_b32_e32 v11, 16, v111
	v_and_b32_e32 v14, 0x7fff, v14
	v_add_co_ci_u32_e32 v7, vcc_lo, v7, v48, vcc_lo
	v_cmp_ne_u16_e32 vcc_lo, 0, v10
	s_delay_alu instid0(VALU_DEP_4) | instskip(SKIP_2) | instid1(VALU_DEP_3)
	v_or_b32_e32 v11, v111, v11
	v_cndmask_b32_e64 v10, 0, 1, vcc_lo
	v_cmp_ne_u16_e32 vcc_lo, 0, v12
	v_and_b32_e32 v11, 0x7fff, v11
	v_lshrrev_b32_e32 v12, 16, v110
	v_add_co_ci_u32_e32 v7, vcc_lo, v7, v57, vcc_lo
	v_cmp_ne_u16_e32 vcc_lo, 0, v13
	s_delay_alu instid0(VALU_DEP_3) | instskip(NEXT) | instid1(VALU_DEP_3)
	v_or_b32_e32 v12, v110, v12
	v_add_co_ci_u32_e32 v7, vcc_lo, v7, v58, vcc_lo
	v_cmp_ne_u16_e32 vcc_lo, 0, v22
	s_delay_alu instid0(VALU_DEP_3) | instskip(NEXT) | instid1(VALU_DEP_3)
	v_and_b32_e32 v12, 0x7fff, v12
	v_add_co_ci_u32_e32 v7, vcc_lo, v7, v21, vcc_lo
	v_cmp_ne_u16_e32 vcc_lo, 0, v24
	s_delay_alu instid0(VALU_DEP_2)
	v_add_co_ci_u32_e32 v7, vcc_lo, v7, v23, vcc_lo
	v_cmp_ne_u16_e32 vcc_lo, 0, v11
	v_cndmask_b32_e64 v11, 0, 1, vcc_lo
	v_cmp_ne_u16_e32 vcc_lo, 0, v26
	s_waitcnt vmcnt(22)
	v_lshrrev_b32_e32 v15, 16, v50
	s_waitcnt vmcnt(21)
	v_lshrrev_b32_e32 v13, 16, v52
	v_add_co_ci_u32_e32 v7, vcc_lo, v7, v25, vcc_lo
	v_cmp_ne_u16_e32 vcc_lo, 0, v28
	s_delay_alu instid0(VALU_DEP_3) | instskip(SKIP_1) | instid1(VALU_DEP_4)
	v_or_b32_e32 v13, v52, v13
	v_or_b32_e32 v15, v50, v15
	v_add_co_ci_u32_e32 v7, vcc_lo, v7, v27, vcc_lo
	v_cmp_ne_u16_e32 vcc_lo, 0, v39
	s_delay_alu instid0(VALU_DEP_4) | instskip(NEXT) | instid1(VALU_DEP_4)
	v_and_b32_e32 v13, 0x7fff, v13
	v_and_b32_e32 v15, 0x7fff, v15
	s_delay_alu instid0(VALU_DEP_4)
	v_add_co_ci_u32_e32 v7, vcc_lo, v7, v35, vcc_lo
	v_cmp_ne_u16_e32 vcc_lo, 0, v41
	s_waitcnt vmcnt(19)
	v_lshrrev_b32_e32 v16, 16, v114
	s_waitcnt vmcnt(17)
	v_lshrrev_b32_e32 v18, 16, v116
	v_lshrrev_b32_e32 v19, 16, v115
	v_add_co_ci_u32_e32 v7, vcc_lo, v7, v40, vcc_lo
	v_cmp_ne_u16_e32 vcc_lo, 0, v13
	v_or_b32_e32 v16, v114, v16
	v_or_b32_e32 v18, v116, v18
	;; [unrolled: 1-line block ×3, first 2 shown]
	v_cndmask_b32_e64 v13, 0, 1, vcc_lo
	v_cmp_ne_u16_e32 vcc_lo, 0, v20
	v_and_b32_e32 v16, 0x7fff, v16
	v_and_b32_e32 v18, 0x7fff, v18
	s_waitcnt vmcnt(14)
	v_lshrrev_b32_e32 v20, 16, v118
	v_lshrrev_b32_e32 v21, 16, v117
	v_add_co_ci_u32_e32 v7, vcc_lo, v7, v17, vcc_lo
	v_cmp_ne_u16_e32 vcc_lo, 0, v43
	s_delay_alu instid0(VALU_DEP_4)
	v_or_b32_e32 v20, v118, v20
	v_lshrrev_b32_e32 v17, 16, v62
	v_and_b32_e32 v19, 0x7fff, v19
	v_or_b32_e32 v21, v117, v21
	v_add_co_ci_u32_e32 v7, vcc_lo, v7, v42, vcc_lo
	v_cmp_ne_u16_e32 vcc_lo, 0, v70
	v_or_b32_e32 v17, v62, v17
	s_delay_alu instid0(VALU_DEP_3) | instskip(SKIP_1) | instid1(VALU_DEP_3)
	v_add_co_ci_u32_e32 v7, vcc_lo, v7, v59, vcc_lo
	v_cmp_ne_u16_e32 vcc_lo, 0, v30
	v_and_b32_e32 v17, 0x7fff, v17
	s_delay_alu instid0(VALU_DEP_3) | instskip(SKIP_3) | instid1(VALU_DEP_4)
	v_add_co_ci_u32_e32 v7, vcc_lo, v7, v29, vcc_lo
	v_cmp_ne_u16_e32 vcc_lo, 0, v16
	v_cndmask_b32_e64 v16, 0, 1, vcc_lo
	v_cmp_ne_u16_e32 vcc_lo, 0, v31
	v_add_co_ci_u32_e32 v7, vcc_lo, v7, v32, vcc_lo
	v_cmp_ne_u16_e32 vcc_lo, 0, v33
	s_delay_alu instid0(VALU_DEP_2) | instskip(SKIP_1) | instid1(VALU_DEP_2)
	v_add_co_ci_u32_e32 v7, vcc_lo, v7, v34, vcc_lo
	v_cmp_ne_u16_e32 vcc_lo, 0, v37
	v_add_co_ci_u32_e32 v7, vcc_lo, v7, v36, vcc_lo
	v_cmp_ne_u16_e32 vcc_lo, 0, v38
	s_delay_alu instid0(VALU_DEP_2) | instskip(SKIP_3) | instid1(VALU_DEP_4)
	v_add_co_ci_u32_e32 v7, vcc_lo, v7, v45, vcc_lo
	v_cmp_ne_u16_e32 vcc_lo, 0, v18
	v_cndmask_b32_e64 v18, 0, 1, vcc_lo
	v_cmp_ne_u16_e32 vcc_lo, 0, v46
	v_add_co_ci_u32_e32 v7, vcc_lo, v7, v47, vcc_lo
	v_cmp_ne_u16_e32 vcc_lo, 0, v51
	s_delay_alu instid0(VALU_DEP_2) | instskip(SKIP_1) | instid1(VALU_DEP_2)
	v_add_co_ci_u32_e32 v7, vcc_lo, v7, v49, vcc_lo
	v_cmp_ne_u16_e32 vcc_lo, 0, v60
	v_add_co_ci_u32_e32 v4, vcc_lo, v7, v4, vcc_lo
	v_cmp_ne_u16_e32 vcc_lo, 0, v55
	v_and_b32_e32 v7, 0x7fff, v20
	v_and_b32_e32 v20, 0x7fff, v21
	s_waitcnt vmcnt(13)
	v_lshrrev_b32_e32 v21, 16, v5
	v_add_co_ci_u32_e32 v4, vcc_lo, v4, v53, vcc_lo
	v_cmp_ne_u16_e32 vcc_lo, 0, v7
	s_delay_alu instid0(VALU_DEP_3)
	v_or_b32_e32 v5, v5, v21
	s_waitcnt vmcnt(12)
	v_lshrrev_b32_e32 v21, 16, v67
	v_cndmask_b32_e64 v7, 0, 1, vcc_lo
	v_cmp_ne_u16_e32 vcc_lo, 0, v61
	v_and_b32_e32 v5, 0x7fff, v5
	s_delay_alu instid0(VALU_DEP_4) | instskip(SKIP_3) | instid1(VALU_DEP_4)
	v_or_b32_e32 v21, v67, v21
	v_add_co_ci_u32_e32 v4, vcc_lo, v4, v6, vcc_lo
	v_cmp_ne_u16_e32 vcc_lo, 0, v68
	v_lshrrev_b32_e32 v6, 16, v3
	v_and_b32_e32 v21, 0x7fff, v21
	s_delay_alu instid0(VALU_DEP_4) | instskip(SKIP_1) | instid1(VALU_DEP_4)
	v_add_co_ci_u32_e32 v4, vcc_lo, v4, v65, vcc_lo
	v_cmp_ne_u16_e32 vcc_lo, 0, v69
	v_or_b32_e32 v3, v3, v6
	s_waitcnt vmcnt(11)
	v_lshrrev_b32_e32 v6, 16, v71
	s_waitcnt vmcnt(9)
	v_lshrrev_b32_e32 v22, 16, v121
	;; [unrolled: 2-line block ×3, first 2 shown]
	v_add_co_ci_u32_e32 v4, vcc_lo, v4, v66, vcc_lo
	v_cmp_ne_u16_e32 vcc_lo, 0, v87
	v_and_b32_e32 v3, 0x7fff, v3
	v_or_b32_e32 v6, v71, v6
	v_or_b32_e32 v22, v121, v22
	;; [unrolled: 1-line block ×3, first 2 shown]
	v_add_co_ci_u32_e32 v4, vcc_lo, v4, v86, vcc_lo
	v_cmp_ne_u16_e32 vcc_lo, 0, v3
	v_and_b32_e32 v6, 0x7fff, v6
	v_and_b32_e32 v22, 0x7fff, v22
	;; [unrolled: 1-line block ×3, first 2 shown]
	s_waitcnt vmcnt(5)
	v_lshrrev_b32_e32 v26, 16, v2
	v_cndmask_b32_e64 v3, 0, 1, vcc_lo
	v_cmp_ne_u16_e32 vcc_lo, 0, v89
	v_lshrrev_b32_e32 v23, 16, v120
	v_lshrrev_b32_e32 v25, 16, v119
	v_or_b32_e32 v2, v2, v26
	v_lshrrev_b32_e32 v27, 16, v1
	v_add_co_ci_u32_e32 v4, vcc_lo, v4, v88, vcc_lo
	v_cmp_ne_u16_e32 vcc_lo, 0, v72
	s_delay_alu instid0(VALU_DEP_4)
	v_and_b32_e32 v2, 0x7fff, v2
	v_or_b32_e32 v23, v120, v23
	v_or_b32_e32 v25, v119, v25
	;; [unrolled: 1-line block ×3, first 2 shown]
	v_add_co_ci_u32_e32 v4, vcc_lo, v4, v90, vcc_lo
	v_cmp_ne_u16_e32 vcc_lo, 0, v73
	v_and_b32_e32 v23, 0x7fff, v23
	v_and_b32_e32 v25, 0x7fff, v25
	;; [unrolled: 1-line block ×3, first 2 shown]
	v_add_co_ci_u32_e32 v4, vcc_lo, v4, v91, vcc_lo
	v_cmp_ne_u16_e32 vcc_lo, 0, v93
	s_delay_alu instid0(VALU_DEP_2) | instskip(SKIP_3) | instid1(VALU_DEP_4)
	v_add_co_ci_u32_e32 v4, vcc_lo, v4, v92, vcc_lo
	v_cmp_ne_u16_e32 vcc_lo, 0, v6
	v_cndmask_b32_e64 v6, 0, 1, vcc_lo
	v_cmp_ne_u16_e32 vcc_lo, 0, v95
	v_add_co_ci_u32_e32 v4, vcc_lo, v4, v94, vcc_lo
	v_cmp_ne_u16_e32 vcc_lo, 0, v74
	s_delay_alu instid0(VALU_DEP_2) | instskip(SKIP_1) | instid1(VALU_DEP_2)
	v_add_co_ci_u32_e32 v4, vcc_lo, v4, v96, vcc_lo
	v_cmp_ne_u16_e32 vcc_lo, 0, v75
	v_add_co_ci_u32_e32 v4, vcc_lo, v4, v76, vcc_lo
	v_cmp_ne_u16_e32 vcc_lo, 0, v98
	s_delay_alu instid0(VALU_DEP_2) | instskip(SKIP_3) | instid1(VALU_DEP_4)
	v_add_co_ci_u32_e32 v4, vcc_lo, v4, v97, vcc_lo
	v_cmp_ne_u16_e32 vcc_lo, 0, v22
	v_cndmask_b32_e64 v22, 0, 1, vcc_lo
	v_cmp_ne_u16_e32 vcc_lo, 0, v100
	v_add_co_ci_u32_e32 v4, vcc_lo, v4, v99, vcc_lo
	v_cmp_ne_u16_e32 vcc_lo, 0, v78
	s_delay_alu instid0(VALU_DEP_2) | instskip(SKIP_1) | instid1(VALU_DEP_2)
	v_add_co_ci_u32_e32 v4, vcc_lo, v4, v101, vcc_lo
	v_cmp_ne_u16_e32 vcc_lo, 0, v79
	v_add_co_ci_u32_e32 v4, vcc_lo, v4, v77, vcc_lo
	v_cmp_ne_u16_e32 vcc_lo, 0, v83
	s_delay_alu instid0(VALU_DEP_2) | instskip(SKIP_3) | instid1(VALU_DEP_4)
	v_add_co_ci_u32_e32 v4, vcc_lo, v4, v102, vcc_lo
	v_cmp_ne_u16_e32 vcc_lo, 0, v24
	v_cndmask_b32_e64 v24, 0, 1, vcc_lo
	v_cmp_ne_u16_e32 vcc_lo, 0, v105
	v_add_co_ci_u32_e32 v4, vcc_lo, v4, v85, vcc_lo
	v_cmp_ne_u16_e32 vcc_lo, 0, v80
	s_delay_alu instid0(VALU_DEP_2) | instskip(SKIP_3) | instid1(VALU_DEP_3)
	v_add_co_ci_u32_e32 v4, vcc_lo, v4, v104, vcc_lo
	v_cmp_ne_u16_e32 vcc_lo, 0, v9
	s_waitcnt vmcnt(4)
	v_lshrrev_b32_e32 v9, 16, v124
	v_add_co_ci_u32_e32 v4, vcc_lo, v4, v82, vcc_lo
	v_cmp_ne_u16_e32 vcc_lo, 0, v14
	s_delay_alu instid0(VALU_DEP_3) | instskip(NEXT) | instid1(VALU_DEP_3)
	v_or_b32_e32 v9, v124, v9
	v_add_co_ci_u32_e32 v4, vcc_lo, v4, v8, vcc_lo
	v_cmp_ne_u16_e32 vcc_lo, 0, v2
	s_waitcnt vmcnt(3)
	v_lshrrev_b32_e32 v8, 16, v125
	v_and_b32_e32 v9, 0x7fff, v9
	v_cndmask_b32_e64 v2, 0, 1, vcc_lo
	v_cmp_ne_u16_e32 vcc_lo, 0, v12
	s_delay_alu instid0(VALU_DEP_4) | instskip(SKIP_2) | instid1(VALU_DEP_3)
	v_or_b32_e32 v8, v125, v8
	v_add_co_ci_u32_e32 v4, vcc_lo, v4, v10, vcc_lo
	v_cmp_ne_u16_e32 vcc_lo, 0, v15
	v_and_b32_e32 v8, 0x7fff, v8
	s_waitcnt vmcnt(2)
	v_lshrrev_b32_e32 v10, 16, v123
	v_add_co_ci_u32_e32 v4, vcc_lo, v4, v11, vcc_lo
	v_cmp_ne_u16_e32 vcc_lo, 0, v17
	s_waitcnt vmcnt(1)
	v_lshrrev_b32_e32 v11, 16, v127
	v_or_b32_e32 v10, v123, v10
	v_add_co_ci_u32_e32 v4, vcc_lo, v4, v13, vcc_lo
	v_cmp_ne_u16_e32 vcc_lo, 0, v19
	s_delay_alu instid0(VALU_DEP_2) | instskip(SKIP_3) | instid1(VALU_DEP_4)
	v_add_co_ci_u32_e32 v4, vcc_lo, v4, v16, vcc_lo
	v_cmp_ne_u16_e32 vcc_lo, 0, v8
	v_cndmask_b32_e64 v8, 0, 1, vcc_lo
	v_cmp_ne_u16_e32 vcc_lo, 0, v20
	v_add_co_ci_u32_e32 v4, vcc_lo, v4, v18, vcc_lo
	v_cmp_ne_u16_e32 vcc_lo, 0, v5
	v_or_b32_e32 v5, v127, v11
	s_delay_alu instid0(VALU_DEP_3) | instskip(SKIP_2) | instid1(VALU_DEP_3)
	v_add_co_ci_u32_e32 v4, vcc_lo, v4, v7, vcc_lo
	v_cmp_ne_u16_e32 vcc_lo, 0, v21
	v_and_b32_e32 v7, 0x7fff, v10
	v_add_co_ci_u32_e32 v3, vcc_lo, v4, v3, vcc_lo
	v_cmp_ne_u16_e32 vcc_lo, 0, v23
	v_and_b32_e32 v4, 0x7fff, v5
	s_waitcnt vmcnt(0)
	v_lshrrev_b32_e32 v5, 16, v84
	v_add_co_ci_u32_e32 v3, vcc_lo, v3, v6, vcc_lo
	s_delay_alu instid0(VALU_DEP_3) | instskip(SKIP_1) | instid1(VALU_DEP_4)
	v_cmp_ne_u16_e32 vcc_lo, 0, v4
	v_lshrrev_b32_e32 v6, 16, v63
	v_or_b32_e32 v5, v84, v5
	v_cndmask_b32_e64 v4, 0, 1, vcc_lo
	v_cmp_ne_u16_e32 vcc_lo, 0, v25
	s_delay_alu instid0(VALU_DEP_3) | instskip(SKIP_2) | instid1(VALU_DEP_2)
	v_and_b32_e32 v5, 0x7fff, v5
	v_add_co_ci_u32_e32 v3, vcc_lo, v3, v22, vcc_lo
	v_cmp_ne_u16_e32 vcc_lo, 0, v1
	v_add_co_ci_u32_e32 v1, vcc_lo, v3, v24, vcc_lo
	v_cmp_ne_u16_e32 vcc_lo, 0, v9
	v_or_b32_e32 v3, v63, v6
	v_lshrrev_b32_e32 v6, 16, v64
	s_delay_alu instid0(VALU_DEP_4) | instskip(SKIP_1) | instid1(VALU_DEP_4)
	v_add_co_ci_u32_e32 v1, vcc_lo, v1, v2, vcc_lo
	v_cmp_ne_u16_e32 vcc_lo, 0, v7
	v_and_b32_e32 v2, 0x7fff, v3
	s_delay_alu instid0(VALU_DEP_4) | instskip(NEXT) | instid1(VALU_DEP_4)
	v_or_b32_e32 v3, v64, v6
	v_add_co_ci_u32_e32 v1, vcc_lo, v1, v8, vcc_lo
	s_delay_alu instid0(VALU_DEP_3) | instskip(NEXT) | instid1(VALU_DEP_3)
	v_cmp_ne_u16_e32 vcc_lo, 0, v2
	v_and_b32_e32 v3, 0x7fff, v3
	v_cndmask_b32_e64 v2, 0, 1, vcc_lo
	v_cmp_ne_u16_e32 vcc_lo, 0, v5
	v_add_co_ci_u32_e32 v1, vcc_lo, v1, v4, vcc_lo
	s_delay_alu instid0(VALU_DEP_4) | instskip(SKIP_1) | instid1(VALU_DEP_3)
	v_cmp_ne_u16_e32 vcc_lo, 0, v3
	v_mov_b32_e32 v3, 0
	v_add_co_ci_u32_e32 v1, vcc_lo, v1, v2, vcc_lo
	s_delay_alu instid0(VALU_DEP_1) | instskip(NEXT) | instid1(VALU_DEP_1)
	v_mov_b32_dpp v2, v1 quad_perm:[1,0,3,2] row_mask:0xf bank_mask:0xf
	v_add_nc_u32_e32 v1, v1, v2
	s_delay_alu instid0(VALU_DEP_1) | instskip(NEXT) | instid1(VALU_DEP_1)
	v_mov_b32_dpp v2, v1 quad_perm:[2,3,0,1] row_mask:0xf bank_mask:0xf
	v_add_nc_u32_e32 v1, v1, v2
	s_delay_alu instid0(VALU_DEP_1) | instskip(NEXT) | instid1(VALU_DEP_1)
	v_mov_b32_dpp v2, v1 row_ror:4 row_mask:0xf bank_mask:0xf
	v_add_nc_u32_e32 v1, v1, v2
	s_delay_alu instid0(VALU_DEP_1) | instskip(NEXT) | instid1(VALU_DEP_1)
	v_mov_b32_dpp v2, v1 row_ror:8 row_mask:0xf bank_mask:0xf
	v_add_nc_u32_e32 v1, v1, v2
	ds_swizzle_b32 v2, v1 offset:swizzle(BROADCAST,32,15)
	s_waitcnt lgkmcnt(0)
	v_add_nc_u32_e32 v1, v1, v2
	v_mbcnt_lo_u32_b32 v2, -1, 0
	ds_bpermute_b32 v1, v3, v1 offset:124
	v_cmpx_eq_u32_e32 0, v2
	s_cbranch_execz .LBB660_7
; %bb.6:
	v_lshrrev_b32_e32 v3, 3, v0
	s_delay_alu instid0(VALU_DEP_1)
	v_and_b32_e32 v3, 12, v3
	s_waitcnt lgkmcnt(0)
	ds_store_b32 v3, v1
.LBB660_7:
	s_or_b32 exec_lo, exec_lo, s5
	s_delay_alu instid0(SALU_CYCLE_1)
	s_mov_b32 s5, exec_lo
	s_waitcnt lgkmcnt(0)
	s_barrier
	buffer_gl0_inv
	v_cmpx_gt_u32_e32 32, v0
	s_cbranch_execz .LBB660_9
; %bb.8:
	v_and_b32_e32 v1, 3, v2
	s_delay_alu instid0(VALU_DEP_1) | instskip(SKIP_4) | instid1(VALU_DEP_2)
	v_lshlrev_b32_e32 v3, 2, v1
	v_cmp_ne_u32_e32 vcc_lo, 3, v1
	ds_load_b32 v3, v3
	v_add_co_ci_u32_e32 v4, vcc_lo, 0, v2, vcc_lo
	v_cmp_gt_u32_e32 vcc_lo, 2, v1
	v_lshlrev_b32_e32 v4, 2, v4
	v_cndmask_b32_e64 v1, 0, 1, vcc_lo
	s_delay_alu instid0(VALU_DEP_1) | instskip(NEXT) | instid1(VALU_DEP_1)
	v_lshlrev_b32_e32 v1, 1, v1
	v_add_lshl_u32 v1, v1, v2, 2
	s_waitcnt lgkmcnt(0)
	ds_bpermute_b32 v4, v4, v3
	s_waitcnt lgkmcnt(0)
	v_add_nc_u32_e32 v3, v4, v3
	ds_bpermute_b32 v1, v1, v3
	s_waitcnt lgkmcnt(0)
	v_add_nc_u32_e32 v1, v1, v3
.LBB660_9:
	s_or_b32 exec_lo, exec_lo, s5
.LBB660_10:
	v_cmp_eq_u32_e64 s2, 0, v0
	s_and_b32 vcc_lo, exec_lo, s6
	s_cbranch_vccnz .LBB660_24
.LBB660_11:
	s_branch .LBB660_512
.LBB660_12:
	s_mov_b32 s2, 0
                                        ; implicit-def: $vgpr1
	s_cbranch_execz .LBB660_623
	s_branch .LBB660_513
.LBB660_13:
	s_mov_b32 s2, 0
                                        ; implicit-def: $vgpr1
	s_cbranch_execz .LBB660_512
; %bb.14:
	s_cmp_gt_i32 s26, 31
	s_cbranch_scc0 .LBB660_31
; %bb.15:
	s_cmp_eq_u32 s26, 32
	s_cbranch_scc0 .LBB660_32
; %bb.16:
	s_mov_b32 s19, 0
	s_lshl_b32 s4, s18, 12
	s_mov_b32 s5, s19
	s_lshr_b64 s[6:7], s[20:21], 12
	s_lshl_b64 s[2:3], s[4:5], 2
	s_delay_alu instid0(SALU_CYCLE_1)
	s_add_u32 s2, s24, s2
	s_addc_u32 s3, s25, s3
	s_cmp_lg_u64 s[6:7], s[18:19]
	s_cbranch_scc0 .LBB660_296
; %bb.17:
	v_lshlrev_b32_e32 v1, 2, v0
	s_clause 0x7
	global_load_b32 v9, v1, s[2:3]
	global_load_b32 v10, v1, s[2:3] offset:512
	global_load_b32 v11, v1, s[2:3] offset:1024
	;; [unrolled: 1-line block ×7, first 2 shown]
	v_add_co_u32 v7, s5, s2, v1
	s_delay_alu instid0(VALU_DEP_1) | instskip(SKIP_1) | instid1(VALU_DEP_2)
	v_add_co_ci_u32_e64 v8, null, s3, 0, s5
	s_mov_b32 s5, exec_lo
	v_add_co_u32 v1, vcc_lo, 0x1000, v7
	s_delay_alu instid0(VALU_DEP_2)
	v_add_co_ci_u32_e32 v2, vcc_lo, 0, v8, vcc_lo
	v_add_co_u32 v3, vcc_lo, v7, 0x2000
	v_add_co_ci_u32_e32 v4, vcc_lo, 0, v8, vcc_lo
	v_add_co_u32 v5, vcc_lo, 0x2000, v7
	;; [unrolled: 2-line block ×3, first 2 shown]
	v_add_co_ci_u32_e32 v8, vcc_lo, 0, v8, vcc_lo
	s_clause 0x17
	global_load_b32 v17, v[3:4], off offset:-4096
	global_load_b32 v18, v[1:2], off offset:512
	global_load_b32 v19, v[1:2], off offset:1024
	;; [unrolled: 1-line block ×7, first 2 shown]
	global_load_b32 v2, v[3:4], off
	global_load_b32 v3, v[5:6], off offset:512
	global_load_b32 v4, v[5:6], off offset:1024
	;; [unrolled: 1-line block ×7, first 2 shown]
	global_load_b32 v6, v[7:8], off
	global_load_b32 v28, v[7:8], off offset:512
	global_load_b32 v29, v[7:8], off offset:1024
	;; [unrolled: 1-line block ×7, first 2 shown]
	s_waitcnt vmcnt(31)
	v_lshrrev_b32_e32 v8, 16, v9
	s_waitcnt vmcnt(30)
	v_lshrrev_b32_e32 v34, 16, v10
	;; [unrolled: 2-line block ×5, first 2 shown]
	v_or_b32_e32 v8, v9, v8
	v_or_b32_e32 v9, v10, v34
	;; [unrolled: 1-line block ×3, first 2 shown]
	s_waitcnt vmcnt(26)
	v_lshrrev_b32_e32 v38, 16, v14
	s_waitcnt vmcnt(25)
	v_lshrrev_b32_e32 v39, 16, v15
	v_and_b32_e32 v8, 0x7fff, v8
	v_or_b32_e32 v11, v12, v36
	v_or_b32_e32 v12, v13, v37
	v_and_b32_e32 v10, 0x7fff, v10
	v_or_b32_e32 v13, v14, v38
	v_cmp_ne_u16_e32 vcc_lo, 0, v8
	v_or_b32_e32 v14, v15, v39
	v_and_b32_e32 v12, 0x7fff, v12
	v_and_b32_e32 v9, 0x7fff, v9
	s_waitcnt vmcnt(24)
	v_lshrrev_b32_e32 v40, 16, v16
	v_cndmask_b32_e64 v8, 0, 1, vcc_lo
	v_cmp_ne_u16_e32 vcc_lo, 0, v10
	v_and_b32_e32 v14, 0x7fff, v14
	v_and_b32_e32 v11, 0x7fff, v11
	v_or_b32_e32 v15, v16, v40
	s_waitcnt vmcnt(23)
	v_lshrrev_b32_e32 v16, 16, v17
	v_cndmask_b32_e64 v10, 0, 1, vcc_lo
	v_cmp_ne_u16_e32 vcc_lo, 0, v12
	v_and_b32_e32 v13, 0x7fff, v13
	s_waitcnt vmcnt(22)
	v_lshrrev_b32_e32 v34, 16, v18
	v_or_b32_e32 v16, v17, v16
	s_waitcnt vmcnt(21)
	v_lshrrev_b32_e32 v35, 16, v19
	v_cndmask_b32_e64 v12, 0, 1, vcc_lo
	v_cmp_ne_u16_e32 vcc_lo, 0, v14
	v_and_b32_e32 v15, 0x7fff, v15
	v_and_b32_e32 v16, 0x7fff, v16
	v_or_b32_e32 v17, v18, v34
	v_or_b32_e32 v18, v19, v35
	v_cndmask_b32_e64 v14, 0, 1, vcc_lo
	v_cmp_ne_u16_e32 vcc_lo, 0, v9
	s_waitcnt vmcnt(20)
	v_lshrrev_b32_e32 v36, 16, v20
	s_waitcnt vmcnt(19)
	v_lshrrev_b32_e32 v37, 16, v21
	v_and_b32_e32 v18, 0x7fff, v18
	v_and_b32_e32 v17, 0x7fff, v17
	v_add_co_ci_u32_e32 v8, vcc_lo, 0, v8, vcc_lo
	v_cmp_ne_u16_e32 vcc_lo, 0, v11
	v_or_b32_e32 v19, v20, v36
	v_or_b32_e32 v20, v21, v37
	s_waitcnt vmcnt(18)
	v_lshrrev_b32_e32 v38, 16, v22
	s_waitcnt vmcnt(17)
	v_lshrrev_b32_e32 v39, 16, v23
	v_add_co_ci_u32_e32 v8, vcc_lo, v8, v10, vcc_lo
	v_cmp_ne_u16_e32 vcc_lo, 0, v13
	v_and_b32_e32 v20, 0x7fff, v20
	v_and_b32_e32 v19, 0x7fff, v19
	v_or_b32_e32 v21, v22, v38
	v_or_b32_e32 v22, v23, v39
	v_add_co_ci_u32_e32 v8, vcc_lo, v8, v12, vcc_lo
	v_cmp_ne_u16_e32 vcc_lo, 0, v16
	s_waitcnt vmcnt(15)
	v_lshrrev_b32_e32 v41, 16, v2
	v_and_b32_e32 v22, 0x7fff, v22
	v_and_b32_e32 v21, 0x7fff, v21
	v_lshrrev_b32_e32 v40, 16, v1
	v_cndmask_b32_e64 v12, 0, 1, vcc_lo
	v_cmp_ne_u16_e32 vcc_lo, 0, v15
	v_or_b32_e32 v2, v2, v41
	s_waitcnt vmcnt(13)
	v_lshrrev_b32_e32 v43, 16, v4
	v_or_b32_e32 v1, v1, v40
	v_lshrrev_b32_e32 v42, 16, v3
	v_add_co_ci_u32_e32 v8, vcc_lo, v8, v14, vcc_lo
	v_cmp_ne_u16_e32 vcc_lo, 0, v18
	v_and_b32_e32 v2, 0x7fff, v2
	v_and_b32_e32 v1, 0x7fff, v1
	v_or_b32_e32 v4, v4, v43
	v_or_b32_e32 v3, v3, v42
	v_cndmask_b32_e64 v13, 0, 1, vcc_lo
	v_cmp_ne_u16_e32 vcc_lo, 0, v17
	s_waitcnt vmcnt(12)
	v_lshrrev_b32_e32 v44, 16, v24
	v_and_b32_e32 v4, 0x7fff, v4
	s_waitcnt vmcnt(11)
	v_lshrrev_b32_e32 v45, 16, v25
	v_and_b32_e32 v3, 0x7fff, v3
	v_add_co_ci_u32_e32 v8, vcc_lo, v8, v12, vcc_lo
	v_cmp_ne_u16_e32 vcc_lo, 0, v20
	v_or_b32_e32 v23, v24, v44
	v_or_b32_e32 v24, v25, v45
	s_waitcnt vmcnt(10)
	v_lshrrev_b32_e32 v46, 16, v26
	s_waitcnt vmcnt(9)
	v_lshrrev_b32_e32 v47, 16, v27
	v_cndmask_b32_e64 v12, 0, 1, vcc_lo
	v_cmp_ne_u16_e32 vcc_lo, 0, v19
	v_and_b32_e32 v24, 0x7fff, v24
	v_and_b32_e32 v23, 0x7fff, v23
	v_or_b32_e32 v25, v26, v46
	v_or_b32_e32 v26, v27, v47
	v_add_co_ci_u32_e32 v8, vcc_lo, v8, v13, vcc_lo
	v_cmp_ne_u16_e32 vcc_lo, 0, v22
	s_waitcnt vmcnt(7)
	v_lshrrev_b32_e32 v49, 16, v6
	v_and_b32_e32 v26, 0x7fff, v26
	v_and_b32_e32 v25, 0x7fff, v25
	v_lshrrev_b32_e32 v48, 16, v5
	v_cndmask_b32_e64 v13, 0, 1, vcc_lo
	v_cmp_ne_u16_e32 vcc_lo, 0, v21
	v_or_b32_e32 v6, v6, v49
	s_waitcnt vmcnt(6)
	v_lshrrev_b32_e32 v50, 16, v28
	v_or_b32_e32 v5, v5, v48
	s_waitcnt vmcnt(5)
	v_lshrrev_b32_e32 v51, 16, v29
	v_add_co_ci_u32_e32 v8, vcc_lo, v8, v12, vcc_lo
	v_cmp_ne_u16_e32 vcc_lo, 0, v2
	v_and_b32_e32 v6, 0x7fff, v6
	v_and_b32_e32 v5, 0x7fff, v5
	v_or_b32_e32 v27, v28, v50
	v_or_b32_e32 v28, v29, v51
	v_cndmask_b32_e64 v2, 0, 1, vcc_lo
	v_cmp_ne_u16_e32 vcc_lo, 0, v1
	s_waitcnt vmcnt(4)
	v_lshrrev_b32_e32 v52, 16, v30
	s_waitcnt vmcnt(3)
	v_lshrrev_b32_e32 v53, 16, v31
	v_and_b32_e32 v28, 0x7fff, v28
	v_and_b32_e32 v27, 0x7fff, v27
	v_add_co_ci_u32_e32 v1, vcc_lo, v8, v13, vcc_lo
	v_cmp_ne_u16_e32 vcc_lo, 0, v4
	v_or_b32_e32 v29, v30, v52
	v_or_b32_e32 v30, v31, v53
	s_waitcnt vmcnt(2)
	v_lshrrev_b32_e32 v54, 16, v32
	s_waitcnt vmcnt(1)
	v_lshrrev_b32_e32 v55, 16, v33
	v_cndmask_b32_e64 v4, 0, 1, vcc_lo
	v_cmp_ne_u16_e32 vcc_lo, 0, v3
	v_and_b32_e32 v9, 0x7fff, v29
	v_and_b32_e32 v29, 0x7fff, v30
	v_or_b32_e32 v31, v32, v54
	v_or_b32_e32 v32, v33, v55
	v_add_co_ci_u32_e32 v1, vcc_lo, v1, v2, vcc_lo
	v_cmp_ne_u16_e32 vcc_lo, 0, v24
	s_waitcnt vmcnt(0)
	v_lshrrev_b32_e32 v56, 16, v7
	v_and_b32_e32 v11, 0x7fff, v32
	v_and_b32_e32 v10, 0x7fff, v31
	v_cndmask_b32_e64 v2, 0, 1, vcc_lo
	v_cmp_ne_u16_e32 vcc_lo, 0, v23
	v_or_b32_e32 v7, v7, v56
	v_add_co_ci_u32_e32 v1, vcc_lo, v1, v4, vcc_lo
	v_cmp_ne_u16_e32 vcc_lo, 0, v26
	s_delay_alu instid0(VALU_DEP_3)
	v_and_b32_e32 v4, 0x7fff, v7
	v_cndmask_b32_e64 v3, 0, 1, vcc_lo
	v_cmp_ne_u16_e32 vcc_lo, 0, v25
	v_add_co_ci_u32_e32 v1, vcc_lo, v1, v2, vcc_lo
	v_cmp_ne_u16_e32 vcc_lo, 0, v6
	v_cndmask_b32_e64 v2, 0, 1, vcc_lo
	v_cmp_ne_u16_e32 vcc_lo, 0, v5
	s_delay_alu instid0(VALU_DEP_4) | instskip(SKIP_3) | instid1(VALU_DEP_4)
	v_add_co_ci_u32_e32 v1, vcc_lo, v1, v3, vcc_lo
	v_cmp_ne_u16_e32 vcc_lo, 0, v28
	v_cndmask_b32_e64 v3, 0, 1, vcc_lo
	v_cmp_ne_u16_e32 vcc_lo, 0, v27
	v_add_co_ci_u32_e32 v1, vcc_lo, v1, v2, vcc_lo
	v_cmp_ne_u16_e32 vcc_lo, 0, v29
	v_cndmask_b32_e64 v2, 0, 1, vcc_lo
	v_cmp_ne_u16_e32 vcc_lo, 0, v9
	s_delay_alu instid0(VALU_DEP_4) | instskip(SKIP_3) | instid1(VALU_DEP_4)
	v_add_co_ci_u32_e32 v1, vcc_lo, v1, v3, vcc_lo
	v_cmp_ne_u16_e32 vcc_lo, 0, v11
	v_cndmask_b32_e64 v3, 0, 1, vcc_lo
	v_cmp_ne_u16_e32 vcc_lo, 0, v10
	v_add_co_ci_u32_e32 v1, vcc_lo, v1, v2, vcc_lo
	v_cmp_ne_u16_e32 vcc_lo, 0, v4
	s_delay_alu instid0(VALU_DEP_2) | instskip(SKIP_1) | instid1(VALU_DEP_2)
	v_add_co_ci_u32_e32 v1, vcc_lo, v1, v3, vcc_lo
	v_mov_b32_e32 v3, 0
	v_mov_b32_dpp v2, v1 quad_perm:[1,0,3,2] row_mask:0xf bank_mask:0xf
	s_delay_alu instid0(VALU_DEP_1) | instskip(NEXT) | instid1(VALU_DEP_1)
	v_add_nc_u32_e32 v1, v1, v2
	v_mov_b32_dpp v2, v1 quad_perm:[2,3,0,1] row_mask:0xf bank_mask:0xf
	s_delay_alu instid0(VALU_DEP_1) | instskip(NEXT) | instid1(VALU_DEP_1)
	v_add_nc_u32_e32 v1, v1, v2
	v_mov_b32_dpp v2, v1 row_ror:4 row_mask:0xf bank_mask:0xf
	s_delay_alu instid0(VALU_DEP_1) | instskip(NEXT) | instid1(VALU_DEP_1)
	v_add_nc_u32_e32 v1, v1, v2
	v_mov_b32_dpp v2, v1 row_ror:8 row_mask:0xf bank_mask:0xf
	s_delay_alu instid0(VALU_DEP_1)
	v_add_nc_u32_e32 v1, v1, v2
	ds_swizzle_b32 v2, v1 offset:swizzle(BROADCAST,32,15)
	s_waitcnt lgkmcnt(0)
	v_add_nc_u32_e32 v1, v1, v2
	v_mbcnt_lo_u32_b32 v2, -1, 0
	ds_bpermute_b32 v1, v3, v1 offset:124
	v_cmpx_eq_u32_e32 0, v2
	s_cbranch_execz .LBB660_19
; %bb.18:
	v_lshrrev_b32_e32 v3, 3, v0
	s_delay_alu instid0(VALU_DEP_1)
	v_and_b32_e32 v3, 12, v3
	s_waitcnt lgkmcnt(0)
	ds_store_b32 v3, v1 offset:64
.LBB660_19:
	s_or_b32 exec_lo, exec_lo, s5
	s_delay_alu instid0(SALU_CYCLE_1)
	s_mov_b32 s5, exec_lo
	s_waitcnt lgkmcnt(0)
	s_barrier
	buffer_gl0_inv
	v_cmpx_gt_u32_e32 32, v0
	s_cbranch_execz .LBB660_21
; %bb.20:
	v_and_b32_e32 v1, 3, v2
	s_delay_alu instid0(VALU_DEP_1) | instskip(SKIP_4) | instid1(VALU_DEP_2)
	v_lshlrev_b32_e32 v3, 2, v1
	v_cmp_ne_u32_e32 vcc_lo, 3, v1
	ds_load_b32 v3, v3 offset:64
	v_add_co_ci_u32_e32 v4, vcc_lo, 0, v2, vcc_lo
	v_cmp_gt_u32_e32 vcc_lo, 2, v1
	v_lshlrev_b32_e32 v4, 2, v4
	v_cndmask_b32_e64 v1, 0, 1, vcc_lo
	s_delay_alu instid0(VALU_DEP_1) | instskip(NEXT) | instid1(VALU_DEP_1)
	v_lshlrev_b32_e32 v1, 1, v1
	v_add_lshl_u32 v1, v1, v2, 2
	s_waitcnt lgkmcnt(0)
	ds_bpermute_b32 v4, v4, v3
	s_waitcnt lgkmcnt(0)
	v_add_nc_u32_e32 v3, v4, v3
	ds_bpermute_b32 v1, v1, v3
	s_waitcnt lgkmcnt(0)
	v_add_nc_u32_e32 v1, v1, v3
.LBB660_21:
	s_or_b32 exec_lo, exec_lo, s5
	s_mov_b32 s5, 0
	s_branch .LBB660_297
.LBB660_22:
	s_mov_b32 s6, -1
.LBB660_23:
	s_mov_b32 s2, 0
                                        ; implicit-def: $vgpr1
	s_and_b32 vcc_lo, exec_lo, s6
	s_cbranch_vccz .LBB660_11
.LBB660_24:
	s_cmp_eq_u32 s26, 64
	s_cbranch_scc0 .LBB660_33
; %bb.25:
	s_mov_b32 s19, 0
	s_lshl_b32 s4, s18, 13
	s_mov_b32 s5, s19
	s_lshr_b64 s[6:7], s[20:21], 13
	s_lshl_b64 s[2:3], s[4:5], 2
	s_delay_alu instid0(SALU_CYCLE_1)
	s_add_u32 s2, s24, s2
	s_addc_u32 s3, s25, s3
	s_cmp_lg_u64 s[6:7], s[18:19]
	s_cbranch_scc0 .LBB660_376
; %bb.26:
	v_lshlrev_b32_e32 v1, 2, v0
	s_clause 0x7
	global_load_b32 v11, v1, s[2:3]
	global_load_b32 v12, v1, s[2:3] offset:512
	global_load_b32 v13, v1, s[2:3] offset:1024
	global_load_b32 v14, v1, s[2:3] offset:1536
	global_load_b32 v15, v1, s[2:3] offset:2048
	global_load_b32 v16, v1, s[2:3] offset:2560
	global_load_b32 v17, v1, s[2:3] offset:3072
	global_load_b32 v18, v1, s[2:3] offset:3584
	v_add_co_u32 v9, s5, s2, v1
	s_delay_alu instid0(VALU_DEP_1) | instskip(SKIP_1) | instid1(VALU_DEP_2)
	v_add_co_ci_u32_e64 v10, null, s3, 0, s5
	s_mov_b32 s5, exec_lo
	v_add_co_u32 v1, vcc_lo, 0x1000, v9
	s_delay_alu instid0(VALU_DEP_2)
	v_add_co_ci_u32_e32 v2, vcc_lo, 0, v10, vcc_lo
	v_add_co_u32 v3, vcc_lo, v9, 0x2000
	v_add_co_ci_u32_e32 v4, vcc_lo, 0, v10, vcc_lo
	v_add_co_u32 v5, vcc_lo, 0x2000, v9
	v_add_co_ci_u32_e32 v6, vcc_lo, 0, v10, vcc_lo
	s_clause 0x7
	global_load_b32 v19, v[1:2], off offset:512
	global_load_b32 v20, v[1:2], off offset:1024
	;; [unrolled: 1-line block ×8, first 2 shown]
	v_add_co_u32 v1, vcc_lo, 0x3000, v9
	v_add_co_ci_u32_e32 v2, vcc_lo, 0, v10, vcc_lo
	v_add_co_u32 v7, vcc_lo, v9, 0x4000
	v_add_co_ci_u32_e32 v8, vcc_lo, 0, v10, vcc_lo
	s_clause 0x7
	global_load_b32 v27, v[5:6], off offset:1024
	global_load_b32 v28, v[5:6], off offset:1536
	global_load_b32 v29, v[5:6], off offset:2048
	global_load_b32 v30, v[5:6], off offset:2560
	global_load_b32 v31, v[5:6], off offset:3072
	global_load_b32 v32, v[5:6], off offset:3584
	global_load_b32 v33, v[1:2], off offset:512
	global_load_b32 v34, v[1:2], off offset:1024
	v_add_co_u32 v5, vcc_lo, 0x4000, v9
	v_add_co_ci_u32_e32 v6, vcc_lo, 0, v10, vcc_lo
	s_clause 0xa
	global_load_b32 v35, v[3:4], off offset:-4096
	global_load_b32 v36, v[3:4], off
	global_load_b32 v37, v[7:8], off offset:-4096
	global_load_b32 v38, v[1:2], off offset:1536
	global_load_b32 v39, v[1:2], off offset:2048
	;; [unrolled: 1-line block ×8, first 2 shown]
	v_add_co_u32 v1, vcc_lo, v9, 0x6000
	v_add_co_ci_u32_e32 v2, vcc_lo, 0, v10, vcc_lo
	v_add_co_u32 v3, vcc_lo, 0x5000, v9
	v_add_co_ci_u32_e32 v4, vcc_lo, 0, v10, vcc_lo
	s_clause 0xd
	global_load_b32 v7, v[7:8], off
	global_load_b32 v8, v[1:2], off offset:-4096
	global_load_b32 v46, v[5:6], off offset:2048
	global_load_b32 v47, v[5:6], off offset:2560
	global_load_b32 v48, v[5:6], off offset:3072
	global_load_b32 v49, v[5:6], off offset:3584
	global_load_b32 v50, v[3:4], off offset:512
	global_load_b32 v51, v[3:4], off offset:1024
	global_load_b32 v52, v[3:4], off offset:1536
	global_load_b32 v53, v[3:4], off offset:2048
	global_load_b32 v54, v[3:4], off offset:2560
	global_load_b32 v55, v[3:4], off offset:3072
	global_load_b32 v3, v[3:4], off offset:3584
	global_load_b32 v4, v[1:2], off
	v_add_co_u32 v5, vcc_lo, 0x6000, v9
	v_add_co_ci_u32_e32 v6, vcc_lo, 0, v10, vcc_lo
	v_add_co_u32 v1, vcc_lo, 0x7000, v9
	v_add_co_ci_u32_e32 v2, vcc_lo, 0, v10, vcc_lo
	s_clause 0xe
	global_load_b32 v9, v[5:6], off offset:512
	global_load_b32 v10, v[5:6], off offset:1024
	;; [unrolled: 1-line block ×7, first 2 shown]
	global_load_b32 v6, v[1:2], off
	global_load_b32 v60, v[1:2], off offset:512
	global_load_b32 v61, v[1:2], off offset:1024
	;; [unrolled: 1-line block ×7, first 2 shown]
	s_waitcnt vmcnt(62)
	v_lshrrev_b32_e32 v2, 16, v11
	v_lshrrev_b32_e32 v66, 16, v12
	s_waitcnt vmcnt(61)
	v_lshrrev_b32_e32 v67, 16, v13
	s_waitcnt vmcnt(60)
	;; [unrolled: 2-line block ×3, first 2 shown]
	v_lshrrev_b32_e32 v69, 16, v15
	v_or_b32_e32 v2, v11, v2
	v_or_b32_e32 v11, v12, v66
	;; [unrolled: 1-line block ×3, first 2 shown]
	s_waitcnt vmcnt(58)
	v_lshrrev_b32_e32 v70, 16, v16
	s_waitcnt vmcnt(57)
	v_lshrrev_b32_e32 v71, 16, v17
	v_and_b32_e32 v2, 0x7fff, v2
	v_or_b32_e32 v13, v14, v68
	v_or_b32_e32 v14, v15, v69
	v_and_b32_e32 v12, 0x7fff, v12
	v_or_b32_e32 v15, v16, v70
	v_cmp_ne_u16_e32 vcc_lo, 0, v2
	v_or_b32_e32 v16, v17, v71
	v_and_b32_e32 v14, 0x7fff, v14
	v_and_b32_e32 v11, 0x7fff, v11
	s_waitcnt vmcnt(56)
	v_lshrrev_b32_e32 v72, 16, v18
	v_cndmask_b32_e64 v2, 0, 1, vcc_lo
	v_cmp_ne_u16_e32 vcc_lo, 0, v12
	v_and_b32_e32 v16, 0x7fff, v16
	v_and_b32_e32 v13, 0x7fff, v13
	v_or_b32_e32 v17, v18, v72
	v_and_b32_e32 v15, 0x7fff, v15
	v_cndmask_b32_e64 v12, 0, 1, vcc_lo
	v_cmp_ne_u16_e32 vcc_lo, 0, v14
	s_waitcnt vmcnt(54)
	v_lshrrev_b32_e32 v67, 16, v20
	s_waitcnt vmcnt(39)
	v_lshrrev_b32_e32 v18, 16, v35
	v_and_b32_e32 v17, 0x7fff, v17
	v_lshrrev_b32_e32 v66, 16, v19
	v_cndmask_b32_e64 v14, 0, 1, vcc_lo
	v_cmp_ne_u16_e32 vcc_lo, 0, v16
	v_or_b32_e32 v18, v35, v18
	v_or_b32_e32 v20, v20, v67
	;; [unrolled: 1-line block ×3, first 2 shown]
	v_lshrrev_b32_e32 v69, 16, v22
	v_cndmask_b32_e64 v16, 0, 1, vcc_lo
	v_cmp_ne_u16_e32 vcc_lo, 0, v11
	v_and_b32_e32 v18, 0x7fff, v18
	v_and_b32_e32 v20, 0x7fff, v20
	;; [unrolled: 1-line block ×3, first 2 shown]
	v_lshrrev_b32_e32 v68, 16, v21
	v_add_co_ci_u32_e32 v2, vcc_lo, 0, v2, vcc_lo
	v_cmp_ne_u16_e32 vcc_lo, 0, v13
	v_or_b32_e32 v22, v22, v69
	s_delay_alu instid0(VALU_DEP_4)
	v_or_b32_e32 v21, v21, v68
	v_lshrrev_b32_e32 v71, 16, v24
	v_lshrrev_b32_e32 v70, 16, v23
	v_add_co_ci_u32_e32 v2, vcc_lo, v2, v12, vcc_lo
	v_cmp_ne_u16_e32 vcc_lo, 0, v15
	v_and_b32_e32 v22, 0x7fff, v22
	v_and_b32_e32 v21, 0x7fff, v21
	v_or_b32_e32 v24, v24, v71
	v_or_b32_e32 v23, v23, v70
	v_add_co_ci_u32_e32 v2, vcc_lo, v2, v14, vcc_lo
	v_cmp_ne_u16_e32 vcc_lo, 0, v18
	s_delay_alu instid0(VALU_DEP_4)
	v_and_b32_e32 v24, 0x7fff, v24
	s_waitcnt vmcnt(38)
	v_lshrrev_b32_e32 v73, 16, v36
	v_and_b32_e32 v23, 0x7fff, v23
	v_lshrrev_b32_e32 v72, 16, v25
	v_cndmask_b32_e64 v14, 0, 1, vcc_lo
	v_cmp_ne_u16_e32 vcc_lo, 0, v17
	v_or_b32_e32 v35, v36, v73
	v_lshrrev_b32_e32 v75, 16, v27
	v_or_b32_e32 v25, v25, v72
	v_lshrrev_b32_e32 v74, 16, v26
	v_add_co_ci_u32_e32 v2, vcc_lo, v2, v16, vcc_lo
	v_cmp_ne_u16_e32 vcc_lo, 0, v20
	v_and_b32_e32 v35, 0x7fff, v35
	v_and_b32_e32 v25, 0x7fff, v25
	v_or_b32_e32 v27, v27, v75
	v_or_b32_e32 v26, v26, v74
	v_cndmask_b32_e64 v15, 0, 1, vcc_lo
	v_cmp_ne_u16_e32 vcc_lo, 0, v19
	v_lshrrev_b32_e32 v77, 16, v29
	v_and_b32_e32 v27, 0x7fff, v27
	v_and_b32_e32 v26, 0x7fff, v26
	v_lshrrev_b32_e32 v76, 16, v28
	v_add_co_ci_u32_e32 v2, vcc_lo, v2, v14, vcc_lo
	v_cmp_ne_u16_e32 vcc_lo, 0, v22
	v_or_b32_e32 v29, v29, v77
	s_delay_alu instid0(VALU_DEP_4)
	v_or_b32_e32 v28, v28, v76
	v_lshrrev_b32_e32 v79, 16, v31
	v_lshrrev_b32_e32 v78, 16, v30
	v_cndmask_b32_e64 v14, 0, 1, vcc_lo
	v_cmp_ne_u16_e32 vcc_lo, 0, v21
	v_and_b32_e32 v29, 0x7fff, v29
	v_and_b32_e32 v28, 0x7fff, v28
	v_or_b32_e32 v31, v31, v79
	v_or_b32_e32 v30, v30, v78
	v_add_co_ci_u32_e32 v2, vcc_lo, v2, v15, vcc_lo
	v_cmp_ne_u16_e32 vcc_lo, 0, v24
	s_delay_alu instid0(VALU_DEP_4)
	v_and_b32_e32 v31, 0x7fff, v31
	s_waitcnt vmcnt(37)
	v_lshrrev_b32_e32 v81, 16, v37
	v_and_b32_e32 v30, 0x7fff, v30
	v_lshrrev_b32_e32 v80, 16, v32
	v_cndmask_b32_e64 v15, 0, 1, vcc_lo
	v_cmp_ne_u16_e32 vcc_lo, 0, v23
	v_or_b32_e32 v36, v37, v81
	v_lshrrev_b32_e32 v83, 16, v34
	v_or_b32_e32 v32, v32, v80
	v_lshrrev_b32_e32 v82, 16, v33
	v_add_co_ci_u32_e32 v2, vcc_lo, v2, v14, vcc_lo
	v_cmp_ne_u16_e32 vcc_lo, 0, v35
	v_and_b32_e32 v36, 0x7fff, v36
	v_and_b32_e32 v32, 0x7fff, v32
	v_or_b32_e32 v34, v34, v83
	v_or_b32_e32 v33, v33, v82
	v_cndmask_b32_e64 v14, 0, 1, vcc_lo
	v_cmp_ne_u16_e32 vcc_lo, 0, v25
	s_waitcnt vmcnt(36)
	v_lshrrev_b32_e32 v84, 16, v38
	v_and_b32_e32 v34, 0x7fff, v34
	s_waitcnt vmcnt(35)
	v_lshrrev_b32_e32 v85, 16, v39
	v_and_b32_e32 v33, 0x7fff, v33
	v_add_co_ci_u32_e32 v2, vcc_lo, v2, v15, vcc_lo
	v_cmp_ne_u16_e32 vcc_lo, 0, v27
	v_or_b32_e32 v37, v38, v84
	v_or_b32_e32 v38, v39, v85
	s_waitcnt vmcnt(34)
	v_lshrrev_b32_e32 v86, 16, v40
	s_waitcnt vmcnt(33)
	v_lshrrev_b32_e32 v87, 16, v41
	v_cndmask_b32_e64 v15, 0, 1, vcc_lo
	v_cmp_ne_u16_e32 vcc_lo, 0, v26
	v_and_b32_e32 v38, 0x7fff, v38
	v_and_b32_e32 v37, 0x7fff, v37
	v_or_b32_e32 v39, v40, v86
	v_or_b32_e32 v40, v41, v87
	v_add_co_ci_u32_e32 v2, vcc_lo, v2, v14, vcc_lo
	v_cmp_ne_u16_e32 vcc_lo, 0, v29
	s_waitcnt vmcnt(28)
	v_lshrrev_b32_e32 v89, 16, v7
	v_and_b32_e32 v40, 0x7fff, v40
	v_and_b32_e32 v39, 0x7fff, v39
	v_lshrrev_b32_e32 v88, 16, v42
	v_cndmask_b32_e64 v14, 0, 1, vcc_lo
	v_cmp_ne_u16_e32 vcc_lo, 0, v28
	v_or_b32_e32 v7, v7, v89
	v_lshrrev_b32_e32 v90, 16, v43
	v_or_b32_e32 v41, v42, v88
	v_lshrrev_b32_e32 v91, 16, v44
	v_add_co_ci_u32_e32 v2, vcc_lo, v2, v15, vcc_lo
	v_cmp_ne_u16_e32 vcc_lo, 0, v31
	v_and_b32_e32 v7, 0x7fff, v7
	v_and_b32_e32 v41, 0x7fff, v41
	v_or_b32_e32 v42, v43, v90
	v_or_b32_e32 v43, v44, v91
	v_cndmask_b32_e64 v15, 0, 1, vcc_lo
	v_cmp_ne_u16_e32 vcc_lo, 0, v30
	v_lshrrev_b32_e32 v92, 16, v45
	s_waitcnt vmcnt(26)
	v_lshrrev_b32_e32 v93, 16, v46
	v_and_b32_e32 v43, 0x7fff, v43
	v_and_b32_e32 v42, 0x7fff, v42
	v_add_co_ci_u32_e32 v2, vcc_lo, v2, v14, vcc_lo
	v_cmp_ne_u16_e32 vcc_lo, 0, v36
	v_or_b32_e32 v44, v45, v92
	v_or_b32_e32 v45, v46, v93
	s_waitcnt vmcnt(25)
	v_lshrrev_b32_e32 v94, 16, v47
	s_waitcnt vmcnt(24)
	v_lshrrev_b32_e32 v95, 16, v48
	v_cndmask_b32_e64 v14, 0, 1, vcc_lo
	v_cmp_ne_u16_e32 vcc_lo, 0, v32
	v_and_b32_e32 v45, 0x7fff, v45
	v_and_b32_e32 v44, 0x7fff, v44
	v_or_b32_e32 v46, v47, v94
	v_or_b32_e32 v47, v48, v95
	v_add_co_ci_u32_e32 v2, vcc_lo, v2, v15, vcc_lo
	v_cmp_ne_u16_e32 vcc_lo, 0, v34
	v_lshrrev_b32_e32 v97, 16, v8
	s_delay_alu instid0(VALU_DEP_4)
	v_and_b32_e32 v47, 0x7fff, v47
	v_and_b32_e32 v46, 0x7fff, v46
	s_waitcnt vmcnt(23)
	v_lshrrev_b32_e32 v96, 16, v49
	v_cndmask_b32_e64 v15, 0, 1, vcc_lo
	v_cmp_ne_u16_e32 vcc_lo, 0, v33
	v_or_b32_e32 v8, v8, v97
	s_waitcnt vmcnt(22)
	v_lshrrev_b32_e32 v98, 16, v50
	v_or_b32_e32 v48, v49, v96
	s_waitcnt vmcnt(21)
	v_lshrrev_b32_e32 v99, 16, v51
	v_add_co_ci_u32_e32 v2, vcc_lo, v2, v14, vcc_lo
	v_cmp_ne_u16_e32 vcc_lo, 0, v38
	v_and_b32_e32 v8, 0x7fff, v8
	v_and_b32_e32 v48, 0x7fff, v48
	v_or_b32_e32 v49, v50, v98
	v_or_b32_e32 v50, v51, v99
	v_cndmask_b32_e64 v14, 0, 1, vcc_lo
	v_cmp_ne_u16_e32 vcc_lo, 0, v37
	s_waitcnt vmcnt(20)
	v_lshrrev_b32_e32 v100, 16, v52
	s_waitcnt vmcnt(19)
	v_lshrrev_b32_e32 v101, 16, v53
	v_and_b32_e32 v50, 0x7fff, v50
	v_and_b32_e32 v49, 0x7fff, v49
	v_add_co_ci_u32_e32 v2, vcc_lo, v2, v15, vcc_lo
	v_cmp_ne_u16_e32 vcc_lo, 0, v40
	v_or_b32_e32 v51, v52, v100
	v_or_b32_e32 v52, v53, v101
	s_waitcnt vmcnt(18)
	v_lshrrev_b32_e32 v102, 16, v54
	s_waitcnt vmcnt(17)
	v_lshrrev_b32_e32 v103, 16, v55
	v_cndmask_b32_e64 v15, 0, 1, vcc_lo
	v_cmp_ne_u16_e32 vcc_lo, 0, v39
	v_and_b32_e32 v52, 0x7fff, v52
	v_and_b32_e32 v51, 0x7fff, v51
	v_or_b32_e32 v53, v54, v102
	v_or_b32_e32 v54, v55, v103
	v_add_co_ci_u32_e32 v2, vcc_lo, v2, v14, vcc_lo
	v_cmp_ne_u16_e32 vcc_lo, 0, v7
	s_waitcnt vmcnt(15)
	v_lshrrev_b32_e32 v105, 16, v4
	v_and_b32_e32 v54, 0x7fff, v54
	v_and_b32_e32 v53, 0x7fff, v53
	v_lshrrev_b32_e32 v104, 16, v3
	v_cndmask_b32_e64 v7, 0, 1, vcc_lo
	v_cmp_ne_u16_e32 vcc_lo, 0, v41
	v_or_b32_e32 v4, v4, v105
	s_waitcnt vmcnt(13)
	v_lshrrev_b32_e32 v107, 16, v10
	v_or_b32_e32 v3, v3, v104
	v_lshrrev_b32_e32 v106, 16, v9
	v_add_co_ci_u32_e32 v2, vcc_lo, v2, v15, vcc_lo
	v_cmp_ne_u16_e32 vcc_lo, 0, v43
	v_and_b32_e32 v4, 0x7fff, v4
	v_and_b32_e32 v3, 0x7fff, v3
	v_or_b32_e32 v10, v10, v107
	v_or_b32_e32 v9, v9, v106
	v_cndmask_b32_e64 v14, 0, 1, vcc_lo
	v_cmp_ne_u16_e32 vcc_lo, 0, v42
	s_waitcnt vmcnt(12)
	v_lshrrev_b32_e32 v108, 16, v56
	v_and_b32_e32 v10, 0x7fff, v10
	s_waitcnt vmcnt(11)
	v_lshrrev_b32_e32 v109, 16, v57
	v_and_b32_e32 v9, 0x7fff, v9
	v_add_co_ci_u32_e32 v2, vcc_lo, v2, v7, vcc_lo
	v_cmp_ne_u16_e32 vcc_lo, 0, v45
	v_or_b32_e32 v55, v56, v108
	v_or_b32_e32 v56, v57, v109
	s_waitcnt vmcnt(10)
	v_lshrrev_b32_e32 v110, 16, v58
	s_waitcnt vmcnt(9)
	v_lshrrev_b32_e32 v111, 16, v59
	v_cndmask_b32_e64 v7, 0, 1, vcc_lo
	v_cmp_ne_u16_e32 vcc_lo, 0, v44
	v_and_b32_e32 v56, 0x7fff, v56
	v_and_b32_e32 v55, 0x7fff, v55
	v_or_b32_e32 v57, v58, v110
	v_or_b32_e32 v58, v59, v111
	v_add_co_ci_u32_e32 v2, vcc_lo, v2, v14, vcc_lo
	v_cmp_ne_u16_e32 vcc_lo, 0, v47
	s_waitcnt vmcnt(7)
	v_lshrrev_b32_e32 v113, 16, v6
	v_and_b32_e32 v58, 0x7fff, v58
	v_and_b32_e32 v57, 0x7fff, v57
	v_lshrrev_b32_e32 v112, 16, v5
	v_cndmask_b32_e64 v14, 0, 1, vcc_lo
	v_cmp_ne_u16_e32 vcc_lo, 0, v46
	v_or_b32_e32 v6, v6, v113
	s_waitcnt vmcnt(6)
	v_lshrrev_b32_e32 v114, 16, v60
	v_or_b32_e32 v5, v5, v112
	s_waitcnt vmcnt(5)
	v_lshrrev_b32_e32 v115, 16, v61
	v_add_co_ci_u32_e32 v2, vcc_lo, v2, v7, vcc_lo
	v_cmp_ne_u16_e32 vcc_lo, 0, v8
	v_and_b32_e32 v6, 0x7fff, v6
	v_and_b32_e32 v5, 0x7fff, v5
	v_or_b32_e32 v59, v60, v114
	v_or_b32_e32 v60, v61, v115
	v_cndmask_b32_e64 v7, 0, 1, vcc_lo
	v_cmp_ne_u16_e32 vcc_lo, 0, v48
	s_waitcnt vmcnt(4)
	v_lshrrev_b32_e32 v116, 16, v62
	s_waitcnt vmcnt(3)
	v_lshrrev_b32_e32 v117, 16, v63
	v_and_b32_e32 v60, 0x7fff, v60
	v_and_b32_e32 v59, 0x7fff, v59
	v_add_co_ci_u32_e32 v2, vcc_lo, v2, v14, vcc_lo
	v_cmp_ne_u16_e32 vcc_lo, 0, v50
	v_or_b32_e32 v61, v62, v116
	v_or_b32_e32 v62, v63, v117
	s_waitcnt vmcnt(2)
	v_lshrrev_b32_e32 v118, 16, v64
	s_waitcnt vmcnt(1)
	v_lshrrev_b32_e32 v119, 16, v65
	v_cndmask_b32_e64 v8, 0, 1, vcc_lo
	v_cmp_ne_u16_e32 vcc_lo, 0, v49
	v_and_b32_e32 v11, 0x7fff, v61
	v_and_b32_e32 v61, 0x7fff, v62
	v_or_b32_e32 v63, v64, v118
	v_or_b32_e32 v64, v65, v119
	v_add_co_ci_u32_e32 v2, vcc_lo, v2, v7, vcc_lo
	v_cmp_ne_u16_e32 vcc_lo, 0, v52
	s_waitcnt vmcnt(0)
	v_lshrrev_b32_e32 v120, 16, v1
	v_and_b32_e32 v13, 0x7fff, v64
	v_and_b32_e32 v12, 0x7fff, v63
	v_cndmask_b32_e64 v7, 0, 1, vcc_lo
	v_cmp_ne_u16_e32 vcc_lo, 0, v51
	v_or_b32_e32 v1, v1, v120
	v_add_co_ci_u32_e32 v2, vcc_lo, v2, v8, vcc_lo
	v_cmp_ne_u16_e32 vcc_lo, 0, v54
	s_delay_alu instid0(VALU_DEP_3)
	v_and_b32_e32 v1, 0x7fff, v1
	v_cndmask_b32_e64 v8, 0, 1, vcc_lo
	v_cmp_ne_u16_e32 vcc_lo, 0, v53
	v_add_co_ci_u32_e32 v2, vcc_lo, v2, v7, vcc_lo
	v_cmp_ne_u16_e32 vcc_lo, 0, v4
	v_cndmask_b32_e64 v4, 0, 1, vcc_lo
	v_cmp_ne_u16_e32 vcc_lo, 0, v3
	s_delay_alu instid0(VALU_DEP_4) | instskip(SKIP_3) | instid1(VALU_DEP_4)
	v_add_co_ci_u32_e32 v2, vcc_lo, v2, v8, vcc_lo
	v_cmp_ne_u16_e32 vcc_lo, 0, v10
	v_cndmask_b32_e64 v3, 0, 1, vcc_lo
	v_cmp_ne_u16_e32 vcc_lo, 0, v9
	v_add_co_ci_u32_e32 v2, vcc_lo, v2, v4, vcc_lo
	v_cmp_ne_u16_e32 vcc_lo, 0, v56
	v_cndmask_b32_e64 v4, 0, 1, vcc_lo
	v_cmp_ne_u16_e32 vcc_lo, 0, v55
	s_delay_alu instid0(VALU_DEP_4) | instskip(SKIP_3) | instid1(VALU_DEP_4)
	v_add_co_ci_u32_e32 v2, vcc_lo, v2, v3, vcc_lo
	v_cmp_ne_u16_e32 vcc_lo, 0, v58
	;; [unrolled: 9-line block ×4, first 2 shown]
	v_cndmask_b32_e64 v3, 0, 1, vcc_lo
	v_cmp_ne_u16_e32 vcc_lo, 0, v12
	v_add_co_ci_u32_e32 v2, vcc_lo, v2, v4, vcc_lo
	v_cmp_ne_u16_e32 vcc_lo, 0, v1
	s_delay_alu instid0(VALU_DEP_2) | instskip(SKIP_1) | instid1(VALU_DEP_2)
	v_add_co_ci_u32_e32 v1, vcc_lo, v2, v3, vcc_lo
	v_mov_b32_e32 v3, 0
	v_mov_b32_dpp v2, v1 quad_perm:[1,0,3,2] row_mask:0xf bank_mask:0xf
	s_delay_alu instid0(VALU_DEP_1) | instskip(NEXT) | instid1(VALU_DEP_1)
	v_add_nc_u32_e32 v1, v1, v2
	v_mov_b32_dpp v2, v1 quad_perm:[2,3,0,1] row_mask:0xf bank_mask:0xf
	s_delay_alu instid0(VALU_DEP_1) | instskip(NEXT) | instid1(VALU_DEP_1)
	v_add_nc_u32_e32 v1, v1, v2
	v_mov_b32_dpp v2, v1 row_ror:4 row_mask:0xf bank_mask:0xf
	s_delay_alu instid0(VALU_DEP_1) | instskip(NEXT) | instid1(VALU_DEP_1)
	v_add_nc_u32_e32 v1, v1, v2
	v_mov_b32_dpp v2, v1 row_ror:8 row_mask:0xf bank_mask:0xf
	s_delay_alu instid0(VALU_DEP_1)
	v_add_nc_u32_e32 v1, v1, v2
	ds_swizzle_b32 v2, v1 offset:swizzle(BROADCAST,32,15)
	s_waitcnt lgkmcnt(0)
	v_add_nc_u32_e32 v1, v1, v2
	v_mbcnt_lo_u32_b32 v2, -1, 0
	ds_bpermute_b32 v1, v3, v1 offset:124
	v_cmpx_eq_u32_e32 0, v2
	s_cbranch_execz .LBB660_28
; %bb.27:
	v_lshrrev_b32_e32 v3, 3, v0
	s_delay_alu instid0(VALU_DEP_1)
	v_and_b32_e32 v3, 12, v3
	s_waitcnt lgkmcnt(0)
	ds_store_b32 v3, v1 offset:96
.LBB660_28:
	s_or_b32 exec_lo, exec_lo, s5
	s_delay_alu instid0(SALU_CYCLE_1)
	s_mov_b32 s5, exec_lo
	s_waitcnt lgkmcnt(0)
	s_barrier
	buffer_gl0_inv
	v_cmpx_gt_u32_e32 32, v0
	s_cbranch_execz .LBB660_30
; %bb.29:
	v_and_b32_e32 v1, 3, v2
	s_delay_alu instid0(VALU_DEP_1) | instskip(SKIP_4) | instid1(VALU_DEP_2)
	v_lshlrev_b32_e32 v3, 2, v1
	v_cmp_ne_u32_e32 vcc_lo, 3, v1
	ds_load_b32 v3, v3 offset:96
	v_add_co_ci_u32_e32 v4, vcc_lo, 0, v2, vcc_lo
	v_cmp_gt_u32_e32 vcc_lo, 2, v1
	v_lshlrev_b32_e32 v4, 2, v4
	v_cndmask_b32_e64 v1, 0, 1, vcc_lo
	s_delay_alu instid0(VALU_DEP_1) | instskip(NEXT) | instid1(VALU_DEP_1)
	v_lshlrev_b32_e32 v1, 1, v1
	v_add_lshl_u32 v1, v1, v2, 2
	s_waitcnt lgkmcnt(0)
	ds_bpermute_b32 v4, v4, v3
	s_waitcnt lgkmcnt(0)
	v_add_nc_u32_e32 v3, v4, v3
	ds_bpermute_b32 v1, v1, v3
	s_waitcnt lgkmcnt(0)
	v_add_nc_u32_e32 v1, v1, v3
.LBB660_30:
	s_or_b32 exec_lo, exec_lo, s5
	s_mov_b32 s5, 0
	s_branch .LBB660_377
.LBB660_31:
                                        ; implicit-def: $vgpr1
	s_cbranch_execz .LBB660_512
	s_branch .LBB660_368
.LBB660_32:
                                        ; implicit-def: $vgpr1
	s_branch .LBB660_512
.LBB660_33:
                                        ; implicit-def: $vgpr1
	s_branch .LBB660_512
.LBB660_34:
                                        ; implicit-def: $vgpr1
	s_cbranch_execz .LBB660_10
; %bb.35:
	s_sub_i32 s4, s20, s4
	s_mov_b32 s5, exec_lo
                                        ; implicit-def: $vgpr1
	v_cmpx_gt_u32_e64 s4, v0
	s_cbranch_execz .LBB660_37
; %bb.36:
	v_lshlrev_b32_e32 v1, 2, v0
	global_load_b32 v1, v1, s[2:3]
	s_waitcnt vmcnt(0)
	v_lshrrev_b32_e32 v2, 16, v1
	s_delay_alu instid0(VALU_DEP_1) | instskip(NEXT) | instid1(VALU_DEP_1)
	v_or_b32_e32 v1, v1, v2
	v_and_b32_e32 v1, 0x7fff, v1
	s_delay_alu instid0(VALU_DEP_1)
	v_cmp_ne_u16_e32 vcc_lo, 0, v1
	v_cndmask_b32_e64 v1, 0, 1, vcc_lo
.LBB660_37:
	s_or_b32 exec_lo, exec_lo, s5
	v_or_b32_e32 v3, 0x80, v0
	v_mov_b32_e32 v2, 0
	s_delay_alu instid0(VALU_DEP_2)
	v_cmp_gt_u32_e32 vcc_lo, s4, v3
	v_mov_b32_e32 v3, 0
	s_and_saveexec_b32 s5, vcc_lo
	s_cbranch_execz .LBB660_39
; %bb.38:
	v_lshlrev_b32_e32 v3, 2, v0
	global_load_b32 v3, v3, s[2:3] offset:512
	s_waitcnt vmcnt(0)
	v_lshrrev_b32_e32 v4, 16, v3
	s_delay_alu instid0(VALU_DEP_1) | instskip(NEXT) | instid1(VALU_DEP_1)
	v_or_b32_e32 v3, v3, v4
	v_and_b32_e32 v3, 0x7fff, v3
	s_delay_alu instid0(VALU_DEP_1)
	v_cmp_ne_u16_e32 vcc_lo, 0, v3
	v_cndmask_b32_e64 v3, 0, 1, vcc_lo
.LBB660_39:
	s_or_b32 exec_lo, exec_lo, s5
	v_or_b32_e32 v4, 0x100, v0
	s_mov_b32 s5, exec_lo
	s_delay_alu instid0(VALU_DEP_1)
	v_cmpx_gt_u32_e64 s4, v4
	s_cbranch_execz .LBB660_41
; %bb.40:
	v_lshlrev_b32_e32 v2, 2, v0
	global_load_b32 v2, v2, s[2:3] offset:1024
	s_waitcnt vmcnt(0)
	v_lshrrev_b32_e32 v4, 16, v2
	s_delay_alu instid0(VALU_DEP_1) | instskip(NEXT) | instid1(VALU_DEP_1)
	v_or_b32_e32 v2, v2, v4
	v_and_b32_e32 v2, 0x7fff, v2
	s_delay_alu instid0(VALU_DEP_1)
	v_cmp_ne_u16_e32 vcc_lo, 0, v2
	v_cndmask_b32_e64 v2, 0, 1, vcc_lo
.LBB660_41:
	s_or_b32 exec_lo, exec_lo, s5
	v_or_b32_e32 v5, 0x180, v0
	v_mov_b32_e32 v4, 0
	s_delay_alu instid0(VALU_DEP_2)
	v_cmp_gt_u32_e32 vcc_lo, s4, v5
	v_mov_b32_e32 v5, 0
	s_and_saveexec_b32 s5, vcc_lo
	s_cbranch_execz .LBB660_43
; %bb.42:
	v_lshlrev_b32_e32 v5, 2, v0
	global_load_b32 v5, v5, s[2:3] offset:1536
	s_waitcnt vmcnt(0)
	v_lshrrev_b32_e32 v6, 16, v5
	s_delay_alu instid0(VALU_DEP_1) | instskip(NEXT) | instid1(VALU_DEP_1)
	v_or_b32_e32 v5, v5, v6
	v_and_b32_e32 v5, 0x7fff, v5
	s_delay_alu instid0(VALU_DEP_1)
	v_cmp_ne_u16_e32 vcc_lo, 0, v5
	v_cndmask_b32_e64 v5, 0, 1, vcc_lo
.LBB660_43:
	s_or_b32 exec_lo, exec_lo, s5
	v_or_b32_e32 v6, 0x200, v0
	s_mov_b32 s5, exec_lo
	s_delay_alu instid0(VALU_DEP_1)
	v_cmpx_gt_u32_e64 s4, v6
	s_cbranch_execz .LBB660_45
; %bb.44:
	v_lshlrev_b32_e32 v4, 2, v0
	global_load_b32 v4, v4, s[2:3] offset:2048
	s_waitcnt vmcnt(0)
	v_lshrrev_b32_e32 v6, 16, v4
	s_delay_alu instid0(VALU_DEP_1) | instskip(NEXT) | instid1(VALU_DEP_1)
	v_or_b32_e32 v4, v4, v6
	v_and_b32_e32 v4, 0x7fff, v4
	s_delay_alu instid0(VALU_DEP_1)
	v_cmp_ne_u16_e32 vcc_lo, 0, v4
	v_cndmask_b32_e64 v4, 0, 1, vcc_lo
.LBB660_45:
	;; [unrolled: 38-line block ×3, first 2 shown]
	s_or_b32 exec_lo, exec_lo, s5
	v_or_b32_e32 v9, 0x380, v0
	v_mov_b32_e32 v8, 0
	s_delay_alu instid0(VALU_DEP_2)
	v_cmp_gt_u32_e32 vcc_lo, s4, v9
	v_mov_b32_e32 v9, 0
	s_and_saveexec_b32 s5, vcc_lo
	s_cbranch_execz .LBB660_51
; %bb.50:
	v_lshlrev_b32_e32 v9, 2, v0
	global_load_b32 v9, v9, s[2:3] offset:3584
	s_waitcnt vmcnt(0)
	v_lshrrev_b32_e32 v10, 16, v9
	s_delay_alu instid0(VALU_DEP_1) | instskip(NEXT) | instid1(VALU_DEP_1)
	v_or_b32_e32 v9, v9, v10
	v_and_b32_e32 v9, 0x7fff, v9
	s_delay_alu instid0(VALU_DEP_1)
	v_cmp_ne_u16_e32 vcc_lo, 0, v9
	v_cndmask_b32_e64 v9, 0, 1, vcc_lo
.LBB660_51:
	s_or_b32 exec_lo, exec_lo, s5
	v_or_b32_e32 v10, 0x400, v0
	s_mov_b32 s5, exec_lo
	s_delay_alu instid0(VALU_DEP_1)
	v_cmpx_gt_u32_e64 s4, v10
	s_cbranch_execz .LBB660_53
; %bb.52:
	v_lshlrev_b32_e32 v8, 2, v10
	global_load_b32 v8, v8, s[2:3]
	s_waitcnt vmcnt(0)
	v_lshrrev_b32_e32 v10, 16, v8
	s_delay_alu instid0(VALU_DEP_1) | instskip(NEXT) | instid1(VALU_DEP_1)
	v_or_b32_e32 v8, v8, v10
	v_and_b32_e32 v8, 0x7fff, v8
	s_delay_alu instid0(VALU_DEP_1)
	v_cmp_ne_u16_e32 vcc_lo, 0, v8
	v_cndmask_b32_e64 v8, 0, 1, vcc_lo
.LBB660_53:
	s_or_b32 exec_lo, exec_lo, s5
	v_or_b32_e32 v12, 0x480, v0
	v_dual_mov_b32 v10, 0 :: v_dual_mov_b32 v11, 0
	s_mov_b32 s5, exec_lo
	s_delay_alu instid0(VALU_DEP_2)
	v_cmpx_gt_u32_e64 s4, v12
	s_cbranch_execz .LBB660_55
; %bb.54:
	v_lshlrev_b32_e32 v11, 2, v12
	global_load_b32 v11, v11, s[2:3]
	s_waitcnt vmcnt(0)
	v_lshrrev_b32_e32 v12, 16, v11
	s_delay_alu instid0(VALU_DEP_1) | instskip(NEXT) | instid1(VALU_DEP_1)
	v_or_b32_e32 v11, v11, v12
	v_and_b32_e32 v11, 0x7fff, v11
	s_delay_alu instid0(VALU_DEP_1)
	v_cmp_ne_u16_e32 vcc_lo, 0, v11
	v_cndmask_b32_e64 v11, 0, 1, vcc_lo
.LBB660_55:
	s_or_b32 exec_lo, exec_lo, s5
	v_or_b32_e32 v12, 0x500, v0
	s_mov_b32 s5, exec_lo
	s_delay_alu instid0(VALU_DEP_1)
	v_cmpx_gt_u32_e64 s4, v12
	s_cbranch_execz .LBB660_57
; %bb.56:
	v_lshlrev_b32_e32 v10, 2, v12
	global_load_b32 v10, v10, s[2:3]
	s_waitcnt vmcnt(0)
	v_lshrrev_b32_e32 v12, 16, v10
	s_delay_alu instid0(VALU_DEP_1) | instskip(NEXT) | instid1(VALU_DEP_1)
	v_or_b32_e32 v10, v10, v12
	v_and_b32_e32 v10, 0x7fff, v10
	s_delay_alu instid0(VALU_DEP_1)
	v_cmp_ne_u16_e32 vcc_lo, 0, v10
	v_cndmask_b32_e64 v10, 0, 1, vcc_lo
.LBB660_57:
	s_or_b32 exec_lo, exec_lo, s5
	v_or_b32_e32 v14, 0x580, v0
	v_dual_mov_b32 v12, 0 :: v_dual_mov_b32 v13, 0
	s_mov_b32 s5, exec_lo
	s_delay_alu instid0(VALU_DEP_2)
	v_cmpx_gt_u32_e64 s4, v14
	s_cbranch_execz .LBB660_59
; %bb.58:
	v_lshlrev_b32_e32 v13, 2, v14
	global_load_b32 v13, v13, s[2:3]
	s_waitcnt vmcnt(0)
	v_lshrrev_b32_e32 v14, 16, v13
	s_delay_alu instid0(VALU_DEP_1) | instskip(NEXT) | instid1(VALU_DEP_1)
	v_or_b32_e32 v13, v13, v14
	v_and_b32_e32 v13, 0x7fff, v13
	s_delay_alu instid0(VALU_DEP_1)
	v_cmp_ne_u16_e32 vcc_lo, 0, v13
	v_cndmask_b32_e64 v13, 0, 1, vcc_lo
.LBB660_59:
	;; [unrolled: 37-line block ×59, first 2 shown]
	s_or_b32 exec_lo, exec_lo, s5
	v_or_b32_e32 v128, 0x3f00, v0
	s_mov_b32 s5, exec_lo
	s_delay_alu instid0(VALU_DEP_1)
	v_cmpx_gt_u32_e64 s4, v128
	s_cbranch_execz .LBB660_289
; %bb.288:
	v_lshlrev_b32_e32 v126, 2, v128
	global_load_b32 v126, v126, s[2:3]
	s_waitcnt vmcnt(0)
	v_lshrrev_b32_e32 v128, 16, v126
	s_delay_alu instid0(VALU_DEP_1) | instskip(NEXT) | instid1(VALU_DEP_1)
	v_or_b32_e32 v126, v126, v128
	v_and_b32_e32 v126, 0x7fff, v126
	s_delay_alu instid0(VALU_DEP_1)
	v_cmp_ne_u16_e32 vcc_lo, 0, v126
	v_cndmask_b32_e64 v126, 0, 1, vcc_lo
.LBB660_289:
	s_or_b32 exec_lo, exec_lo, s5
	v_or_b32_e32 v129, 0x3f80, v0
	v_mov_b32_e32 v128, 0
	s_mov_b32 s5, exec_lo
	s_delay_alu instid0(VALU_DEP_2)
	v_cmpx_gt_u32_e64 s4, v129
	s_cbranch_execz .LBB660_291
; %bb.290:
	v_lshlrev_b32_e32 v128, 2, v129
	global_load_b32 v128, v128, s[2:3]
	s_waitcnt vmcnt(0)
	v_lshrrev_b32_e32 v129, 16, v128
	s_delay_alu instid0(VALU_DEP_1) | instskip(NEXT) | instid1(VALU_DEP_1)
	v_or_b32_e32 v128, v128, v129
	v_and_b32_e32 v128, 0x7fff, v128
	s_delay_alu instid0(VALU_DEP_1) | instskip(NEXT) | instid1(VALU_DEP_1)
	v_cmp_ne_u16_e64 vcc_lo, 0, v128
	v_cndmask_b32_e64 v128, 0, 1, vcc_lo
.LBB660_291:
	s_or_b32 exec_lo, exec_lo, s5
	v_add_nc_u32_e32 v1, v3, v1
	s_min_u32 s2, s4, 0x80
	s_mov_b32 s3, exec_lo
	s_delay_alu instid0(VALU_DEP_1) | instskip(SKIP_1) | instid1(VALU_DEP_2)
	v_add3_u32 v1, v1, v2, v5
	v_mbcnt_lo_u32_b32 v2, -1, 0
	v_add3_u32 v1, v1, v4, v7
	s_delay_alu instid0(VALU_DEP_2) | instskip(NEXT) | instid1(VALU_DEP_2)
	v_cmp_ne_u32_e32 vcc_lo, 31, v2
	v_add3_u32 v1, v1, v6, v9
	v_add_co_ci_u32_e32 v3, vcc_lo, 0, v2, vcc_lo
	v_cmp_gt_u32_e32 vcc_lo, 30, v2
	v_add_nc_u32_e32 v6, 1, v2
	s_delay_alu instid0(VALU_DEP_4) | instskip(NEXT) | instid1(VALU_DEP_4)
	v_add3_u32 v1, v1, v8, v11
	v_lshlrev_b32_e32 v3, 2, v3
	v_cndmask_b32_e64 v5, 0, 1, vcc_lo
	s_delay_alu instid0(VALU_DEP_3) | instskip(NEXT) | instid1(VALU_DEP_2)
	v_add3_u32 v1, v1, v10, v13
	v_lshlrev_b32_e32 v5, 1, v5
	s_delay_alu instid0(VALU_DEP_2) | instskip(NEXT) | instid1(VALU_DEP_2)
	v_add3_u32 v1, v1, v12, v15
	v_add_lshl_u32 v5, v5, v2, 2
	s_delay_alu instid0(VALU_DEP_2) | instskip(NEXT) | instid1(VALU_DEP_1)
	v_add3_u32 v1, v1, v14, v17
	v_add3_u32 v1, v1, v16, v19
	s_delay_alu instid0(VALU_DEP_1) | instskip(NEXT) | instid1(VALU_DEP_1)
	v_add3_u32 v1, v1, v18, v21
	v_add3_u32 v1, v1, v20, v23
	s_delay_alu instid0(VALU_DEP_1) | instskip(NEXT) | instid1(VALU_DEP_1)
	;; [unrolled: 3-line block ×27, first 2 shown]
	v_add3_u32 v1, v1, v122, v125
	v_add3_u32 v1, v1, v124, v127
	s_delay_alu instid0(VALU_DEP_1) | instskip(SKIP_2) | instid1(VALU_DEP_1)
	v_add3_u32 v1, v1, v126, v128
	ds_bpermute_b32 v3, v3, v1
	v_and_b32_e32 v4, 0x60, v0
	v_sub_nc_u32_e64 v4, s2, v4 clamp
	s_delay_alu instid0(VALU_DEP_1) | instskip(SKIP_3) | instid1(VALU_DEP_2)
	v_cmp_lt_u32_e32 vcc_lo, v6, v4
	s_waitcnt lgkmcnt(0)
	v_dual_cndmask_b32 v3, 0, v3 :: v_dual_add_nc_u32 v6, 2, v2
	v_cmp_gt_u32_e32 vcc_lo, 28, v2
	v_add_nc_u32_e32 v1, v3, v1
	ds_bpermute_b32 v3, v5, v1
	v_cndmask_b32_e64 v5, 0, 1, vcc_lo
	v_cmp_lt_u32_e32 vcc_lo, v6, v4
	v_add_nc_u32_e32 v6, 4, v2
	s_delay_alu instid0(VALU_DEP_3) | instskip(NEXT) | instid1(VALU_DEP_1)
	v_lshlrev_b32_e32 v5, 2, v5
	v_add_lshl_u32 v5, v5, v2, 2
	s_waitcnt lgkmcnt(0)
	v_cndmask_b32_e32 v3, 0, v3, vcc_lo
	v_cmp_gt_u32_e32 vcc_lo, 24, v2
	s_delay_alu instid0(VALU_DEP_2) | instskip(SKIP_4) | instid1(VALU_DEP_3)
	v_add_nc_u32_e32 v1, v1, v3
	ds_bpermute_b32 v3, v5, v1
	v_cndmask_b32_e64 v5, 0, 1, vcc_lo
	v_cmp_lt_u32_e32 vcc_lo, v6, v4
	v_add_nc_u32_e32 v6, 8, v2
	v_lshlrev_b32_e32 v5, 3, v5
	s_delay_alu instid0(VALU_DEP_1) | instskip(SKIP_3) | instid1(VALU_DEP_2)
	v_add_lshl_u32 v5, v5, v2, 2
	s_waitcnt lgkmcnt(0)
	v_cndmask_b32_e32 v3, 0, v3, vcc_lo
	v_cmp_gt_u32_e32 vcc_lo, 16, v2
	v_add_nc_u32_e32 v1, v1, v3
	ds_bpermute_b32 v3, v5, v1
	v_cndmask_b32_e64 v5, 0, 1, vcc_lo
	v_cmp_lt_u32_e32 vcc_lo, v6, v4
	s_delay_alu instid0(VALU_DEP_2) | instskip(NEXT) | instid1(VALU_DEP_1)
	v_lshlrev_b32_e32 v5, 4, v5
	v_add_lshl_u32 v5, v5, v2, 2
	s_waitcnt lgkmcnt(0)
	v_cndmask_b32_e32 v3, 0, v3, vcc_lo
	s_delay_alu instid0(VALU_DEP_1) | instskip(SKIP_2) | instid1(VALU_DEP_1)
	v_add_nc_u32_e32 v1, v1, v3
	ds_bpermute_b32 v3, v5, v1
	v_add_nc_u32_e32 v5, 16, v2
	v_cmp_lt_u32_e32 vcc_lo, v5, v4
	s_waitcnt lgkmcnt(0)
	v_cndmask_b32_e32 v3, 0, v3, vcc_lo
	s_delay_alu instid0(VALU_DEP_1)
	v_add_nc_u32_e32 v1, v1, v3
	v_cmpx_eq_u32_e32 0, v2
	s_cbranch_execz .LBB660_293
; %bb.292:
	v_lshrrev_b32_e32 v3, 3, v0
	s_delay_alu instid0(VALU_DEP_1)
	v_and_b32_e32 v3, 12, v3
	ds_store_b32 v3, v1 offset:128
.LBB660_293:
	s_or_b32 exec_lo, exec_lo, s3
	s_delay_alu instid0(SALU_CYCLE_1)
	s_mov_b32 s3, exec_lo
	s_waitcnt lgkmcnt(0)
	s_barrier
	buffer_gl0_inv
	v_cmpx_gt_u32_e32 4, v0
	s_cbranch_execz .LBB660_295
; %bb.294:
	v_and_b32_e32 v3, 3, v2
	s_add_i32 s2, s2, 31
	s_delay_alu instid0(SALU_CYCLE_1) | instskip(NEXT) | instid1(VALU_DEP_1)
	s_lshr_b32 s2, s2, 5
	v_cmp_ne_u32_e32 vcc_lo, 3, v3
	v_add_nc_u32_e32 v5, 1, v3
	v_add_co_ci_u32_e32 v4, vcc_lo, 0, v2, vcc_lo
	v_cmp_gt_u32_e32 vcc_lo, 2, v3
	v_add_nc_u32_e32 v3, 2, v3
	s_delay_alu instid0(VALU_DEP_3) | instskip(SKIP_3) | instid1(VALU_DEP_3)
	v_lshlrev_b32_e32 v4, 2, v4
	v_cndmask_b32_e64 v6, 0, 1, vcc_lo
	v_cmp_gt_u32_e32 vcc_lo, s2, v5
	v_lshlrev_b32_e32 v1, 2, v2
	v_lshlrev_b32_e32 v5, 1, v6
	ds_load_b32 v1, v1 offset:128
	v_add_lshl_u32 v2, v5, v2, 2
	s_waitcnt lgkmcnt(0)
	ds_bpermute_b32 v4, v4, v1
	s_waitcnt lgkmcnt(0)
	v_cndmask_b32_e32 v4, 0, v4, vcc_lo
	v_cmp_gt_u32_e32 vcc_lo, s2, v3
	s_delay_alu instid0(VALU_DEP_2) | instskip(SKIP_3) | instid1(VALU_DEP_1)
	v_add_nc_u32_e32 v1, v4, v1
	ds_bpermute_b32 v2, v2, v1
	s_waitcnt lgkmcnt(0)
	v_cndmask_b32_e32 v2, 0, v2, vcc_lo
	v_add_nc_u32_e32 v1, v1, v2
.LBB660_295:
	s_or_b32 exec_lo, exec_lo, s3
	v_cmp_eq_u32_e64 s2, 0, v0
	s_and_b32 vcc_lo, exec_lo, s6
	s_cbranch_vccnz .LBB660_24
	s_branch .LBB660_11
.LBB660_296:
	s_mov_b32 s5, -1
                                        ; implicit-def: $vgpr1
.LBB660_297:
	s_delay_alu instid0(SALU_CYCLE_1)
	s_and_b32 vcc_lo, exec_lo, s5
	s_cbranch_vccz .LBB660_367
; %bb.298:
	s_sub_i32 s4, s20, s4
	s_mov_b32 s5, exec_lo
                                        ; implicit-def: $vgpr1
	v_cmpx_gt_u32_e64 s4, v0
	s_cbranch_execz .LBB660_300
; %bb.299:
	v_lshlrev_b32_e32 v1, 2, v0
	global_load_b32 v1, v1, s[2:3]
	s_waitcnt vmcnt(0)
	v_lshrrev_b32_e32 v2, 16, v1
	s_delay_alu instid0(VALU_DEP_1) | instskip(NEXT) | instid1(VALU_DEP_1)
	v_or_b32_e32 v1, v1, v2
	v_and_b32_e32 v1, 0x7fff, v1
	s_delay_alu instid0(VALU_DEP_1)
	v_cmp_ne_u16_e32 vcc_lo, 0, v1
	v_cndmask_b32_e64 v1, 0, 1, vcc_lo
.LBB660_300:
	s_or_b32 exec_lo, exec_lo, s5
	v_or_b32_e32 v3, 0x80, v0
	v_mov_b32_e32 v2, 0
	s_delay_alu instid0(VALU_DEP_2)
	v_cmp_gt_u32_e32 vcc_lo, s4, v3
	v_mov_b32_e32 v3, 0
	s_and_saveexec_b32 s5, vcc_lo
	s_cbranch_execz .LBB660_302
; %bb.301:
	v_lshlrev_b32_e32 v3, 2, v0
	global_load_b32 v3, v3, s[2:3] offset:512
	s_waitcnt vmcnt(0)
	v_lshrrev_b32_e32 v4, 16, v3
	s_delay_alu instid0(VALU_DEP_1) | instskip(NEXT) | instid1(VALU_DEP_1)
	v_or_b32_e32 v3, v3, v4
	v_and_b32_e32 v3, 0x7fff, v3
	s_delay_alu instid0(VALU_DEP_1)
	v_cmp_ne_u16_e32 vcc_lo, 0, v3
	v_cndmask_b32_e64 v3, 0, 1, vcc_lo
.LBB660_302:
	s_or_b32 exec_lo, exec_lo, s5
	v_or_b32_e32 v4, 0x100, v0
	s_mov_b32 s5, exec_lo
	s_delay_alu instid0(VALU_DEP_1)
	v_cmpx_gt_u32_e64 s4, v4
	s_cbranch_execz .LBB660_304
; %bb.303:
	v_lshlrev_b32_e32 v2, 2, v0
	global_load_b32 v2, v2, s[2:3] offset:1024
	s_waitcnt vmcnt(0)
	v_lshrrev_b32_e32 v4, 16, v2
	s_delay_alu instid0(VALU_DEP_1) | instskip(NEXT) | instid1(VALU_DEP_1)
	v_or_b32_e32 v2, v2, v4
	v_and_b32_e32 v2, 0x7fff, v2
	s_delay_alu instid0(VALU_DEP_1)
	v_cmp_ne_u16_e32 vcc_lo, 0, v2
	v_cndmask_b32_e64 v2, 0, 1, vcc_lo
.LBB660_304:
	s_or_b32 exec_lo, exec_lo, s5
	v_or_b32_e32 v5, 0x180, v0
	v_mov_b32_e32 v4, 0
	s_delay_alu instid0(VALU_DEP_2)
	v_cmp_gt_u32_e32 vcc_lo, s4, v5
	v_mov_b32_e32 v5, 0
	s_and_saveexec_b32 s5, vcc_lo
	s_cbranch_execz .LBB660_306
; %bb.305:
	v_lshlrev_b32_e32 v5, 2, v0
	global_load_b32 v5, v5, s[2:3] offset:1536
	s_waitcnt vmcnt(0)
	v_lshrrev_b32_e32 v6, 16, v5
	s_delay_alu instid0(VALU_DEP_1) | instskip(NEXT) | instid1(VALU_DEP_1)
	v_or_b32_e32 v5, v5, v6
	v_and_b32_e32 v5, 0x7fff, v5
	s_delay_alu instid0(VALU_DEP_1)
	v_cmp_ne_u16_e32 vcc_lo, 0, v5
	v_cndmask_b32_e64 v5, 0, 1, vcc_lo
.LBB660_306:
	s_or_b32 exec_lo, exec_lo, s5
	v_or_b32_e32 v6, 0x200, v0
	s_mov_b32 s5, exec_lo
	s_delay_alu instid0(VALU_DEP_1)
	v_cmpx_gt_u32_e64 s4, v6
	s_cbranch_execz .LBB660_308
; %bb.307:
	v_lshlrev_b32_e32 v4, 2, v0
	global_load_b32 v4, v4, s[2:3] offset:2048
	s_waitcnt vmcnt(0)
	v_lshrrev_b32_e32 v6, 16, v4
	s_delay_alu instid0(VALU_DEP_1) | instskip(NEXT) | instid1(VALU_DEP_1)
	v_or_b32_e32 v4, v4, v6
	v_and_b32_e32 v4, 0x7fff, v4
	s_delay_alu instid0(VALU_DEP_1)
	v_cmp_ne_u16_e32 vcc_lo, 0, v4
	v_cndmask_b32_e64 v4, 0, 1, vcc_lo
.LBB660_308:
	;; [unrolled: 38-line block ×3, first 2 shown]
	s_or_b32 exec_lo, exec_lo, s5
	v_or_b32_e32 v9, 0x380, v0
	v_mov_b32_e32 v8, 0
	s_delay_alu instid0(VALU_DEP_2)
	v_cmp_gt_u32_e32 vcc_lo, s4, v9
	v_mov_b32_e32 v9, 0
	s_and_saveexec_b32 s5, vcc_lo
	s_cbranch_execz .LBB660_314
; %bb.313:
	v_lshlrev_b32_e32 v9, 2, v0
	global_load_b32 v9, v9, s[2:3] offset:3584
	s_waitcnt vmcnt(0)
	v_lshrrev_b32_e32 v10, 16, v9
	s_delay_alu instid0(VALU_DEP_1) | instskip(NEXT) | instid1(VALU_DEP_1)
	v_or_b32_e32 v9, v9, v10
	v_and_b32_e32 v9, 0x7fff, v9
	s_delay_alu instid0(VALU_DEP_1)
	v_cmp_ne_u16_e32 vcc_lo, 0, v9
	v_cndmask_b32_e64 v9, 0, 1, vcc_lo
.LBB660_314:
	s_or_b32 exec_lo, exec_lo, s5
	v_or_b32_e32 v10, 0x400, v0
	s_mov_b32 s5, exec_lo
	s_delay_alu instid0(VALU_DEP_1)
	v_cmpx_gt_u32_e64 s4, v10
	s_cbranch_execz .LBB660_316
; %bb.315:
	v_lshlrev_b32_e32 v8, 2, v10
	global_load_b32 v8, v8, s[2:3]
	s_waitcnt vmcnt(0)
	v_lshrrev_b32_e32 v10, 16, v8
	s_delay_alu instid0(VALU_DEP_1) | instskip(NEXT) | instid1(VALU_DEP_1)
	v_or_b32_e32 v8, v8, v10
	v_and_b32_e32 v8, 0x7fff, v8
	s_delay_alu instid0(VALU_DEP_1)
	v_cmp_ne_u16_e32 vcc_lo, 0, v8
	v_cndmask_b32_e64 v8, 0, 1, vcc_lo
.LBB660_316:
	s_or_b32 exec_lo, exec_lo, s5
	v_or_b32_e32 v12, 0x480, v0
	v_dual_mov_b32 v10, 0 :: v_dual_mov_b32 v11, 0
	s_mov_b32 s5, exec_lo
	s_delay_alu instid0(VALU_DEP_2)
	v_cmpx_gt_u32_e64 s4, v12
	s_cbranch_execz .LBB660_318
; %bb.317:
	v_lshlrev_b32_e32 v11, 2, v12
	global_load_b32 v11, v11, s[2:3]
	s_waitcnt vmcnt(0)
	v_lshrrev_b32_e32 v12, 16, v11
	s_delay_alu instid0(VALU_DEP_1) | instskip(NEXT) | instid1(VALU_DEP_1)
	v_or_b32_e32 v11, v11, v12
	v_and_b32_e32 v11, 0x7fff, v11
	s_delay_alu instid0(VALU_DEP_1)
	v_cmp_ne_u16_e32 vcc_lo, 0, v11
	v_cndmask_b32_e64 v11, 0, 1, vcc_lo
.LBB660_318:
	s_or_b32 exec_lo, exec_lo, s5
	v_or_b32_e32 v12, 0x500, v0
	s_mov_b32 s5, exec_lo
	s_delay_alu instid0(VALU_DEP_1)
	v_cmpx_gt_u32_e64 s4, v12
	s_cbranch_execz .LBB660_320
; %bb.319:
	v_lshlrev_b32_e32 v10, 2, v12
	global_load_b32 v10, v10, s[2:3]
	s_waitcnt vmcnt(0)
	v_lshrrev_b32_e32 v12, 16, v10
	s_delay_alu instid0(VALU_DEP_1) | instskip(NEXT) | instid1(VALU_DEP_1)
	v_or_b32_e32 v10, v10, v12
	v_and_b32_e32 v10, 0x7fff, v10
	s_delay_alu instid0(VALU_DEP_1)
	v_cmp_ne_u16_e32 vcc_lo, 0, v10
	v_cndmask_b32_e64 v10, 0, 1, vcc_lo
.LBB660_320:
	s_or_b32 exec_lo, exec_lo, s5
	v_or_b32_e32 v14, 0x580, v0
	v_dual_mov_b32 v12, 0 :: v_dual_mov_b32 v13, 0
	s_mov_b32 s5, exec_lo
	s_delay_alu instid0(VALU_DEP_2)
	v_cmpx_gt_u32_e64 s4, v14
	s_cbranch_execz .LBB660_322
; %bb.321:
	v_lshlrev_b32_e32 v13, 2, v14
	global_load_b32 v13, v13, s[2:3]
	s_waitcnt vmcnt(0)
	v_lshrrev_b32_e32 v14, 16, v13
	s_delay_alu instid0(VALU_DEP_1) | instskip(NEXT) | instid1(VALU_DEP_1)
	v_or_b32_e32 v13, v13, v14
	v_and_b32_e32 v13, 0x7fff, v13
	s_delay_alu instid0(VALU_DEP_1)
	v_cmp_ne_u16_e32 vcc_lo, 0, v13
	v_cndmask_b32_e64 v13, 0, 1, vcc_lo
.LBB660_322:
	;; [unrolled: 37-line block ×11, first 2 shown]
	s_or_b32 exec_lo, exec_lo, s5
	v_or_b32_e32 v32, 0xf00, v0
	s_mov_b32 s5, exec_lo
	s_delay_alu instid0(VALU_DEP_1)
	v_cmpx_gt_u32_e64 s4, v32
	s_cbranch_execz .LBB660_360
; %bb.359:
	v_lshlrev_b32_e32 v30, 2, v32
	global_load_b32 v30, v30, s[2:3]
	s_waitcnt vmcnt(0)
	v_lshrrev_b32_e32 v32, 16, v30
	s_delay_alu instid0(VALU_DEP_1) | instskip(NEXT) | instid1(VALU_DEP_1)
	v_or_b32_e32 v30, v30, v32
	v_and_b32_e32 v30, 0x7fff, v30
	s_delay_alu instid0(VALU_DEP_1)
	v_cmp_ne_u16_e32 vcc_lo, 0, v30
	v_cndmask_b32_e64 v30, 0, 1, vcc_lo
.LBB660_360:
	s_or_b32 exec_lo, exec_lo, s5
	v_or_b32_e32 v33, 0xf80, v0
	v_mov_b32_e32 v32, 0
	s_mov_b32 s5, exec_lo
	s_delay_alu instid0(VALU_DEP_2)
	v_cmpx_gt_u32_e64 s4, v33
	s_cbranch_execz .LBB660_362
; %bb.361:
	v_lshlrev_b32_e32 v32, 2, v33
	global_load_b32 v32, v32, s[2:3]
	s_waitcnt vmcnt(0)
	v_lshrrev_b32_e32 v33, 16, v32
	s_delay_alu instid0(VALU_DEP_1) | instskip(NEXT) | instid1(VALU_DEP_1)
	v_or_b32_e32 v32, v32, v33
	v_and_b32_e32 v32, 0x7fff, v32
	s_delay_alu instid0(VALU_DEP_1)
	v_cmp_ne_u16_e32 vcc_lo, 0, v32
	v_cndmask_b32_e64 v32, 0, 1, vcc_lo
.LBB660_362:
	s_or_b32 exec_lo, exec_lo, s5
	v_add_nc_u32_e32 v1, v3, v1
	s_min_u32 s2, s4, 0x80
	s_mov_b32 s3, exec_lo
	s_delay_alu instid0(VALU_DEP_1) | instskip(SKIP_1) | instid1(VALU_DEP_2)
	v_add3_u32 v1, v1, v2, v5
	v_mbcnt_lo_u32_b32 v2, -1, 0
	v_add3_u32 v1, v1, v4, v7
	s_delay_alu instid0(VALU_DEP_2) | instskip(NEXT) | instid1(VALU_DEP_2)
	v_cmp_ne_u32_e32 vcc_lo, 31, v2
	v_add3_u32 v1, v1, v6, v9
	v_add_co_ci_u32_e32 v3, vcc_lo, 0, v2, vcc_lo
	v_cmp_gt_u32_e32 vcc_lo, 30, v2
	v_add_nc_u32_e32 v6, 1, v2
	s_delay_alu instid0(VALU_DEP_4) | instskip(NEXT) | instid1(VALU_DEP_4)
	v_add3_u32 v1, v1, v8, v11
	v_lshlrev_b32_e32 v3, 2, v3
	v_cndmask_b32_e64 v5, 0, 1, vcc_lo
	s_delay_alu instid0(VALU_DEP_3) | instskip(NEXT) | instid1(VALU_DEP_2)
	v_add3_u32 v1, v1, v10, v13
	v_lshlrev_b32_e32 v5, 1, v5
	s_delay_alu instid0(VALU_DEP_2) | instskip(NEXT) | instid1(VALU_DEP_2)
	v_add3_u32 v1, v1, v12, v15
	v_add_lshl_u32 v5, v5, v2, 2
	s_delay_alu instid0(VALU_DEP_2) | instskip(NEXT) | instid1(VALU_DEP_1)
	v_add3_u32 v1, v1, v14, v17
	v_add3_u32 v1, v1, v16, v19
	s_delay_alu instid0(VALU_DEP_1) | instskip(NEXT) | instid1(VALU_DEP_1)
	v_add3_u32 v1, v1, v18, v21
	v_add3_u32 v1, v1, v20, v23
	s_delay_alu instid0(VALU_DEP_1) | instskip(NEXT) | instid1(VALU_DEP_1)
	;; [unrolled: 3-line block ×3, first 2 shown]
	v_add3_u32 v1, v1, v26, v29
	v_add3_u32 v1, v1, v28, v31
	s_delay_alu instid0(VALU_DEP_1) | instskip(SKIP_2) | instid1(VALU_DEP_1)
	v_add3_u32 v1, v1, v30, v32
	ds_bpermute_b32 v3, v3, v1
	v_and_b32_e32 v4, 0x60, v0
	v_sub_nc_u32_e64 v4, s2, v4 clamp
	s_delay_alu instid0(VALU_DEP_1) | instskip(SKIP_3) | instid1(VALU_DEP_2)
	v_cmp_lt_u32_e32 vcc_lo, v6, v4
	s_waitcnt lgkmcnt(0)
	v_dual_cndmask_b32 v3, 0, v3 :: v_dual_add_nc_u32 v6, 2, v2
	v_cmp_gt_u32_e32 vcc_lo, 28, v2
	v_add_nc_u32_e32 v1, v3, v1
	ds_bpermute_b32 v3, v5, v1
	v_cndmask_b32_e64 v5, 0, 1, vcc_lo
	v_cmp_lt_u32_e32 vcc_lo, v6, v4
	v_add_nc_u32_e32 v6, 4, v2
	s_delay_alu instid0(VALU_DEP_3) | instskip(NEXT) | instid1(VALU_DEP_1)
	v_lshlrev_b32_e32 v5, 2, v5
	v_add_lshl_u32 v5, v5, v2, 2
	s_waitcnt lgkmcnt(0)
	v_cndmask_b32_e32 v3, 0, v3, vcc_lo
	v_cmp_gt_u32_e32 vcc_lo, 24, v2
	s_delay_alu instid0(VALU_DEP_2) | instskip(SKIP_4) | instid1(VALU_DEP_3)
	v_add_nc_u32_e32 v1, v1, v3
	ds_bpermute_b32 v3, v5, v1
	v_cndmask_b32_e64 v5, 0, 1, vcc_lo
	v_cmp_lt_u32_e32 vcc_lo, v6, v4
	v_add_nc_u32_e32 v6, 8, v2
	v_lshlrev_b32_e32 v5, 3, v5
	s_delay_alu instid0(VALU_DEP_1) | instskip(SKIP_3) | instid1(VALU_DEP_2)
	v_add_lshl_u32 v5, v5, v2, 2
	s_waitcnt lgkmcnt(0)
	v_cndmask_b32_e32 v3, 0, v3, vcc_lo
	v_cmp_gt_u32_e32 vcc_lo, 16, v2
	v_add_nc_u32_e32 v1, v1, v3
	ds_bpermute_b32 v3, v5, v1
	v_cndmask_b32_e64 v5, 0, 1, vcc_lo
	v_cmp_lt_u32_e32 vcc_lo, v6, v4
	s_delay_alu instid0(VALU_DEP_2) | instskip(NEXT) | instid1(VALU_DEP_1)
	v_lshlrev_b32_e32 v5, 4, v5
	v_add_lshl_u32 v5, v5, v2, 2
	s_waitcnt lgkmcnt(0)
	v_cndmask_b32_e32 v3, 0, v3, vcc_lo
	s_delay_alu instid0(VALU_DEP_1) | instskip(SKIP_2) | instid1(VALU_DEP_1)
	v_add_nc_u32_e32 v1, v1, v3
	ds_bpermute_b32 v3, v5, v1
	v_add_nc_u32_e32 v5, 16, v2
	v_cmp_lt_u32_e32 vcc_lo, v5, v4
	s_waitcnt lgkmcnt(0)
	v_cndmask_b32_e32 v3, 0, v3, vcc_lo
	s_delay_alu instid0(VALU_DEP_1)
	v_add_nc_u32_e32 v1, v1, v3
	v_cmpx_eq_u32_e32 0, v2
	s_cbranch_execz .LBB660_364
; %bb.363:
	v_lshrrev_b32_e32 v3, 3, v0
	s_delay_alu instid0(VALU_DEP_1)
	v_and_b32_e32 v3, 12, v3
	ds_store_b32 v3, v1 offset:128
.LBB660_364:
	s_or_b32 exec_lo, exec_lo, s3
	s_delay_alu instid0(SALU_CYCLE_1)
	s_mov_b32 s3, exec_lo
	s_waitcnt lgkmcnt(0)
	s_barrier
	buffer_gl0_inv
	v_cmpx_gt_u32_e32 4, v0
	s_cbranch_execz .LBB660_366
; %bb.365:
	v_and_b32_e32 v3, 3, v2
	s_add_i32 s2, s2, 31
	s_delay_alu instid0(SALU_CYCLE_1) | instskip(NEXT) | instid1(VALU_DEP_1)
	s_lshr_b32 s2, s2, 5
	v_cmp_ne_u32_e32 vcc_lo, 3, v3
	v_add_nc_u32_e32 v5, 1, v3
	v_add_co_ci_u32_e32 v4, vcc_lo, 0, v2, vcc_lo
	v_cmp_gt_u32_e32 vcc_lo, 2, v3
	v_add_nc_u32_e32 v3, 2, v3
	s_delay_alu instid0(VALU_DEP_3) | instskip(SKIP_3) | instid1(VALU_DEP_3)
	v_lshlrev_b32_e32 v4, 2, v4
	v_cndmask_b32_e64 v6, 0, 1, vcc_lo
	v_cmp_gt_u32_e32 vcc_lo, s2, v5
	v_lshlrev_b32_e32 v1, 2, v2
	v_lshlrev_b32_e32 v5, 1, v6
	ds_load_b32 v1, v1 offset:128
	v_add_lshl_u32 v2, v5, v2, 2
	s_waitcnt lgkmcnt(0)
	ds_bpermute_b32 v4, v4, v1
	s_waitcnt lgkmcnt(0)
	v_cndmask_b32_e32 v4, 0, v4, vcc_lo
	v_cmp_gt_u32_e32 vcc_lo, s2, v3
	s_delay_alu instid0(VALU_DEP_2) | instskip(SKIP_3) | instid1(VALU_DEP_1)
	v_add_nc_u32_e32 v1, v4, v1
	ds_bpermute_b32 v2, v2, v1
	s_waitcnt lgkmcnt(0)
	v_cndmask_b32_e32 v2, 0, v2, vcc_lo
	v_add_nc_u32_e32 v1, v1, v2
.LBB660_366:
	s_or_b32 exec_lo, exec_lo, s3
.LBB660_367:
	v_cmp_eq_u32_e64 s2, 0, v0
	s_branch .LBB660_512
.LBB660_368:
	s_cmp_eq_u32 s26, 16
	s_cbranch_scc0 .LBB660_375
; %bb.369:
	s_mov_b32 s19, 0
	s_lshl_b32 s2, s18, 11
	s_mov_b32 s3, s19
	s_lshr_b64 s[6:7], s[20:21], 11
	s_lshl_b64 s[4:5], s[2:3], 2
	s_delay_alu instid0(SALU_CYCLE_1)
	s_add_u32 s16, s24, s4
	s_addc_u32 s17, s25, s5
	s_cmp_lg_u64 s[6:7], s[18:19]
	s_cbranch_scc0 .LBB660_533
; %bb.370:
	v_lshlrev_b32_e32 v1, 2, v0
	s_clause 0x7
	global_load_b32 v3, v1, s[16:17]
	global_load_b32 v4, v1, s[16:17] offset:512
	global_load_b32 v5, v1, s[16:17] offset:1024
	;; [unrolled: 1-line block ×7, first 2 shown]
	v_add_co_u32 v1, s3, s16, v1
	s_delay_alu instid0(VALU_DEP_1) | instskip(SKIP_1) | instid1(VALU_DEP_2)
	v_add_co_ci_u32_e64 v2, null, s17, 0, s3
	s_mov_b32 s3, exec_lo
	v_add_co_u32 v1, vcc_lo, 0x1000, v1
	s_delay_alu instid0(VALU_DEP_2)
	v_add_co_ci_u32_e32 v2, vcc_lo, 0, v2, vcc_lo
	s_clause 0x7
	global_load_b32 v11, v[1:2], off
	global_load_b32 v12, v[1:2], off offset:512
	global_load_b32 v13, v[1:2], off offset:1024
	;; [unrolled: 1-line block ×7, first 2 shown]
	s_waitcnt vmcnt(15)
	v_lshrrev_b32_e32 v2, 16, v3
	s_waitcnt vmcnt(14)
	v_lshrrev_b32_e32 v18, 16, v4
	;; [unrolled: 2-line block ×5, first 2 shown]
	v_or_b32_e32 v2, v3, v2
	v_or_b32_e32 v3, v4, v18
	;; [unrolled: 1-line block ×3, first 2 shown]
	s_waitcnt vmcnt(10)
	v_lshrrev_b32_e32 v22, 16, v8
	s_waitcnt vmcnt(9)
	v_lshrrev_b32_e32 v23, 16, v9
	v_and_b32_e32 v2, 0x7fff, v2
	v_or_b32_e32 v5, v6, v20
	v_or_b32_e32 v6, v7, v21
	v_and_b32_e32 v4, 0x7fff, v4
	v_or_b32_e32 v7, v8, v22
	v_cmp_ne_u16_e32 vcc_lo, 0, v2
	v_or_b32_e32 v8, v9, v23
	v_and_b32_e32 v6, 0x7fff, v6
	v_and_b32_e32 v3, 0x7fff, v3
	s_waitcnt vmcnt(8)
	v_lshrrev_b32_e32 v24, 16, v10
	v_cndmask_b32_e64 v2, 0, 1, vcc_lo
	v_cmp_ne_u16_e32 vcc_lo, 0, v4
	v_and_b32_e32 v8, 0x7fff, v8
	v_and_b32_e32 v5, 0x7fff, v5
	v_or_b32_e32 v9, v10, v24
	s_waitcnt vmcnt(7)
	v_lshrrev_b32_e32 v10, 16, v11
	v_cndmask_b32_e64 v4, 0, 1, vcc_lo
	v_cmp_ne_u16_e32 vcc_lo, 0, v6
	v_and_b32_e32 v7, 0x7fff, v7
	s_waitcnt vmcnt(6)
	v_lshrrev_b32_e32 v18, 16, v12
	v_or_b32_e32 v10, v11, v10
	s_waitcnt vmcnt(5)
	v_lshrrev_b32_e32 v19, 16, v13
	v_cndmask_b32_e64 v6, 0, 1, vcc_lo
	v_cmp_ne_u16_e32 vcc_lo, 0, v8
	v_and_b32_e32 v9, 0x7fff, v9
	v_and_b32_e32 v10, 0x7fff, v10
	v_or_b32_e32 v11, v12, v18
	v_or_b32_e32 v12, v13, v19
	v_cndmask_b32_e64 v8, 0, 1, vcc_lo
	v_cmp_ne_u16_e32 vcc_lo, 0, v3
	s_waitcnt vmcnt(4)
	v_lshrrev_b32_e32 v20, 16, v14
	s_waitcnt vmcnt(3)
	v_lshrrev_b32_e32 v21, 16, v15
	v_and_b32_e32 v12, 0x7fff, v12
	v_and_b32_e32 v11, 0x7fff, v11
	v_add_co_ci_u32_e32 v2, vcc_lo, 0, v2, vcc_lo
	v_cmp_ne_u16_e32 vcc_lo, 0, v5
	v_or_b32_e32 v13, v14, v20
	v_or_b32_e32 v14, v15, v21
	s_waitcnt vmcnt(2)
	v_lshrrev_b32_e32 v22, 16, v16
	s_waitcnt vmcnt(1)
	v_lshrrev_b32_e32 v23, 16, v17
	v_add_co_ci_u32_e32 v2, vcc_lo, v2, v4, vcc_lo
	v_cmp_ne_u16_e32 vcc_lo, 0, v7
	v_and_b32_e32 v3, 0x7fff, v13
	v_and_b32_e32 v13, 0x7fff, v14
	v_or_b32_e32 v15, v16, v22
	v_or_b32_e32 v16, v17, v23
	v_add_co_ci_u32_e32 v2, vcc_lo, v2, v6, vcc_lo
	v_cmp_ne_u16_e32 vcc_lo, 0, v10
	s_waitcnt vmcnt(0)
	v_lshrrev_b32_e32 v24, 16, v1
	v_and_b32_e32 v5, 0x7fff, v16
	v_and_b32_e32 v4, 0x7fff, v15
	v_cndmask_b32_e64 v6, 0, 1, vcc_lo
	v_cmp_ne_u16_e32 vcc_lo, 0, v9
	v_or_b32_e32 v1, v1, v24
	v_add_co_ci_u32_e32 v2, vcc_lo, v2, v8, vcc_lo
	v_cmp_ne_u16_e32 vcc_lo, 0, v12
	s_delay_alu instid0(VALU_DEP_3)
	v_and_b32_e32 v1, 0x7fff, v1
	v_cndmask_b32_e64 v7, 0, 1, vcc_lo
	v_cmp_ne_u16_e32 vcc_lo, 0, v11
	v_add_co_ci_u32_e32 v2, vcc_lo, v2, v6, vcc_lo
	v_cmp_ne_u16_e32 vcc_lo, 0, v13
	v_cndmask_b32_e64 v6, 0, 1, vcc_lo
	v_cmp_ne_u16_e32 vcc_lo, 0, v3
	s_delay_alu instid0(VALU_DEP_4) | instskip(SKIP_3) | instid1(VALU_DEP_4)
	v_add_co_ci_u32_e32 v2, vcc_lo, v2, v7, vcc_lo
	v_cmp_ne_u16_e32 vcc_lo, 0, v5
	v_cndmask_b32_e64 v3, 0, 1, vcc_lo
	v_cmp_ne_u16_e32 vcc_lo, 0, v4
	v_add_co_ci_u32_e32 v2, vcc_lo, v2, v6, vcc_lo
	v_cmp_ne_u16_e32 vcc_lo, 0, v1
	s_delay_alu instid0(VALU_DEP_2) | instskip(SKIP_1) | instid1(VALU_DEP_2)
	v_add_co_ci_u32_e32 v1, vcc_lo, v2, v3, vcc_lo
	v_mov_b32_e32 v3, 0
	v_mov_b32_dpp v2, v1 quad_perm:[1,0,3,2] row_mask:0xf bank_mask:0xf
	s_delay_alu instid0(VALU_DEP_1) | instskip(NEXT) | instid1(VALU_DEP_1)
	v_add_nc_u32_e32 v1, v1, v2
	v_mov_b32_dpp v2, v1 quad_perm:[2,3,0,1] row_mask:0xf bank_mask:0xf
	s_delay_alu instid0(VALU_DEP_1) | instskip(NEXT) | instid1(VALU_DEP_1)
	v_add_nc_u32_e32 v1, v1, v2
	v_mov_b32_dpp v2, v1 row_ror:4 row_mask:0xf bank_mask:0xf
	s_delay_alu instid0(VALU_DEP_1) | instskip(NEXT) | instid1(VALU_DEP_1)
	v_add_nc_u32_e32 v1, v1, v2
	v_mov_b32_dpp v2, v1 row_ror:8 row_mask:0xf bank_mask:0xf
	s_delay_alu instid0(VALU_DEP_1)
	v_add_nc_u32_e32 v1, v1, v2
	ds_swizzle_b32 v2, v1 offset:swizzle(BROADCAST,32,15)
	s_waitcnt lgkmcnt(0)
	v_add_nc_u32_e32 v1, v1, v2
	v_mbcnt_lo_u32_b32 v2, -1, 0
	ds_bpermute_b32 v1, v3, v1 offset:124
	v_cmpx_eq_u32_e32 0, v2
	s_cbranch_execz .LBB660_372
; %bb.371:
	v_lshrrev_b32_e32 v3, 3, v0
	s_delay_alu instid0(VALU_DEP_1)
	v_and_b32_e32 v3, 12, v3
	s_waitcnt lgkmcnt(0)
	ds_store_b32 v3, v1 offset:16
.LBB660_372:
	s_or_b32 exec_lo, exec_lo, s3
	s_delay_alu instid0(SALU_CYCLE_1)
	s_mov_b32 s3, exec_lo
	s_waitcnt lgkmcnt(0)
	s_barrier
	buffer_gl0_inv
	v_cmpx_gt_u32_e32 32, v0
	s_cbranch_execz .LBB660_374
; %bb.373:
	v_and_b32_e32 v1, 3, v2
	s_delay_alu instid0(VALU_DEP_1) | instskip(SKIP_4) | instid1(VALU_DEP_2)
	v_lshlrev_b32_e32 v3, 2, v1
	v_cmp_ne_u32_e32 vcc_lo, 3, v1
	ds_load_b32 v3, v3 offset:16
	v_add_co_ci_u32_e32 v4, vcc_lo, 0, v2, vcc_lo
	v_cmp_gt_u32_e32 vcc_lo, 2, v1
	v_lshlrev_b32_e32 v4, 2, v4
	v_cndmask_b32_e64 v1, 0, 1, vcc_lo
	s_delay_alu instid0(VALU_DEP_1) | instskip(NEXT) | instid1(VALU_DEP_1)
	v_lshlrev_b32_e32 v1, 1, v1
	v_add_lshl_u32 v1, v1, v2, 2
	s_waitcnt lgkmcnt(0)
	ds_bpermute_b32 v4, v4, v3
	s_waitcnt lgkmcnt(0)
	v_add_nc_u32_e32 v3, v4, v3
	ds_bpermute_b32 v1, v1, v3
	s_waitcnt lgkmcnt(0)
	v_add_nc_u32_e32 v1, v1, v3
.LBB660_374:
	s_or_b32 exec_lo, exec_lo, s3
	s_mov_b32 s3, 0
	s_branch .LBB660_534
.LBB660_375:
                                        ; implicit-def: $vgpr1
	s_branch .LBB660_623
.LBB660_376:
	s_mov_b32 s5, -1
                                        ; implicit-def: $vgpr1
.LBB660_377:
	s_delay_alu instid0(SALU_CYCLE_1)
	s_and_b32 vcc_lo, exec_lo, s5
	s_cbranch_vccz .LBB660_511
; %bb.378:
	s_sub_i32 s4, s20, s4
	s_mov_b32 s5, exec_lo
                                        ; implicit-def: $vgpr1
	v_cmpx_gt_u32_e64 s4, v0
	s_cbranch_execz .LBB660_380
; %bb.379:
	v_lshlrev_b32_e32 v1, 2, v0
	global_load_b32 v1, v1, s[2:3]
	s_waitcnt vmcnt(0)
	v_lshrrev_b32_e32 v2, 16, v1
	s_delay_alu instid0(VALU_DEP_1) | instskip(NEXT) | instid1(VALU_DEP_1)
	v_or_b32_e32 v1, v1, v2
	v_and_b32_e32 v1, 0x7fff, v1
	s_delay_alu instid0(VALU_DEP_1)
	v_cmp_ne_u16_e32 vcc_lo, 0, v1
	v_cndmask_b32_e64 v1, 0, 1, vcc_lo
.LBB660_380:
	s_or_b32 exec_lo, exec_lo, s5
	v_or_b32_e32 v3, 0x80, v0
	v_mov_b32_e32 v2, 0
	s_delay_alu instid0(VALU_DEP_2)
	v_cmp_gt_u32_e32 vcc_lo, s4, v3
	v_mov_b32_e32 v3, 0
	s_and_saveexec_b32 s5, vcc_lo
	s_cbranch_execz .LBB660_382
; %bb.381:
	v_lshlrev_b32_e32 v3, 2, v0
	global_load_b32 v3, v3, s[2:3] offset:512
	s_waitcnt vmcnt(0)
	v_lshrrev_b32_e32 v4, 16, v3
	s_delay_alu instid0(VALU_DEP_1) | instskip(NEXT) | instid1(VALU_DEP_1)
	v_or_b32_e32 v3, v3, v4
	v_and_b32_e32 v3, 0x7fff, v3
	s_delay_alu instid0(VALU_DEP_1)
	v_cmp_ne_u16_e32 vcc_lo, 0, v3
	v_cndmask_b32_e64 v3, 0, 1, vcc_lo
.LBB660_382:
	s_or_b32 exec_lo, exec_lo, s5
	v_or_b32_e32 v4, 0x100, v0
	s_mov_b32 s5, exec_lo
	s_delay_alu instid0(VALU_DEP_1)
	v_cmpx_gt_u32_e64 s4, v4
	s_cbranch_execz .LBB660_384
; %bb.383:
	v_lshlrev_b32_e32 v2, 2, v0
	global_load_b32 v2, v2, s[2:3] offset:1024
	s_waitcnt vmcnt(0)
	v_lshrrev_b32_e32 v4, 16, v2
	s_delay_alu instid0(VALU_DEP_1) | instskip(NEXT) | instid1(VALU_DEP_1)
	v_or_b32_e32 v2, v2, v4
	v_and_b32_e32 v2, 0x7fff, v2
	s_delay_alu instid0(VALU_DEP_1)
	v_cmp_ne_u16_e32 vcc_lo, 0, v2
	v_cndmask_b32_e64 v2, 0, 1, vcc_lo
.LBB660_384:
	s_or_b32 exec_lo, exec_lo, s5
	v_or_b32_e32 v5, 0x180, v0
	v_mov_b32_e32 v4, 0
	s_delay_alu instid0(VALU_DEP_2)
	v_cmp_gt_u32_e32 vcc_lo, s4, v5
	v_mov_b32_e32 v5, 0
	s_and_saveexec_b32 s5, vcc_lo
	s_cbranch_execz .LBB660_386
; %bb.385:
	v_lshlrev_b32_e32 v5, 2, v0
	global_load_b32 v5, v5, s[2:3] offset:1536
	s_waitcnt vmcnt(0)
	v_lshrrev_b32_e32 v6, 16, v5
	s_delay_alu instid0(VALU_DEP_1) | instskip(NEXT) | instid1(VALU_DEP_1)
	v_or_b32_e32 v5, v5, v6
	v_and_b32_e32 v5, 0x7fff, v5
	s_delay_alu instid0(VALU_DEP_1)
	v_cmp_ne_u16_e32 vcc_lo, 0, v5
	v_cndmask_b32_e64 v5, 0, 1, vcc_lo
.LBB660_386:
	s_or_b32 exec_lo, exec_lo, s5
	v_or_b32_e32 v6, 0x200, v0
	s_mov_b32 s5, exec_lo
	s_delay_alu instid0(VALU_DEP_1)
	v_cmpx_gt_u32_e64 s4, v6
	s_cbranch_execz .LBB660_388
; %bb.387:
	v_lshlrev_b32_e32 v4, 2, v0
	global_load_b32 v4, v4, s[2:3] offset:2048
	s_waitcnt vmcnt(0)
	v_lshrrev_b32_e32 v6, 16, v4
	s_delay_alu instid0(VALU_DEP_1) | instskip(NEXT) | instid1(VALU_DEP_1)
	v_or_b32_e32 v4, v4, v6
	v_and_b32_e32 v4, 0x7fff, v4
	s_delay_alu instid0(VALU_DEP_1)
	v_cmp_ne_u16_e32 vcc_lo, 0, v4
	v_cndmask_b32_e64 v4, 0, 1, vcc_lo
.LBB660_388:
	;; [unrolled: 38-line block ×3, first 2 shown]
	s_or_b32 exec_lo, exec_lo, s5
	v_or_b32_e32 v9, 0x380, v0
	v_mov_b32_e32 v8, 0
	s_delay_alu instid0(VALU_DEP_2)
	v_cmp_gt_u32_e32 vcc_lo, s4, v9
	v_mov_b32_e32 v9, 0
	s_and_saveexec_b32 s5, vcc_lo
	s_cbranch_execz .LBB660_394
; %bb.393:
	v_lshlrev_b32_e32 v9, 2, v0
	global_load_b32 v9, v9, s[2:3] offset:3584
	s_waitcnt vmcnt(0)
	v_lshrrev_b32_e32 v10, 16, v9
	s_delay_alu instid0(VALU_DEP_1) | instskip(NEXT) | instid1(VALU_DEP_1)
	v_or_b32_e32 v9, v9, v10
	v_and_b32_e32 v9, 0x7fff, v9
	s_delay_alu instid0(VALU_DEP_1)
	v_cmp_ne_u16_e32 vcc_lo, 0, v9
	v_cndmask_b32_e64 v9, 0, 1, vcc_lo
.LBB660_394:
	s_or_b32 exec_lo, exec_lo, s5
	v_or_b32_e32 v10, 0x400, v0
	s_mov_b32 s5, exec_lo
	s_delay_alu instid0(VALU_DEP_1)
	v_cmpx_gt_u32_e64 s4, v10
	s_cbranch_execz .LBB660_396
; %bb.395:
	v_lshlrev_b32_e32 v8, 2, v10
	global_load_b32 v8, v8, s[2:3]
	s_waitcnt vmcnt(0)
	v_lshrrev_b32_e32 v10, 16, v8
	s_delay_alu instid0(VALU_DEP_1) | instskip(NEXT) | instid1(VALU_DEP_1)
	v_or_b32_e32 v8, v8, v10
	v_and_b32_e32 v8, 0x7fff, v8
	s_delay_alu instid0(VALU_DEP_1)
	v_cmp_ne_u16_e32 vcc_lo, 0, v8
	v_cndmask_b32_e64 v8, 0, 1, vcc_lo
.LBB660_396:
	s_or_b32 exec_lo, exec_lo, s5
	v_or_b32_e32 v12, 0x480, v0
	v_dual_mov_b32 v10, 0 :: v_dual_mov_b32 v11, 0
	s_mov_b32 s5, exec_lo
	s_delay_alu instid0(VALU_DEP_2)
	v_cmpx_gt_u32_e64 s4, v12
	s_cbranch_execz .LBB660_398
; %bb.397:
	v_lshlrev_b32_e32 v11, 2, v12
	global_load_b32 v11, v11, s[2:3]
	s_waitcnt vmcnt(0)
	v_lshrrev_b32_e32 v12, 16, v11
	s_delay_alu instid0(VALU_DEP_1) | instskip(NEXT) | instid1(VALU_DEP_1)
	v_or_b32_e32 v11, v11, v12
	v_and_b32_e32 v11, 0x7fff, v11
	s_delay_alu instid0(VALU_DEP_1)
	v_cmp_ne_u16_e32 vcc_lo, 0, v11
	v_cndmask_b32_e64 v11, 0, 1, vcc_lo
.LBB660_398:
	s_or_b32 exec_lo, exec_lo, s5
	v_or_b32_e32 v12, 0x500, v0
	s_mov_b32 s5, exec_lo
	s_delay_alu instid0(VALU_DEP_1)
	v_cmpx_gt_u32_e64 s4, v12
	s_cbranch_execz .LBB660_400
; %bb.399:
	v_lshlrev_b32_e32 v10, 2, v12
	global_load_b32 v10, v10, s[2:3]
	s_waitcnt vmcnt(0)
	v_lshrrev_b32_e32 v12, 16, v10
	s_delay_alu instid0(VALU_DEP_1) | instskip(NEXT) | instid1(VALU_DEP_1)
	v_or_b32_e32 v10, v10, v12
	v_and_b32_e32 v10, 0x7fff, v10
	s_delay_alu instid0(VALU_DEP_1)
	v_cmp_ne_u16_e32 vcc_lo, 0, v10
	v_cndmask_b32_e64 v10, 0, 1, vcc_lo
.LBB660_400:
	s_or_b32 exec_lo, exec_lo, s5
	v_or_b32_e32 v14, 0x580, v0
	v_dual_mov_b32 v12, 0 :: v_dual_mov_b32 v13, 0
	s_mov_b32 s5, exec_lo
	s_delay_alu instid0(VALU_DEP_2)
	v_cmpx_gt_u32_e64 s4, v14
	s_cbranch_execz .LBB660_402
; %bb.401:
	v_lshlrev_b32_e32 v13, 2, v14
	global_load_b32 v13, v13, s[2:3]
	s_waitcnt vmcnt(0)
	v_lshrrev_b32_e32 v14, 16, v13
	s_delay_alu instid0(VALU_DEP_1) | instskip(NEXT) | instid1(VALU_DEP_1)
	v_or_b32_e32 v13, v13, v14
	v_and_b32_e32 v13, 0x7fff, v13
	s_delay_alu instid0(VALU_DEP_1)
	v_cmp_ne_u16_e32 vcc_lo, 0, v13
	v_cndmask_b32_e64 v13, 0, 1, vcc_lo
.LBB660_402:
	;; [unrolled: 37-line block ×27, first 2 shown]
	s_or_b32 exec_lo, exec_lo, s5
	v_or_b32_e32 v64, 0x1f00, v0
	s_mov_b32 s5, exec_lo
	s_delay_alu instid0(VALU_DEP_1)
	v_cmpx_gt_u32_e64 s4, v64
	s_cbranch_execz .LBB660_504
; %bb.503:
	v_lshlrev_b32_e32 v62, 2, v64
	global_load_b32 v62, v62, s[2:3]
	s_waitcnt vmcnt(0)
	v_lshrrev_b32_e32 v64, 16, v62
	s_delay_alu instid0(VALU_DEP_1) | instskip(NEXT) | instid1(VALU_DEP_1)
	v_or_b32_e32 v62, v62, v64
	v_and_b32_e32 v62, 0x7fff, v62
	s_delay_alu instid0(VALU_DEP_1)
	v_cmp_ne_u16_e32 vcc_lo, 0, v62
	v_cndmask_b32_e64 v62, 0, 1, vcc_lo
.LBB660_504:
	s_or_b32 exec_lo, exec_lo, s5
	v_or_b32_e32 v65, 0x1f80, v0
	v_mov_b32_e32 v64, 0
	s_mov_b32 s5, exec_lo
	s_delay_alu instid0(VALU_DEP_2)
	v_cmpx_gt_u32_e64 s4, v65
	s_cbranch_execz .LBB660_506
; %bb.505:
	v_lshlrev_b32_e32 v64, 2, v65
	global_load_b32 v64, v64, s[2:3]
	s_waitcnt vmcnt(0)
	v_lshrrev_b32_e32 v65, 16, v64
	s_delay_alu instid0(VALU_DEP_1) | instskip(NEXT) | instid1(VALU_DEP_1)
	v_or_b32_e32 v64, v64, v65
	v_and_b32_e32 v64, 0x7fff, v64
	s_delay_alu instid0(VALU_DEP_1)
	v_cmp_ne_u16_e32 vcc_lo, 0, v64
	v_cndmask_b32_e64 v64, 0, 1, vcc_lo
.LBB660_506:
	s_or_b32 exec_lo, exec_lo, s5
	v_add_nc_u32_e32 v1, v3, v1
	s_min_u32 s2, s4, 0x80
	s_mov_b32 s3, exec_lo
	s_delay_alu instid0(VALU_DEP_1) | instskip(SKIP_1) | instid1(VALU_DEP_2)
	v_add3_u32 v1, v1, v2, v5
	v_mbcnt_lo_u32_b32 v2, -1, 0
	v_add3_u32 v1, v1, v4, v7
	s_delay_alu instid0(VALU_DEP_2) | instskip(NEXT) | instid1(VALU_DEP_2)
	v_cmp_ne_u32_e32 vcc_lo, 31, v2
	v_add3_u32 v1, v1, v6, v9
	v_add_co_ci_u32_e32 v3, vcc_lo, 0, v2, vcc_lo
	v_cmp_gt_u32_e32 vcc_lo, 30, v2
	v_add_nc_u32_e32 v6, 1, v2
	s_delay_alu instid0(VALU_DEP_4) | instskip(NEXT) | instid1(VALU_DEP_4)
	v_add3_u32 v1, v1, v8, v11
	v_lshlrev_b32_e32 v3, 2, v3
	v_cndmask_b32_e64 v5, 0, 1, vcc_lo
	s_delay_alu instid0(VALU_DEP_3) | instskip(NEXT) | instid1(VALU_DEP_2)
	v_add3_u32 v1, v1, v10, v13
	v_lshlrev_b32_e32 v5, 1, v5
	s_delay_alu instid0(VALU_DEP_2) | instskip(NEXT) | instid1(VALU_DEP_2)
	v_add3_u32 v1, v1, v12, v15
	v_add_lshl_u32 v5, v5, v2, 2
	s_delay_alu instid0(VALU_DEP_2) | instskip(NEXT) | instid1(VALU_DEP_1)
	v_add3_u32 v1, v1, v14, v17
	v_add3_u32 v1, v1, v16, v19
	s_delay_alu instid0(VALU_DEP_1) | instskip(NEXT) | instid1(VALU_DEP_1)
	v_add3_u32 v1, v1, v18, v21
	v_add3_u32 v1, v1, v20, v23
	s_delay_alu instid0(VALU_DEP_1) | instskip(NEXT) | instid1(VALU_DEP_1)
	;; [unrolled: 3-line block ×11, first 2 shown]
	v_add3_u32 v1, v1, v58, v61
	v_add3_u32 v1, v1, v60, v63
	s_delay_alu instid0(VALU_DEP_1) | instskip(SKIP_2) | instid1(VALU_DEP_1)
	v_add3_u32 v1, v1, v62, v64
	ds_bpermute_b32 v3, v3, v1
	v_and_b32_e32 v4, 0x60, v0
	v_sub_nc_u32_e64 v4, s2, v4 clamp
	s_delay_alu instid0(VALU_DEP_1) | instskip(SKIP_3) | instid1(VALU_DEP_2)
	v_cmp_lt_u32_e32 vcc_lo, v6, v4
	s_waitcnt lgkmcnt(0)
	v_dual_cndmask_b32 v3, 0, v3 :: v_dual_add_nc_u32 v6, 2, v2
	v_cmp_gt_u32_e32 vcc_lo, 28, v2
	v_add_nc_u32_e32 v1, v3, v1
	ds_bpermute_b32 v3, v5, v1
	v_cndmask_b32_e64 v5, 0, 1, vcc_lo
	v_cmp_lt_u32_e32 vcc_lo, v6, v4
	v_add_nc_u32_e32 v6, 4, v2
	s_delay_alu instid0(VALU_DEP_3) | instskip(NEXT) | instid1(VALU_DEP_1)
	v_lshlrev_b32_e32 v5, 2, v5
	v_add_lshl_u32 v5, v5, v2, 2
	s_waitcnt lgkmcnt(0)
	v_cndmask_b32_e32 v3, 0, v3, vcc_lo
	v_cmp_gt_u32_e32 vcc_lo, 24, v2
	s_delay_alu instid0(VALU_DEP_2) | instskip(SKIP_4) | instid1(VALU_DEP_3)
	v_add_nc_u32_e32 v1, v1, v3
	ds_bpermute_b32 v3, v5, v1
	v_cndmask_b32_e64 v5, 0, 1, vcc_lo
	v_cmp_lt_u32_e32 vcc_lo, v6, v4
	v_add_nc_u32_e32 v6, 8, v2
	v_lshlrev_b32_e32 v5, 3, v5
	s_delay_alu instid0(VALU_DEP_1) | instskip(SKIP_3) | instid1(VALU_DEP_2)
	v_add_lshl_u32 v5, v5, v2, 2
	s_waitcnt lgkmcnt(0)
	v_cndmask_b32_e32 v3, 0, v3, vcc_lo
	v_cmp_gt_u32_e32 vcc_lo, 16, v2
	v_add_nc_u32_e32 v1, v1, v3
	ds_bpermute_b32 v3, v5, v1
	v_cndmask_b32_e64 v5, 0, 1, vcc_lo
	v_cmp_lt_u32_e32 vcc_lo, v6, v4
	s_delay_alu instid0(VALU_DEP_2) | instskip(NEXT) | instid1(VALU_DEP_1)
	v_lshlrev_b32_e32 v5, 4, v5
	v_add_lshl_u32 v5, v5, v2, 2
	s_waitcnt lgkmcnt(0)
	v_cndmask_b32_e32 v3, 0, v3, vcc_lo
	s_delay_alu instid0(VALU_DEP_1) | instskip(SKIP_2) | instid1(VALU_DEP_1)
	v_add_nc_u32_e32 v1, v1, v3
	ds_bpermute_b32 v3, v5, v1
	v_add_nc_u32_e32 v5, 16, v2
	v_cmp_lt_u32_e32 vcc_lo, v5, v4
	s_waitcnt lgkmcnt(0)
	v_cndmask_b32_e32 v3, 0, v3, vcc_lo
	s_delay_alu instid0(VALU_DEP_1)
	v_add_nc_u32_e32 v1, v1, v3
	v_cmpx_eq_u32_e32 0, v2
	s_cbranch_execz .LBB660_508
; %bb.507:
	v_lshrrev_b32_e32 v3, 3, v0
	s_delay_alu instid0(VALU_DEP_1)
	v_and_b32_e32 v3, 12, v3
	ds_store_b32 v3, v1 offset:128
.LBB660_508:
	s_or_b32 exec_lo, exec_lo, s3
	s_delay_alu instid0(SALU_CYCLE_1)
	s_mov_b32 s3, exec_lo
	s_waitcnt lgkmcnt(0)
	s_barrier
	buffer_gl0_inv
	v_cmpx_gt_u32_e32 4, v0
	s_cbranch_execz .LBB660_510
; %bb.509:
	v_and_b32_e32 v3, 3, v2
	s_add_i32 s2, s2, 31
	s_delay_alu instid0(SALU_CYCLE_1) | instskip(NEXT) | instid1(VALU_DEP_1)
	s_lshr_b32 s2, s2, 5
	v_cmp_ne_u32_e32 vcc_lo, 3, v3
	v_add_nc_u32_e32 v5, 1, v3
	v_add_co_ci_u32_e32 v4, vcc_lo, 0, v2, vcc_lo
	v_cmp_gt_u32_e32 vcc_lo, 2, v3
	v_add_nc_u32_e32 v3, 2, v3
	s_delay_alu instid0(VALU_DEP_3) | instskip(SKIP_3) | instid1(VALU_DEP_3)
	v_lshlrev_b32_e32 v4, 2, v4
	v_cndmask_b32_e64 v6, 0, 1, vcc_lo
	v_cmp_gt_u32_e32 vcc_lo, s2, v5
	v_lshlrev_b32_e32 v1, 2, v2
	v_lshlrev_b32_e32 v5, 1, v6
	ds_load_b32 v1, v1 offset:128
	v_add_lshl_u32 v2, v5, v2, 2
	s_waitcnt lgkmcnt(0)
	ds_bpermute_b32 v4, v4, v1
	s_waitcnt lgkmcnt(0)
	v_cndmask_b32_e32 v4, 0, v4, vcc_lo
	v_cmp_gt_u32_e32 vcc_lo, s2, v3
	s_delay_alu instid0(VALU_DEP_2) | instskip(SKIP_3) | instid1(VALU_DEP_1)
	v_add_nc_u32_e32 v1, v4, v1
	ds_bpermute_b32 v2, v2, v1
	s_waitcnt lgkmcnt(0)
	v_cndmask_b32_e32 v2, 0, v2, vcc_lo
	v_add_nc_u32_e32 v1, v1, v2
.LBB660_510:
	s_or_b32 exec_lo, exec_lo, s3
.LBB660_511:
	v_cmp_eq_u32_e64 s2, 0, v0
.LBB660_512:
	s_branch .LBB660_623
.LBB660_513:
	s_cmp_gt_i32 s26, 3
	s_cbranch_scc0 .LBB660_522
; %bb.514:
	s_cmp_gt_i32 s26, 7
	s_cbranch_scc0 .LBB660_523
; %bb.515:
	s_cmp_eq_u32 s26, 8
	s_cbranch_scc0 .LBB660_531
; %bb.516:
	s_mov_b32 s19, 0
	s_lshl_b32 s2, s18, 10
	s_mov_b32 s3, s19
	s_lshr_b64 s[6:7], s[20:21], 10
	s_lshl_b64 s[4:5], s[2:3], 2
	s_delay_alu instid0(SALU_CYCLE_1)
	s_add_u32 s8, s24, s4
	s_addc_u32 s9, s25, s5
	s_cmp_lg_u64 s[6:7], s[18:19]
	s_cbranch_scc0 .LBB660_573
; %bb.517:
	v_lshlrev_b32_e32 v1, 2, v0
	s_mov_b32 s3, exec_lo
	s_clause 0x7
	global_load_b32 v2, v1, s[8:9]
	global_load_b32 v3, v1, s[8:9] offset:512
	global_load_b32 v4, v1, s[8:9] offset:1024
	;; [unrolled: 1-line block ×7, first 2 shown]
	s_waitcnt vmcnt(7)
	v_lshrrev_b32_e32 v9, 16, v2
	s_waitcnt vmcnt(6)
	v_lshrrev_b32_e32 v10, 16, v3
	;; [unrolled: 2-line block ×5, first 2 shown]
	v_or_b32_e32 v2, v2, v9
	v_or_b32_e32 v3, v3, v10
	;; [unrolled: 1-line block ×5, first 2 shown]
	v_and_b32_e32 v2, 0x7fff, v2
	v_and_b32_e32 v3, 0x7fff, v3
	v_and_b32_e32 v4, 0x7fff, v4
	s_waitcnt vmcnt(1)
	v_lshrrev_b32_e32 v15, 16, v8
	v_and_b32_e32 v6, 0x7fff, v6
	v_cmp_ne_u16_e32 vcc_lo, 0, v2
	v_and_b32_e32 v5, 0x7fff, v5
	v_lshrrev_b32_e32 v14, 16, v7
	v_or_b32_e32 v8, v8, v15
	s_waitcnt vmcnt(0)
	v_lshrrev_b32_e32 v16, 16, v1
	v_cndmask_b32_e64 v2, 0, 1, vcc_lo
	v_cmp_ne_u16_e32 vcc_lo, 0, v4
	v_or_b32_e32 v7, v7, v14
	v_and_b32_e32 v8, 0x7fff, v8
	v_or_b32_e32 v1, v1, v16
	v_cndmask_b32_e64 v4, 0, 1, vcc_lo
	v_cmp_ne_u16_e32 vcc_lo, 0, v3
	v_and_b32_e32 v7, 0x7fff, v7
	s_delay_alu instid0(VALU_DEP_4) | instskip(SKIP_4) | instid1(VALU_DEP_4)
	v_and_b32_e32 v1, 0x7fff, v1
	v_add_co_ci_u32_e32 v2, vcc_lo, 0, v2, vcc_lo
	v_cmp_ne_u16_e32 vcc_lo, 0, v6
	v_cndmask_b32_e64 v3, 0, 1, vcc_lo
	v_cmp_ne_u16_e32 vcc_lo, 0, v5
	v_add_co_ci_u32_e32 v2, vcc_lo, v2, v4, vcc_lo
	v_cmp_ne_u16_e32 vcc_lo, 0, v8
	v_cndmask_b32_e64 v4, 0, 1, vcc_lo
	v_cmp_ne_u16_e32 vcc_lo, 0, v7
	s_delay_alu instid0(VALU_DEP_4) | instskip(SKIP_1) | instid1(VALU_DEP_2)
	v_add_co_ci_u32_e32 v2, vcc_lo, v2, v3, vcc_lo
	v_cmp_ne_u16_e32 vcc_lo, 0, v1
	v_add_co_ci_u32_e32 v1, vcc_lo, v2, v4, vcc_lo
	s_delay_alu instid0(VALU_DEP_1) | instskip(NEXT) | instid1(VALU_DEP_1)
	v_mov_b32_dpp v2, v1 quad_perm:[1,0,3,2] row_mask:0xf bank_mask:0xf
	v_add_nc_u32_e32 v1, v1, v2
	s_delay_alu instid0(VALU_DEP_1) | instskip(NEXT) | instid1(VALU_DEP_1)
	v_mov_b32_dpp v2, v1 quad_perm:[2,3,0,1] row_mask:0xf bank_mask:0xf
	v_add_nc_u32_e32 v1, v1, v2
	s_delay_alu instid0(VALU_DEP_1) | instskip(NEXT) | instid1(VALU_DEP_1)
	v_mov_b32_dpp v2, v1 row_ror:4 row_mask:0xf bank_mask:0xf
	v_add_nc_u32_e32 v1, v1, v2
	s_delay_alu instid0(VALU_DEP_1) | instskip(NEXT) | instid1(VALU_DEP_1)
	v_mov_b32_dpp v2, v1 row_ror:8 row_mask:0xf bank_mask:0xf
	v_add_nc_u32_e32 v1, v1, v2
	ds_swizzle_b32 v2, v1 offset:swizzle(BROADCAST,32,15)
	s_waitcnt lgkmcnt(0)
	v_dual_mov_b32 v2, 0 :: v_dual_add_nc_u32 v1, v1, v2
	ds_bpermute_b32 v1, v2, v1 offset:124
	v_mbcnt_lo_u32_b32 v2, -1, 0
	s_delay_alu instid0(VALU_DEP_1)
	v_cmpx_eq_u32_e32 0, v2
	s_cbranch_execz .LBB660_519
; %bb.518:
	v_lshrrev_b32_e32 v3, 3, v0
	s_delay_alu instid0(VALU_DEP_1)
	v_and_b32_e32 v3, 12, v3
	s_waitcnt lgkmcnt(0)
	ds_store_b32 v3, v1 offset:112
.LBB660_519:
	s_or_b32 exec_lo, exec_lo, s3
	s_delay_alu instid0(SALU_CYCLE_1)
	s_mov_b32 s3, exec_lo
	s_waitcnt lgkmcnt(0)
	s_barrier
	buffer_gl0_inv
	v_cmpx_gt_u32_e32 32, v0
	s_cbranch_execz .LBB660_521
; %bb.520:
	v_lshl_or_b32 v1, v2, 2, 0x70
	v_and_b32_e32 v3, 3, v2
	ds_load_b32 v1, v1
	v_cmp_ne_u32_e32 vcc_lo, 3, v3
	v_add_co_ci_u32_e32 v4, vcc_lo, 0, v2, vcc_lo
	v_cmp_gt_u32_e32 vcc_lo, 2, v3
	s_delay_alu instid0(VALU_DEP_2) | instskip(SKIP_1) | instid1(VALU_DEP_1)
	v_lshlrev_b32_e32 v4, 2, v4
	v_cndmask_b32_e64 v3, 0, 1, vcc_lo
	v_lshlrev_b32_e32 v3, 1, v3
	s_waitcnt lgkmcnt(0)
	ds_bpermute_b32 v4, v4, v1
	v_add_lshl_u32 v2, v3, v2, 2
	s_waitcnt lgkmcnt(0)
	v_add_nc_u32_e32 v1, v4, v1
	ds_bpermute_b32 v2, v2, v1
	s_waitcnt lgkmcnt(0)
	v_add_nc_u32_e32 v1, v2, v1
.LBB660_521:
	s_or_b32 exec_lo, exec_lo, s3
	s_mov_b32 s3, 0
	s_branch .LBB660_574
.LBB660_522:
                                        ; implicit-def: $vgpr1
	s_cbranch_execnz .LBB660_614
	s_branch .LBB660_623
.LBB660_523:
                                        ; implicit-def: $vgpr1
	s_cbranch_execz .LBB660_597
; %bb.524:
	s_cmp_eq_u32 s26, 4
	s_cbranch_scc0 .LBB660_532
; %bb.525:
	s_mov_b32 s19, 0
	s_lshl_b32 s2, s18, 9
	s_mov_b32 s3, s19
	s_lshr_b64 s[6:7], s[20:21], 9
	s_lshl_b64 s[4:5], s[2:3], 2
	s_delay_alu instid0(SALU_CYCLE_1)
	s_add_u32 s4, s24, s4
	s_addc_u32 s5, s25, s5
	s_cmp_lg_u64 s[6:7], s[18:19]
	s_cbranch_scc0 .LBB660_598
; %bb.526:
	v_lshlrev_b32_e32 v1, 2, v0
	s_mov_b32 s3, exec_lo
	s_clause 0x3
	global_load_b32 v2, v1, s[4:5]
	global_load_b32 v3, v1, s[4:5] offset:1024
	global_load_b32 v4, v1, s[4:5] offset:512
	;; [unrolled: 1-line block ×3, first 2 shown]
	s_waitcnt vmcnt(3)
	v_lshrrev_b32_e32 v5, 16, v2
	s_waitcnt vmcnt(2)
	v_lshrrev_b32_e32 v6, 16, v3
	;; [unrolled: 2-line block ×4, first 2 shown]
	v_or_b32_e32 v2, v2, v5
	v_or_b32_e32 v3, v3, v6
	v_or_b32_e32 v4, v4, v7
	s_delay_alu instid0(VALU_DEP_4) | instskip(NEXT) | instid1(VALU_DEP_4)
	v_or_b32_e32 v1, v1, v8
	v_and_b32_e32 v2, 0x7fff, v2
	s_delay_alu instid0(VALU_DEP_4) | instskip(NEXT) | instid1(VALU_DEP_4)
	v_and_b32_e32 v3, 0x7fff, v3
	v_and_b32_e32 v4, 0x7fff, v4
	s_delay_alu instid0(VALU_DEP_4) | instskip(NEXT) | instid1(VALU_DEP_4)
	v_and_b32_e32 v1, 0x7fff, v1
	v_cmp_ne_u16_e32 vcc_lo, 0, v2
	v_cndmask_b32_e64 v2, 0, 1, vcc_lo
	v_cmp_ne_u16_e32 vcc_lo, 0, v3
	v_cndmask_b32_e64 v3, 0, 1, vcc_lo
	v_cmp_ne_u16_e32 vcc_lo, 0, v4
	s_delay_alu instid0(VALU_DEP_4) | instskip(SKIP_1) | instid1(VALU_DEP_2)
	v_add_co_ci_u32_e32 v2, vcc_lo, 0, v2, vcc_lo
	v_cmp_ne_u16_e32 vcc_lo, 0, v1
	v_add_co_ci_u32_e32 v1, vcc_lo, v2, v3, vcc_lo
	s_delay_alu instid0(VALU_DEP_1) | instskip(NEXT) | instid1(VALU_DEP_1)
	v_mov_b32_dpp v2, v1 quad_perm:[1,0,3,2] row_mask:0xf bank_mask:0xf
	v_add_nc_u32_e32 v1, v1, v2
	s_delay_alu instid0(VALU_DEP_1) | instskip(NEXT) | instid1(VALU_DEP_1)
	v_mov_b32_dpp v2, v1 quad_perm:[2,3,0,1] row_mask:0xf bank_mask:0xf
	v_add_nc_u32_e32 v1, v1, v2
	s_delay_alu instid0(VALU_DEP_1) | instskip(NEXT) | instid1(VALU_DEP_1)
	v_mov_b32_dpp v2, v1 row_ror:4 row_mask:0xf bank_mask:0xf
	v_add_nc_u32_e32 v1, v1, v2
	s_delay_alu instid0(VALU_DEP_1) | instskip(NEXT) | instid1(VALU_DEP_1)
	v_mov_b32_dpp v2, v1 row_ror:8 row_mask:0xf bank_mask:0xf
	v_add_nc_u32_e32 v1, v1, v2
	ds_swizzle_b32 v2, v1 offset:swizzle(BROADCAST,32,15)
	s_waitcnt lgkmcnt(0)
	v_dual_mov_b32 v2, 0 :: v_dual_add_nc_u32 v1, v1, v2
	ds_bpermute_b32 v1, v2, v1 offset:124
	v_mbcnt_lo_u32_b32 v2, -1, 0
	s_delay_alu instid0(VALU_DEP_1)
	v_cmpx_eq_u32_e32 0, v2
	s_cbranch_execz .LBB660_528
; %bb.527:
	v_lshrrev_b32_e32 v3, 3, v0
	s_delay_alu instid0(VALU_DEP_1)
	v_and_b32_e32 v3, 12, v3
	s_waitcnt lgkmcnt(0)
	ds_store_b32 v3, v1 offset:80
.LBB660_528:
	s_or_b32 exec_lo, exec_lo, s3
	s_delay_alu instid0(SALU_CYCLE_1)
	s_mov_b32 s3, exec_lo
	s_waitcnt lgkmcnt(0)
	s_barrier
	buffer_gl0_inv
	v_cmpx_gt_u32_e32 32, v0
	s_cbranch_execz .LBB660_530
; %bb.529:
	v_and_b32_e32 v1, 3, v2
	s_delay_alu instid0(VALU_DEP_1) | instskip(SKIP_4) | instid1(VALU_DEP_2)
	v_lshlrev_b32_e32 v3, 2, v1
	v_cmp_ne_u32_e32 vcc_lo, 3, v1
	ds_load_b32 v3, v3 offset:80
	v_add_co_ci_u32_e32 v4, vcc_lo, 0, v2, vcc_lo
	v_cmp_gt_u32_e32 vcc_lo, 2, v1
	v_lshlrev_b32_e32 v4, 2, v4
	v_cndmask_b32_e64 v1, 0, 1, vcc_lo
	s_delay_alu instid0(VALU_DEP_1) | instskip(NEXT) | instid1(VALU_DEP_1)
	v_lshlrev_b32_e32 v1, 1, v1
	v_add_lshl_u32 v1, v1, v2, 2
	s_waitcnt lgkmcnt(0)
	ds_bpermute_b32 v4, v4, v3
	s_waitcnt lgkmcnt(0)
	v_add_nc_u32_e32 v3, v4, v3
	ds_bpermute_b32 v1, v1, v3
	s_waitcnt lgkmcnt(0)
	v_add_nc_u32_e32 v1, v1, v3
.LBB660_530:
	s_or_b32 exec_lo, exec_lo, s3
	s_mov_b32 s3, 0
	s_branch .LBB660_599
.LBB660_531:
                                        ; implicit-def: $vgpr1
	s_branch .LBB660_597
.LBB660_532:
                                        ; implicit-def: $vgpr1
	s_branch .LBB660_623
.LBB660_533:
	s_mov_b32 s3, -1
                                        ; implicit-def: $vgpr1
.LBB660_534:
	s_delay_alu instid0(SALU_CYCLE_1)
	s_and_b32 vcc_lo, exec_lo, s3
	s_cbranch_vccz .LBB660_572
; %bb.535:
	s_sub_i32 s27, s20, s2
	s_mov_b32 s2, exec_lo
                                        ; implicit-def: $vgpr1_vgpr2_vgpr3_vgpr4_vgpr5_vgpr6_vgpr7_vgpr8_vgpr9_vgpr10_vgpr11_vgpr12_vgpr13_vgpr14_vgpr15_vgpr16
	v_cmpx_gt_u32_e64 s27, v0
	s_cbranch_execz .LBB660_537
; %bb.536:
	v_lshlrev_b32_e32 v1, 2, v0
	global_load_b32 v1, v1, s[16:17]
	s_waitcnt vmcnt(0)
	v_lshrrev_b32_e32 v2, 16, v1
	s_delay_alu instid0(VALU_DEP_1) | instskip(NEXT) | instid1(VALU_DEP_1)
	v_or_b32_e32 v1, v1, v2
	v_and_b32_e32 v1, 0x7fff, v1
	s_delay_alu instid0(VALU_DEP_1)
	v_cmp_ne_u16_e32 vcc_lo, 0, v1
	v_cndmask_b32_e64 v1, 0, 1, vcc_lo
.LBB660_537:
	s_or_b32 exec_lo, exec_lo, s2
	v_or_b32_e32 v17, 0x80, v0
	s_delay_alu instid0(VALU_DEP_1)
	v_cmp_gt_u32_e32 vcc_lo, s27, v17
	s_and_saveexec_b32 s3, vcc_lo
	s_cbranch_execz .LBB660_539
; %bb.538:
	v_lshlrev_b32_e32 v2, 2, v0
	global_load_b32 v2, v2, s[16:17] offset:512
	s_waitcnt vmcnt(0)
	v_lshrrev_b32_e32 v17, 16, v2
	s_delay_alu instid0(VALU_DEP_1) | instskip(NEXT) | instid1(VALU_DEP_1)
	v_or_b32_e32 v2, v2, v17
	v_and_b32_e32 v2, 0x7fff, v2
	s_delay_alu instid0(VALU_DEP_1) | instskip(NEXT) | instid1(VALU_DEP_1)
	v_cmp_ne_u16_e64 s2, 0, v2
	v_cndmask_b32_e64 v2, 0, 1, s2
.LBB660_539:
	s_or_b32 exec_lo, exec_lo, s3
	v_or_b32_e32 v17, 0x100, v0
	s_delay_alu instid0(VALU_DEP_1) | instskip(NEXT) | instid1(VALU_DEP_1)
	v_cmp_gt_u32_e64 s2, s27, v17
	s_and_saveexec_b32 s4, s2
	s_cbranch_execz .LBB660_541
; %bb.540:
	v_lshlrev_b32_e32 v3, 2, v0
	global_load_b32 v3, v3, s[16:17] offset:1024
	s_waitcnt vmcnt(0)
	v_lshrrev_b32_e32 v17, 16, v3
	s_delay_alu instid0(VALU_DEP_1) | instskip(NEXT) | instid1(VALU_DEP_1)
	v_or_b32_e32 v3, v3, v17
	v_and_b32_e32 v3, 0x7fff, v3
	s_delay_alu instid0(VALU_DEP_1) | instskip(NEXT) | instid1(VALU_DEP_1)
	v_cmp_ne_u16_e64 s3, 0, v3
	v_cndmask_b32_e64 v3, 0, 1, s3
.LBB660_541:
	s_or_b32 exec_lo, exec_lo, s4
	v_or_b32_e32 v17, 0x180, v0
	s_delay_alu instid0(VALU_DEP_1) | instskip(NEXT) | instid1(VALU_DEP_1)
	v_cmp_gt_u32_e64 s3, s27, v17
	s_and_saveexec_b32 s5, s3
	;; [unrolled: 18-line block ×7, first 2 shown]
	s_cbranch_execz .LBB660_553
; %bb.552:
	v_lshlrev_b32_e32 v9, 2, v17
	global_load_b32 v9, v9, s[16:17]
	s_waitcnt vmcnt(0)
	v_lshrrev_b32_e32 v17, 16, v9
	s_delay_alu instid0(VALU_DEP_1) | instskip(NEXT) | instid1(VALU_DEP_1)
	v_or_b32_e32 v9, v9, v17
	v_and_b32_e32 v9, 0x7fff, v9
	s_delay_alu instid0(VALU_DEP_1) | instskip(NEXT) | instid1(VALU_DEP_1)
	v_cmp_ne_u16_e64 s9, 0, v9
	v_cndmask_b32_e64 v9, 0, 1, s9
.LBB660_553:
	s_or_b32 exec_lo, exec_lo, s10
	v_or_b32_e32 v17, 0x480, v0
	s_delay_alu instid0(VALU_DEP_1) | instskip(NEXT) | instid1(VALU_DEP_1)
	v_cmp_gt_u32_e64 s9, s27, v17
	s_and_saveexec_b32 s11, s9
	s_cbranch_execz .LBB660_555
; %bb.554:
	v_lshlrev_b32_e32 v10, 2, v17
	global_load_b32 v10, v10, s[16:17]
	s_waitcnt vmcnt(0)
	v_lshrrev_b32_e32 v17, 16, v10
	s_delay_alu instid0(VALU_DEP_1) | instskip(NEXT) | instid1(VALU_DEP_1)
	v_or_b32_e32 v10, v10, v17
	v_and_b32_e32 v10, 0x7fff, v10
	s_delay_alu instid0(VALU_DEP_1) | instskip(NEXT) | instid1(VALU_DEP_1)
	v_cmp_ne_u16_e64 s10, 0, v10
	v_cndmask_b32_e64 v10, 0, 1, s10
.LBB660_555:
	s_or_b32 exec_lo, exec_lo, s11
	v_or_b32_e32 v17, 0x500, v0
	s_delay_alu instid0(VALU_DEP_1) | instskip(NEXT) | instid1(VALU_DEP_1)
	v_cmp_gt_u32_e64 s10, s27, v17
	s_and_saveexec_b32 s12, s10
	;; [unrolled: 18-line block ×7, first 2 shown]
	s_cbranch_execz .LBB660_567
; %bb.566:
	v_lshlrev_b32_e32 v16, 2, v17
	global_load_b32 v16, v16, s[16:17]
	s_waitcnt vmcnt(0)
	v_lshrrev_b32_e32 v17, 16, v16
	s_delay_alu instid0(VALU_DEP_1) | instskip(NEXT) | instid1(VALU_DEP_1)
	v_or_b32_e32 v16, v16, v17
	v_and_b32_e32 v16, 0x7fff, v16
	s_delay_alu instid0(VALU_DEP_1) | instskip(NEXT) | instid1(VALU_DEP_1)
	v_cmp_ne_u16_e64 s16, 0, v16
	v_cndmask_b32_e64 v16, 0, 1, s16
.LBB660_567:
	s_or_b32 exec_lo, exec_lo, s28
	v_cndmask_b32_e32 v2, 0, v2, vcc_lo
	v_cndmask_b32_e64 v3, 0, v3, s2
	v_cndmask_b32_e64 v4, 0, v4, s3
	s_min_u32 s2, s27, 0x80
	s_mov_b32 s3, exec_lo
	v_add_nc_u32_e32 v1, v2, v1
	v_cndmask_b32_e64 v2, 0, v5, s4
	v_cndmask_b32_e64 v5, 0, v6, s5
	;; [unrolled: 1-line block ×3, first 2 shown]
	s_delay_alu instid0(VALU_DEP_4) | instskip(SKIP_3) | instid1(VALU_DEP_4)
	v_add3_u32 v1, v1, v3, v4
	v_cndmask_b32_e64 v3, 0, v7, s6
	v_cndmask_b32_e64 v4, 0, v8, s7
	;; [unrolled: 1-line block ×3, first 2 shown]
	v_add3_u32 v1, v1, v2, v5
	v_cndmask_b32_e64 v2, 0, v9, s8
	v_cndmask_b32_e64 v5, 0, v10, s9
	s_delay_alu instid0(VALU_DEP_3) | instskip(SKIP_2) | instid1(VALU_DEP_3)
	v_add3_u32 v1, v1, v3, v4
	v_cndmask_b32_e64 v3, 0, v11, s10
	v_cndmask_b32_e64 v4, 0, v12, s11
	v_add3_u32 v1, v1, v2, v5
	v_mbcnt_lo_u32_b32 v2, -1, 0
	v_cndmask_b32_e64 v5, 0, v13, s12
	s_delay_alu instid0(VALU_DEP_3) | instskip(NEXT) | instid1(VALU_DEP_3)
	v_add3_u32 v1, v1, v3, v4
	v_cmp_ne_u32_e32 vcc_lo, 31, v2
	v_cndmask_b32_e64 v3, 0, v16, s15
	s_delay_alu instid0(VALU_DEP_3) | instskip(SKIP_3) | instid1(VALU_DEP_4)
	v_add3_u32 v1, v1, v5, v6
	v_add_co_ci_u32_e32 v4, vcc_lo, 0, v2, vcc_lo
	v_cmp_gt_u32_e32 vcc_lo, 30, v2
	v_add_nc_u32_e32 v6, 1, v2
	v_add3_u32 v1, v1, v7, v3
	s_delay_alu instid0(VALU_DEP_4) | instskip(SKIP_4) | instid1(VALU_DEP_2)
	v_lshlrev_b32_e32 v4, 2, v4
	v_cndmask_b32_e64 v5, 0, 1, vcc_lo
	ds_bpermute_b32 v3, v4, v1
	v_and_b32_e32 v4, 0x60, v0
	v_lshlrev_b32_e32 v5, 1, v5
	v_sub_nc_u32_e64 v4, s2, v4 clamp
	s_delay_alu instid0(VALU_DEP_2) | instskip(NEXT) | instid1(VALU_DEP_2)
	v_add_lshl_u32 v5, v5, v2, 2
	v_cmp_lt_u32_e32 vcc_lo, v6, v4
	s_waitcnt lgkmcnt(0)
	v_dual_cndmask_b32 v3, 0, v3 :: v_dual_add_nc_u32 v6, 2, v2
	v_cmp_gt_u32_e32 vcc_lo, 28, v2
	s_delay_alu instid0(VALU_DEP_2) | instskip(SKIP_4) | instid1(VALU_DEP_3)
	v_add_nc_u32_e32 v1, v1, v3
	ds_bpermute_b32 v3, v5, v1
	v_cndmask_b32_e64 v5, 0, 1, vcc_lo
	v_cmp_lt_u32_e32 vcc_lo, v6, v4
	v_add_nc_u32_e32 v6, 4, v2
	v_lshlrev_b32_e32 v5, 2, v5
	s_delay_alu instid0(VALU_DEP_1) | instskip(SKIP_3) | instid1(VALU_DEP_2)
	v_add_lshl_u32 v5, v5, v2, 2
	s_waitcnt lgkmcnt(0)
	v_cndmask_b32_e32 v3, 0, v3, vcc_lo
	v_cmp_gt_u32_e32 vcc_lo, 24, v2
	v_add_nc_u32_e32 v1, v1, v3
	ds_bpermute_b32 v3, v5, v1
	v_cndmask_b32_e64 v5, 0, 1, vcc_lo
	v_cmp_lt_u32_e32 vcc_lo, v6, v4
	v_add_nc_u32_e32 v6, 8, v2
	s_delay_alu instid0(VALU_DEP_3) | instskip(NEXT) | instid1(VALU_DEP_1)
	v_lshlrev_b32_e32 v5, 3, v5
	v_add_lshl_u32 v5, v5, v2, 2
	s_waitcnt lgkmcnt(0)
	v_cndmask_b32_e32 v3, 0, v3, vcc_lo
	v_cmp_gt_u32_e32 vcc_lo, 16, v2
	s_delay_alu instid0(VALU_DEP_2) | instskip(SKIP_3) | instid1(VALU_DEP_2)
	v_add_nc_u32_e32 v1, v1, v3
	ds_bpermute_b32 v3, v5, v1
	v_cndmask_b32_e64 v5, 0, 1, vcc_lo
	v_cmp_lt_u32_e32 vcc_lo, v6, v4
	v_lshlrev_b32_e32 v5, 4, v5
	s_delay_alu instid0(VALU_DEP_1) | instskip(SKIP_2) | instid1(VALU_DEP_1)
	v_add_lshl_u32 v5, v5, v2, 2
	s_waitcnt lgkmcnt(0)
	v_cndmask_b32_e32 v3, 0, v3, vcc_lo
	v_add_nc_u32_e32 v1, v1, v3
	ds_bpermute_b32 v3, v5, v1
	v_add_nc_u32_e32 v5, 16, v2
	s_delay_alu instid0(VALU_DEP_1) | instskip(SKIP_2) | instid1(VALU_DEP_1)
	v_cmp_lt_u32_e32 vcc_lo, v5, v4
	s_waitcnt lgkmcnt(0)
	v_cndmask_b32_e32 v3, 0, v3, vcc_lo
	v_add_nc_u32_e32 v1, v1, v3
	v_cmpx_eq_u32_e32 0, v2
	s_cbranch_execz .LBB660_569
; %bb.568:
	v_lshrrev_b32_e32 v3, 3, v0
	s_delay_alu instid0(VALU_DEP_1)
	v_and_b32_e32 v3, 12, v3
	ds_store_b32 v3, v1 offset:128
.LBB660_569:
	s_or_b32 exec_lo, exec_lo, s3
	s_delay_alu instid0(SALU_CYCLE_1)
	s_mov_b32 s3, exec_lo
	s_waitcnt lgkmcnt(0)
	s_barrier
	buffer_gl0_inv
	v_cmpx_gt_u32_e32 4, v0
	s_cbranch_execz .LBB660_571
; %bb.570:
	v_and_b32_e32 v3, 3, v2
	s_add_i32 s2, s2, 31
	s_delay_alu instid0(SALU_CYCLE_1) | instskip(NEXT) | instid1(VALU_DEP_1)
	s_lshr_b32 s2, s2, 5
	v_cmp_ne_u32_e32 vcc_lo, 3, v3
	v_add_nc_u32_e32 v5, 1, v3
	v_add_co_ci_u32_e32 v4, vcc_lo, 0, v2, vcc_lo
	v_cmp_gt_u32_e32 vcc_lo, 2, v3
	v_add_nc_u32_e32 v3, 2, v3
	s_delay_alu instid0(VALU_DEP_3) | instskip(SKIP_3) | instid1(VALU_DEP_3)
	v_lshlrev_b32_e32 v4, 2, v4
	v_cndmask_b32_e64 v6, 0, 1, vcc_lo
	v_cmp_gt_u32_e32 vcc_lo, s2, v5
	v_lshlrev_b32_e32 v1, 2, v2
	v_lshlrev_b32_e32 v5, 1, v6
	ds_load_b32 v1, v1 offset:128
	v_add_lshl_u32 v2, v5, v2, 2
	s_waitcnt lgkmcnt(0)
	ds_bpermute_b32 v4, v4, v1
	s_waitcnt lgkmcnt(0)
	v_cndmask_b32_e32 v4, 0, v4, vcc_lo
	v_cmp_gt_u32_e32 vcc_lo, s2, v3
	s_delay_alu instid0(VALU_DEP_2) | instskip(SKIP_3) | instid1(VALU_DEP_1)
	v_add_nc_u32_e32 v1, v4, v1
	ds_bpermute_b32 v2, v2, v1
	s_waitcnt lgkmcnt(0)
	v_cndmask_b32_e32 v2, 0, v2, vcc_lo
	v_add_nc_u32_e32 v1, v1, v2
.LBB660_571:
	s_or_b32 exec_lo, exec_lo, s3
.LBB660_572:
	v_cmp_eq_u32_e64 s2, 0, v0
	s_branch .LBB660_623
.LBB660_573:
	s_mov_b32 s3, -1
                                        ; implicit-def: $vgpr1
.LBB660_574:
	s_delay_alu instid0(SALU_CYCLE_1)
	s_and_b32 vcc_lo, exec_lo, s3
	s_cbranch_vccz .LBB660_596
; %bb.575:
	s_sub_i32 s10, s20, s2
	s_mov_b32 s2, exec_lo
                                        ; implicit-def: $vgpr1_vgpr2_vgpr3_vgpr4_vgpr5_vgpr6_vgpr7_vgpr8
	v_cmpx_gt_u32_e64 s10, v0
	s_cbranch_execz .LBB660_577
; %bb.576:
	v_lshlrev_b32_e32 v1, 2, v0
	global_load_b32 v1, v1, s[8:9]
	s_waitcnt vmcnt(0)
	v_lshrrev_b32_e32 v2, 16, v1
	s_delay_alu instid0(VALU_DEP_1) | instskip(NEXT) | instid1(VALU_DEP_1)
	v_or_b32_e32 v1, v1, v2
	v_and_b32_e32 v1, 0x7fff, v1
	s_delay_alu instid0(VALU_DEP_1)
	v_cmp_ne_u16_e32 vcc_lo, 0, v1
	v_cndmask_b32_e64 v1, 0, 1, vcc_lo
.LBB660_577:
	s_or_b32 exec_lo, exec_lo, s2
	v_or_b32_e32 v9, 0x80, v0
	s_delay_alu instid0(VALU_DEP_1)
	v_cmp_gt_u32_e32 vcc_lo, s10, v9
	s_and_saveexec_b32 s3, vcc_lo
	s_cbranch_execz .LBB660_579
; %bb.578:
	v_lshlrev_b32_e32 v2, 2, v0
	global_load_b32 v2, v2, s[8:9] offset:512
	s_waitcnt vmcnt(0)
	v_lshrrev_b32_e32 v9, 16, v2
	s_delay_alu instid0(VALU_DEP_1) | instskip(NEXT) | instid1(VALU_DEP_1)
	v_or_b32_e32 v2, v2, v9
	v_and_b32_e32 v2, 0x7fff, v2
	s_delay_alu instid0(VALU_DEP_1) | instskip(NEXT) | instid1(VALU_DEP_1)
	v_cmp_ne_u16_e64 s2, 0, v2
	v_cndmask_b32_e64 v2, 0, 1, s2
.LBB660_579:
	s_or_b32 exec_lo, exec_lo, s3
	v_or_b32_e32 v9, 0x100, v0
	s_delay_alu instid0(VALU_DEP_1) | instskip(NEXT) | instid1(VALU_DEP_1)
	v_cmp_gt_u32_e64 s2, s10, v9
	s_and_saveexec_b32 s4, s2
	s_cbranch_execz .LBB660_581
; %bb.580:
	v_lshlrev_b32_e32 v3, 2, v0
	global_load_b32 v3, v3, s[8:9] offset:1024
	s_waitcnt vmcnt(0)
	v_lshrrev_b32_e32 v9, 16, v3
	s_delay_alu instid0(VALU_DEP_1) | instskip(NEXT) | instid1(VALU_DEP_1)
	v_or_b32_e32 v3, v3, v9
	v_and_b32_e32 v3, 0x7fff, v3
	s_delay_alu instid0(VALU_DEP_1) | instskip(NEXT) | instid1(VALU_DEP_1)
	v_cmp_ne_u16_e64 s3, 0, v3
	v_cndmask_b32_e64 v3, 0, 1, s3
.LBB660_581:
	s_or_b32 exec_lo, exec_lo, s4
	v_or_b32_e32 v9, 0x180, v0
	s_delay_alu instid0(VALU_DEP_1) | instskip(NEXT) | instid1(VALU_DEP_1)
	v_cmp_gt_u32_e64 s3, s10, v9
	s_and_saveexec_b32 s5, s3
	;; [unrolled: 18-line block ×6, first 2 shown]
	s_cbranch_execz .LBB660_591
; %bb.590:
	v_lshlrev_b32_e32 v8, 2, v0
	global_load_b32 v8, v8, s[8:9] offset:3584
	s_waitcnt vmcnt(0)
	v_lshrrev_b32_e32 v9, 16, v8
	s_delay_alu instid0(VALU_DEP_1) | instskip(NEXT) | instid1(VALU_DEP_1)
	v_or_b32_e32 v8, v8, v9
	v_and_b32_e32 v8, 0x7fff, v8
	s_delay_alu instid0(VALU_DEP_1) | instskip(NEXT) | instid1(VALU_DEP_1)
	v_cmp_ne_u16_e64 s8, 0, v8
	v_cndmask_b32_e64 v8, 0, 1, s8
.LBB660_591:
	s_or_b32 exec_lo, exec_lo, s11
	v_cndmask_b32_e32 v2, 0, v2, vcc_lo
	v_cndmask_b32_e64 v3, 0, v3, s2
	v_cndmask_b32_e64 v4, 0, v4, s3
	;; [unrolled: 1-line block ×4, first 2 shown]
	v_add_nc_u32_e32 v1, v2, v1
	v_mbcnt_lo_u32_b32 v2, -1, 0
	v_cndmask_b32_e64 v7, 0, v7, s6
	s_min_u32 s2, s10, 0x80
	s_mov_b32 s3, exec_lo
	v_add3_u32 v1, v1, v3, v4
	v_cmp_ne_u32_e32 vcc_lo, 31, v2
	v_cndmask_b32_e64 v3, 0, v8, s7
	s_delay_alu instid0(VALU_DEP_3) | instskip(SKIP_3) | instid1(VALU_DEP_4)
	v_add3_u32 v1, v1, v5, v6
	v_add_co_ci_u32_e32 v4, vcc_lo, 0, v2, vcc_lo
	v_cmp_gt_u32_e32 vcc_lo, 30, v2
	v_add_nc_u32_e32 v6, 1, v2
	v_add3_u32 v1, v1, v7, v3
	s_delay_alu instid0(VALU_DEP_4) | instskip(SKIP_4) | instid1(VALU_DEP_2)
	v_lshlrev_b32_e32 v4, 2, v4
	v_cndmask_b32_e64 v5, 0, 1, vcc_lo
	ds_bpermute_b32 v3, v4, v1
	v_and_b32_e32 v4, 0x60, v0
	v_lshlrev_b32_e32 v5, 1, v5
	v_sub_nc_u32_e64 v4, s2, v4 clamp
	s_delay_alu instid0(VALU_DEP_2) | instskip(NEXT) | instid1(VALU_DEP_2)
	v_add_lshl_u32 v5, v5, v2, 2
	v_cmp_lt_u32_e32 vcc_lo, v6, v4
	s_waitcnt lgkmcnt(0)
	v_dual_cndmask_b32 v3, 0, v3 :: v_dual_add_nc_u32 v6, 2, v2
	v_cmp_gt_u32_e32 vcc_lo, 28, v2
	s_delay_alu instid0(VALU_DEP_2) | instskip(SKIP_4) | instid1(VALU_DEP_3)
	v_add_nc_u32_e32 v1, v1, v3
	ds_bpermute_b32 v3, v5, v1
	v_cndmask_b32_e64 v5, 0, 1, vcc_lo
	v_cmp_lt_u32_e32 vcc_lo, v6, v4
	v_add_nc_u32_e32 v6, 4, v2
	v_lshlrev_b32_e32 v5, 2, v5
	s_delay_alu instid0(VALU_DEP_1) | instskip(SKIP_3) | instid1(VALU_DEP_2)
	v_add_lshl_u32 v5, v5, v2, 2
	s_waitcnt lgkmcnt(0)
	v_cndmask_b32_e32 v3, 0, v3, vcc_lo
	v_cmp_gt_u32_e32 vcc_lo, 24, v2
	v_add_nc_u32_e32 v1, v1, v3
	ds_bpermute_b32 v3, v5, v1
	v_cndmask_b32_e64 v5, 0, 1, vcc_lo
	v_cmp_lt_u32_e32 vcc_lo, v6, v4
	v_add_nc_u32_e32 v6, 8, v2
	s_delay_alu instid0(VALU_DEP_3) | instskip(NEXT) | instid1(VALU_DEP_1)
	v_lshlrev_b32_e32 v5, 3, v5
	v_add_lshl_u32 v5, v5, v2, 2
	s_waitcnt lgkmcnt(0)
	v_cndmask_b32_e32 v3, 0, v3, vcc_lo
	v_cmp_gt_u32_e32 vcc_lo, 16, v2
	s_delay_alu instid0(VALU_DEP_2) | instskip(SKIP_3) | instid1(VALU_DEP_2)
	v_add_nc_u32_e32 v1, v1, v3
	ds_bpermute_b32 v3, v5, v1
	v_cndmask_b32_e64 v5, 0, 1, vcc_lo
	v_cmp_lt_u32_e32 vcc_lo, v6, v4
	v_lshlrev_b32_e32 v5, 4, v5
	s_delay_alu instid0(VALU_DEP_1) | instskip(SKIP_2) | instid1(VALU_DEP_1)
	v_add_lshl_u32 v5, v5, v2, 2
	s_waitcnt lgkmcnt(0)
	v_cndmask_b32_e32 v3, 0, v3, vcc_lo
	v_add_nc_u32_e32 v1, v1, v3
	ds_bpermute_b32 v3, v5, v1
	v_add_nc_u32_e32 v5, 16, v2
	s_delay_alu instid0(VALU_DEP_1) | instskip(SKIP_2) | instid1(VALU_DEP_1)
	v_cmp_lt_u32_e32 vcc_lo, v5, v4
	s_waitcnt lgkmcnt(0)
	v_cndmask_b32_e32 v3, 0, v3, vcc_lo
	v_add_nc_u32_e32 v1, v1, v3
	v_cmpx_eq_u32_e32 0, v2
	s_cbranch_execz .LBB660_593
; %bb.592:
	v_lshrrev_b32_e32 v3, 3, v0
	s_delay_alu instid0(VALU_DEP_1)
	v_and_b32_e32 v3, 12, v3
	ds_store_b32 v3, v1 offset:128
.LBB660_593:
	s_or_b32 exec_lo, exec_lo, s3
	s_delay_alu instid0(SALU_CYCLE_1)
	s_mov_b32 s3, exec_lo
	s_waitcnt lgkmcnt(0)
	s_barrier
	buffer_gl0_inv
	v_cmpx_gt_u32_e32 4, v0
	s_cbranch_execz .LBB660_595
; %bb.594:
	v_and_b32_e32 v3, 3, v2
	s_add_i32 s2, s2, 31
	s_delay_alu instid0(SALU_CYCLE_1) | instskip(NEXT) | instid1(VALU_DEP_1)
	s_lshr_b32 s2, s2, 5
	v_cmp_ne_u32_e32 vcc_lo, 3, v3
	v_add_nc_u32_e32 v5, 1, v3
	v_add_co_ci_u32_e32 v4, vcc_lo, 0, v2, vcc_lo
	v_cmp_gt_u32_e32 vcc_lo, 2, v3
	v_add_nc_u32_e32 v3, 2, v3
	s_delay_alu instid0(VALU_DEP_3) | instskip(SKIP_3) | instid1(VALU_DEP_3)
	v_lshlrev_b32_e32 v4, 2, v4
	v_cndmask_b32_e64 v6, 0, 1, vcc_lo
	v_cmp_gt_u32_e32 vcc_lo, s2, v5
	v_lshlrev_b32_e32 v1, 2, v2
	v_lshlrev_b32_e32 v5, 1, v6
	ds_load_b32 v1, v1 offset:128
	v_add_lshl_u32 v2, v5, v2, 2
	s_waitcnt lgkmcnt(0)
	ds_bpermute_b32 v4, v4, v1
	s_waitcnt lgkmcnt(0)
	v_cndmask_b32_e32 v4, 0, v4, vcc_lo
	v_cmp_gt_u32_e32 vcc_lo, s2, v3
	s_delay_alu instid0(VALU_DEP_2) | instskip(SKIP_3) | instid1(VALU_DEP_1)
	v_add_nc_u32_e32 v1, v4, v1
	ds_bpermute_b32 v2, v2, v1
	s_waitcnt lgkmcnt(0)
	v_cndmask_b32_e32 v2, 0, v2, vcc_lo
	v_add_nc_u32_e32 v1, v1, v2
.LBB660_595:
	s_or_b32 exec_lo, exec_lo, s3
.LBB660_596:
	v_cmp_eq_u32_e64 s2, 0, v0
.LBB660_597:
	s_branch .LBB660_623
.LBB660_598:
	s_mov_b32 s3, -1
                                        ; implicit-def: $vgpr1
.LBB660_599:
	s_delay_alu instid0(SALU_CYCLE_1)
	s_and_b32 vcc_lo, exec_lo, s3
	s_cbranch_vccz .LBB660_613
; %bb.600:
	s_sub_i32 s6, s20, s2
	s_mov_b32 s2, exec_lo
                                        ; implicit-def: $vgpr1_vgpr2_vgpr3_vgpr4
	v_cmpx_gt_u32_e64 s6, v0
	s_cbranch_execz .LBB660_602
; %bb.601:
	v_lshlrev_b32_e32 v1, 2, v0
	global_load_b32 v1, v1, s[4:5]
	s_waitcnt vmcnt(0)
	v_lshrrev_b32_e32 v2, 16, v1
	s_delay_alu instid0(VALU_DEP_1) | instskip(NEXT) | instid1(VALU_DEP_1)
	v_or_b32_e32 v1, v1, v2
	v_and_b32_e32 v1, 0x7fff, v1
	s_delay_alu instid0(VALU_DEP_1)
	v_cmp_ne_u16_e32 vcc_lo, 0, v1
	v_cndmask_b32_e64 v1, 0, 1, vcc_lo
.LBB660_602:
	s_or_b32 exec_lo, exec_lo, s2
	v_or_b32_e32 v5, 0x80, v0
	s_delay_alu instid0(VALU_DEP_1)
	v_cmp_gt_u32_e32 vcc_lo, s6, v5
	s_and_saveexec_b32 s3, vcc_lo
	s_cbranch_execz .LBB660_604
; %bb.603:
	v_lshlrev_b32_e32 v2, 2, v0
	global_load_b32 v2, v2, s[4:5] offset:512
	s_waitcnt vmcnt(0)
	v_lshrrev_b32_e32 v5, 16, v2
	s_delay_alu instid0(VALU_DEP_1) | instskip(NEXT) | instid1(VALU_DEP_1)
	v_or_b32_e32 v2, v2, v5
	v_and_b32_e32 v2, 0x7fff, v2
	s_delay_alu instid0(VALU_DEP_1) | instskip(NEXT) | instid1(VALU_DEP_1)
	v_cmp_ne_u16_e64 s2, 0, v2
	v_cndmask_b32_e64 v2, 0, 1, s2
.LBB660_604:
	s_or_b32 exec_lo, exec_lo, s3
	v_or_b32_e32 v5, 0x100, v0
	s_delay_alu instid0(VALU_DEP_1) | instskip(NEXT) | instid1(VALU_DEP_1)
	v_cmp_gt_u32_e64 s2, s6, v5
	s_and_saveexec_b32 s7, s2
	s_cbranch_execz .LBB660_606
; %bb.605:
	v_lshlrev_b32_e32 v3, 2, v0
	global_load_b32 v3, v3, s[4:5] offset:1024
	s_waitcnt vmcnt(0)
	v_lshrrev_b32_e32 v5, 16, v3
	s_delay_alu instid0(VALU_DEP_1) | instskip(NEXT) | instid1(VALU_DEP_1)
	v_or_b32_e32 v3, v3, v5
	v_and_b32_e32 v3, 0x7fff, v3
	s_delay_alu instid0(VALU_DEP_1) | instskip(NEXT) | instid1(VALU_DEP_1)
	v_cmp_ne_u16_e64 s3, 0, v3
	v_cndmask_b32_e64 v3, 0, 1, s3
.LBB660_606:
	s_or_b32 exec_lo, exec_lo, s7
	v_or_b32_e32 v5, 0x180, v0
	s_delay_alu instid0(VALU_DEP_1) | instskip(NEXT) | instid1(VALU_DEP_1)
	v_cmp_gt_u32_e64 s3, s6, v5
	s_and_saveexec_b32 s7, s3
	s_cbranch_execz .LBB660_608
; %bb.607:
	v_lshlrev_b32_e32 v4, 2, v0
	global_load_b32 v4, v4, s[4:5] offset:1536
	s_waitcnt vmcnt(0)
	v_lshrrev_b32_e32 v5, 16, v4
	s_delay_alu instid0(VALU_DEP_1) | instskip(NEXT) | instid1(VALU_DEP_1)
	v_or_b32_e32 v4, v4, v5
	v_and_b32_e32 v4, 0x7fff, v4
	s_delay_alu instid0(VALU_DEP_1) | instskip(NEXT) | instid1(VALU_DEP_1)
	v_cmp_ne_u16_e64 s4, 0, v4
	v_cndmask_b32_e64 v4, 0, 1, s4
.LBB660_608:
	s_or_b32 exec_lo, exec_lo, s7
	v_cndmask_b32_e32 v5, 0, v2, vcc_lo
	v_mbcnt_lo_u32_b32 v2, -1, 0
	v_cndmask_b32_e64 v3, 0, v3, s2
	v_cndmask_b32_e64 v4, 0, v4, s3
	s_min_u32 s2, s6, 0x80
	v_add_nc_u32_e32 v1, v5, v1
	v_cmp_ne_u32_e32 vcc_lo, 31, v2
	s_mov_b32 s3, exec_lo
	s_delay_alu instid0(VALU_DEP_2) | instskip(SKIP_3) | instid1(VALU_DEP_3)
	v_add3_u32 v1, v1, v3, v4
	v_and_b32_e32 v4, 0x60, v0
	v_add_co_ci_u32_e32 v5, vcc_lo, 0, v2, vcc_lo
	v_cmp_gt_u32_e32 vcc_lo, 30, v2
	v_sub_nc_u32_e64 v4, s2, v4 clamp
	s_delay_alu instid0(VALU_DEP_3) | instskip(SKIP_4) | instid1(VALU_DEP_2)
	v_lshlrev_b32_e32 v3, 2, v5
	v_cndmask_b32_e64 v5, 0, 1, vcc_lo
	ds_bpermute_b32 v3, v3, v1
	v_add_nc_u32_e32 v6, 1, v2
	v_lshlrev_b32_e32 v5, 1, v5
	v_cmp_lt_u32_e32 vcc_lo, v6, v4
	s_delay_alu instid0(VALU_DEP_2) | instskip(SKIP_3) | instid1(VALU_DEP_2)
	v_add_lshl_u32 v5, v5, v2, 2
	s_waitcnt lgkmcnt(0)
	v_cndmask_b32_e32 v3, 0, v3, vcc_lo
	v_cmp_gt_u32_e32 vcc_lo, 28, v2
	v_add_nc_u32_e32 v1, v3, v1
	ds_bpermute_b32 v3, v5, v1
	v_add_nc_u32_e32 v6, 2, v2
	v_cndmask_b32_e64 v5, 0, 1, vcc_lo
	s_delay_alu instid0(VALU_DEP_2) | instskip(NEXT) | instid1(VALU_DEP_2)
	v_cmp_lt_u32_e32 vcc_lo, v6, v4
	v_lshlrev_b32_e32 v5, 2, v5
	s_delay_alu instid0(VALU_DEP_1) | instskip(SKIP_3) | instid1(VALU_DEP_2)
	v_add_lshl_u32 v5, v5, v2, 2
	s_waitcnt lgkmcnt(0)
	v_cndmask_b32_e32 v3, 0, v3, vcc_lo
	v_cmp_gt_u32_e32 vcc_lo, 24, v2
	v_add_nc_u32_e32 v1, v1, v3
	ds_bpermute_b32 v3, v5, v1
	v_add_nc_u32_e32 v6, 4, v2
	v_cndmask_b32_e64 v5, 0, 1, vcc_lo
	s_delay_alu instid0(VALU_DEP_2) | instskip(NEXT) | instid1(VALU_DEP_2)
	v_cmp_lt_u32_e32 vcc_lo, v6, v4
	v_lshlrev_b32_e32 v5, 3, v5
	s_delay_alu instid0(VALU_DEP_1) | instskip(SKIP_3) | instid1(VALU_DEP_2)
	v_add_lshl_u32 v5, v5, v2, 2
	s_waitcnt lgkmcnt(0)
	v_cndmask_b32_e32 v3, 0, v3, vcc_lo
	v_cmp_gt_u32_e32 vcc_lo, 16, v2
	v_add_nc_u32_e32 v1, v1, v3
	ds_bpermute_b32 v3, v5, v1
	v_add_nc_u32_e32 v6, 8, v2
	v_cndmask_b32_e64 v5, 0, 1, vcc_lo
	s_delay_alu instid0(VALU_DEP_2) | instskip(NEXT) | instid1(VALU_DEP_2)
	v_cmp_lt_u32_e32 vcc_lo, v6, v4
	v_lshlrev_b32_e32 v5, 4, v5
	s_delay_alu instid0(VALU_DEP_1) | instskip(SKIP_2) | instid1(VALU_DEP_1)
	v_add_lshl_u32 v5, v5, v2, 2
	s_waitcnt lgkmcnt(0)
	v_cndmask_b32_e32 v3, 0, v3, vcc_lo
	v_add_nc_u32_e32 v1, v1, v3
	ds_bpermute_b32 v3, v5, v1
	v_add_nc_u32_e32 v5, 16, v2
	s_delay_alu instid0(VALU_DEP_1) | instskip(SKIP_2) | instid1(VALU_DEP_1)
	v_cmp_lt_u32_e32 vcc_lo, v5, v4
	s_waitcnt lgkmcnt(0)
	v_cndmask_b32_e32 v3, 0, v3, vcc_lo
	v_add_nc_u32_e32 v1, v1, v3
	v_cmpx_eq_u32_e32 0, v2
	s_cbranch_execz .LBB660_610
; %bb.609:
	v_lshrrev_b32_e32 v3, 3, v0
	s_delay_alu instid0(VALU_DEP_1)
	v_and_b32_e32 v3, 12, v3
	ds_store_b32 v3, v1 offset:128
.LBB660_610:
	s_or_b32 exec_lo, exec_lo, s3
	s_delay_alu instid0(SALU_CYCLE_1)
	s_mov_b32 s3, exec_lo
	s_waitcnt lgkmcnt(0)
	s_barrier
	buffer_gl0_inv
	v_cmpx_gt_u32_e32 4, v0
	s_cbranch_execz .LBB660_612
; %bb.611:
	v_and_b32_e32 v3, 3, v2
	s_add_i32 s2, s2, 31
	s_delay_alu instid0(SALU_CYCLE_1) | instskip(NEXT) | instid1(VALU_DEP_1)
	s_lshr_b32 s2, s2, 5
	v_cmp_ne_u32_e32 vcc_lo, 3, v3
	v_add_nc_u32_e32 v5, 1, v3
	v_add_co_ci_u32_e32 v4, vcc_lo, 0, v2, vcc_lo
	v_cmp_gt_u32_e32 vcc_lo, 2, v3
	v_add_nc_u32_e32 v3, 2, v3
	s_delay_alu instid0(VALU_DEP_3) | instskip(SKIP_3) | instid1(VALU_DEP_3)
	v_lshlrev_b32_e32 v4, 2, v4
	v_cndmask_b32_e64 v6, 0, 1, vcc_lo
	v_cmp_gt_u32_e32 vcc_lo, s2, v5
	v_lshlrev_b32_e32 v1, 2, v2
	v_lshlrev_b32_e32 v5, 1, v6
	ds_load_b32 v1, v1 offset:128
	v_add_lshl_u32 v2, v5, v2, 2
	s_waitcnt lgkmcnt(0)
	ds_bpermute_b32 v4, v4, v1
	s_waitcnt lgkmcnt(0)
	v_cndmask_b32_e32 v4, 0, v4, vcc_lo
	v_cmp_gt_u32_e32 vcc_lo, s2, v3
	s_delay_alu instid0(VALU_DEP_2) | instskip(SKIP_3) | instid1(VALU_DEP_1)
	v_add_nc_u32_e32 v1, v4, v1
	ds_bpermute_b32 v2, v2, v1
	s_waitcnt lgkmcnt(0)
	v_cndmask_b32_e32 v2, 0, v2, vcc_lo
	v_add_nc_u32_e32 v1, v1, v2
.LBB660_612:
	s_or_b32 exec_lo, exec_lo, s3
.LBB660_613:
	v_cmp_eq_u32_e64 s2, 0, v0
	s_branch .LBB660_623
.LBB660_614:
	s_cmp_gt_i32 s26, 1
	s_cbranch_scc0 .LBB660_622
; %bb.615:
	s_cmp_eq_u32 s26, 2
	s_cbranch_scc0 .LBB660_626
; %bb.616:
	s_mov_b32 s19, 0
	s_lshl_b32 s6, s18, 8
	s_mov_b32 s7, s19
	s_lshr_b64 s[8:9], s[20:21], 8
	s_lshl_b64 s[2:3], s[6:7], 2
	s_delay_alu instid0(SALU_CYCLE_1)
	s_add_u32 s4, s24, s2
	s_addc_u32 s5, s25, s3
	s_cmp_lg_u64 s[8:9], s[18:19]
	s_cbranch_scc0 .LBB660_627
; %bb.617:
	v_lshlrev_b32_e32 v1, 2, v0
	s_clause 0x1
	global_load_b32 v2, v1, s[4:5]
	global_load_b32 v1, v1, s[4:5] offset:512
	s_waitcnt vmcnt(1)
	v_lshrrev_b32_e32 v3, 16, v2
	s_waitcnt vmcnt(0)
	v_lshrrev_b32_e32 v4, 16, v1
	s_delay_alu instid0(VALU_DEP_2) | instskip(NEXT) | instid1(VALU_DEP_2)
	v_or_b32_e32 v2, v2, v3
	v_or_b32_e32 v1, v1, v4
	s_delay_alu instid0(VALU_DEP_2) | instskip(NEXT) | instid1(VALU_DEP_2)
	v_and_b32_e32 v2, 0x7fff, v2
	v_and_b32_e32 v1, 0x7fff, v1
	s_delay_alu instid0(VALU_DEP_2) | instskip(SKIP_1) | instid1(VALU_DEP_3)
	v_cmp_ne_u16_e32 vcc_lo, 0, v2
	v_cndmask_b32_e64 v2, 0, 1, vcc_lo
	v_cmp_ne_u16_e32 vcc_lo, 0, v1
	s_delay_alu instid0(VALU_DEP_2) | instskip(SKIP_1) | instid1(VALU_DEP_1)
	v_add_co_ci_u32_e64 v1, s2, 0, v2, vcc_lo
	s_mov_b32 s2, exec_lo
	v_mov_b32_dpp v1, v1 quad_perm:[1,0,3,2] row_mask:0xf bank_mask:0xf
	s_delay_alu instid0(VALU_DEP_1) | instskip(NEXT) | instid1(VALU_DEP_1)
	v_add_co_ci_u32_e32 v1, vcc_lo, v1, v2, vcc_lo
	v_mov_b32_dpp v2, v1 quad_perm:[2,3,0,1] row_mask:0xf bank_mask:0xf
	s_delay_alu instid0(VALU_DEP_1) | instskip(NEXT) | instid1(VALU_DEP_1)
	v_add_nc_u32_e32 v1, v1, v2
	v_mov_b32_dpp v2, v1 row_ror:4 row_mask:0xf bank_mask:0xf
	s_delay_alu instid0(VALU_DEP_1) | instskip(NEXT) | instid1(VALU_DEP_1)
	v_add_nc_u32_e32 v1, v1, v2
	v_mov_b32_dpp v2, v1 row_ror:8 row_mask:0xf bank_mask:0xf
	s_delay_alu instid0(VALU_DEP_1)
	v_add_nc_u32_e32 v1, v1, v2
	ds_swizzle_b32 v2, v1 offset:swizzle(BROADCAST,32,15)
	s_waitcnt lgkmcnt(0)
	v_dual_mov_b32 v2, 0 :: v_dual_add_nc_u32 v1, v1, v2
	ds_bpermute_b32 v1, v2, v1 offset:124
	v_mbcnt_lo_u32_b32 v2, -1, 0
	s_delay_alu instid0(VALU_DEP_1)
	v_cmpx_eq_u32_e32 0, v2
	s_cbranch_execz .LBB660_619
; %bb.618:
	v_lshrrev_b32_e32 v3, 3, v0
	s_delay_alu instid0(VALU_DEP_1)
	v_and_b32_e32 v3, 12, v3
	s_waitcnt lgkmcnt(0)
	ds_store_b32 v3, v1 offset:48
.LBB660_619:
	s_or_b32 exec_lo, exec_lo, s2
	s_delay_alu instid0(SALU_CYCLE_1)
	s_mov_b32 s2, exec_lo
	s_waitcnt lgkmcnt(0)
	s_barrier
	buffer_gl0_inv
	v_cmpx_gt_u32_e32 32, v0
	s_cbranch_execz .LBB660_621
; %bb.620:
	v_and_b32_e32 v1, 3, v2
	s_delay_alu instid0(VALU_DEP_1) | instskip(SKIP_4) | instid1(VALU_DEP_2)
	v_lshlrev_b32_e32 v3, 2, v1
	v_cmp_ne_u32_e32 vcc_lo, 3, v1
	ds_load_b32 v3, v3 offset:48
	v_add_co_ci_u32_e32 v4, vcc_lo, 0, v2, vcc_lo
	v_cmp_gt_u32_e32 vcc_lo, 2, v1
	v_lshlrev_b32_e32 v4, 2, v4
	v_cndmask_b32_e64 v1, 0, 1, vcc_lo
	s_delay_alu instid0(VALU_DEP_1) | instskip(NEXT) | instid1(VALU_DEP_1)
	v_lshlrev_b32_e32 v1, 1, v1
	v_add_lshl_u32 v1, v1, v2, 2
	s_waitcnt lgkmcnt(0)
	ds_bpermute_b32 v4, v4, v3
	s_waitcnt lgkmcnt(0)
	v_add_nc_u32_e32 v3, v4, v3
	ds_bpermute_b32 v1, v1, v3
	s_waitcnt lgkmcnt(0)
	v_add_nc_u32_e32 v1, v1, v3
.LBB660_621:
	s_or_b32 exec_lo, exec_lo, s2
	s_mov_b32 s2, 0
	s_branch .LBB660_628
.LBB660_622:
                                        ; implicit-def: $vgpr1
	s_cbranch_execnz .LBB660_639
.LBB660_623:
	s_delay_alu instid0(VALU_DEP_1)
	s_and_saveexec_b32 s3, s2
	s_cbranch_execz .LBB660_625
.LBB660_624:
	s_load_b32 s2, s[0:1], 0x28
	s_cmp_lg_u64 s[20:21], 0
	s_cselect_b32 vcc_lo, -1, 0
	s_lshl_b64 s[0:1], s[18:19], 2
	v_dual_cndmask_b32 v0, 0, v1 :: v_dual_mov_b32 v1, 0
	s_add_u32 s0, s22, s0
	s_addc_u32 s1, s23, s1
	s_waitcnt lgkmcnt(0)
	s_delay_alu instid0(VALU_DEP_1)
	v_add_nc_u32_e32 v0, s2, v0
	global_store_b32 v1, v0, s[0:1]
.LBB660_625:
	s_nop 0
	s_sendmsg sendmsg(MSG_DEALLOC_VGPRS)
	s_endpgm
.LBB660_626:
                                        ; implicit-def: $vgpr1
	s_branch .LBB660_623
.LBB660_627:
	s_mov_b32 s2, -1
                                        ; implicit-def: $vgpr1
.LBB660_628:
	s_delay_alu instid0(SALU_CYCLE_1)
	s_and_b32 vcc_lo, exec_lo, s2
	s_cbranch_vccz .LBB660_638
; %bb.629:
	s_sub_i32 s3, s20, s6
	s_mov_b32 s2, exec_lo
                                        ; implicit-def: $vgpr1_vgpr2
	v_cmpx_gt_u32_e64 s3, v0
	s_cbranch_execz .LBB660_631
; %bb.630:
	v_lshlrev_b32_e32 v1, 2, v0
	global_load_b32 v1, v1, s[4:5]
	s_waitcnt vmcnt(0)
	v_lshrrev_b32_e32 v2, 16, v1
	s_delay_alu instid0(VALU_DEP_1) | instskip(NEXT) | instid1(VALU_DEP_1)
	v_or_b32_e32 v1, v1, v2
	v_and_b32_e32 v1, 0x7fff, v1
	s_delay_alu instid0(VALU_DEP_1)
	v_cmp_ne_u16_e32 vcc_lo, 0, v1
	v_cndmask_b32_e64 v1, 0, 1, vcc_lo
.LBB660_631:
	s_or_b32 exec_lo, exec_lo, s2
	v_or_b32_e32 v3, 0x80, v0
	s_delay_alu instid0(VALU_DEP_1)
	v_cmp_gt_u32_e32 vcc_lo, s3, v3
	s_and_saveexec_b32 s6, vcc_lo
	s_cbranch_execz .LBB660_633
; %bb.632:
	v_lshlrev_b32_e32 v2, 2, v0
	global_load_b32 v2, v2, s[4:5] offset:512
	s_waitcnt vmcnt(0)
	v_lshrrev_b32_e32 v3, 16, v2
	s_delay_alu instid0(VALU_DEP_1) | instskip(NEXT) | instid1(VALU_DEP_1)
	v_or_b32_e32 v2, v2, v3
	v_and_b32_e32 v2, 0x7fff, v2
	s_delay_alu instid0(VALU_DEP_1) | instskip(NEXT) | instid1(VALU_DEP_1)
	v_cmp_ne_u16_e64 s2, 0, v2
	v_cndmask_b32_e64 v2, 0, 1, s2
.LBB660_633:
	s_or_b32 exec_lo, exec_lo, s6
	v_mbcnt_lo_u32_b32 v3, -1, 0
	s_delay_alu instid0(VALU_DEP_2) | instskip(SKIP_2) | instid1(VALU_DEP_2)
	v_cndmask_b32_e32 v2, 0, v2, vcc_lo
	s_min_u32 s2, s3, 0x80
	s_mov_b32 s3, exec_lo
	v_cmp_ne_u32_e32 vcc_lo, 31, v3
	v_add_nc_u32_e32 v6, 1, v3
	v_add_co_ci_u32_e32 v4, vcc_lo, 0, v3, vcc_lo
	v_cmp_gt_u32_e32 vcc_lo, 30, v3
	v_cndmask_b32_e64 v5, 0, 1, vcc_lo
	s_delay_alu instid0(VALU_DEP_1) | instskip(SKIP_3) | instid1(VALU_DEP_4)
	v_lshlrev_b32_e32 v5, 1, v5
	v_add_nc_u32_e32 v1, v2, v1
	v_lshlrev_b32_e32 v2, 2, v4
	v_and_b32_e32 v4, 0x60, v0
	v_add_lshl_u32 v5, v5, v3, 2
	ds_bpermute_b32 v2, v2, v1
	v_sub_nc_u32_e64 v4, s2, v4 clamp
	s_delay_alu instid0(VALU_DEP_1) | instskip(SKIP_4) | instid1(VALU_DEP_2)
	v_cmp_lt_u32_e32 vcc_lo, v6, v4
	v_add_nc_u32_e32 v6, 2, v3
	s_waitcnt lgkmcnt(0)
	v_cndmask_b32_e32 v2, 0, v2, vcc_lo
	v_cmp_gt_u32_e32 vcc_lo, 28, v3
	v_add_nc_u32_e32 v1, v2, v1
	ds_bpermute_b32 v2, v5, v1
	v_cndmask_b32_e64 v5, 0, 1, vcc_lo
	v_cmp_lt_u32_e32 vcc_lo, v6, v4
	v_add_nc_u32_e32 v6, 4, v3
	s_delay_alu instid0(VALU_DEP_3) | instskip(NEXT) | instid1(VALU_DEP_1)
	v_lshlrev_b32_e32 v5, 2, v5
	v_add_lshl_u32 v5, v5, v3, 2
	s_waitcnt lgkmcnt(0)
	v_cndmask_b32_e32 v2, 0, v2, vcc_lo
	v_cmp_gt_u32_e32 vcc_lo, 24, v3
	s_delay_alu instid0(VALU_DEP_2) | instskip(SKIP_4) | instid1(VALU_DEP_3)
	v_add_nc_u32_e32 v1, v1, v2
	ds_bpermute_b32 v2, v5, v1
	v_cndmask_b32_e64 v5, 0, 1, vcc_lo
	v_cmp_lt_u32_e32 vcc_lo, v6, v4
	v_add_nc_u32_e32 v6, 8, v3
	v_lshlrev_b32_e32 v5, 3, v5
	s_delay_alu instid0(VALU_DEP_1) | instskip(SKIP_3) | instid1(VALU_DEP_2)
	v_add_lshl_u32 v5, v5, v3, 2
	s_waitcnt lgkmcnt(0)
	v_cndmask_b32_e32 v2, 0, v2, vcc_lo
	v_cmp_gt_u32_e32 vcc_lo, 16, v3
	v_add_nc_u32_e32 v1, v1, v2
	ds_bpermute_b32 v2, v5, v1
	v_cndmask_b32_e64 v5, 0, 1, vcc_lo
	v_cmp_lt_u32_e32 vcc_lo, v6, v4
	s_delay_alu instid0(VALU_DEP_2) | instskip(NEXT) | instid1(VALU_DEP_1)
	v_lshlrev_b32_e32 v5, 4, v5
	v_add_lshl_u32 v5, v5, v3, 2
	s_waitcnt lgkmcnt(0)
	v_cndmask_b32_e32 v2, 0, v2, vcc_lo
	s_delay_alu instid0(VALU_DEP_1) | instskip(SKIP_2) | instid1(VALU_DEP_1)
	v_add_nc_u32_e32 v1, v1, v2
	ds_bpermute_b32 v2, v5, v1
	v_add_nc_u32_e32 v5, 16, v3
	v_cmp_lt_u32_e32 vcc_lo, v5, v4
	s_waitcnt lgkmcnt(0)
	v_cndmask_b32_e32 v2, 0, v2, vcc_lo
	s_delay_alu instid0(VALU_DEP_1)
	v_add_nc_u32_e32 v1, v1, v2
	v_cmpx_eq_u32_e32 0, v3
	s_cbranch_execz .LBB660_635
; %bb.634:
	v_lshrrev_b32_e32 v2, 3, v0
	s_delay_alu instid0(VALU_DEP_1)
	v_and_b32_e32 v2, 12, v2
	ds_store_b32 v2, v1 offset:128
.LBB660_635:
	s_or_b32 exec_lo, exec_lo, s3
	s_delay_alu instid0(SALU_CYCLE_1)
	s_mov_b32 s3, exec_lo
	s_waitcnt lgkmcnt(0)
	s_barrier
	buffer_gl0_inv
	v_cmpx_gt_u32_e32 4, v0
	s_cbranch_execz .LBB660_637
; %bb.636:
	v_and_b32_e32 v2, 3, v3
	s_add_i32 s2, s2, 31
	s_delay_alu instid0(SALU_CYCLE_1) | instskip(NEXT) | instid1(VALU_DEP_1)
	s_lshr_b32 s2, s2, 5
	v_cmp_ne_u32_e32 vcc_lo, 3, v2
	v_add_nc_u32_e32 v5, 1, v2
	v_add_co_ci_u32_e32 v4, vcc_lo, 0, v3, vcc_lo
	v_cmp_gt_u32_e32 vcc_lo, 2, v2
	v_add_nc_u32_e32 v2, 2, v2
	s_delay_alu instid0(VALU_DEP_3) | instskip(SKIP_3) | instid1(VALU_DEP_3)
	v_lshlrev_b32_e32 v4, 2, v4
	v_cndmask_b32_e64 v6, 0, 1, vcc_lo
	v_cmp_gt_u32_e32 vcc_lo, s2, v5
	v_lshlrev_b32_e32 v1, 2, v3
	v_lshlrev_b32_e32 v5, 1, v6
	ds_load_b32 v1, v1 offset:128
	v_add_lshl_u32 v3, v5, v3, 2
	s_waitcnt lgkmcnt(0)
	ds_bpermute_b32 v4, v4, v1
	s_waitcnt lgkmcnt(0)
	v_cndmask_b32_e32 v4, 0, v4, vcc_lo
	v_cmp_gt_u32_e32 vcc_lo, s2, v2
	s_delay_alu instid0(VALU_DEP_2) | instskip(SKIP_3) | instid1(VALU_DEP_1)
	v_add_nc_u32_e32 v1, v4, v1
	ds_bpermute_b32 v3, v3, v1
	s_waitcnt lgkmcnt(0)
	v_cndmask_b32_e32 v2, 0, v3, vcc_lo
	v_add_nc_u32_e32 v1, v1, v2
.LBB660_637:
	s_or_b32 exec_lo, exec_lo, s3
.LBB660_638:
	v_cmp_eq_u32_e64 s2, 0, v0
	s_branch .LBB660_623
.LBB660_639:
	s_cmp_eq_u32 s26, 1
	s_cbranch_scc0 .LBB660_647
; %bb.640:
	s_mov_b32 s5, 0
	v_mbcnt_lo_u32_b32 v2, -1, 0
	s_lshr_b64 s[2:3], s[20:21], 7
	s_mov_b32 s19, s5
	s_lshl_b32 s4, s18, 7
	s_cmp_lg_u64 s[2:3], s[18:19]
	s_cbranch_scc0 .LBB660_648
; %bb.641:
	s_lshl_b64 s[2:3], s[4:5], 2
	v_lshlrev_b32_e32 v1, 2, v0
	s_add_u32 s2, s24, s2
	s_addc_u32 s3, s25, s3
	global_load_b32 v1, v1, s[2:3]
	s_waitcnt vmcnt(0)
	v_lshrrev_b32_e32 v3, 16, v1
	s_delay_alu instid0(VALU_DEP_1) | instskip(NEXT) | instid1(VALU_DEP_1)
	v_or_b32_e32 v1, v1, v3
	v_and_b32_e32 v1, 0x7fff, v1
	s_delay_alu instid0(VALU_DEP_1) | instskip(SKIP_1) | instid1(VALU_DEP_1)
	v_cmp_ne_u16_e32 vcc_lo, 0, v1
	v_cndmask_b32_e64 v1, 0, 1, vcc_lo
	v_mov_b32_dpp v1, v1 quad_perm:[1,0,3,2] row_mask:0xf bank_mask:0xf
	s_delay_alu instid0(VALU_DEP_1) | instskip(SKIP_1) | instid1(VALU_DEP_1)
	v_add_co_ci_u32_e64 v3, s2, 0, v1, vcc_lo
	s_mov_b32 s2, exec_lo
	v_mov_b32_dpp v3, v3 quad_perm:[2,3,0,1] row_mask:0xf bank_mask:0xf
	s_delay_alu instid0(VALU_DEP_1) | instskip(NEXT) | instid1(VALU_DEP_1)
	v_add_co_ci_u32_e32 v1, vcc_lo, v3, v1, vcc_lo
	v_mov_b32_dpp v3, v1 row_ror:4 row_mask:0xf bank_mask:0xf
	s_delay_alu instid0(VALU_DEP_1) | instskip(NEXT) | instid1(VALU_DEP_1)
	v_add_nc_u32_e32 v1, v1, v3
	v_mov_b32_dpp v3, v1 row_ror:8 row_mask:0xf bank_mask:0xf
	s_delay_alu instid0(VALU_DEP_1)
	v_add_nc_u32_e32 v1, v1, v3
	ds_swizzle_b32 v3, v1 offset:swizzle(BROADCAST,32,15)
	s_waitcnt lgkmcnt(0)
	v_add_nc_u32_e32 v1, v1, v3
	v_mov_b32_e32 v3, 0
	ds_bpermute_b32 v1, v3, v1 offset:124
	v_cmpx_eq_u32_e32 0, v2
	s_cbranch_execz .LBB660_643
; %bb.642:
	v_lshrrev_b32_e32 v3, 3, v0
	s_delay_alu instid0(VALU_DEP_1)
	v_and_b32_e32 v3, 12, v3
	s_waitcnt lgkmcnt(0)
	ds_store_b32 v3, v1 offset:32
.LBB660_643:
	s_or_b32 exec_lo, exec_lo, s2
	s_delay_alu instid0(SALU_CYCLE_1)
	s_mov_b32 s2, exec_lo
	s_waitcnt lgkmcnt(0)
	s_barrier
	buffer_gl0_inv
	v_cmpx_gt_u32_e32 32, v0
	s_cbranch_execz .LBB660_645
; %bb.644:
	v_and_b32_e32 v1, 3, v2
	s_delay_alu instid0(VALU_DEP_1) | instskip(SKIP_4) | instid1(VALU_DEP_2)
	v_lshlrev_b32_e32 v3, 2, v1
	v_cmp_ne_u32_e32 vcc_lo, 3, v1
	ds_load_b32 v3, v3 offset:32
	v_add_co_ci_u32_e32 v4, vcc_lo, 0, v2, vcc_lo
	v_cmp_gt_u32_e32 vcc_lo, 2, v1
	v_lshlrev_b32_e32 v4, 2, v4
	v_cndmask_b32_e64 v1, 0, 1, vcc_lo
	s_delay_alu instid0(VALU_DEP_1) | instskip(NEXT) | instid1(VALU_DEP_1)
	v_lshlrev_b32_e32 v1, 1, v1
	v_add_lshl_u32 v1, v1, v2, 2
	s_waitcnt lgkmcnt(0)
	ds_bpermute_b32 v4, v4, v3
	s_waitcnt lgkmcnt(0)
	v_add_nc_u32_e32 v3, v4, v3
	ds_bpermute_b32 v1, v1, v3
	s_waitcnt lgkmcnt(0)
	v_add_nc_u32_e32 v1, v1, v3
.LBB660_645:
	s_or_b32 exec_lo, exec_lo, s2
.LBB660_646:
	v_cmp_eq_u32_e64 s2, 0, v0
	s_delay_alu instid0(VALU_DEP_1)
	s_and_saveexec_b32 s3, s2
	s_cbranch_execnz .LBB660_624
	s_branch .LBB660_625
.LBB660_647:
                                        ; implicit-def: $sgpr18_sgpr19
                                        ; implicit-def: $vgpr1
	s_and_saveexec_b32 s3, s2
	s_cbranch_execz .LBB660_625
	s_branch .LBB660_624
.LBB660_648:
                                        ; implicit-def: $vgpr1
	s_cbranch_execz .LBB660_646
; %bb.649:
	s_sub_i32 s2, s20, s4
	s_mov_b32 s3, exec_lo
                                        ; implicit-def: $vgpr1
	v_cmpx_gt_u32_e64 s2, v0
	s_cbranch_execz .LBB660_651
; %bb.650:
	s_lshl_b64 s[4:5], s[4:5], 2
	v_lshlrev_b32_e32 v1, 2, v0
	s_add_u32 s4, s24, s4
	s_addc_u32 s5, s25, s5
	global_load_b32 v1, v1, s[4:5]
	s_waitcnt vmcnt(0)
	v_lshrrev_b32_e32 v3, 16, v1
	s_delay_alu instid0(VALU_DEP_1) | instskip(NEXT) | instid1(VALU_DEP_1)
	v_or_b32_e32 v1, v1, v3
	v_and_b32_e32 v1, 0x7fff, v1
	s_delay_alu instid0(VALU_DEP_1)
	v_cmp_ne_u16_e32 vcc_lo, 0, v1
	v_cndmask_b32_e64 v1, 0, 1, vcc_lo
.LBB660_651:
	s_or_b32 exec_lo, exec_lo, s3
	v_cmp_ne_u32_e32 vcc_lo, 31, v2
	s_min_u32 s2, s2, 0x80
	v_add_nc_u32_e32 v5, 1, v2
	s_mov_b32 s3, exec_lo
	v_add_co_ci_u32_e32 v3, vcc_lo, 0, v2, vcc_lo
	v_cmp_gt_u32_e32 vcc_lo, 30, v2
	s_delay_alu instid0(VALU_DEP_2) | instskip(SKIP_4) | instid1(VALU_DEP_2)
	v_lshlrev_b32_e32 v3, 2, v3
	v_cndmask_b32_e64 v6, 0, 1, vcc_lo
	ds_bpermute_b32 v3, v3, v1
	v_and_b32_e32 v4, 0x60, v0
	v_lshlrev_b32_e32 v6, 1, v6
	v_sub_nc_u32_e64 v4, s2, v4 clamp
	s_delay_alu instid0(VALU_DEP_1) | instskip(NEXT) | instid1(VALU_DEP_3)
	v_cmp_lt_u32_e32 vcc_lo, v5, v4
	v_add_lshl_u32 v5, v6, v2, 2
	s_waitcnt lgkmcnt(0)
	v_dual_cndmask_b32 v3, 0, v3 :: v_dual_add_nc_u32 v6, 2, v2
	v_cmp_gt_u32_e32 vcc_lo, 28, v2
	s_delay_alu instid0(VALU_DEP_2) | instskip(SKIP_4) | instid1(VALU_DEP_3)
	v_add_nc_u32_e32 v1, v3, v1
	ds_bpermute_b32 v3, v5, v1
	v_cndmask_b32_e64 v5, 0, 1, vcc_lo
	v_cmp_lt_u32_e32 vcc_lo, v6, v4
	v_add_nc_u32_e32 v6, 4, v2
	v_lshlrev_b32_e32 v5, 2, v5
	s_delay_alu instid0(VALU_DEP_1) | instskip(SKIP_3) | instid1(VALU_DEP_2)
	v_add_lshl_u32 v5, v5, v2, 2
	s_waitcnt lgkmcnt(0)
	v_cndmask_b32_e32 v3, 0, v3, vcc_lo
	v_cmp_gt_u32_e32 vcc_lo, 24, v2
	v_add_nc_u32_e32 v1, v1, v3
	ds_bpermute_b32 v3, v5, v1
	v_cndmask_b32_e64 v5, 0, 1, vcc_lo
	v_cmp_lt_u32_e32 vcc_lo, v6, v4
	v_add_nc_u32_e32 v6, 8, v2
	s_delay_alu instid0(VALU_DEP_3) | instskip(NEXT) | instid1(VALU_DEP_1)
	v_lshlrev_b32_e32 v5, 3, v5
	v_add_lshl_u32 v5, v5, v2, 2
	s_waitcnt lgkmcnt(0)
	v_cndmask_b32_e32 v3, 0, v3, vcc_lo
	v_cmp_gt_u32_e32 vcc_lo, 16, v2
	s_delay_alu instid0(VALU_DEP_2) | instskip(SKIP_3) | instid1(VALU_DEP_2)
	v_add_nc_u32_e32 v1, v1, v3
	ds_bpermute_b32 v3, v5, v1
	v_cndmask_b32_e64 v5, 0, 1, vcc_lo
	v_cmp_lt_u32_e32 vcc_lo, v6, v4
	v_lshlrev_b32_e32 v5, 4, v5
	s_delay_alu instid0(VALU_DEP_1) | instskip(SKIP_2) | instid1(VALU_DEP_1)
	v_add_lshl_u32 v5, v5, v2, 2
	s_waitcnt lgkmcnt(0)
	v_cndmask_b32_e32 v3, 0, v3, vcc_lo
	v_add_nc_u32_e32 v1, v1, v3
	ds_bpermute_b32 v3, v5, v1
	v_add_nc_u32_e32 v5, 16, v2
	s_delay_alu instid0(VALU_DEP_1) | instskip(SKIP_2) | instid1(VALU_DEP_1)
	v_cmp_lt_u32_e32 vcc_lo, v5, v4
	s_waitcnt lgkmcnt(0)
	v_cndmask_b32_e32 v3, 0, v3, vcc_lo
	v_add_nc_u32_e32 v1, v1, v3
	v_cmpx_eq_u32_e32 0, v2
	s_cbranch_execz .LBB660_653
; %bb.652:
	v_lshrrev_b32_e32 v3, 3, v0
	s_delay_alu instid0(VALU_DEP_1)
	v_and_b32_e32 v3, 12, v3
	ds_store_b32 v3, v1 offset:128
.LBB660_653:
	s_or_b32 exec_lo, exec_lo, s3
	s_delay_alu instid0(SALU_CYCLE_1)
	s_mov_b32 s3, exec_lo
	s_waitcnt lgkmcnt(0)
	s_barrier
	buffer_gl0_inv
	v_cmpx_gt_u32_e32 4, v0
	s_cbranch_execz .LBB660_655
; %bb.654:
	v_and_b32_e32 v3, 3, v2
	s_add_i32 s2, s2, 31
	s_delay_alu instid0(SALU_CYCLE_1) | instskip(NEXT) | instid1(VALU_DEP_1)
	s_lshr_b32 s2, s2, 5
	v_cmp_ne_u32_e32 vcc_lo, 3, v3
	v_add_nc_u32_e32 v5, 1, v3
	v_add_co_ci_u32_e32 v4, vcc_lo, 0, v2, vcc_lo
	v_cmp_gt_u32_e32 vcc_lo, 2, v3
	v_add_nc_u32_e32 v3, 2, v3
	s_delay_alu instid0(VALU_DEP_3) | instskip(SKIP_3) | instid1(VALU_DEP_3)
	v_lshlrev_b32_e32 v4, 2, v4
	v_cndmask_b32_e64 v6, 0, 1, vcc_lo
	v_cmp_gt_u32_e32 vcc_lo, s2, v5
	v_lshlrev_b32_e32 v1, 2, v2
	v_lshlrev_b32_e32 v5, 1, v6
	ds_load_b32 v1, v1 offset:128
	v_add_lshl_u32 v2, v5, v2, 2
	s_waitcnt lgkmcnt(0)
	ds_bpermute_b32 v4, v4, v1
	s_waitcnt lgkmcnt(0)
	v_cndmask_b32_e32 v4, 0, v4, vcc_lo
	v_cmp_gt_u32_e32 vcc_lo, s2, v3
	s_delay_alu instid0(VALU_DEP_2) | instskip(SKIP_3) | instid1(VALU_DEP_1)
	v_add_nc_u32_e32 v1, v4, v1
	ds_bpermute_b32 v2, v2, v1
	s_waitcnt lgkmcnt(0)
	v_cndmask_b32_e32 v2, 0, v2, vcc_lo
	v_add_nc_u32_e32 v1, v1, v2
.LBB660_655:
	s_or_b32 exec_lo, exec_lo, s3
	v_cmp_eq_u32_e64 s2, 0, v0
	s_delay_alu instid0(VALU_DEP_1)
	s_and_saveexec_b32 s3, s2
	s_cbranch_execnz .LBB660_624
	s_branch .LBB660_625
	.section	.rodata,"a",@progbits
	.p2align	6, 0x0
	.amdhsa_kernel _ZN7rocprim17ROCPRIM_400000_NS6detail17trampoline_kernelINS0_14default_configENS1_22reduce_config_selectorIbEEZNS1_11reduce_implILb1ES3_N6hipcub16HIPCUB_304000_NS22TransformInputIteratorIbN2at6native12_GLOBAL__N_19NonZeroOpIN3c107complexINSE_4HalfEEEEEPKSH_lEEPiiNS8_6detail34convert_binary_result_type_wrapperINS8_3SumESL_iEEEE10hipError_tPvRmT1_T2_T3_mT4_P12ihipStream_tbEUlT_E1_NS1_11comp_targetILNS1_3genE9ELNS1_11target_archE1100ELNS1_3gpuE3ELNS1_3repE0EEENS1_30default_config_static_selectorELNS0_4arch9wavefront6targetE0EEEvSU_
		.amdhsa_group_segment_fixed_size 144
		.amdhsa_private_segment_fixed_size 0
		.amdhsa_kernarg_size 48
		.amdhsa_user_sgpr_count 15
		.amdhsa_user_sgpr_dispatch_ptr 0
		.amdhsa_user_sgpr_queue_ptr 0
		.amdhsa_user_sgpr_kernarg_segment_ptr 1
		.amdhsa_user_sgpr_dispatch_id 0
		.amdhsa_user_sgpr_private_segment_size 0
		.amdhsa_wavefront_size32 1
		.amdhsa_uses_dynamic_stack 0
		.amdhsa_enable_private_segment 0
		.amdhsa_system_sgpr_workgroup_id_x 1
		.amdhsa_system_sgpr_workgroup_id_y 0
		.amdhsa_system_sgpr_workgroup_id_z 0
		.amdhsa_system_sgpr_workgroup_info 0
		.amdhsa_system_vgpr_workitem_id 0
		.amdhsa_next_free_vgpr 144
		.amdhsa_next_free_sgpr 29
		.amdhsa_reserve_vcc 1
		.amdhsa_float_round_mode_32 0
		.amdhsa_float_round_mode_16_64 0
		.amdhsa_float_denorm_mode_32 3
		.amdhsa_float_denorm_mode_16_64 3
		.amdhsa_dx10_clamp 1
		.amdhsa_ieee_mode 1
		.amdhsa_fp16_overflow 0
		.amdhsa_workgroup_processor_mode 1
		.amdhsa_memory_ordered 1
		.amdhsa_forward_progress 0
		.amdhsa_shared_vgpr_count 0
		.amdhsa_exception_fp_ieee_invalid_op 0
		.amdhsa_exception_fp_denorm_src 0
		.amdhsa_exception_fp_ieee_div_zero 0
		.amdhsa_exception_fp_ieee_overflow 0
		.amdhsa_exception_fp_ieee_underflow 0
		.amdhsa_exception_fp_ieee_inexact 0
		.amdhsa_exception_int_div_zero 0
	.end_amdhsa_kernel
	.section	.text._ZN7rocprim17ROCPRIM_400000_NS6detail17trampoline_kernelINS0_14default_configENS1_22reduce_config_selectorIbEEZNS1_11reduce_implILb1ES3_N6hipcub16HIPCUB_304000_NS22TransformInputIteratorIbN2at6native12_GLOBAL__N_19NonZeroOpIN3c107complexINSE_4HalfEEEEEPKSH_lEEPiiNS8_6detail34convert_binary_result_type_wrapperINS8_3SumESL_iEEEE10hipError_tPvRmT1_T2_T3_mT4_P12ihipStream_tbEUlT_E1_NS1_11comp_targetILNS1_3genE9ELNS1_11target_archE1100ELNS1_3gpuE3ELNS1_3repE0EEENS1_30default_config_static_selectorELNS0_4arch9wavefront6targetE0EEEvSU_,"axG",@progbits,_ZN7rocprim17ROCPRIM_400000_NS6detail17trampoline_kernelINS0_14default_configENS1_22reduce_config_selectorIbEEZNS1_11reduce_implILb1ES3_N6hipcub16HIPCUB_304000_NS22TransformInputIteratorIbN2at6native12_GLOBAL__N_19NonZeroOpIN3c107complexINSE_4HalfEEEEEPKSH_lEEPiiNS8_6detail34convert_binary_result_type_wrapperINS8_3SumESL_iEEEE10hipError_tPvRmT1_T2_T3_mT4_P12ihipStream_tbEUlT_E1_NS1_11comp_targetILNS1_3genE9ELNS1_11target_archE1100ELNS1_3gpuE3ELNS1_3repE0EEENS1_30default_config_static_selectorELNS0_4arch9wavefront6targetE0EEEvSU_,comdat
.Lfunc_end660:
	.size	_ZN7rocprim17ROCPRIM_400000_NS6detail17trampoline_kernelINS0_14default_configENS1_22reduce_config_selectorIbEEZNS1_11reduce_implILb1ES3_N6hipcub16HIPCUB_304000_NS22TransformInputIteratorIbN2at6native12_GLOBAL__N_19NonZeroOpIN3c107complexINSE_4HalfEEEEEPKSH_lEEPiiNS8_6detail34convert_binary_result_type_wrapperINS8_3SumESL_iEEEE10hipError_tPvRmT1_T2_T3_mT4_P12ihipStream_tbEUlT_E1_NS1_11comp_targetILNS1_3genE9ELNS1_11target_archE1100ELNS1_3gpuE3ELNS1_3repE0EEENS1_30default_config_static_selectorELNS0_4arch9wavefront6targetE0EEEvSU_, .Lfunc_end660-_ZN7rocprim17ROCPRIM_400000_NS6detail17trampoline_kernelINS0_14default_configENS1_22reduce_config_selectorIbEEZNS1_11reduce_implILb1ES3_N6hipcub16HIPCUB_304000_NS22TransformInputIteratorIbN2at6native12_GLOBAL__N_19NonZeroOpIN3c107complexINSE_4HalfEEEEEPKSH_lEEPiiNS8_6detail34convert_binary_result_type_wrapperINS8_3SumESL_iEEEE10hipError_tPvRmT1_T2_T3_mT4_P12ihipStream_tbEUlT_E1_NS1_11comp_targetILNS1_3genE9ELNS1_11target_archE1100ELNS1_3gpuE3ELNS1_3repE0EEENS1_30default_config_static_selectorELNS0_4arch9wavefront6targetE0EEEvSU_
                                        ; -- End function
	.section	.AMDGPU.csdata,"",@progbits
; Kernel info:
; codeLenInByte = 41336
; NumSgprs: 31
; NumVgprs: 144
; ScratchSize: 0
; MemoryBound: 0
; FloatMode: 240
; IeeeMode: 1
; LDSByteSize: 144 bytes/workgroup (compile time only)
; SGPRBlocks: 3
; VGPRBlocks: 17
; NumSGPRsForWavesPerEU: 31
; NumVGPRsForWavesPerEU: 144
; Occupancy: 10
; WaveLimiterHint : 1
; COMPUTE_PGM_RSRC2:SCRATCH_EN: 0
; COMPUTE_PGM_RSRC2:USER_SGPR: 15
; COMPUTE_PGM_RSRC2:TRAP_HANDLER: 0
; COMPUTE_PGM_RSRC2:TGID_X_EN: 1
; COMPUTE_PGM_RSRC2:TGID_Y_EN: 0
; COMPUTE_PGM_RSRC2:TGID_Z_EN: 0
; COMPUTE_PGM_RSRC2:TIDIG_COMP_CNT: 0
	.section	.text._ZN7rocprim17ROCPRIM_400000_NS6detail17trampoline_kernelINS0_14default_configENS1_22reduce_config_selectorIbEEZNS1_11reduce_implILb1ES3_N6hipcub16HIPCUB_304000_NS22TransformInputIteratorIbN2at6native12_GLOBAL__N_19NonZeroOpIN3c107complexINSE_4HalfEEEEEPKSH_lEEPiiNS8_6detail34convert_binary_result_type_wrapperINS8_3SumESL_iEEEE10hipError_tPvRmT1_T2_T3_mT4_P12ihipStream_tbEUlT_E1_NS1_11comp_targetILNS1_3genE8ELNS1_11target_archE1030ELNS1_3gpuE2ELNS1_3repE0EEENS1_30default_config_static_selectorELNS0_4arch9wavefront6targetE0EEEvSU_,"axG",@progbits,_ZN7rocprim17ROCPRIM_400000_NS6detail17trampoline_kernelINS0_14default_configENS1_22reduce_config_selectorIbEEZNS1_11reduce_implILb1ES3_N6hipcub16HIPCUB_304000_NS22TransformInputIteratorIbN2at6native12_GLOBAL__N_19NonZeroOpIN3c107complexINSE_4HalfEEEEEPKSH_lEEPiiNS8_6detail34convert_binary_result_type_wrapperINS8_3SumESL_iEEEE10hipError_tPvRmT1_T2_T3_mT4_P12ihipStream_tbEUlT_E1_NS1_11comp_targetILNS1_3genE8ELNS1_11target_archE1030ELNS1_3gpuE2ELNS1_3repE0EEENS1_30default_config_static_selectorELNS0_4arch9wavefront6targetE0EEEvSU_,comdat
	.globl	_ZN7rocprim17ROCPRIM_400000_NS6detail17trampoline_kernelINS0_14default_configENS1_22reduce_config_selectorIbEEZNS1_11reduce_implILb1ES3_N6hipcub16HIPCUB_304000_NS22TransformInputIteratorIbN2at6native12_GLOBAL__N_19NonZeroOpIN3c107complexINSE_4HalfEEEEEPKSH_lEEPiiNS8_6detail34convert_binary_result_type_wrapperINS8_3SumESL_iEEEE10hipError_tPvRmT1_T2_T3_mT4_P12ihipStream_tbEUlT_E1_NS1_11comp_targetILNS1_3genE8ELNS1_11target_archE1030ELNS1_3gpuE2ELNS1_3repE0EEENS1_30default_config_static_selectorELNS0_4arch9wavefront6targetE0EEEvSU_ ; -- Begin function _ZN7rocprim17ROCPRIM_400000_NS6detail17trampoline_kernelINS0_14default_configENS1_22reduce_config_selectorIbEEZNS1_11reduce_implILb1ES3_N6hipcub16HIPCUB_304000_NS22TransformInputIteratorIbN2at6native12_GLOBAL__N_19NonZeroOpIN3c107complexINSE_4HalfEEEEEPKSH_lEEPiiNS8_6detail34convert_binary_result_type_wrapperINS8_3SumESL_iEEEE10hipError_tPvRmT1_T2_T3_mT4_P12ihipStream_tbEUlT_E1_NS1_11comp_targetILNS1_3genE8ELNS1_11target_archE1030ELNS1_3gpuE2ELNS1_3repE0EEENS1_30default_config_static_selectorELNS0_4arch9wavefront6targetE0EEEvSU_
	.p2align	8
	.type	_ZN7rocprim17ROCPRIM_400000_NS6detail17trampoline_kernelINS0_14default_configENS1_22reduce_config_selectorIbEEZNS1_11reduce_implILb1ES3_N6hipcub16HIPCUB_304000_NS22TransformInputIteratorIbN2at6native12_GLOBAL__N_19NonZeroOpIN3c107complexINSE_4HalfEEEEEPKSH_lEEPiiNS8_6detail34convert_binary_result_type_wrapperINS8_3SumESL_iEEEE10hipError_tPvRmT1_T2_T3_mT4_P12ihipStream_tbEUlT_E1_NS1_11comp_targetILNS1_3genE8ELNS1_11target_archE1030ELNS1_3gpuE2ELNS1_3repE0EEENS1_30default_config_static_selectorELNS0_4arch9wavefront6targetE0EEEvSU_,@function
_ZN7rocprim17ROCPRIM_400000_NS6detail17trampoline_kernelINS0_14default_configENS1_22reduce_config_selectorIbEEZNS1_11reduce_implILb1ES3_N6hipcub16HIPCUB_304000_NS22TransformInputIteratorIbN2at6native12_GLOBAL__N_19NonZeroOpIN3c107complexINSE_4HalfEEEEEPKSH_lEEPiiNS8_6detail34convert_binary_result_type_wrapperINS8_3SumESL_iEEEE10hipError_tPvRmT1_T2_T3_mT4_P12ihipStream_tbEUlT_E1_NS1_11comp_targetILNS1_3genE8ELNS1_11target_archE1030ELNS1_3gpuE2ELNS1_3repE0EEENS1_30default_config_static_selectorELNS0_4arch9wavefront6targetE0EEEvSU_: ; @_ZN7rocprim17ROCPRIM_400000_NS6detail17trampoline_kernelINS0_14default_configENS1_22reduce_config_selectorIbEEZNS1_11reduce_implILb1ES3_N6hipcub16HIPCUB_304000_NS22TransformInputIteratorIbN2at6native12_GLOBAL__N_19NonZeroOpIN3c107complexINSE_4HalfEEEEEPKSH_lEEPiiNS8_6detail34convert_binary_result_type_wrapperINS8_3SumESL_iEEEE10hipError_tPvRmT1_T2_T3_mT4_P12ihipStream_tbEUlT_E1_NS1_11comp_targetILNS1_3genE8ELNS1_11target_archE1030ELNS1_3gpuE2ELNS1_3repE0EEENS1_30default_config_static_selectorELNS0_4arch9wavefront6targetE0EEEvSU_
; %bb.0:
	.section	.rodata,"a",@progbits
	.p2align	6, 0x0
	.amdhsa_kernel _ZN7rocprim17ROCPRIM_400000_NS6detail17trampoline_kernelINS0_14default_configENS1_22reduce_config_selectorIbEEZNS1_11reduce_implILb1ES3_N6hipcub16HIPCUB_304000_NS22TransformInputIteratorIbN2at6native12_GLOBAL__N_19NonZeroOpIN3c107complexINSE_4HalfEEEEEPKSH_lEEPiiNS8_6detail34convert_binary_result_type_wrapperINS8_3SumESL_iEEEE10hipError_tPvRmT1_T2_T3_mT4_P12ihipStream_tbEUlT_E1_NS1_11comp_targetILNS1_3genE8ELNS1_11target_archE1030ELNS1_3gpuE2ELNS1_3repE0EEENS1_30default_config_static_selectorELNS0_4arch9wavefront6targetE0EEEvSU_
		.amdhsa_group_segment_fixed_size 0
		.amdhsa_private_segment_fixed_size 0
		.amdhsa_kernarg_size 48
		.amdhsa_user_sgpr_count 15
		.amdhsa_user_sgpr_dispatch_ptr 0
		.amdhsa_user_sgpr_queue_ptr 0
		.amdhsa_user_sgpr_kernarg_segment_ptr 1
		.amdhsa_user_sgpr_dispatch_id 0
		.amdhsa_user_sgpr_private_segment_size 0
		.amdhsa_wavefront_size32 1
		.amdhsa_uses_dynamic_stack 0
		.amdhsa_enable_private_segment 0
		.amdhsa_system_sgpr_workgroup_id_x 1
		.amdhsa_system_sgpr_workgroup_id_y 0
		.amdhsa_system_sgpr_workgroup_id_z 0
		.amdhsa_system_sgpr_workgroup_info 0
		.amdhsa_system_vgpr_workitem_id 0
		.amdhsa_next_free_vgpr 1
		.amdhsa_next_free_sgpr 1
		.amdhsa_reserve_vcc 0
		.amdhsa_float_round_mode_32 0
		.amdhsa_float_round_mode_16_64 0
		.amdhsa_float_denorm_mode_32 3
		.amdhsa_float_denorm_mode_16_64 3
		.amdhsa_dx10_clamp 1
		.amdhsa_ieee_mode 1
		.amdhsa_fp16_overflow 0
		.amdhsa_workgroup_processor_mode 1
		.amdhsa_memory_ordered 1
		.amdhsa_forward_progress 0
		.amdhsa_shared_vgpr_count 0
		.amdhsa_exception_fp_ieee_invalid_op 0
		.amdhsa_exception_fp_denorm_src 0
		.amdhsa_exception_fp_ieee_div_zero 0
		.amdhsa_exception_fp_ieee_overflow 0
		.amdhsa_exception_fp_ieee_underflow 0
		.amdhsa_exception_fp_ieee_inexact 0
		.amdhsa_exception_int_div_zero 0
	.end_amdhsa_kernel
	.section	.text._ZN7rocprim17ROCPRIM_400000_NS6detail17trampoline_kernelINS0_14default_configENS1_22reduce_config_selectorIbEEZNS1_11reduce_implILb1ES3_N6hipcub16HIPCUB_304000_NS22TransformInputIteratorIbN2at6native12_GLOBAL__N_19NonZeroOpIN3c107complexINSE_4HalfEEEEEPKSH_lEEPiiNS8_6detail34convert_binary_result_type_wrapperINS8_3SumESL_iEEEE10hipError_tPvRmT1_T2_T3_mT4_P12ihipStream_tbEUlT_E1_NS1_11comp_targetILNS1_3genE8ELNS1_11target_archE1030ELNS1_3gpuE2ELNS1_3repE0EEENS1_30default_config_static_selectorELNS0_4arch9wavefront6targetE0EEEvSU_,"axG",@progbits,_ZN7rocprim17ROCPRIM_400000_NS6detail17trampoline_kernelINS0_14default_configENS1_22reduce_config_selectorIbEEZNS1_11reduce_implILb1ES3_N6hipcub16HIPCUB_304000_NS22TransformInputIteratorIbN2at6native12_GLOBAL__N_19NonZeroOpIN3c107complexINSE_4HalfEEEEEPKSH_lEEPiiNS8_6detail34convert_binary_result_type_wrapperINS8_3SumESL_iEEEE10hipError_tPvRmT1_T2_T3_mT4_P12ihipStream_tbEUlT_E1_NS1_11comp_targetILNS1_3genE8ELNS1_11target_archE1030ELNS1_3gpuE2ELNS1_3repE0EEENS1_30default_config_static_selectorELNS0_4arch9wavefront6targetE0EEEvSU_,comdat
.Lfunc_end661:
	.size	_ZN7rocprim17ROCPRIM_400000_NS6detail17trampoline_kernelINS0_14default_configENS1_22reduce_config_selectorIbEEZNS1_11reduce_implILb1ES3_N6hipcub16HIPCUB_304000_NS22TransformInputIteratorIbN2at6native12_GLOBAL__N_19NonZeroOpIN3c107complexINSE_4HalfEEEEEPKSH_lEEPiiNS8_6detail34convert_binary_result_type_wrapperINS8_3SumESL_iEEEE10hipError_tPvRmT1_T2_T3_mT4_P12ihipStream_tbEUlT_E1_NS1_11comp_targetILNS1_3genE8ELNS1_11target_archE1030ELNS1_3gpuE2ELNS1_3repE0EEENS1_30default_config_static_selectorELNS0_4arch9wavefront6targetE0EEEvSU_, .Lfunc_end661-_ZN7rocprim17ROCPRIM_400000_NS6detail17trampoline_kernelINS0_14default_configENS1_22reduce_config_selectorIbEEZNS1_11reduce_implILb1ES3_N6hipcub16HIPCUB_304000_NS22TransformInputIteratorIbN2at6native12_GLOBAL__N_19NonZeroOpIN3c107complexINSE_4HalfEEEEEPKSH_lEEPiiNS8_6detail34convert_binary_result_type_wrapperINS8_3SumESL_iEEEE10hipError_tPvRmT1_T2_T3_mT4_P12ihipStream_tbEUlT_E1_NS1_11comp_targetILNS1_3genE8ELNS1_11target_archE1030ELNS1_3gpuE2ELNS1_3repE0EEENS1_30default_config_static_selectorELNS0_4arch9wavefront6targetE0EEEvSU_
                                        ; -- End function
	.section	.AMDGPU.csdata,"",@progbits
; Kernel info:
; codeLenInByte = 0
; NumSgprs: 0
; NumVgprs: 0
; ScratchSize: 0
; MemoryBound: 0
; FloatMode: 240
; IeeeMode: 1
; LDSByteSize: 0 bytes/workgroup (compile time only)
; SGPRBlocks: 0
; VGPRBlocks: 0
; NumSGPRsForWavesPerEU: 1
; NumVGPRsForWavesPerEU: 1
; Occupancy: 16
; WaveLimiterHint : 0
; COMPUTE_PGM_RSRC2:SCRATCH_EN: 0
; COMPUTE_PGM_RSRC2:USER_SGPR: 15
; COMPUTE_PGM_RSRC2:TRAP_HANDLER: 0
; COMPUTE_PGM_RSRC2:TGID_X_EN: 1
; COMPUTE_PGM_RSRC2:TGID_Y_EN: 0
; COMPUTE_PGM_RSRC2:TGID_Z_EN: 0
; COMPUTE_PGM_RSRC2:TIDIG_COMP_CNT: 0
	.section	.text._ZN7rocprim17ROCPRIM_400000_NS6detail17trampoline_kernelINS0_14default_configENS1_25partition_config_selectorILNS1_17partition_subalgoE5ElNS0_10empty_typeEbEEZZNS1_14partition_implILS5_5ELb0ES3_mN6hipcub16HIPCUB_304000_NS21CountingInputIteratorIllEEPS6_NSA_22TransformInputIteratorIbN2at6native12_GLOBAL__N_19NonZeroOpIN3c107complexINSJ_4HalfEEEEEPKSM_lEENS0_5tupleIJPlS6_EEENSR_IJSD_SD_EEES6_PiJS6_EEE10hipError_tPvRmT3_T4_T5_T6_T7_T9_mT8_P12ihipStream_tbDpT10_ENKUlT_T0_E_clISt17integral_constantIbLb0EES1F_EEDaS1A_S1B_EUlS1A_E_NS1_11comp_targetILNS1_3genE0ELNS1_11target_archE4294967295ELNS1_3gpuE0ELNS1_3repE0EEENS1_30default_config_static_selectorELNS0_4arch9wavefront6targetE0EEEvT1_,"axG",@progbits,_ZN7rocprim17ROCPRIM_400000_NS6detail17trampoline_kernelINS0_14default_configENS1_25partition_config_selectorILNS1_17partition_subalgoE5ElNS0_10empty_typeEbEEZZNS1_14partition_implILS5_5ELb0ES3_mN6hipcub16HIPCUB_304000_NS21CountingInputIteratorIllEEPS6_NSA_22TransformInputIteratorIbN2at6native12_GLOBAL__N_19NonZeroOpIN3c107complexINSJ_4HalfEEEEEPKSM_lEENS0_5tupleIJPlS6_EEENSR_IJSD_SD_EEES6_PiJS6_EEE10hipError_tPvRmT3_T4_T5_T6_T7_T9_mT8_P12ihipStream_tbDpT10_ENKUlT_T0_E_clISt17integral_constantIbLb0EES1F_EEDaS1A_S1B_EUlS1A_E_NS1_11comp_targetILNS1_3genE0ELNS1_11target_archE4294967295ELNS1_3gpuE0ELNS1_3repE0EEENS1_30default_config_static_selectorELNS0_4arch9wavefront6targetE0EEEvT1_,comdat
	.globl	_ZN7rocprim17ROCPRIM_400000_NS6detail17trampoline_kernelINS0_14default_configENS1_25partition_config_selectorILNS1_17partition_subalgoE5ElNS0_10empty_typeEbEEZZNS1_14partition_implILS5_5ELb0ES3_mN6hipcub16HIPCUB_304000_NS21CountingInputIteratorIllEEPS6_NSA_22TransformInputIteratorIbN2at6native12_GLOBAL__N_19NonZeroOpIN3c107complexINSJ_4HalfEEEEEPKSM_lEENS0_5tupleIJPlS6_EEENSR_IJSD_SD_EEES6_PiJS6_EEE10hipError_tPvRmT3_T4_T5_T6_T7_T9_mT8_P12ihipStream_tbDpT10_ENKUlT_T0_E_clISt17integral_constantIbLb0EES1F_EEDaS1A_S1B_EUlS1A_E_NS1_11comp_targetILNS1_3genE0ELNS1_11target_archE4294967295ELNS1_3gpuE0ELNS1_3repE0EEENS1_30default_config_static_selectorELNS0_4arch9wavefront6targetE0EEEvT1_ ; -- Begin function _ZN7rocprim17ROCPRIM_400000_NS6detail17trampoline_kernelINS0_14default_configENS1_25partition_config_selectorILNS1_17partition_subalgoE5ElNS0_10empty_typeEbEEZZNS1_14partition_implILS5_5ELb0ES3_mN6hipcub16HIPCUB_304000_NS21CountingInputIteratorIllEEPS6_NSA_22TransformInputIteratorIbN2at6native12_GLOBAL__N_19NonZeroOpIN3c107complexINSJ_4HalfEEEEEPKSM_lEENS0_5tupleIJPlS6_EEENSR_IJSD_SD_EEES6_PiJS6_EEE10hipError_tPvRmT3_T4_T5_T6_T7_T9_mT8_P12ihipStream_tbDpT10_ENKUlT_T0_E_clISt17integral_constantIbLb0EES1F_EEDaS1A_S1B_EUlS1A_E_NS1_11comp_targetILNS1_3genE0ELNS1_11target_archE4294967295ELNS1_3gpuE0ELNS1_3repE0EEENS1_30default_config_static_selectorELNS0_4arch9wavefront6targetE0EEEvT1_
	.p2align	8
	.type	_ZN7rocprim17ROCPRIM_400000_NS6detail17trampoline_kernelINS0_14default_configENS1_25partition_config_selectorILNS1_17partition_subalgoE5ElNS0_10empty_typeEbEEZZNS1_14partition_implILS5_5ELb0ES3_mN6hipcub16HIPCUB_304000_NS21CountingInputIteratorIllEEPS6_NSA_22TransformInputIteratorIbN2at6native12_GLOBAL__N_19NonZeroOpIN3c107complexINSJ_4HalfEEEEEPKSM_lEENS0_5tupleIJPlS6_EEENSR_IJSD_SD_EEES6_PiJS6_EEE10hipError_tPvRmT3_T4_T5_T6_T7_T9_mT8_P12ihipStream_tbDpT10_ENKUlT_T0_E_clISt17integral_constantIbLb0EES1F_EEDaS1A_S1B_EUlS1A_E_NS1_11comp_targetILNS1_3genE0ELNS1_11target_archE4294967295ELNS1_3gpuE0ELNS1_3repE0EEENS1_30default_config_static_selectorELNS0_4arch9wavefront6targetE0EEEvT1_,@function
_ZN7rocprim17ROCPRIM_400000_NS6detail17trampoline_kernelINS0_14default_configENS1_25partition_config_selectorILNS1_17partition_subalgoE5ElNS0_10empty_typeEbEEZZNS1_14partition_implILS5_5ELb0ES3_mN6hipcub16HIPCUB_304000_NS21CountingInputIteratorIllEEPS6_NSA_22TransformInputIteratorIbN2at6native12_GLOBAL__N_19NonZeroOpIN3c107complexINSJ_4HalfEEEEEPKSM_lEENS0_5tupleIJPlS6_EEENSR_IJSD_SD_EEES6_PiJS6_EEE10hipError_tPvRmT3_T4_T5_T6_T7_T9_mT8_P12ihipStream_tbDpT10_ENKUlT_T0_E_clISt17integral_constantIbLb0EES1F_EEDaS1A_S1B_EUlS1A_E_NS1_11comp_targetILNS1_3genE0ELNS1_11target_archE4294967295ELNS1_3gpuE0ELNS1_3repE0EEENS1_30default_config_static_selectorELNS0_4arch9wavefront6targetE0EEEvT1_: ; @_ZN7rocprim17ROCPRIM_400000_NS6detail17trampoline_kernelINS0_14default_configENS1_25partition_config_selectorILNS1_17partition_subalgoE5ElNS0_10empty_typeEbEEZZNS1_14partition_implILS5_5ELb0ES3_mN6hipcub16HIPCUB_304000_NS21CountingInputIteratorIllEEPS6_NSA_22TransformInputIteratorIbN2at6native12_GLOBAL__N_19NonZeroOpIN3c107complexINSJ_4HalfEEEEEPKSM_lEENS0_5tupleIJPlS6_EEENSR_IJSD_SD_EEES6_PiJS6_EEE10hipError_tPvRmT3_T4_T5_T6_T7_T9_mT8_P12ihipStream_tbDpT10_ENKUlT_T0_E_clISt17integral_constantIbLb0EES1F_EEDaS1A_S1B_EUlS1A_E_NS1_11comp_targetILNS1_3genE0ELNS1_11target_archE4294967295ELNS1_3gpuE0ELNS1_3repE0EEENS1_30default_config_static_selectorELNS0_4arch9wavefront6targetE0EEEvT1_
; %bb.0:
	.section	.rodata,"a",@progbits
	.p2align	6, 0x0
	.amdhsa_kernel _ZN7rocprim17ROCPRIM_400000_NS6detail17trampoline_kernelINS0_14default_configENS1_25partition_config_selectorILNS1_17partition_subalgoE5ElNS0_10empty_typeEbEEZZNS1_14partition_implILS5_5ELb0ES3_mN6hipcub16HIPCUB_304000_NS21CountingInputIteratorIllEEPS6_NSA_22TransformInputIteratorIbN2at6native12_GLOBAL__N_19NonZeroOpIN3c107complexINSJ_4HalfEEEEEPKSM_lEENS0_5tupleIJPlS6_EEENSR_IJSD_SD_EEES6_PiJS6_EEE10hipError_tPvRmT3_T4_T5_T6_T7_T9_mT8_P12ihipStream_tbDpT10_ENKUlT_T0_E_clISt17integral_constantIbLb0EES1F_EEDaS1A_S1B_EUlS1A_E_NS1_11comp_targetILNS1_3genE0ELNS1_11target_archE4294967295ELNS1_3gpuE0ELNS1_3repE0EEENS1_30default_config_static_selectorELNS0_4arch9wavefront6targetE0EEEvT1_
		.amdhsa_group_segment_fixed_size 0
		.amdhsa_private_segment_fixed_size 0
		.amdhsa_kernarg_size 120
		.amdhsa_user_sgpr_count 15
		.amdhsa_user_sgpr_dispatch_ptr 0
		.amdhsa_user_sgpr_queue_ptr 0
		.amdhsa_user_sgpr_kernarg_segment_ptr 1
		.amdhsa_user_sgpr_dispatch_id 0
		.amdhsa_user_sgpr_private_segment_size 0
		.amdhsa_wavefront_size32 1
		.amdhsa_uses_dynamic_stack 0
		.amdhsa_enable_private_segment 0
		.amdhsa_system_sgpr_workgroup_id_x 1
		.amdhsa_system_sgpr_workgroup_id_y 0
		.amdhsa_system_sgpr_workgroup_id_z 0
		.amdhsa_system_sgpr_workgroup_info 0
		.amdhsa_system_vgpr_workitem_id 0
		.amdhsa_next_free_vgpr 1
		.amdhsa_next_free_sgpr 1
		.amdhsa_reserve_vcc 0
		.amdhsa_float_round_mode_32 0
		.amdhsa_float_round_mode_16_64 0
		.amdhsa_float_denorm_mode_32 3
		.amdhsa_float_denorm_mode_16_64 3
		.amdhsa_dx10_clamp 1
		.amdhsa_ieee_mode 1
		.amdhsa_fp16_overflow 0
		.amdhsa_workgroup_processor_mode 1
		.amdhsa_memory_ordered 1
		.amdhsa_forward_progress 0
		.amdhsa_shared_vgpr_count 0
		.amdhsa_exception_fp_ieee_invalid_op 0
		.amdhsa_exception_fp_denorm_src 0
		.amdhsa_exception_fp_ieee_div_zero 0
		.amdhsa_exception_fp_ieee_overflow 0
		.amdhsa_exception_fp_ieee_underflow 0
		.amdhsa_exception_fp_ieee_inexact 0
		.amdhsa_exception_int_div_zero 0
	.end_amdhsa_kernel
	.section	.text._ZN7rocprim17ROCPRIM_400000_NS6detail17trampoline_kernelINS0_14default_configENS1_25partition_config_selectorILNS1_17partition_subalgoE5ElNS0_10empty_typeEbEEZZNS1_14partition_implILS5_5ELb0ES3_mN6hipcub16HIPCUB_304000_NS21CountingInputIteratorIllEEPS6_NSA_22TransformInputIteratorIbN2at6native12_GLOBAL__N_19NonZeroOpIN3c107complexINSJ_4HalfEEEEEPKSM_lEENS0_5tupleIJPlS6_EEENSR_IJSD_SD_EEES6_PiJS6_EEE10hipError_tPvRmT3_T4_T5_T6_T7_T9_mT8_P12ihipStream_tbDpT10_ENKUlT_T0_E_clISt17integral_constantIbLb0EES1F_EEDaS1A_S1B_EUlS1A_E_NS1_11comp_targetILNS1_3genE0ELNS1_11target_archE4294967295ELNS1_3gpuE0ELNS1_3repE0EEENS1_30default_config_static_selectorELNS0_4arch9wavefront6targetE0EEEvT1_,"axG",@progbits,_ZN7rocprim17ROCPRIM_400000_NS6detail17trampoline_kernelINS0_14default_configENS1_25partition_config_selectorILNS1_17partition_subalgoE5ElNS0_10empty_typeEbEEZZNS1_14partition_implILS5_5ELb0ES3_mN6hipcub16HIPCUB_304000_NS21CountingInputIteratorIllEEPS6_NSA_22TransformInputIteratorIbN2at6native12_GLOBAL__N_19NonZeroOpIN3c107complexINSJ_4HalfEEEEEPKSM_lEENS0_5tupleIJPlS6_EEENSR_IJSD_SD_EEES6_PiJS6_EEE10hipError_tPvRmT3_T4_T5_T6_T7_T9_mT8_P12ihipStream_tbDpT10_ENKUlT_T0_E_clISt17integral_constantIbLb0EES1F_EEDaS1A_S1B_EUlS1A_E_NS1_11comp_targetILNS1_3genE0ELNS1_11target_archE4294967295ELNS1_3gpuE0ELNS1_3repE0EEENS1_30default_config_static_selectorELNS0_4arch9wavefront6targetE0EEEvT1_,comdat
.Lfunc_end662:
	.size	_ZN7rocprim17ROCPRIM_400000_NS6detail17trampoline_kernelINS0_14default_configENS1_25partition_config_selectorILNS1_17partition_subalgoE5ElNS0_10empty_typeEbEEZZNS1_14partition_implILS5_5ELb0ES3_mN6hipcub16HIPCUB_304000_NS21CountingInputIteratorIllEEPS6_NSA_22TransformInputIteratorIbN2at6native12_GLOBAL__N_19NonZeroOpIN3c107complexINSJ_4HalfEEEEEPKSM_lEENS0_5tupleIJPlS6_EEENSR_IJSD_SD_EEES6_PiJS6_EEE10hipError_tPvRmT3_T4_T5_T6_T7_T9_mT8_P12ihipStream_tbDpT10_ENKUlT_T0_E_clISt17integral_constantIbLb0EES1F_EEDaS1A_S1B_EUlS1A_E_NS1_11comp_targetILNS1_3genE0ELNS1_11target_archE4294967295ELNS1_3gpuE0ELNS1_3repE0EEENS1_30default_config_static_selectorELNS0_4arch9wavefront6targetE0EEEvT1_, .Lfunc_end662-_ZN7rocprim17ROCPRIM_400000_NS6detail17trampoline_kernelINS0_14default_configENS1_25partition_config_selectorILNS1_17partition_subalgoE5ElNS0_10empty_typeEbEEZZNS1_14partition_implILS5_5ELb0ES3_mN6hipcub16HIPCUB_304000_NS21CountingInputIteratorIllEEPS6_NSA_22TransformInputIteratorIbN2at6native12_GLOBAL__N_19NonZeroOpIN3c107complexINSJ_4HalfEEEEEPKSM_lEENS0_5tupleIJPlS6_EEENSR_IJSD_SD_EEES6_PiJS6_EEE10hipError_tPvRmT3_T4_T5_T6_T7_T9_mT8_P12ihipStream_tbDpT10_ENKUlT_T0_E_clISt17integral_constantIbLb0EES1F_EEDaS1A_S1B_EUlS1A_E_NS1_11comp_targetILNS1_3genE0ELNS1_11target_archE4294967295ELNS1_3gpuE0ELNS1_3repE0EEENS1_30default_config_static_selectorELNS0_4arch9wavefront6targetE0EEEvT1_
                                        ; -- End function
	.section	.AMDGPU.csdata,"",@progbits
; Kernel info:
; codeLenInByte = 0
; NumSgprs: 0
; NumVgprs: 0
; ScratchSize: 0
; MemoryBound: 0
; FloatMode: 240
; IeeeMode: 1
; LDSByteSize: 0 bytes/workgroup (compile time only)
; SGPRBlocks: 0
; VGPRBlocks: 0
; NumSGPRsForWavesPerEU: 1
; NumVGPRsForWavesPerEU: 1
; Occupancy: 16
; WaveLimiterHint : 0
; COMPUTE_PGM_RSRC2:SCRATCH_EN: 0
; COMPUTE_PGM_RSRC2:USER_SGPR: 15
; COMPUTE_PGM_RSRC2:TRAP_HANDLER: 0
; COMPUTE_PGM_RSRC2:TGID_X_EN: 1
; COMPUTE_PGM_RSRC2:TGID_Y_EN: 0
; COMPUTE_PGM_RSRC2:TGID_Z_EN: 0
; COMPUTE_PGM_RSRC2:TIDIG_COMP_CNT: 0
	.section	.text._ZN7rocprim17ROCPRIM_400000_NS6detail17trampoline_kernelINS0_14default_configENS1_25partition_config_selectorILNS1_17partition_subalgoE5ElNS0_10empty_typeEbEEZZNS1_14partition_implILS5_5ELb0ES3_mN6hipcub16HIPCUB_304000_NS21CountingInputIteratorIllEEPS6_NSA_22TransformInputIteratorIbN2at6native12_GLOBAL__N_19NonZeroOpIN3c107complexINSJ_4HalfEEEEEPKSM_lEENS0_5tupleIJPlS6_EEENSR_IJSD_SD_EEES6_PiJS6_EEE10hipError_tPvRmT3_T4_T5_T6_T7_T9_mT8_P12ihipStream_tbDpT10_ENKUlT_T0_E_clISt17integral_constantIbLb0EES1F_EEDaS1A_S1B_EUlS1A_E_NS1_11comp_targetILNS1_3genE5ELNS1_11target_archE942ELNS1_3gpuE9ELNS1_3repE0EEENS1_30default_config_static_selectorELNS0_4arch9wavefront6targetE0EEEvT1_,"axG",@progbits,_ZN7rocprim17ROCPRIM_400000_NS6detail17trampoline_kernelINS0_14default_configENS1_25partition_config_selectorILNS1_17partition_subalgoE5ElNS0_10empty_typeEbEEZZNS1_14partition_implILS5_5ELb0ES3_mN6hipcub16HIPCUB_304000_NS21CountingInputIteratorIllEEPS6_NSA_22TransformInputIteratorIbN2at6native12_GLOBAL__N_19NonZeroOpIN3c107complexINSJ_4HalfEEEEEPKSM_lEENS0_5tupleIJPlS6_EEENSR_IJSD_SD_EEES6_PiJS6_EEE10hipError_tPvRmT3_T4_T5_T6_T7_T9_mT8_P12ihipStream_tbDpT10_ENKUlT_T0_E_clISt17integral_constantIbLb0EES1F_EEDaS1A_S1B_EUlS1A_E_NS1_11comp_targetILNS1_3genE5ELNS1_11target_archE942ELNS1_3gpuE9ELNS1_3repE0EEENS1_30default_config_static_selectorELNS0_4arch9wavefront6targetE0EEEvT1_,comdat
	.globl	_ZN7rocprim17ROCPRIM_400000_NS6detail17trampoline_kernelINS0_14default_configENS1_25partition_config_selectorILNS1_17partition_subalgoE5ElNS0_10empty_typeEbEEZZNS1_14partition_implILS5_5ELb0ES3_mN6hipcub16HIPCUB_304000_NS21CountingInputIteratorIllEEPS6_NSA_22TransformInputIteratorIbN2at6native12_GLOBAL__N_19NonZeroOpIN3c107complexINSJ_4HalfEEEEEPKSM_lEENS0_5tupleIJPlS6_EEENSR_IJSD_SD_EEES6_PiJS6_EEE10hipError_tPvRmT3_T4_T5_T6_T7_T9_mT8_P12ihipStream_tbDpT10_ENKUlT_T0_E_clISt17integral_constantIbLb0EES1F_EEDaS1A_S1B_EUlS1A_E_NS1_11comp_targetILNS1_3genE5ELNS1_11target_archE942ELNS1_3gpuE9ELNS1_3repE0EEENS1_30default_config_static_selectorELNS0_4arch9wavefront6targetE0EEEvT1_ ; -- Begin function _ZN7rocprim17ROCPRIM_400000_NS6detail17trampoline_kernelINS0_14default_configENS1_25partition_config_selectorILNS1_17partition_subalgoE5ElNS0_10empty_typeEbEEZZNS1_14partition_implILS5_5ELb0ES3_mN6hipcub16HIPCUB_304000_NS21CountingInputIteratorIllEEPS6_NSA_22TransformInputIteratorIbN2at6native12_GLOBAL__N_19NonZeroOpIN3c107complexINSJ_4HalfEEEEEPKSM_lEENS0_5tupleIJPlS6_EEENSR_IJSD_SD_EEES6_PiJS6_EEE10hipError_tPvRmT3_T4_T5_T6_T7_T9_mT8_P12ihipStream_tbDpT10_ENKUlT_T0_E_clISt17integral_constantIbLb0EES1F_EEDaS1A_S1B_EUlS1A_E_NS1_11comp_targetILNS1_3genE5ELNS1_11target_archE942ELNS1_3gpuE9ELNS1_3repE0EEENS1_30default_config_static_selectorELNS0_4arch9wavefront6targetE0EEEvT1_
	.p2align	8
	.type	_ZN7rocprim17ROCPRIM_400000_NS6detail17trampoline_kernelINS0_14default_configENS1_25partition_config_selectorILNS1_17partition_subalgoE5ElNS0_10empty_typeEbEEZZNS1_14partition_implILS5_5ELb0ES3_mN6hipcub16HIPCUB_304000_NS21CountingInputIteratorIllEEPS6_NSA_22TransformInputIteratorIbN2at6native12_GLOBAL__N_19NonZeroOpIN3c107complexINSJ_4HalfEEEEEPKSM_lEENS0_5tupleIJPlS6_EEENSR_IJSD_SD_EEES6_PiJS6_EEE10hipError_tPvRmT3_T4_T5_T6_T7_T9_mT8_P12ihipStream_tbDpT10_ENKUlT_T0_E_clISt17integral_constantIbLb0EES1F_EEDaS1A_S1B_EUlS1A_E_NS1_11comp_targetILNS1_3genE5ELNS1_11target_archE942ELNS1_3gpuE9ELNS1_3repE0EEENS1_30default_config_static_selectorELNS0_4arch9wavefront6targetE0EEEvT1_,@function
_ZN7rocprim17ROCPRIM_400000_NS6detail17trampoline_kernelINS0_14default_configENS1_25partition_config_selectorILNS1_17partition_subalgoE5ElNS0_10empty_typeEbEEZZNS1_14partition_implILS5_5ELb0ES3_mN6hipcub16HIPCUB_304000_NS21CountingInputIteratorIllEEPS6_NSA_22TransformInputIteratorIbN2at6native12_GLOBAL__N_19NonZeroOpIN3c107complexINSJ_4HalfEEEEEPKSM_lEENS0_5tupleIJPlS6_EEENSR_IJSD_SD_EEES6_PiJS6_EEE10hipError_tPvRmT3_T4_T5_T6_T7_T9_mT8_P12ihipStream_tbDpT10_ENKUlT_T0_E_clISt17integral_constantIbLb0EES1F_EEDaS1A_S1B_EUlS1A_E_NS1_11comp_targetILNS1_3genE5ELNS1_11target_archE942ELNS1_3gpuE9ELNS1_3repE0EEENS1_30default_config_static_selectorELNS0_4arch9wavefront6targetE0EEEvT1_: ; @_ZN7rocprim17ROCPRIM_400000_NS6detail17trampoline_kernelINS0_14default_configENS1_25partition_config_selectorILNS1_17partition_subalgoE5ElNS0_10empty_typeEbEEZZNS1_14partition_implILS5_5ELb0ES3_mN6hipcub16HIPCUB_304000_NS21CountingInputIteratorIllEEPS6_NSA_22TransformInputIteratorIbN2at6native12_GLOBAL__N_19NonZeroOpIN3c107complexINSJ_4HalfEEEEEPKSM_lEENS0_5tupleIJPlS6_EEENSR_IJSD_SD_EEES6_PiJS6_EEE10hipError_tPvRmT3_T4_T5_T6_T7_T9_mT8_P12ihipStream_tbDpT10_ENKUlT_T0_E_clISt17integral_constantIbLb0EES1F_EEDaS1A_S1B_EUlS1A_E_NS1_11comp_targetILNS1_3genE5ELNS1_11target_archE942ELNS1_3gpuE9ELNS1_3repE0EEENS1_30default_config_static_selectorELNS0_4arch9wavefront6targetE0EEEvT1_
; %bb.0:
	.section	.rodata,"a",@progbits
	.p2align	6, 0x0
	.amdhsa_kernel _ZN7rocprim17ROCPRIM_400000_NS6detail17trampoline_kernelINS0_14default_configENS1_25partition_config_selectorILNS1_17partition_subalgoE5ElNS0_10empty_typeEbEEZZNS1_14partition_implILS5_5ELb0ES3_mN6hipcub16HIPCUB_304000_NS21CountingInputIteratorIllEEPS6_NSA_22TransformInputIteratorIbN2at6native12_GLOBAL__N_19NonZeroOpIN3c107complexINSJ_4HalfEEEEEPKSM_lEENS0_5tupleIJPlS6_EEENSR_IJSD_SD_EEES6_PiJS6_EEE10hipError_tPvRmT3_T4_T5_T6_T7_T9_mT8_P12ihipStream_tbDpT10_ENKUlT_T0_E_clISt17integral_constantIbLb0EES1F_EEDaS1A_S1B_EUlS1A_E_NS1_11comp_targetILNS1_3genE5ELNS1_11target_archE942ELNS1_3gpuE9ELNS1_3repE0EEENS1_30default_config_static_selectorELNS0_4arch9wavefront6targetE0EEEvT1_
		.amdhsa_group_segment_fixed_size 0
		.amdhsa_private_segment_fixed_size 0
		.amdhsa_kernarg_size 120
		.amdhsa_user_sgpr_count 15
		.amdhsa_user_sgpr_dispatch_ptr 0
		.amdhsa_user_sgpr_queue_ptr 0
		.amdhsa_user_sgpr_kernarg_segment_ptr 1
		.amdhsa_user_sgpr_dispatch_id 0
		.amdhsa_user_sgpr_private_segment_size 0
		.amdhsa_wavefront_size32 1
		.amdhsa_uses_dynamic_stack 0
		.amdhsa_enable_private_segment 0
		.amdhsa_system_sgpr_workgroup_id_x 1
		.amdhsa_system_sgpr_workgroup_id_y 0
		.amdhsa_system_sgpr_workgroup_id_z 0
		.amdhsa_system_sgpr_workgroup_info 0
		.amdhsa_system_vgpr_workitem_id 0
		.amdhsa_next_free_vgpr 1
		.amdhsa_next_free_sgpr 1
		.amdhsa_reserve_vcc 0
		.amdhsa_float_round_mode_32 0
		.amdhsa_float_round_mode_16_64 0
		.amdhsa_float_denorm_mode_32 3
		.amdhsa_float_denorm_mode_16_64 3
		.amdhsa_dx10_clamp 1
		.amdhsa_ieee_mode 1
		.amdhsa_fp16_overflow 0
		.amdhsa_workgroup_processor_mode 1
		.amdhsa_memory_ordered 1
		.amdhsa_forward_progress 0
		.amdhsa_shared_vgpr_count 0
		.amdhsa_exception_fp_ieee_invalid_op 0
		.amdhsa_exception_fp_denorm_src 0
		.amdhsa_exception_fp_ieee_div_zero 0
		.amdhsa_exception_fp_ieee_overflow 0
		.amdhsa_exception_fp_ieee_underflow 0
		.amdhsa_exception_fp_ieee_inexact 0
		.amdhsa_exception_int_div_zero 0
	.end_amdhsa_kernel
	.section	.text._ZN7rocprim17ROCPRIM_400000_NS6detail17trampoline_kernelINS0_14default_configENS1_25partition_config_selectorILNS1_17partition_subalgoE5ElNS0_10empty_typeEbEEZZNS1_14partition_implILS5_5ELb0ES3_mN6hipcub16HIPCUB_304000_NS21CountingInputIteratorIllEEPS6_NSA_22TransformInputIteratorIbN2at6native12_GLOBAL__N_19NonZeroOpIN3c107complexINSJ_4HalfEEEEEPKSM_lEENS0_5tupleIJPlS6_EEENSR_IJSD_SD_EEES6_PiJS6_EEE10hipError_tPvRmT3_T4_T5_T6_T7_T9_mT8_P12ihipStream_tbDpT10_ENKUlT_T0_E_clISt17integral_constantIbLb0EES1F_EEDaS1A_S1B_EUlS1A_E_NS1_11comp_targetILNS1_3genE5ELNS1_11target_archE942ELNS1_3gpuE9ELNS1_3repE0EEENS1_30default_config_static_selectorELNS0_4arch9wavefront6targetE0EEEvT1_,"axG",@progbits,_ZN7rocprim17ROCPRIM_400000_NS6detail17trampoline_kernelINS0_14default_configENS1_25partition_config_selectorILNS1_17partition_subalgoE5ElNS0_10empty_typeEbEEZZNS1_14partition_implILS5_5ELb0ES3_mN6hipcub16HIPCUB_304000_NS21CountingInputIteratorIllEEPS6_NSA_22TransformInputIteratorIbN2at6native12_GLOBAL__N_19NonZeroOpIN3c107complexINSJ_4HalfEEEEEPKSM_lEENS0_5tupleIJPlS6_EEENSR_IJSD_SD_EEES6_PiJS6_EEE10hipError_tPvRmT3_T4_T5_T6_T7_T9_mT8_P12ihipStream_tbDpT10_ENKUlT_T0_E_clISt17integral_constantIbLb0EES1F_EEDaS1A_S1B_EUlS1A_E_NS1_11comp_targetILNS1_3genE5ELNS1_11target_archE942ELNS1_3gpuE9ELNS1_3repE0EEENS1_30default_config_static_selectorELNS0_4arch9wavefront6targetE0EEEvT1_,comdat
.Lfunc_end663:
	.size	_ZN7rocprim17ROCPRIM_400000_NS6detail17trampoline_kernelINS0_14default_configENS1_25partition_config_selectorILNS1_17partition_subalgoE5ElNS0_10empty_typeEbEEZZNS1_14partition_implILS5_5ELb0ES3_mN6hipcub16HIPCUB_304000_NS21CountingInputIteratorIllEEPS6_NSA_22TransformInputIteratorIbN2at6native12_GLOBAL__N_19NonZeroOpIN3c107complexINSJ_4HalfEEEEEPKSM_lEENS0_5tupleIJPlS6_EEENSR_IJSD_SD_EEES6_PiJS6_EEE10hipError_tPvRmT3_T4_T5_T6_T7_T9_mT8_P12ihipStream_tbDpT10_ENKUlT_T0_E_clISt17integral_constantIbLb0EES1F_EEDaS1A_S1B_EUlS1A_E_NS1_11comp_targetILNS1_3genE5ELNS1_11target_archE942ELNS1_3gpuE9ELNS1_3repE0EEENS1_30default_config_static_selectorELNS0_4arch9wavefront6targetE0EEEvT1_, .Lfunc_end663-_ZN7rocprim17ROCPRIM_400000_NS6detail17trampoline_kernelINS0_14default_configENS1_25partition_config_selectorILNS1_17partition_subalgoE5ElNS0_10empty_typeEbEEZZNS1_14partition_implILS5_5ELb0ES3_mN6hipcub16HIPCUB_304000_NS21CountingInputIteratorIllEEPS6_NSA_22TransformInputIteratorIbN2at6native12_GLOBAL__N_19NonZeroOpIN3c107complexINSJ_4HalfEEEEEPKSM_lEENS0_5tupleIJPlS6_EEENSR_IJSD_SD_EEES6_PiJS6_EEE10hipError_tPvRmT3_T4_T5_T6_T7_T9_mT8_P12ihipStream_tbDpT10_ENKUlT_T0_E_clISt17integral_constantIbLb0EES1F_EEDaS1A_S1B_EUlS1A_E_NS1_11comp_targetILNS1_3genE5ELNS1_11target_archE942ELNS1_3gpuE9ELNS1_3repE0EEENS1_30default_config_static_selectorELNS0_4arch9wavefront6targetE0EEEvT1_
                                        ; -- End function
	.section	.AMDGPU.csdata,"",@progbits
; Kernel info:
; codeLenInByte = 0
; NumSgprs: 0
; NumVgprs: 0
; ScratchSize: 0
; MemoryBound: 0
; FloatMode: 240
; IeeeMode: 1
; LDSByteSize: 0 bytes/workgroup (compile time only)
; SGPRBlocks: 0
; VGPRBlocks: 0
; NumSGPRsForWavesPerEU: 1
; NumVGPRsForWavesPerEU: 1
; Occupancy: 16
; WaveLimiterHint : 0
; COMPUTE_PGM_RSRC2:SCRATCH_EN: 0
; COMPUTE_PGM_RSRC2:USER_SGPR: 15
; COMPUTE_PGM_RSRC2:TRAP_HANDLER: 0
; COMPUTE_PGM_RSRC2:TGID_X_EN: 1
; COMPUTE_PGM_RSRC2:TGID_Y_EN: 0
; COMPUTE_PGM_RSRC2:TGID_Z_EN: 0
; COMPUTE_PGM_RSRC2:TIDIG_COMP_CNT: 0
	.section	.text._ZN7rocprim17ROCPRIM_400000_NS6detail17trampoline_kernelINS0_14default_configENS1_25partition_config_selectorILNS1_17partition_subalgoE5ElNS0_10empty_typeEbEEZZNS1_14partition_implILS5_5ELb0ES3_mN6hipcub16HIPCUB_304000_NS21CountingInputIteratorIllEEPS6_NSA_22TransformInputIteratorIbN2at6native12_GLOBAL__N_19NonZeroOpIN3c107complexINSJ_4HalfEEEEEPKSM_lEENS0_5tupleIJPlS6_EEENSR_IJSD_SD_EEES6_PiJS6_EEE10hipError_tPvRmT3_T4_T5_T6_T7_T9_mT8_P12ihipStream_tbDpT10_ENKUlT_T0_E_clISt17integral_constantIbLb0EES1F_EEDaS1A_S1B_EUlS1A_E_NS1_11comp_targetILNS1_3genE4ELNS1_11target_archE910ELNS1_3gpuE8ELNS1_3repE0EEENS1_30default_config_static_selectorELNS0_4arch9wavefront6targetE0EEEvT1_,"axG",@progbits,_ZN7rocprim17ROCPRIM_400000_NS6detail17trampoline_kernelINS0_14default_configENS1_25partition_config_selectorILNS1_17partition_subalgoE5ElNS0_10empty_typeEbEEZZNS1_14partition_implILS5_5ELb0ES3_mN6hipcub16HIPCUB_304000_NS21CountingInputIteratorIllEEPS6_NSA_22TransformInputIteratorIbN2at6native12_GLOBAL__N_19NonZeroOpIN3c107complexINSJ_4HalfEEEEEPKSM_lEENS0_5tupleIJPlS6_EEENSR_IJSD_SD_EEES6_PiJS6_EEE10hipError_tPvRmT3_T4_T5_T6_T7_T9_mT8_P12ihipStream_tbDpT10_ENKUlT_T0_E_clISt17integral_constantIbLb0EES1F_EEDaS1A_S1B_EUlS1A_E_NS1_11comp_targetILNS1_3genE4ELNS1_11target_archE910ELNS1_3gpuE8ELNS1_3repE0EEENS1_30default_config_static_selectorELNS0_4arch9wavefront6targetE0EEEvT1_,comdat
	.globl	_ZN7rocprim17ROCPRIM_400000_NS6detail17trampoline_kernelINS0_14default_configENS1_25partition_config_selectorILNS1_17partition_subalgoE5ElNS0_10empty_typeEbEEZZNS1_14partition_implILS5_5ELb0ES3_mN6hipcub16HIPCUB_304000_NS21CountingInputIteratorIllEEPS6_NSA_22TransformInputIteratorIbN2at6native12_GLOBAL__N_19NonZeroOpIN3c107complexINSJ_4HalfEEEEEPKSM_lEENS0_5tupleIJPlS6_EEENSR_IJSD_SD_EEES6_PiJS6_EEE10hipError_tPvRmT3_T4_T5_T6_T7_T9_mT8_P12ihipStream_tbDpT10_ENKUlT_T0_E_clISt17integral_constantIbLb0EES1F_EEDaS1A_S1B_EUlS1A_E_NS1_11comp_targetILNS1_3genE4ELNS1_11target_archE910ELNS1_3gpuE8ELNS1_3repE0EEENS1_30default_config_static_selectorELNS0_4arch9wavefront6targetE0EEEvT1_ ; -- Begin function _ZN7rocprim17ROCPRIM_400000_NS6detail17trampoline_kernelINS0_14default_configENS1_25partition_config_selectorILNS1_17partition_subalgoE5ElNS0_10empty_typeEbEEZZNS1_14partition_implILS5_5ELb0ES3_mN6hipcub16HIPCUB_304000_NS21CountingInputIteratorIllEEPS6_NSA_22TransformInputIteratorIbN2at6native12_GLOBAL__N_19NonZeroOpIN3c107complexINSJ_4HalfEEEEEPKSM_lEENS0_5tupleIJPlS6_EEENSR_IJSD_SD_EEES6_PiJS6_EEE10hipError_tPvRmT3_T4_T5_T6_T7_T9_mT8_P12ihipStream_tbDpT10_ENKUlT_T0_E_clISt17integral_constantIbLb0EES1F_EEDaS1A_S1B_EUlS1A_E_NS1_11comp_targetILNS1_3genE4ELNS1_11target_archE910ELNS1_3gpuE8ELNS1_3repE0EEENS1_30default_config_static_selectorELNS0_4arch9wavefront6targetE0EEEvT1_
	.p2align	8
	.type	_ZN7rocprim17ROCPRIM_400000_NS6detail17trampoline_kernelINS0_14default_configENS1_25partition_config_selectorILNS1_17partition_subalgoE5ElNS0_10empty_typeEbEEZZNS1_14partition_implILS5_5ELb0ES3_mN6hipcub16HIPCUB_304000_NS21CountingInputIteratorIllEEPS6_NSA_22TransformInputIteratorIbN2at6native12_GLOBAL__N_19NonZeroOpIN3c107complexINSJ_4HalfEEEEEPKSM_lEENS0_5tupleIJPlS6_EEENSR_IJSD_SD_EEES6_PiJS6_EEE10hipError_tPvRmT3_T4_T5_T6_T7_T9_mT8_P12ihipStream_tbDpT10_ENKUlT_T0_E_clISt17integral_constantIbLb0EES1F_EEDaS1A_S1B_EUlS1A_E_NS1_11comp_targetILNS1_3genE4ELNS1_11target_archE910ELNS1_3gpuE8ELNS1_3repE0EEENS1_30default_config_static_selectorELNS0_4arch9wavefront6targetE0EEEvT1_,@function
_ZN7rocprim17ROCPRIM_400000_NS6detail17trampoline_kernelINS0_14default_configENS1_25partition_config_selectorILNS1_17partition_subalgoE5ElNS0_10empty_typeEbEEZZNS1_14partition_implILS5_5ELb0ES3_mN6hipcub16HIPCUB_304000_NS21CountingInputIteratorIllEEPS6_NSA_22TransformInputIteratorIbN2at6native12_GLOBAL__N_19NonZeroOpIN3c107complexINSJ_4HalfEEEEEPKSM_lEENS0_5tupleIJPlS6_EEENSR_IJSD_SD_EEES6_PiJS6_EEE10hipError_tPvRmT3_T4_T5_T6_T7_T9_mT8_P12ihipStream_tbDpT10_ENKUlT_T0_E_clISt17integral_constantIbLb0EES1F_EEDaS1A_S1B_EUlS1A_E_NS1_11comp_targetILNS1_3genE4ELNS1_11target_archE910ELNS1_3gpuE8ELNS1_3repE0EEENS1_30default_config_static_selectorELNS0_4arch9wavefront6targetE0EEEvT1_: ; @_ZN7rocprim17ROCPRIM_400000_NS6detail17trampoline_kernelINS0_14default_configENS1_25partition_config_selectorILNS1_17partition_subalgoE5ElNS0_10empty_typeEbEEZZNS1_14partition_implILS5_5ELb0ES3_mN6hipcub16HIPCUB_304000_NS21CountingInputIteratorIllEEPS6_NSA_22TransformInputIteratorIbN2at6native12_GLOBAL__N_19NonZeroOpIN3c107complexINSJ_4HalfEEEEEPKSM_lEENS0_5tupleIJPlS6_EEENSR_IJSD_SD_EEES6_PiJS6_EEE10hipError_tPvRmT3_T4_T5_T6_T7_T9_mT8_P12ihipStream_tbDpT10_ENKUlT_T0_E_clISt17integral_constantIbLb0EES1F_EEDaS1A_S1B_EUlS1A_E_NS1_11comp_targetILNS1_3genE4ELNS1_11target_archE910ELNS1_3gpuE8ELNS1_3repE0EEENS1_30default_config_static_selectorELNS0_4arch9wavefront6targetE0EEEvT1_
; %bb.0:
	.section	.rodata,"a",@progbits
	.p2align	6, 0x0
	.amdhsa_kernel _ZN7rocprim17ROCPRIM_400000_NS6detail17trampoline_kernelINS0_14default_configENS1_25partition_config_selectorILNS1_17partition_subalgoE5ElNS0_10empty_typeEbEEZZNS1_14partition_implILS5_5ELb0ES3_mN6hipcub16HIPCUB_304000_NS21CountingInputIteratorIllEEPS6_NSA_22TransformInputIteratorIbN2at6native12_GLOBAL__N_19NonZeroOpIN3c107complexINSJ_4HalfEEEEEPKSM_lEENS0_5tupleIJPlS6_EEENSR_IJSD_SD_EEES6_PiJS6_EEE10hipError_tPvRmT3_T4_T5_T6_T7_T9_mT8_P12ihipStream_tbDpT10_ENKUlT_T0_E_clISt17integral_constantIbLb0EES1F_EEDaS1A_S1B_EUlS1A_E_NS1_11comp_targetILNS1_3genE4ELNS1_11target_archE910ELNS1_3gpuE8ELNS1_3repE0EEENS1_30default_config_static_selectorELNS0_4arch9wavefront6targetE0EEEvT1_
		.amdhsa_group_segment_fixed_size 0
		.amdhsa_private_segment_fixed_size 0
		.amdhsa_kernarg_size 120
		.amdhsa_user_sgpr_count 15
		.amdhsa_user_sgpr_dispatch_ptr 0
		.amdhsa_user_sgpr_queue_ptr 0
		.amdhsa_user_sgpr_kernarg_segment_ptr 1
		.amdhsa_user_sgpr_dispatch_id 0
		.amdhsa_user_sgpr_private_segment_size 0
		.amdhsa_wavefront_size32 1
		.amdhsa_uses_dynamic_stack 0
		.amdhsa_enable_private_segment 0
		.amdhsa_system_sgpr_workgroup_id_x 1
		.amdhsa_system_sgpr_workgroup_id_y 0
		.amdhsa_system_sgpr_workgroup_id_z 0
		.amdhsa_system_sgpr_workgroup_info 0
		.amdhsa_system_vgpr_workitem_id 0
		.amdhsa_next_free_vgpr 1
		.amdhsa_next_free_sgpr 1
		.amdhsa_reserve_vcc 0
		.amdhsa_float_round_mode_32 0
		.amdhsa_float_round_mode_16_64 0
		.amdhsa_float_denorm_mode_32 3
		.amdhsa_float_denorm_mode_16_64 3
		.amdhsa_dx10_clamp 1
		.amdhsa_ieee_mode 1
		.amdhsa_fp16_overflow 0
		.amdhsa_workgroup_processor_mode 1
		.amdhsa_memory_ordered 1
		.amdhsa_forward_progress 0
		.amdhsa_shared_vgpr_count 0
		.amdhsa_exception_fp_ieee_invalid_op 0
		.amdhsa_exception_fp_denorm_src 0
		.amdhsa_exception_fp_ieee_div_zero 0
		.amdhsa_exception_fp_ieee_overflow 0
		.amdhsa_exception_fp_ieee_underflow 0
		.amdhsa_exception_fp_ieee_inexact 0
		.amdhsa_exception_int_div_zero 0
	.end_amdhsa_kernel
	.section	.text._ZN7rocprim17ROCPRIM_400000_NS6detail17trampoline_kernelINS0_14default_configENS1_25partition_config_selectorILNS1_17partition_subalgoE5ElNS0_10empty_typeEbEEZZNS1_14partition_implILS5_5ELb0ES3_mN6hipcub16HIPCUB_304000_NS21CountingInputIteratorIllEEPS6_NSA_22TransformInputIteratorIbN2at6native12_GLOBAL__N_19NonZeroOpIN3c107complexINSJ_4HalfEEEEEPKSM_lEENS0_5tupleIJPlS6_EEENSR_IJSD_SD_EEES6_PiJS6_EEE10hipError_tPvRmT3_T4_T5_T6_T7_T9_mT8_P12ihipStream_tbDpT10_ENKUlT_T0_E_clISt17integral_constantIbLb0EES1F_EEDaS1A_S1B_EUlS1A_E_NS1_11comp_targetILNS1_3genE4ELNS1_11target_archE910ELNS1_3gpuE8ELNS1_3repE0EEENS1_30default_config_static_selectorELNS0_4arch9wavefront6targetE0EEEvT1_,"axG",@progbits,_ZN7rocprim17ROCPRIM_400000_NS6detail17trampoline_kernelINS0_14default_configENS1_25partition_config_selectorILNS1_17partition_subalgoE5ElNS0_10empty_typeEbEEZZNS1_14partition_implILS5_5ELb0ES3_mN6hipcub16HIPCUB_304000_NS21CountingInputIteratorIllEEPS6_NSA_22TransformInputIteratorIbN2at6native12_GLOBAL__N_19NonZeroOpIN3c107complexINSJ_4HalfEEEEEPKSM_lEENS0_5tupleIJPlS6_EEENSR_IJSD_SD_EEES6_PiJS6_EEE10hipError_tPvRmT3_T4_T5_T6_T7_T9_mT8_P12ihipStream_tbDpT10_ENKUlT_T0_E_clISt17integral_constantIbLb0EES1F_EEDaS1A_S1B_EUlS1A_E_NS1_11comp_targetILNS1_3genE4ELNS1_11target_archE910ELNS1_3gpuE8ELNS1_3repE0EEENS1_30default_config_static_selectorELNS0_4arch9wavefront6targetE0EEEvT1_,comdat
.Lfunc_end664:
	.size	_ZN7rocprim17ROCPRIM_400000_NS6detail17trampoline_kernelINS0_14default_configENS1_25partition_config_selectorILNS1_17partition_subalgoE5ElNS0_10empty_typeEbEEZZNS1_14partition_implILS5_5ELb0ES3_mN6hipcub16HIPCUB_304000_NS21CountingInputIteratorIllEEPS6_NSA_22TransformInputIteratorIbN2at6native12_GLOBAL__N_19NonZeroOpIN3c107complexINSJ_4HalfEEEEEPKSM_lEENS0_5tupleIJPlS6_EEENSR_IJSD_SD_EEES6_PiJS6_EEE10hipError_tPvRmT3_T4_T5_T6_T7_T9_mT8_P12ihipStream_tbDpT10_ENKUlT_T0_E_clISt17integral_constantIbLb0EES1F_EEDaS1A_S1B_EUlS1A_E_NS1_11comp_targetILNS1_3genE4ELNS1_11target_archE910ELNS1_3gpuE8ELNS1_3repE0EEENS1_30default_config_static_selectorELNS0_4arch9wavefront6targetE0EEEvT1_, .Lfunc_end664-_ZN7rocprim17ROCPRIM_400000_NS6detail17trampoline_kernelINS0_14default_configENS1_25partition_config_selectorILNS1_17partition_subalgoE5ElNS0_10empty_typeEbEEZZNS1_14partition_implILS5_5ELb0ES3_mN6hipcub16HIPCUB_304000_NS21CountingInputIteratorIllEEPS6_NSA_22TransformInputIteratorIbN2at6native12_GLOBAL__N_19NonZeroOpIN3c107complexINSJ_4HalfEEEEEPKSM_lEENS0_5tupleIJPlS6_EEENSR_IJSD_SD_EEES6_PiJS6_EEE10hipError_tPvRmT3_T4_T5_T6_T7_T9_mT8_P12ihipStream_tbDpT10_ENKUlT_T0_E_clISt17integral_constantIbLb0EES1F_EEDaS1A_S1B_EUlS1A_E_NS1_11comp_targetILNS1_3genE4ELNS1_11target_archE910ELNS1_3gpuE8ELNS1_3repE0EEENS1_30default_config_static_selectorELNS0_4arch9wavefront6targetE0EEEvT1_
                                        ; -- End function
	.section	.AMDGPU.csdata,"",@progbits
; Kernel info:
; codeLenInByte = 0
; NumSgprs: 0
; NumVgprs: 0
; ScratchSize: 0
; MemoryBound: 0
; FloatMode: 240
; IeeeMode: 1
; LDSByteSize: 0 bytes/workgroup (compile time only)
; SGPRBlocks: 0
; VGPRBlocks: 0
; NumSGPRsForWavesPerEU: 1
; NumVGPRsForWavesPerEU: 1
; Occupancy: 15
; WaveLimiterHint : 0
; COMPUTE_PGM_RSRC2:SCRATCH_EN: 0
; COMPUTE_PGM_RSRC2:USER_SGPR: 15
; COMPUTE_PGM_RSRC2:TRAP_HANDLER: 0
; COMPUTE_PGM_RSRC2:TGID_X_EN: 1
; COMPUTE_PGM_RSRC2:TGID_Y_EN: 0
; COMPUTE_PGM_RSRC2:TGID_Z_EN: 0
; COMPUTE_PGM_RSRC2:TIDIG_COMP_CNT: 0
	.section	.text._ZN7rocprim17ROCPRIM_400000_NS6detail17trampoline_kernelINS0_14default_configENS1_25partition_config_selectorILNS1_17partition_subalgoE5ElNS0_10empty_typeEbEEZZNS1_14partition_implILS5_5ELb0ES3_mN6hipcub16HIPCUB_304000_NS21CountingInputIteratorIllEEPS6_NSA_22TransformInputIteratorIbN2at6native12_GLOBAL__N_19NonZeroOpIN3c107complexINSJ_4HalfEEEEEPKSM_lEENS0_5tupleIJPlS6_EEENSR_IJSD_SD_EEES6_PiJS6_EEE10hipError_tPvRmT3_T4_T5_T6_T7_T9_mT8_P12ihipStream_tbDpT10_ENKUlT_T0_E_clISt17integral_constantIbLb0EES1F_EEDaS1A_S1B_EUlS1A_E_NS1_11comp_targetILNS1_3genE3ELNS1_11target_archE908ELNS1_3gpuE7ELNS1_3repE0EEENS1_30default_config_static_selectorELNS0_4arch9wavefront6targetE0EEEvT1_,"axG",@progbits,_ZN7rocprim17ROCPRIM_400000_NS6detail17trampoline_kernelINS0_14default_configENS1_25partition_config_selectorILNS1_17partition_subalgoE5ElNS0_10empty_typeEbEEZZNS1_14partition_implILS5_5ELb0ES3_mN6hipcub16HIPCUB_304000_NS21CountingInputIteratorIllEEPS6_NSA_22TransformInputIteratorIbN2at6native12_GLOBAL__N_19NonZeroOpIN3c107complexINSJ_4HalfEEEEEPKSM_lEENS0_5tupleIJPlS6_EEENSR_IJSD_SD_EEES6_PiJS6_EEE10hipError_tPvRmT3_T4_T5_T6_T7_T9_mT8_P12ihipStream_tbDpT10_ENKUlT_T0_E_clISt17integral_constantIbLb0EES1F_EEDaS1A_S1B_EUlS1A_E_NS1_11comp_targetILNS1_3genE3ELNS1_11target_archE908ELNS1_3gpuE7ELNS1_3repE0EEENS1_30default_config_static_selectorELNS0_4arch9wavefront6targetE0EEEvT1_,comdat
	.globl	_ZN7rocprim17ROCPRIM_400000_NS6detail17trampoline_kernelINS0_14default_configENS1_25partition_config_selectorILNS1_17partition_subalgoE5ElNS0_10empty_typeEbEEZZNS1_14partition_implILS5_5ELb0ES3_mN6hipcub16HIPCUB_304000_NS21CountingInputIteratorIllEEPS6_NSA_22TransformInputIteratorIbN2at6native12_GLOBAL__N_19NonZeroOpIN3c107complexINSJ_4HalfEEEEEPKSM_lEENS0_5tupleIJPlS6_EEENSR_IJSD_SD_EEES6_PiJS6_EEE10hipError_tPvRmT3_T4_T5_T6_T7_T9_mT8_P12ihipStream_tbDpT10_ENKUlT_T0_E_clISt17integral_constantIbLb0EES1F_EEDaS1A_S1B_EUlS1A_E_NS1_11comp_targetILNS1_3genE3ELNS1_11target_archE908ELNS1_3gpuE7ELNS1_3repE0EEENS1_30default_config_static_selectorELNS0_4arch9wavefront6targetE0EEEvT1_ ; -- Begin function _ZN7rocprim17ROCPRIM_400000_NS6detail17trampoline_kernelINS0_14default_configENS1_25partition_config_selectorILNS1_17partition_subalgoE5ElNS0_10empty_typeEbEEZZNS1_14partition_implILS5_5ELb0ES3_mN6hipcub16HIPCUB_304000_NS21CountingInputIteratorIllEEPS6_NSA_22TransformInputIteratorIbN2at6native12_GLOBAL__N_19NonZeroOpIN3c107complexINSJ_4HalfEEEEEPKSM_lEENS0_5tupleIJPlS6_EEENSR_IJSD_SD_EEES6_PiJS6_EEE10hipError_tPvRmT3_T4_T5_T6_T7_T9_mT8_P12ihipStream_tbDpT10_ENKUlT_T0_E_clISt17integral_constantIbLb0EES1F_EEDaS1A_S1B_EUlS1A_E_NS1_11comp_targetILNS1_3genE3ELNS1_11target_archE908ELNS1_3gpuE7ELNS1_3repE0EEENS1_30default_config_static_selectorELNS0_4arch9wavefront6targetE0EEEvT1_
	.p2align	8
	.type	_ZN7rocprim17ROCPRIM_400000_NS6detail17trampoline_kernelINS0_14default_configENS1_25partition_config_selectorILNS1_17partition_subalgoE5ElNS0_10empty_typeEbEEZZNS1_14partition_implILS5_5ELb0ES3_mN6hipcub16HIPCUB_304000_NS21CountingInputIteratorIllEEPS6_NSA_22TransformInputIteratorIbN2at6native12_GLOBAL__N_19NonZeroOpIN3c107complexINSJ_4HalfEEEEEPKSM_lEENS0_5tupleIJPlS6_EEENSR_IJSD_SD_EEES6_PiJS6_EEE10hipError_tPvRmT3_T4_T5_T6_T7_T9_mT8_P12ihipStream_tbDpT10_ENKUlT_T0_E_clISt17integral_constantIbLb0EES1F_EEDaS1A_S1B_EUlS1A_E_NS1_11comp_targetILNS1_3genE3ELNS1_11target_archE908ELNS1_3gpuE7ELNS1_3repE0EEENS1_30default_config_static_selectorELNS0_4arch9wavefront6targetE0EEEvT1_,@function
_ZN7rocprim17ROCPRIM_400000_NS6detail17trampoline_kernelINS0_14default_configENS1_25partition_config_selectorILNS1_17partition_subalgoE5ElNS0_10empty_typeEbEEZZNS1_14partition_implILS5_5ELb0ES3_mN6hipcub16HIPCUB_304000_NS21CountingInputIteratorIllEEPS6_NSA_22TransformInputIteratorIbN2at6native12_GLOBAL__N_19NonZeroOpIN3c107complexINSJ_4HalfEEEEEPKSM_lEENS0_5tupleIJPlS6_EEENSR_IJSD_SD_EEES6_PiJS6_EEE10hipError_tPvRmT3_T4_T5_T6_T7_T9_mT8_P12ihipStream_tbDpT10_ENKUlT_T0_E_clISt17integral_constantIbLb0EES1F_EEDaS1A_S1B_EUlS1A_E_NS1_11comp_targetILNS1_3genE3ELNS1_11target_archE908ELNS1_3gpuE7ELNS1_3repE0EEENS1_30default_config_static_selectorELNS0_4arch9wavefront6targetE0EEEvT1_: ; @_ZN7rocprim17ROCPRIM_400000_NS6detail17trampoline_kernelINS0_14default_configENS1_25partition_config_selectorILNS1_17partition_subalgoE5ElNS0_10empty_typeEbEEZZNS1_14partition_implILS5_5ELb0ES3_mN6hipcub16HIPCUB_304000_NS21CountingInputIteratorIllEEPS6_NSA_22TransformInputIteratorIbN2at6native12_GLOBAL__N_19NonZeroOpIN3c107complexINSJ_4HalfEEEEEPKSM_lEENS0_5tupleIJPlS6_EEENSR_IJSD_SD_EEES6_PiJS6_EEE10hipError_tPvRmT3_T4_T5_T6_T7_T9_mT8_P12ihipStream_tbDpT10_ENKUlT_T0_E_clISt17integral_constantIbLb0EES1F_EEDaS1A_S1B_EUlS1A_E_NS1_11comp_targetILNS1_3genE3ELNS1_11target_archE908ELNS1_3gpuE7ELNS1_3repE0EEENS1_30default_config_static_selectorELNS0_4arch9wavefront6targetE0EEEvT1_
; %bb.0:
	.section	.rodata,"a",@progbits
	.p2align	6, 0x0
	.amdhsa_kernel _ZN7rocprim17ROCPRIM_400000_NS6detail17trampoline_kernelINS0_14default_configENS1_25partition_config_selectorILNS1_17partition_subalgoE5ElNS0_10empty_typeEbEEZZNS1_14partition_implILS5_5ELb0ES3_mN6hipcub16HIPCUB_304000_NS21CountingInputIteratorIllEEPS6_NSA_22TransformInputIteratorIbN2at6native12_GLOBAL__N_19NonZeroOpIN3c107complexINSJ_4HalfEEEEEPKSM_lEENS0_5tupleIJPlS6_EEENSR_IJSD_SD_EEES6_PiJS6_EEE10hipError_tPvRmT3_T4_T5_T6_T7_T9_mT8_P12ihipStream_tbDpT10_ENKUlT_T0_E_clISt17integral_constantIbLb0EES1F_EEDaS1A_S1B_EUlS1A_E_NS1_11comp_targetILNS1_3genE3ELNS1_11target_archE908ELNS1_3gpuE7ELNS1_3repE0EEENS1_30default_config_static_selectorELNS0_4arch9wavefront6targetE0EEEvT1_
		.amdhsa_group_segment_fixed_size 0
		.amdhsa_private_segment_fixed_size 0
		.amdhsa_kernarg_size 120
		.amdhsa_user_sgpr_count 15
		.amdhsa_user_sgpr_dispatch_ptr 0
		.amdhsa_user_sgpr_queue_ptr 0
		.amdhsa_user_sgpr_kernarg_segment_ptr 1
		.amdhsa_user_sgpr_dispatch_id 0
		.amdhsa_user_sgpr_private_segment_size 0
		.amdhsa_wavefront_size32 1
		.amdhsa_uses_dynamic_stack 0
		.amdhsa_enable_private_segment 0
		.amdhsa_system_sgpr_workgroup_id_x 1
		.amdhsa_system_sgpr_workgroup_id_y 0
		.amdhsa_system_sgpr_workgroup_id_z 0
		.amdhsa_system_sgpr_workgroup_info 0
		.amdhsa_system_vgpr_workitem_id 0
		.amdhsa_next_free_vgpr 1
		.amdhsa_next_free_sgpr 1
		.amdhsa_reserve_vcc 0
		.amdhsa_float_round_mode_32 0
		.amdhsa_float_round_mode_16_64 0
		.amdhsa_float_denorm_mode_32 3
		.amdhsa_float_denorm_mode_16_64 3
		.amdhsa_dx10_clamp 1
		.amdhsa_ieee_mode 1
		.amdhsa_fp16_overflow 0
		.amdhsa_workgroup_processor_mode 1
		.amdhsa_memory_ordered 1
		.amdhsa_forward_progress 0
		.amdhsa_shared_vgpr_count 0
		.amdhsa_exception_fp_ieee_invalid_op 0
		.amdhsa_exception_fp_denorm_src 0
		.amdhsa_exception_fp_ieee_div_zero 0
		.amdhsa_exception_fp_ieee_overflow 0
		.amdhsa_exception_fp_ieee_underflow 0
		.amdhsa_exception_fp_ieee_inexact 0
		.amdhsa_exception_int_div_zero 0
	.end_amdhsa_kernel
	.section	.text._ZN7rocprim17ROCPRIM_400000_NS6detail17trampoline_kernelINS0_14default_configENS1_25partition_config_selectorILNS1_17partition_subalgoE5ElNS0_10empty_typeEbEEZZNS1_14partition_implILS5_5ELb0ES3_mN6hipcub16HIPCUB_304000_NS21CountingInputIteratorIllEEPS6_NSA_22TransformInputIteratorIbN2at6native12_GLOBAL__N_19NonZeroOpIN3c107complexINSJ_4HalfEEEEEPKSM_lEENS0_5tupleIJPlS6_EEENSR_IJSD_SD_EEES6_PiJS6_EEE10hipError_tPvRmT3_T4_T5_T6_T7_T9_mT8_P12ihipStream_tbDpT10_ENKUlT_T0_E_clISt17integral_constantIbLb0EES1F_EEDaS1A_S1B_EUlS1A_E_NS1_11comp_targetILNS1_3genE3ELNS1_11target_archE908ELNS1_3gpuE7ELNS1_3repE0EEENS1_30default_config_static_selectorELNS0_4arch9wavefront6targetE0EEEvT1_,"axG",@progbits,_ZN7rocprim17ROCPRIM_400000_NS6detail17trampoline_kernelINS0_14default_configENS1_25partition_config_selectorILNS1_17partition_subalgoE5ElNS0_10empty_typeEbEEZZNS1_14partition_implILS5_5ELb0ES3_mN6hipcub16HIPCUB_304000_NS21CountingInputIteratorIllEEPS6_NSA_22TransformInputIteratorIbN2at6native12_GLOBAL__N_19NonZeroOpIN3c107complexINSJ_4HalfEEEEEPKSM_lEENS0_5tupleIJPlS6_EEENSR_IJSD_SD_EEES6_PiJS6_EEE10hipError_tPvRmT3_T4_T5_T6_T7_T9_mT8_P12ihipStream_tbDpT10_ENKUlT_T0_E_clISt17integral_constantIbLb0EES1F_EEDaS1A_S1B_EUlS1A_E_NS1_11comp_targetILNS1_3genE3ELNS1_11target_archE908ELNS1_3gpuE7ELNS1_3repE0EEENS1_30default_config_static_selectorELNS0_4arch9wavefront6targetE0EEEvT1_,comdat
.Lfunc_end665:
	.size	_ZN7rocprim17ROCPRIM_400000_NS6detail17trampoline_kernelINS0_14default_configENS1_25partition_config_selectorILNS1_17partition_subalgoE5ElNS0_10empty_typeEbEEZZNS1_14partition_implILS5_5ELb0ES3_mN6hipcub16HIPCUB_304000_NS21CountingInputIteratorIllEEPS6_NSA_22TransformInputIteratorIbN2at6native12_GLOBAL__N_19NonZeroOpIN3c107complexINSJ_4HalfEEEEEPKSM_lEENS0_5tupleIJPlS6_EEENSR_IJSD_SD_EEES6_PiJS6_EEE10hipError_tPvRmT3_T4_T5_T6_T7_T9_mT8_P12ihipStream_tbDpT10_ENKUlT_T0_E_clISt17integral_constantIbLb0EES1F_EEDaS1A_S1B_EUlS1A_E_NS1_11comp_targetILNS1_3genE3ELNS1_11target_archE908ELNS1_3gpuE7ELNS1_3repE0EEENS1_30default_config_static_selectorELNS0_4arch9wavefront6targetE0EEEvT1_, .Lfunc_end665-_ZN7rocprim17ROCPRIM_400000_NS6detail17trampoline_kernelINS0_14default_configENS1_25partition_config_selectorILNS1_17partition_subalgoE5ElNS0_10empty_typeEbEEZZNS1_14partition_implILS5_5ELb0ES3_mN6hipcub16HIPCUB_304000_NS21CountingInputIteratorIllEEPS6_NSA_22TransformInputIteratorIbN2at6native12_GLOBAL__N_19NonZeroOpIN3c107complexINSJ_4HalfEEEEEPKSM_lEENS0_5tupleIJPlS6_EEENSR_IJSD_SD_EEES6_PiJS6_EEE10hipError_tPvRmT3_T4_T5_T6_T7_T9_mT8_P12ihipStream_tbDpT10_ENKUlT_T0_E_clISt17integral_constantIbLb0EES1F_EEDaS1A_S1B_EUlS1A_E_NS1_11comp_targetILNS1_3genE3ELNS1_11target_archE908ELNS1_3gpuE7ELNS1_3repE0EEENS1_30default_config_static_selectorELNS0_4arch9wavefront6targetE0EEEvT1_
                                        ; -- End function
	.section	.AMDGPU.csdata,"",@progbits
; Kernel info:
; codeLenInByte = 0
; NumSgprs: 0
; NumVgprs: 0
; ScratchSize: 0
; MemoryBound: 0
; FloatMode: 240
; IeeeMode: 1
; LDSByteSize: 0 bytes/workgroup (compile time only)
; SGPRBlocks: 0
; VGPRBlocks: 0
; NumSGPRsForWavesPerEU: 1
; NumVGPRsForWavesPerEU: 1
; Occupancy: 16
; WaveLimiterHint : 0
; COMPUTE_PGM_RSRC2:SCRATCH_EN: 0
; COMPUTE_PGM_RSRC2:USER_SGPR: 15
; COMPUTE_PGM_RSRC2:TRAP_HANDLER: 0
; COMPUTE_PGM_RSRC2:TGID_X_EN: 1
; COMPUTE_PGM_RSRC2:TGID_Y_EN: 0
; COMPUTE_PGM_RSRC2:TGID_Z_EN: 0
; COMPUTE_PGM_RSRC2:TIDIG_COMP_CNT: 0
	.section	.text._ZN7rocprim17ROCPRIM_400000_NS6detail17trampoline_kernelINS0_14default_configENS1_25partition_config_selectorILNS1_17partition_subalgoE5ElNS0_10empty_typeEbEEZZNS1_14partition_implILS5_5ELb0ES3_mN6hipcub16HIPCUB_304000_NS21CountingInputIteratorIllEEPS6_NSA_22TransformInputIteratorIbN2at6native12_GLOBAL__N_19NonZeroOpIN3c107complexINSJ_4HalfEEEEEPKSM_lEENS0_5tupleIJPlS6_EEENSR_IJSD_SD_EEES6_PiJS6_EEE10hipError_tPvRmT3_T4_T5_T6_T7_T9_mT8_P12ihipStream_tbDpT10_ENKUlT_T0_E_clISt17integral_constantIbLb0EES1F_EEDaS1A_S1B_EUlS1A_E_NS1_11comp_targetILNS1_3genE2ELNS1_11target_archE906ELNS1_3gpuE6ELNS1_3repE0EEENS1_30default_config_static_selectorELNS0_4arch9wavefront6targetE0EEEvT1_,"axG",@progbits,_ZN7rocprim17ROCPRIM_400000_NS6detail17trampoline_kernelINS0_14default_configENS1_25partition_config_selectorILNS1_17partition_subalgoE5ElNS0_10empty_typeEbEEZZNS1_14partition_implILS5_5ELb0ES3_mN6hipcub16HIPCUB_304000_NS21CountingInputIteratorIllEEPS6_NSA_22TransformInputIteratorIbN2at6native12_GLOBAL__N_19NonZeroOpIN3c107complexINSJ_4HalfEEEEEPKSM_lEENS0_5tupleIJPlS6_EEENSR_IJSD_SD_EEES6_PiJS6_EEE10hipError_tPvRmT3_T4_T5_T6_T7_T9_mT8_P12ihipStream_tbDpT10_ENKUlT_T0_E_clISt17integral_constantIbLb0EES1F_EEDaS1A_S1B_EUlS1A_E_NS1_11comp_targetILNS1_3genE2ELNS1_11target_archE906ELNS1_3gpuE6ELNS1_3repE0EEENS1_30default_config_static_selectorELNS0_4arch9wavefront6targetE0EEEvT1_,comdat
	.globl	_ZN7rocprim17ROCPRIM_400000_NS6detail17trampoline_kernelINS0_14default_configENS1_25partition_config_selectorILNS1_17partition_subalgoE5ElNS0_10empty_typeEbEEZZNS1_14partition_implILS5_5ELb0ES3_mN6hipcub16HIPCUB_304000_NS21CountingInputIteratorIllEEPS6_NSA_22TransformInputIteratorIbN2at6native12_GLOBAL__N_19NonZeroOpIN3c107complexINSJ_4HalfEEEEEPKSM_lEENS0_5tupleIJPlS6_EEENSR_IJSD_SD_EEES6_PiJS6_EEE10hipError_tPvRmT3_T4_T5_T6_T7_T9_mT8_P12ihipStream_tbDpT10_ENKUlT_T0_E_clISt17integral_constantIbLb0EES1F_EEDaS1A_S1B_EUlS1A_E_NS1_11comp_targetILNS1_3genE2ELNS1_11target_archE906ELNS1_3gpuE6ELNS1_3repE0EEENS1_30default_config_static_selectorELNS0_4arch9wavefront6targetE0EEEvT1_ ; -- Begin function _ZN7rocprim17ROCPRIM_400000_NS6detail17trampoline_kernelINS0_14default_configENS1_25partition_config_selectorILNS1_17partition_subalgoE5ElNS0_10empty_typeEbEEZZNS1_14partition_implILS5_5ELb0ES3_mN6hipcub16HIPCUB_304000_NS21CountingInputIteratorIllEEPS6_NSA_22TransformInputIteratorIbN2at6native12_GLOBAL__N_19NonZeroOpIN3c107complexINSJ_4HalfEEEEEPKSM_lEENS0_5tupleIJPlS6_EEENSR_IJSD_SD_EEES6_PiJS6_EEE10hipError_tPvRmT3_T4_T5_T6_T7_T9_mT8_P12ihipStream_tbDpT10_ENKUlT_T0_E_clISt17integral_constantIbLb0EES1F_EEDaS1A_S1B_EUlS1A_E_NS1_11comp_targetILNS1_3genE2ELNS1_11target_archE906ELNS1_3gpuE6ELNS1_3repE0EEENS1_30default_config_static_selectorELNS0_4arch9wavefront6targetE0EEEvT1_
	.p2align	8
	.type	_ZN7rocprim17ROCPRIM_400000_NS6detail17trampoline_kernelINS0_14default_configENS1_25partition_config_selectorILNS1_17partition_subalgoE5ElNS0_10empty_typeEbEEZZNS1_14partition_implILS5_5ELb0ES3_mN6hipcub16HIPCUB_304000_NS21CountingInputIteratorIllEEPS6_NSA_22TransformInputIteratorIbN2at6native12_GLOBAL__N_19NonZeroOpIN3c107complexINSJ_4HalfEEEEEPKSM_lEENS0_5tupleIJPlS6_EEENSR_IJSD_SD_EEES6_PiJS6_EEE10hipError_tPvRmT3_T4_T5_T6_T7_T9_mT8_P12ihipStream_tbDpT10_ENKUlT_T0_E_clISt17integral_constantIbLb0EES1F_EEDaS1A_S1B_EUlS1A_E_NS1_11comp_targetILNS1_3genE2ELNS1_11target_archE906ELNS1_3gpuE6ELNS1_3repE0EEENS1_30default_config_static_selectorELNS0_4arch9wavefront6targetE0EEEvT1_,@function
_ZN7rocprim17ROCPRIM_400000_NS6detail17trampoline_kernelINS0_14default_configENS1_25partition_config_selectorILNS1_17partition_subalgoE5ElNS0_10empty_typeEbEEZZNS1_14partition_implILS5_5ELb0ES3_mN6hipcub16HIPCUB_304000_NS21CountingInputIteratorIllEEPS6_NSA_22TransformInputIteratorIbN2at6native12_GLOBAL__N_19NonZeroOpIN3c107complexINSJ_4HalfEEEEEPKSM_lEENS0_5tupleIJPlS6_EEENSR_IJSD_SD_EEES6_PiJS6_EEE10hipError_tPvRmT3_T4_T5_T6_T7_T9_mT8_P12ihipStream_tbDpT10_ENKUlT_T0_E_clISt17integral_constantIbLb0EES1F_EEDaS1A_S1B_EUlS1A_E_NS1_11comp_targetILNS1_3genE2ELNS1_11target_archE906ELNS1_3gpuE6ELNS1_3repE0EEENS1_30default_config_static_selectorELNS0_4arch9wavefront6targetE0EEEvT1_: ; @_ZN7rocprim17ROCPRIM_400000_NS6detail17trampoline_kernelINS0_14default_configENS1_25partition_config_selectorILNS1_17partition_subalgoE5ElNS0_10empty_typeEbEEZZNS1_14partition_implILS5_5ELb0ES3_mN6hipcub16HIPCUB_304000_NS21CountingInputIteratorIllEEPS6_NSA_22TransformInputIteratorIbN2at6native12_GLOBAL__N_19NonZeroOpIN3c107complexINSJ_4HalfEEEEEPKSM_lEENS0_5tupleIJPlS6_EEENSR_IJSD_SD_EEES6_PiJS6_EEE10hipError_tPvRmT3_T4_T5_T6_T7_T9_mT8_P12ihipStream_tbDpT10_ENKUlT_T0_E_clISt17integral_constantIbLb0EES1F_EEDaS1A_S1B_EUlS1A_E_NS1_11comp_targetILNS1_3genE2ELNS1_11target_archE906ELNS1_3gpuE6ELNS1_3repE0EEENS1_30default_config_static_selectorELNS0_4arch9wavefront6targetE0EEEvT1_
; %bb.0:
	.section	.rodata,"a",@progbits
	.p2align	6, 0x0
	.amdhsa_kernel _ZN7rocprim17ROCPRIM_400000_NS6detail17trampoline_kernelINS0_14default_configENS1_25partition_config_selectorILNS1_17partition_subalgoE5ElNS0_10empty_typeEbEEZZNS1_14partition_implILS5_5ELb0ES3_mN6hipcub16HIPCUB_304000_NS21CountingInputIteratorIllEEPS6_NSA_22TransformInputIteratorIbN2at6native12_GLOBAL__N_19NonZeroOpIN3c107complexINSJ_4HalfEEEEEPKSM_lEENS0_5tupleIJPlS6_EEENSR_IJSD_SD_EEES6_PiJS6_EEE10hipError_tPvRmT3_T4_T5_T6_T7_T9_mT8_P12ihipStream_tbDpT10_ENKUlT_T0_E_clISt17integral_constantIbLb0EES1F_EEDaS1A_S1B_EUlS1A_E_NS1_11comp_targetILNS1_3genE2ELNS1_11target_archE906ELNS1_3gpuE6ELNS1_3repE0EEENS1_30default_config_static_selectorELNS0_4arch9wavefront6targetE0EEEvT1_
		.amdhsa_group_segment_fixed_size 0
		.amdhsa_private_segment_fixed_size 0
		.amdhsa_kernarg_size 120
		.amdhsa_user_sgpr_count 15
		.amdhsa_user_sgpr_dispatch_ptr 0
		.amdhsa_user_sgpr_queue_ptr 0
		.amdhsa_user_sgpr_kernarg_segment_ptr 1
		.amdhsa_user_sgpr_dispatch_id 0
		.amdhsa_user_sgpr_private_segment_size 0
		.amdhsa_wavefront_size32 1
		.amdhsa_uses_dynamic_stack 0
		.amdhsa_enable_private_segment 0
		.amdhsa_system_sgpr_workgroup_id_x 1
		.amdhsa_system_sgpr_workgroup_id_y 0
		.amdhsa_system_sgpr_workgroup_id_z 0
		.amdhsa_system_sgpr_workgroup_info 0
		.amdhsa_system_vgpr_workitem_id 0
		.amdhsa_next_free_vgpr 1
		.amdhsa_next_free_sgpr 1
		.amdhsa_reserve_vcc 0
		.amdhsa_float_round_mode_32 0
		.amdhsa_float_round_mode_16_64 0
		.amdhsa_float_denorm_mode_32 3
		.amdhsa_float_denorm_mode_16_64 3
		.amdhsa_dx10_clamp 1
		.amdhsa_ieee_mode 1
		.amdhsa_fp16_overflow 0
		.amdhsa_workgroup_processor_mode 1
		.amdhsa_memory_ordered 1
		.amdhsa_forward_progress 0
		.amdhsa_shared_vgpr_count 0
		.amdhsa_exception_fp_ieee_invalid_op 0
		.amdhsa_exception_fp_denorm_src 0
		.amdhsa_exception_fp_ieee_div_zero 0
		.amdhsa_exception_fp_ieee_overflow 0
		.amdhsa_exception_fp_ieee_underflow 0
		.amdhsa_exception_fp_ieee_inexact 0
		.amdhsa_exception_int_div_zero 0
	.end_amdhsa_kernel
	.section	.text._ZN7rocprim17ROCPRIM_400000_NS6detail17trampoline_kernelINS0_14default_configENS1_25partition_config_selectorILNS1_17partition_subalgoE5ElNS0_10empty_typeEbEEZZNS1_14partition_implILS5_5ELb0ES3_mN6hipcub16HIPCUB_304000_NS21CountingInputIteratorIllEEPS6_NSA_22TransformInputIteratorIbN2at6native12_GLOBAL__N_19NonZeroOpIN3c107complexINSJ_4HalfEEEEEPKSM_lEENS0_5tupleIJPlS6_EEENSR_IJSD_SD_EEES6_PiJS6_EEE10hipError_tPvRmT3_T4_T5_T6_T7_T9_mT8_P12ihipStream_tbDpT10_ENKUlT_T0_E_clISt17integral_constantIbLb0EES1F_EEDaS1A_S1B_EUlS1A_E_NS1_11comp_targetILNS1_3genE2ELNS1_11target_archE906ELNS1_3gpuE6ELNS1_3repE0EEENS1_30default_config_static_selectorELNS0_4arch9wavefront6targetE0EEEvT1_,"axG",@progbits,_ZN7rocprim17ROCPRIM_400000_NS6detail17trampoline_kernelINS0_14default_configENS1_25partition_config_selectorILNS1_17partition_subalgoE5ElNS0_10empty_typeEbEEZZNS1_14partition_implILS5_5ELb0ES3_mN6hipcub16HIPCUB_304000_NS21CountingInputIteratorIllEEPS6_NSA_22TransformInputIteratorIbN2at6native12_GLOBAL__N_19NonZeroOpIN3c107complexINSJ_4HalfEEEEEPKSM_lEENS0_5tupleIJPlS6_EEENSR_IJSD_SD_EEES6_PiJS6_EEE10hipError_tPvRmT3_T4_T5_T6_T7_T9_mT8_P12ihipStream_tbDpT10_ENKUlT_T0_E_clISt17integral_constantIbLb0EES1F_EEDaS1A_S1B_EUlS1A_E_NS1_11comp_targetILNS1_3genE2ELNS1_11target_archE906ELNS1_3gpuE6ELNS1_3repE0EEENS1_30default_config_static_selectorELNS0_4arch9wavefront6targetE0EEEvT1_,comdat
.Lfunc_end666:
	.size	_ZN7rocprim17ROCPRIM_400000_NS6detail17trampoline_kernelINS0_14default_configENS1_25partition_config_selectorILNS1_17partition_subalgoE5ElNS0_10empty_typeEbEEZZNS1_14partition_implILS5_5ELb0ES3_mN6hipcub16HIPCUB_304000_NS21CountingInputIteratorIllEEPS6_NSA_22TransformInputIteratorIbN2at6native12_GLOBAL__N_19NonZeroOpIN3c107complexINSJ_4HalfEEEEEPKSM_lEENS0_5tupleIJPlS6_EEENSR_IJSD_SD_EEES6_PiJS6_EEE10hipError_tPvRmT3_T4_T5_T6_T7_T9_mT8_P12ihipStream_tbDpT10_ENKUlT_T0_E_clISt17integral_constantIbLb0EES1F_EEDaS1A_S1B_EUlS1A_E_NS1_11comp_targetILNS1_3genE2ELNS1_11target_archE906ELNS1_3gpuE6ELNS1_3repE0EEENS1_30default_config_static_selectorELNS0_4arch9wavefront6targetE0EEEvT1_, .Lfunc_end666-_ZN7rocprim17ROCPRIM_400000_NS6detail17trampoline_kernelINS0_14default_configENS1_25partition_config_selectorILNS1_17partition_subalgoE5ElNS0_10empty_typeEbEEZZNS1_14partition_implILS5_5ELb0ES3_mN6hipcub16HIPCUB_304000_NS21CountingInputIteratorIllEEPS6_NSA_22TransformInputIteratorIbN2at6native12_GLOBAL__N_19NonZeroOpIN3c107complexINSJ_4HalfEEEEEPKSM_lEENS0_5tupleIJPlS6_EEENSR_IJSD_SD_EEES6_PiJS6_EEE10hipError_tPvRmT3_T4_T5_T6_T7_T9_mT8_P12ihipStream_tbDpT10_ENKUlT_T0_E_clISt17integral_constantIbLb0EES1F_EEDaS1A_S1B_EUlS1A_E_NS1_11comp_targetILNS1_3genE2ELNS1_11target_archE906ELNS1_3gpuE6ELNS1_3repE0EEENS1_30default_config_static_selectorELNS0_4arch9wavefront6targetE0EEEvT1_
                                        ; -- End function
	.section	.AMDGPU.csdata,"",@progbits
; Kernel info:
; codeLenInByte = 0
; NumSgprs: 0
; NumVgprs: 0
; ScratchSize: 0
; MemoryBound: 0
; FloatMode: 240
; IeeeMode: 1
; LDSByteSize: 0 bytes/workgroup (compile time only)
; SGPRBlocks: 0
; VGPRBlocks: 0
; NumSGPRsForWavesPerEU: 1
; NumVGPRsForWavesPerEU: 1
; Occupancy: 16
; WaveLimiterHint : 0
; COMPUTE_PGM_RSRC2:SCRATCH_EN: 0
; COMPUTE_PGM_RSRC2:USER_SGPR: 15
; COMPUTE_PGM_RSRC2:TRAP_HANDLER: 0
; COMPUTE_PGM_RSRC2:TGID_X_EN: 1
; COMPUTE_PGM_RSRC2:TGID_Y_EN: 0
; COMPUTE_PGM_RSRC2:TGID_Z_EN: 0
; COMPUTE_PGM_RSRC2:TIDIG_COMP_CNT: 0
	.section	.text._ZN7rocprim17ROCPRIM_400000_NS6detail17trampoline_kernelINS0_14default_configENS1_25partition_config_selectorILNS1_17partition_subalgoE5ElNS0_10empty_typeEbEEZZNS1_14partition_implILS5_5ELb0ES3_mN6hipcub16HIPCUB_304000_NS21CountingInputIteratorIllEEPS6_NSA_22TransformInputIteratorIbN2at6native12_GLOBAL__N_19NonZeroOpIN3c107complexINSJ_4HalfEEEEEPKSM_lEENS0_5tupleIJPlS6_EEENSR_IJSD_SD_EEES6_PiJS6_EEE10hipError_tPvRmT3_T4_T5_T6_T7_T9_mT8_P12ihipStream_tbDpT10_ENKUlT_T0_E_clISt17integral_constantIbLb0EES1F_EEDaS1A_S1B_EUlS1A_E_NS1_11comp_targetILNS1_3genE10ELNS1_11target_archE1200ELNS1_3gpuE4ELNS1_3repE0EEENS1_30default_config_static_selectorELNS0_4arch9wavefront6targetE0EEEvT1_,"axG",@progbits,_ZN7rocprim17ROCPRIM_400000_NS6detail17trampoline_kernelINS0_14default_configENS1_25partition_config_selectorILNS1_17partition_subalgoE5ElNS0_10empty_typeEbEEZZNS1_14partition_implILS5_5ELb0ES3_mN6hipcub16HIPCUB_304000_NS21CountingInputIteratorIllEEPS6_NSA_22TransformInputIteratorIbN2at6native12_GLOBAL__N_19NonZeroOpIN3c107complexINSJ_4HalfEEEEEPKSM_lEENS0_5tupleIJPlS6_EEENSR_IJSD_SD_EEES6_PiJS6_EEE10hipError_tPvRmT3_T4_T5_T6_T7_T9_mT8_P12ihipStream_tbDpT10_ENKUlT_T0_E_clISt17integral_constantIbLb0EES1F_EEDaS1A_S1B_EUlS1A_E_NS1_11comp_targetILNS1_3genE10ELNS1_11target_archE1200ELNS1_3gpuE4ELNS1_3repE0EEENS1_30default_config_static_selectorELNS0_4arch9wavefront6targetE0EEEvT1_,comdat
	.globl	_ZN7rocprim17ROCPRIM_400000_NS6detail17trampoline_kernelINS0_14default_configENS1_25partition_config_selectorILNS1_17partition_subalgoE5ElNS0_10empty_typeEbEEZZNS1_14partition_implILS5_5ELb0ES3_mN6hipcub16HIPCUB_304000_NS21CountingInputIteratorIllEEPS6_NSA_22TransformInputIteratorIbN2at6native12_GLOBAL__N_19NonZeroOpIN3c107complexINSJ_4HalfEEEEEPKSM_lEENS0_5tupleIJPlS6_EEENSR_IJSD_SD_EEES6_PiJS6_EEE10hipError_tPvRmT3_T4_T5_T6_T7_T9_mT8_P12ihipStream_tbDpT10_ENKUlT_T0_E_clISt17integral_constantIbLb0EES1F_EEDaS1A_S1B_EUlS1A_E_NS1_11comp_targetILNS1_3genE10ELNS1_11target_archE1200ELNS1_3gpuE4ELNS1_3repE0EEENS1_30default_config_static_selectorELNS0_4arch9wavefront6targetE0EEEvT1_ ; -- Begin function _ZN7rocprim17ROCPRIM_400000_NS6detail17trampoline_kernelINS0_14default_configENS1_25partition_config_selectorILNS1_17partition_subalgoE5ElNS0_10empty_typeEbEEZZNS1_14partition_implILS5_5ELb0ES3_mN6hipcub16HIPCUB_304000_NS21CountingInputIteratorIllEEPS6_NSA_22TransformInputIteratorIbN2at6native12_GLOBAL__N_19NonZeroOpIN3c107complexINSJ_4HalfEEEEEPKSM_lEENS0_5tupleIJPlS6_EEENSR_IJSD_SD_EEES6_PiJS6_EEE10hipError_tPvRmT3_T4_T5_T6_T7_T9_mT8_P12ihipStream_tbDpT10_ENKUlT_T0_E_clISt17integral_constantIbLb0EES1F_EEDaS1A_S1B_EUlS1A_E_NS1_11comp_targetILNS1_3genE10ELNS1_11target_archE1200ELNS1_3gpuE4ELNS1_3repE0EEENS1_30default_config_static_selectorELNS0_4arch9wavefront6targetE0EEEvT1_
	.p2align	8
	.type	_ZN7rocprim17ROCPRIM_400000_NS6detail17trampoline_kernelINS0_14default_configENS1_25partition_config_selectorILNS1_17partition_subalgoE5ElNS0_10empty_typeEbEEZZNS1_14partition_implILS5_5ELb0ES3_mN6hipcub16HIPCUB_304000_NS21CountingInputIteratorIllEEPS6_NSA_22TransformInputIteratorIbN2at6native12_GLOBAL__N_19NonZeroOpIN3c107complexINSJ_4HalfEEEEEPKSM_lEENS0_5tupleIJPlS6_EEENSR_IJSD_SD_EEES6_PiJS6_EEE10hipError_tPvRmT3_T4_T5_T6_T7_T9_mT8_P12ihipStream_tbDpT10_ENKUlT_T0_E_clISt17integral_constantIbLb0EES1F_EEDaS1A_S1B_EUlS1A_E_NS1_11comp_targetILNS1_3genE10ELNS1_11target_archE1200ELNS1_3gpuE4ELNS1_3repE0EEENS1_30default_config_static_selectorELNS0_4arch9wavefront6targetE0EEEvT1_,@function
_ZN7rocprim17ROCPRIM_400000_NS6detail17trampoline_kernelINS0_14default_configENS1_25partition_config_selectorILNS1_17partition_subalgoE5ElNS0_10empty_typeEbEEZZNS1_14partition_implILS5_5ELb0ES3_mN6hipcub16HIPCUB_304000_NS21CountingInputIteratorIllEEPS6_NSA_22TransformInputIteratorIbN2at6native12_GLOBAL__N_19NonZeroOpIN3c107complexINSJ_4HalfEEEEEPKSM_lEENS0_5tupleIJPlS6_EEENSR_IJSD_SD_EEES6_PiJS6_EEE10hipError_tPvRmT3_T4_T5_T6_T7_T9_mT8_P12ihipStream_tbDpT10_ENKUlT_T0_E_clISt17integral_constantIbLb0EES1F_EEDaS1A_S1B_EUlS1A_E_NS1_11comp_targetILNS1_3genE10ELNS1_11target_archE1200ELNS1_3gpuE4ELNS1_3repE0EEENS1_30default_config_static_selectorELNS0_4arch9wavefront6targetE0EEEvT1_: ; @_ZN7rocprim17ROCPRIM_400000_NS6detail17trampoline_kernelINS0_14default_configENS1_25partition_config_selectorILNS1_17partition_subalgoE5ElNS0_10empty_typeEbEEZZNS1_14partition_implILS5_5ELb0ES3_mN6hipcub16HIPCUB_304000_NS21CountingInputIteratorIllEEPS6_NSA_22TransformInputIteratorIbN2at6native12_GLOBAL__N_19NonZeroOpIN3c107complexINSJ_4HalfEEEEEPKSM_lEENS0_5tupleIJPlS6_EEENSR_IJSD_SD_EEES6_PiJS6_EEE10hipError_tPvRmT3_T4_T5_T6_T7_T9_mT8_P12ihipStream_tbDpT10_ENKUlT_T0_E_clISt17integral_constantIbLb0EES1F_EEDaS1A_S1B_EUlS1A_E_NS1_11comp_targetILNS1_3genE10ELNS1_11target_archE1200ELNS1_3gpuE4ELNS1_3repE0EEENS1_30default_config_static_selectorELNS0_4arch9wavefront6targetE0EEEvT1_
; %bb.0:
	.section	.rodata,"a",@progbits
	.p2align	6, 0x0
	.amdhsa_kernel _ZN7rocprim17ROCPRIM_400000_NS6detail17trampoline_kernelINS0_14default_configENS1_25partition_config_selectorILNS1_17partition_subalgoE5ElNS0_10empty_typeEbEEZZNS1_14partition_implILS5_5ELb0ES3_mN6hipcub16HIPCUB_304000_NS21CountingInputIteratorIllEEPS6_NSA_22TransformInputIteratorIbN2at6native12_GLOBAL__N_19NonZeroOpIN3c107complexINSJ_4HalfEEEEEPKSM_lEENS0_5tupleIJPlS6_EEENSR_IJSD_SD_EEES6_PiJS6_EEE10hipError_tPvRmT3_T4_T5_T6_T7_T9_mT8_P12ihipStream_tbDpT10_ENKUlT_T0_E_clISt17integral_constantIbLb0EES1F_EEDaS1A_S1B_EUlS1A_E_NS1_11comp_targetILNS1_3genE10ELNS1_11target_archE1200ELNS1_3gpuE4ELNS1_3repE0EEENS1_30default_config_static_selectorELNS0_4arch9wavefront6targetE0EEEvT1_
		.amdhsa_group_segment_fixed_size 0
		.amdhsa_private_segment_fixed_size 0
		.amdhsa_kernarg_size 120
		.amdhsa_user_sgpr_count 15
		.amdhsa_user_sgpr_dispatch_ptr 0
		.amdhsa_user_sgpr_queue_ptr 0
		.amdhsa_user_sgpr_kernarg_segment_ptr 1
		.amdhsa_user_sgpr_dispatch_id 0
		.amdhsa_user_sgpr_private_segment_size 0
		.amdhsa_wavefront_size32 1
		.amdhsa_uses_dynamic_stack 0
		.amdhsa_enable_private_segment 0
		.amdhsa_system_sgpr_workgroup_id_x 1
		.amdhsa_system_sgpr_workgroup_id_y 0
		.amdhsa_system_sgpr_workgroup_id_z 0
		.amdhsa_system_sgpr_workgroup_info 0
		.amdhsa_system_vgpr_workitem_id 0
		.amdhsa_next_free_vgpr 1
		.amdhsa_next_free_sgpr 1
		.amdhsa_reserve_vcc 0
		.amdhsa_float_round_mode_32 0
		.amdhsa_float_round_mode_16_64 0
		.amdhsa_float_denorm_mode_32 3
		.amdhsa_float_denorm_mode_16_64 3
		.amdhsa_dx10_clamp 1
		.amdhsa_ieee_mode 1
		.amdhsa_fp16_overflow 0
		.amdhsa_workgroup_processor_mode 1
		.amdhsa_memory_ordered 1
		.amdhsa_forward_progress 0
		.amdhsa_shared_vgpr_count 0
		.amdhsa_exception_fp_ieee_invalid_op 0
		.amdhsa_exception_fp_denorm_src 0
		.amdhsa_exception_fp_ieee_div_zero 0
		.amdhsa_exception_fp_ieee_overflow 0
		.amdhsa_exception_fp_ieee_underflow 0
		.amdhsa_exception_fp_ieee_inexact 0
		.amdhsa_exception_int_div_zero 0
	.end_amdhsa_kernel
	.section	.text._ZN7rocprim17ROCPRIM_400000_NS6detail17trampoline_kernelINS0_14default_configENS1_25partition_config_selectorILNS1_17partition_subalgoE5ElNS0_10empty_typeEbEEZZNS1_14partition_implILS5_5ELb0ES3_mN6hipcub16HIPCUB_304000_NS21CountingInputIteratorIllEEPS6_NSA_22TransformInputIteratorIbN2at6native12_GLOBAL__N_19NonZeroOpIN3c107complexINSJ_4HalfEEEEEPKSM_lEENS0_5tupleIJPlS6_EEENSR_IJSD_SD_EEES6_PiJS6_EEE10hipError_tPvRmT3_T4_T5_T6_T7_T9_mT8_P12ihipStream_tbDpT10_ENKUlT_T0_E_clISt17integral_constantIbLb0EES1F_EEDaS1A_S1B_EUlS1A_E_NS1_11comp_targetILNS1_3genE10ELNS1_11target_archE1200ELNS1_3gpuE4ELNS1_3repE0EEENS1_30default_config_static_selectorELNS0_4arch9wavefront6targetE0EEEvT1_,"axG",@progbits,_ZN7rocprim17ROCPRIM_400000_NS6detail17trampoline_kernelINS0_14default_configENS1_25partition_config_selectorILNS1_17partition_subalgoE5ElNS0_10empty_typeEbEEZZNS1_14partition_implILS5_5ELb0ES3_mN6hipcub16HIPCUB_304000_NS21CountingInputIteratorIllEEPS6_NSA_22TransformInputIteratorIbN2at6native12_GLOBAL__N_19NonZeroOpIN3c107complexINSJ_4HalfEEEEEPKSM_lEENS0_5tupleIJPlS6_EEENSR_IJSD_SD_EEES6_PiJS6_EEE10hipError_tPvRmT3_T4_T5_T6_T7_T9_mT8_P12ihipStream_tbDpT10_ENKUlT_T0_E_clISt17integral_constantIbLb0EES1F_EEDaS1A_S1B_EUlS1A_E_NS1_11comp_targetILNS1_3genE10ELNS1_11target_archE1200ELNS1_3gpuE4ELNS1_3repE0EEENS1_30default_config_static_selectorELNS0_4arch9wavefront6targetE0EEEvT1_,comdat
.Lfunc_end667:
	.size	_ZN7rocprim17ROCPRIM_400000_NS6detail17trampoline_kernelINS0_14default_configENS1_25partition_config_selectorILNS1_17partition_subalgoE5ElNS0_10empty_typeEbEEZZNS1_14partition_implILS5_5ELb0ES3_mN6hipcub16HIPCUB_304000_NS21CountingInputIteratorIllEEPS6_NSA_22TransformInputIteratorIbN2at6native12_GLOBAL__N_19NonZeroOpIN3c107complexINSJ_4HalfEEEEEPKSM_lEENS0_5tupleIJPlS6_EEENSR_IJSD_SD_EEES6_PiJS6_EEE10hipError_tPvRmT3_T4_T5_T6_T7_T9_mT8_P12ihipStream_tbDpT10_ENKUlT_T0_E_clISt17integral_constantIbLb0EES1F_EEDaS1A_S1B_EUlS1A_E_NS1_11comp_targetILNS1_3genE10ELNS1_11target_archE1200ELNS1_3gpuE4ELNS1_3repE0EEENS1_30default_config_static_selectorELNS0_4arch9wavefront6targetE0EEEvT1_, .Lfunc_end667-_ZN7rocprim17ROCPRIM_400000_NS6detail17trampoline_kernelINS0_14default_configENS1_25partition_config_selectorILNS1_17partition_subalgoE5ElNS0_10empty_typeEbEEZZNS1_14partition_implILS5_5ELb0ES3_mN6hipcub16HIPCUB_304000_NS21CountingInputIteratorIllEEPS6_NSA_22TransformInputIteratorIbN2at6native12_GLOBAL__N_19NonZeroOpIN3c107complexINSJ_4HalfEEEEEPKSM_lEENS0_5tupleIJPlS6_EEENSR_IJSD_SD_EEES6_PiJS6_EEE10hipError_tPvRmT3_T4_T5_T6_T7_T9_mT8_P12ihipStream_tbDpT10_ENKUlT_T0_E_clISt17integral_constantIbLb0EES1F_EEDaS1A_S1B_EUlS1A_E_NS1_11comp_targetILNS1_3genE10ELNS1_11target_archE1200ELNS1_3gpuE4ELNS1_3repE0EEENS1_30default_config_static_selectorELNS0_4arch9wavefront6targetE0EEEvT1_
                                        ; -- End function
	.section	.AMDGPU.csdata,"",@progbits
; Kernel info:
; codeLenInByte = 0
; NumSgprs: 0
; NumVgprs: 0
; ScratchSize: 0
; MemoryBound: 0
; FloatMode: 240
; IeeeMode: 1
; LDSByteSize: 0 bytes/workgroup (compile time only)
; SGPRBlocks: 0
; VGPRBlocks: 0
; NumSGPRsForWavesPerEU: 1
; NumVGPRsForWavesPerEU: 1
; Occupancy: 16
; WaveLimiterHint : 0
; COMPUTE_PGM_RSRC2:SCRATCH_EN: 0
; COMPUTE_PGM_RSRC2:USER_SGPR: 15
; COMPUTE_PGM_RSRC2:TRAP_HANDLER: 0
; COMPUTE_PGM_RSRC2:TGID_X_EN: 1
; COMPUTE_PGM_RSRC2:TGID_Y_EN: 0
; COMPUTE_PGM_RSRC2:TGID_Z_EN: 0
; COMPUTE_PGM_RSRC2:TIDIG_COMP_CNT: 0
	.section	.text._ZN7rocprim17ROCPRIM_400000_NS6detail17trampoline_kernelINS0_14default_configENS1_25partition_config_selectorILNS1_17partition_subalgoE5ElNS0_10empty_typeEbEEZZNS1_14partition_implILS5_5ELb0ES3_mN6hipcub16HIPCUB_304000_NS21CountingInputIteratorIllEEPS6_NSA_22TransformInputIteratorIbN2at6native12_GLOBAL__N_19NonZeroOpIN3c107complexINSJ_4HalfEEEEEPKSM_lEENS0_5tupleIJPlS6_EEENSR_IJSD_SD_EEES6_PiJS6_EEE10hipError_tPvRmT3_T4_T5_T6_T7_T9_mT8_P12ihipStream_tbDpT10_ENKUlT_T0_E_clISt17integral_constantIbLb0EES1F_EEDaS1A_S1B_EUlS1A_E_NS1_11comp_targetILNS1_3genE9ELNS1_11target_archE1100ELNS1_3gpuE3ELNS1_3repE0EEENS1_30default_config_static_selectorELNS0_4arch9wavefront6targetE0EEEvT1_,"axG",@progbits,_ZN7rocprim17ROCPRIM_400000_NS6detail17trampoline_kernelINS0_14default_configENS1_25partition_config_selectorILNS1_17partition_subalgoE5ElNS0_10empty_typeEbEEZZNS1_14partition_implILS5_5ELb0ES3_mN6hipcub16HIPCUB_304000_NS21CountingInputIteratorIllEEPS6_NSA_22TransformInputIteratorIbN2at6native12_GLOBAL__N_19NonZeroOpIN3c107complexINSJ_4HalfEEEEEPKSM_lEENS0_5tupleIJPlS6_EEENSR_IJSD_SD_EEES6_PiJS6_EEE10hipError_tPvRmT3_T4_T5_T6_T7_T9_mT8_P12ihipStream_tbDpT10_ENKUlT_T0_E_clISt17integral_constantIbLb0EES1F_EEDaS1A_S1B_EUlS1A_E_NS1_11comp_targetILNS1_3genE9ELNS1_11target_archE1100ELNS1_3gpuE3ELNS1_3repE0EEENS1_30default_config_static_selectorELNS0_4arch9wavefront6targetE0EEEvT1_,comdat
	.globl	_ZN7rocprim17ROCPRIM_400000_NS6detail17trampoline_kernelINS0_14default_configENS1_25partition_config_selectorILNS1_17partition_subalgoE5ElNS0_10empty_typeEbEEZZNS1_14partition_implILS5_5ELb0ES3_mN6hipcub16HIPCUB_304000_NS21CountingInputIteratorIllEEPS6_NSA_22TransformInputIteratorIbN2at6native12_GLOBAL__N_19NonZeroOpIN3c107complexINSJ_4HalfEEEEEPKSM_lEENS0_5tupleIJPlS6_EEENSR_IJSD_SD_EEES6_PiJS6_EEE10hipError_tPvRmT3_T4_T5_T6_T7_T9_mT8_P12ihipStream_tbDpT10_ENKUlT_T0_E_clISt17integral_constantIbLb0EES1F_EEDaS1A_S1B_EUlS1A_E_NS1_11comp_targetILNS1_3genE9ELNS1_11target_archE1100ELNS1_3gpuE3ELNS1_3repE0EEENS1_30default_config_static_selectorELNS0_4arch9wavefront6targetE0EEEvT1_ ; -- Begin function _ZN7rocprim17ROCPRIM_400000_NS6detail17trampoline_kernelINS0_14default_configENS1_25partition_config_selectorILNS1_17partition_subalgoE5ElNS0_10empty_typeEbEEZZNS1_14partition_implILS5_5ELb0ES3_mN6hipcub16HIPCUB_304000_NS21CountingInputIteratorIllEEPS6_NSA_22TransformInputIteratorIbN2at6native12_GLOBAL__N_19NonZeroOpIN3c107complexINSJ_4HalfEEEEEPKSM_lEENS0_5tupleIJPlS6_EEENSR_IJSD_SD_EEES6_PiJS6_EEE10hipError_tPvRmT3_T4_T5_T6_T7_T9_mT8_P12ihipStream_tbDpT10_ENKUlT_T0_E_clISt17integral_constantIbLb0EES1F_EEDaS1A_S1B_EUlS1A_E_NS1_11comp_targetILNS1_3genE9ELNS1_11target_archE1100ELNS1_3gpuE3ELNS1_3repE0EEENS1_30default_config_static_selectorELNS0_4arch9wavefront6targetE0EEEvT1_
	.p2align	8
	.type	_ZN7rocprim17ROCPRIM_400000_NS6detail17trampoline_kernelINS0_14default_configENS1_25partition_config_selectorILNS1_17partition_subalgoE5ElNS0_10empty_typeEbEEZZNS1_14partition_implILS5_5ELb0ES3_mN6hipcub16HIPCUB_304000_NS21CountingInputIteratorIllEEPS6_NSA_22TransformInputIteratorIbN2at6native12_GLOBAL__N_19NonZeroOpIN3c107complexINSJ_4HalfEEEEEPKSM_lEENS0_5tupleIJPlS6_EEENSR_IJSD_SD_EEES6_PiJS6_EEE10hipError_tPvRmT3_T4_T5_T6_T7_T9_mT8_P12ihipStream_tbDpT10_ENKUlT_T0_E_clISt17integral_constantIbLb0EES1F_EEDaS1A_S1B_EUlS1A_E_NS1_11comp_targetILNS1_3genE9ELNS1_11target_archE1100ELNS1_3gpuE3ELNS1_3repE0EEENS1_30default_config_static_selectorELNS0_4arch9wavefront6targetE0EEEvT1_,@function
_ZN7rocprim17ROCPRIM_400000_NS6detail17trampoline_kernelINS0_14default_configENS1_25partition_config_selectorILNS1_17partition_subalgoE5ElNS0_10empty_typeEbEEZZNS1_14partition_implILS5_5ELb0ES3_mN6hipcub16HIPCUB_304000_NS21CountingInputIteratorIllEEPS6_NSA_22TransformInputIteratorIbN2at6native12_GLOBAL__N_19NonZeroOpIN3c107complexINSJ_4HalfEEEEEPKSM_lEENS0_5tupleIJPlS6_EEENSR_IJSD_SD_EEES6_PiJS6_EEE10hipError_tPvRmT3_T4_T5_T6_T7_T9_mT8_P12ihipStream_tbDpT10_ENKUlT_T0_E_clISt17integral_constantIbLb0EES1F_EEDaS1A_S1B_EUlS1A_E_NS1_11comp_targetILNS1_3genE9ELNS1_11target_archE1100ELNS1_3gpuE3ELNS1_3repE0EEENS1_30default_config_static_selectorELNS0_4arch9wavefront6targetE0EEEvT1_: ; @_ZN7rocprim17ROCPRIM_400000_NS6detail17trampoline_kernelINS0_14default_configENS1_25partition_config_selectorILNS1_17partition_subalgoE5ElNS0_10empty_typeEbEEZZNS1_14partition_implILS5_5ELb0ES3_mN6hipcub16HIPCUB_304000_NS21CountingInputIteratorIllEEPS6_NSA_22TransformInputIteratorIbN2at6native12_GLOBAL__N_19NonZeroOpIN3c107complexINSJ_4HalfEEEEEPKSM_lEENS0_5tupleIJPlS6_EEENSR_IJSD_SD_EEES6_PiJS6_EEE10hipError_tPvRmT3_T4_T5_T6_T7_T9_mT8_P12ihipStream_tbDpT10_ENKUlT_T0_E_clISt17integral_constantIbLb0EES1F_EEDaS1A_S1B_EUlS1A_E_NS1_11comp_targetILNS1_3genE9ELNS1_11target_archE1100ELNS1_3gpuE3ELNS1_3repE0EEENS1_30default_config_static_selectorELNS0_4arch9wavefront6targetE0EEEvT1_
; %bb.0:
	s_clause 0x4
	s_load_b128 s[8:11], s[0:1], 0x8
	s_load_b128 s[4:7], s[0:1], 0x48
	s_load_b32 s14, s[0:1], 0x70
	s_load_b64 s[2:3], s[0:1], 0x58
	s_load_b64 s[12:13], s[0:1], 0x20
	s_waitcnt lgkmcnt(0)
	s_add_u32 s18, s10, s8
	s_load_b64 s[6:7], s[6:7], 0x0
	s_mul_i32 s17, s14, 0x300
	s_addc_u32 s19, s11, s9
	s_add_i32 s14, s14, -1
	s_add_u32 s8, s10, s17
	s_addc_u32 s9, s11, 0
	s_cmp_eq_u32 s15, s14
	v_cmp_ge_u64_e64 s3, s[8:9], s[2:3]
	s_cselect_b32 s14, -1, 0
	s_mul_i32 s8, s15, 0x300
	s_mov_b32 s9, 0
	s_delay_alu instid0(VALU_DEP_1) | instskip(NEXT) | instid1(SALU_CYCLE_1)
	s_and_b32 s3, s14, s3
	s_xor_b32 s16, s3, -1
	s_mov_b32 s3, -1
	s_and_b32 vcc_lo, exec_lo, s16
	s_cbranch_vccz .LBB668_2
; %bb.1:
	s_add_u32 s3, s18, s8
	s_addc_u32 s20, s19, 0
	v_add_co_u32 v1, s3, s3, v0
	s_delay_alu instid0(VALU_DEP_1) | instskip(SKIP_1) | instid1(VALU_DEP_3)
	v_add_co_ci_u32_e64 v2, null, s20, 0, s3
	v_lshlrev_b32_e32 v13, 3, v0
	v_add_co_u32 v3, vcc_lo, 0x80, v1
	s_delay_alu instid0(VALU_DEP_3)
	v_add_co_ci_u32_e32 v4, vcc_lo, 0, v2, vcc_lo
	v_add_co_u32 v5, vcc_lo, 0x100, v1
	v_add_co_ci_u32_e32 v6, vcc_lo, 0, v2, vcc_lo
	v_add_co_u32 v7, vcc_lo, 0x180, v1
	;; [unrolled: 2-line block ×4, first 2 shown]
	v_add_co_ci_u32_e32 v12, vcc_lo, 0, v2, vcc_lo
	ds_store_2addr_stride64_b64 v13, v[1:2], v[3:4] offset1:2
	ds_store_2addr_stride64_b64 v13, v[5:6], v[7:8] offset0:4 offset1:6
	ds_store_2addr_stride64_b64 v13, v[9:10], v[11:12] offset0:8 offset1:10
	s_waitcnt lgkmcnt(0)
	s_mov_b32 s3, s9
	s_barrier
.LBB668_2:
	v_or_b32_e32 v17, 0x100, v0
	v_or_b32_e32 v16, 0x180, v0
	;; [unrolled: 1-line block ×4, first 2 shown]
	s_and_not1_b32 vcc_lo, exec_lo, s3
	s_cbranch_vccnz .LBB668_4
; %bb.3:
	v_or_b32_e32 v3, 0x80, v0
	s_add_u32 s3, s18, s8
	s_addc_u32 s18, s19, 0
	v_add_co_u32 v1, s19, s3, v0
	s_delay_alu instid0(VALU_DEP_1) | instskip(SKIP_1) | instid1(VALU_DEP_1)
	v_add_co_ci_u32_e64 v2, null, s18, 0, s19
	v_add_co_u32 v3, s19, s3, v3
	v_add_co_ci_u32_e64 v4, null, s18, 0, s19
	v_add_co_u32 v5, s19, s3, v17
	s_delay_alu instid0(VALU_DEP_1) | instskip(SKIP_1) | instid1(VALU_DEP_1)
	v_add_co_ci_u32_e64 v6, null, s18, 0, s19
	v_add_co_u32 v7, s19, s3, v16
	v_add_co_ci_u32_e64 v8, null, s18, 0, s19
	v_add_co_u32 v9, s19, s3, v14
	v_lshlrev_b32_e32 v15, 3, v0
	v_add_co_u32 v11, s3, s3, v13
	v_add_co_ci_u32_e64 v10, null, s18, 0, s19
	v_add_co_ci_u32_e64 v12, null, s18, 0, s3
	ds_store_2addr_stride64_b64 v15, v[1:2], v[3:4] offset1:2
	ds_store_2addr_stride64_b64 v15, v[5:6], v[7:8] offset0:4 offset1:6
	ds_store_2addr_stride64_b64 v15, v[9:10], v[11:12] offset0:8 offset1:10
	s_waitcnt lgkmcnt(0)
	s_barrier
.LBB668_4:
	v_mul_u32_u24_e32 v1, 6, v0
	s_waitcnt lgkmcnt(0)
	buffer_gl0_inv
	s_lshl_b64 s[18:19], s[10:11], 2
	v_lshlrev_b32_e32 v18, 2, v0
	s_add_u32 s3, s12, s18
	v_lshlrev_b32_e32 v15, 3, v1
	s_addc_u32 s11, s13, s19
	s_lshl_b64 s[8:9], s[8:9], 2
	ds_load_b128 v[9:12], v15
	ds_load_b128 v[5:8], v15 offset:16
	ds_load_b128 v[1:4], v15 offset:32
	s_add_u32 s12, s3, s8
	s_addc_u32 s13, s11, s9
	s_and_b32 vcc_lo, exec_lo, s16
	s_mov_b32 s3, -1
	s_waitcnt lgkmcnt(0)
	s_barrier
	buffer_gl0_inv
	s_cbranch_vccz .LBB668_6
; %bb.5:
	s_clause 0x5
	global_load_b32 v19, v18, s[12:13]
	global_load_b32 v20, v18, s[12:13] offset:512
	global_load_b32 v21, v18, s[12:13] offset:1024
	global_load_b32 v22, v18, s[12:13] offset:1536
	global_load_b32 v23, v18, s[12:13] offset:2048
	global_load_b32 v24, v18, s[12:13] offset:2560
	s_mov_b32 s3, 0
	s_waitcnt vmcnt(5)
	v_lshrrev_b32_e32 v25, 16, v19
	s_waitcnt vmcnt(4)
	v_lshrrev_b32_e32 v26, 16, v20
	;; [unrolled: 2-line block ×5, first 2 shown]
	v_or_b32_e32 v19, v19, v25
	v_or_b32_e32 v20, v20, v26
	;; [unrolled: 1-line block ×4, first 2 shown]
	s_waitcnt vmcnt(0)
	v_lshrrev_b32_e32 v30, 16, v24
	v_and_b32_e32 v19, 0x7fff, v19
	v_and_b32_e32 v20, 0x7fff, v20
	;; [unrolled: 1-line block ×3, first 2 shown]
	v_or_b32_e32 v23, v23, v29
	v_and_b32_e32 v22, 0x7fff, v22
	v_cmp_ne_u16_e32 vcc_lo, 0, v19
	v_or_b32_e32 v24, v24, v30
	s_delay_alu instid0(VALU_DEP_4) | instskip(SKIP_2) | instid1(VALU_DEP_4)
	v_and_b32_e32 v23, 0x7fff, v23
	v_cndmask_b32_e64 v19, 0, 1, vcc_lo
	v_cmp_ne_u16_e32 vcc_lo, 0, v20
	v_and_b32_e32 v24, 0x7fff, v24
	v_cndmask_b32_e64 v20, 0, 1, vcc_lo
	v_cmp_ne_u16_e32 vcc_lo, 0, v21
	v_cndmask_b32_e64 v21, 0, 1, vcc_lo
	v_cmp_ne_u16_e32 vcc_lo, 0, v22
	v_cndmask_b32_e64 v22, 0, 1, vcc_lo
	v_cmp_ne_u16_e32 vcc_lo, 0, v23
	v_cndmask_b32_e64 v23, 0, 1, vcc_lo
	v_cmp_ne_u16_e32 vcc_lo, 0, v24
	v_cndmask_b32_e64 v24, 0, 1, vcc_lo
	ds_store_b8 v0, v19
	ds_store_b8 v0, v20 offset:128
	ds_store_b8 v0, v21 offset:256
	;; [unrolled: 1-line block ×5, first 2 shown]
	s_waitcnt lgkmcnt(0)
	s_barrier
.LBB668_6:
	s_load_b64 s[8:9], s[0:1], 0x68
	s_and_not1_b32 vcc_lo, exec_lo, s3
	s_cbranch_vccnz .LBB668_20
; %bb.7:
	s_add_i32 s17, s17, s10
	v_dual_mov_b32 v19, 0 :: v_dual_mov_b32 v20, 0
	s_sub_i32 s2, s2, s17
	s_mov_b32 s3, exec_lo
	s_addk_i32 s2, 0x300
	s_delay_alu instid0(SALU_CYCLE_1)
	v_cmpx_gt_u32_e64 s2, v0
	s_cbranch_execz .LBB668_9
; %bb.8:
	global_load_b32 v20, v18, s[12:13]
	s_waitcnt vmcnt(0)
	v_lshrrev_b32_e32 v21, 16, v20
	s_delay_alu instid0(VALU_DEP_1) | instskip(NEXT) | instid1(VALU_DEP_1)
	v_or_b32_e32 v20, v20, v21
	v_and_b32_e32 v20, 0x7fff, v20
	s_delay_alu instid0(VALU_DEP_1)
	v_cmp_ne_u16_e32 vcc_lo, 0, v20
	v_cndmask_b32_e64 v20, 0, 1, vcc_lo
.LBB668_9:
	s_or_b32 exec_lo, exec_lo, s3
	v_or_b32_e32 v21, 0x80, v0
	s_mov_b32 s3, exec_lo
	s_delay_alu instid0(VALU_DEP_1)
	v_cmpx_gt_u32_e64 s2, v21
	s_cbranch_execz .LBB668_11
; %bb.10:
	global_load_b32 v19, v18, s[12:13] offset:512
	s_waitcnt vmcnt(0)
	v_lshrrev_b32_e32 v21, 16, v19
	s_delay_alu instid0(VALU_DEP_1) | instskip(NEXT) | instid1(VALU_DEP_1)
	v_or_b32_e32 v19, v19, v21
	v_and_b32_e32 v19, 0x7fff, v19
	s_delay_alu instid0(VALU_DEP_1)
	v_cmp_ne_u16_e32 vcc_lo, 0, v19
	v_cndmask_b32_e64 v19, 0, 1, vcc_lo
.LBB668_11:
	s_or_b32 exec_lo, exec_lo, s3
	v_cmp_gt_u32_e32 vcc_lo, s2, v17
	v_mov_b32_e32 v17, 0
	v_mov_b32_e32 v21, 0
	s_and_saveexec_b32 s3, vcc_lo
	s_cbranch_execz .LBB668_13
; %bb.12:
	global_load_b32 v21, v18, s[12:13] offset:1024
	s_waitcnt vmcnt(0)
	v_lshrrev_b32_e32 v22, 16, v21
	s_delay_alu instid0(VALU_DEP_1) | instskip(NEXT) | instid1(VALU_DEP_1)
	v_or_b32_e32 v21, v21, v22
	v_and_b32_e32 v21, 0x7fff, v21
	s_delay_alu instid0(VALU_DEP_1)
	v_cmp_ne_u16_e32 vcc_lo, 0, v21
	v_cndmask_b32_e64 v21, 0, 1, vcc_lo
.LBB668_13:
	s_or_b32 exec_lo, exec_lo, s3
	s_delay_alu instid0(SALU_CYCLE_1)
	s_mov_b32 s3, exec_lo
	v_cmpx_gt_u32_e64 s2, v16
	s_cbranch_execz .LBB668_15
; %bb.14:
	global_load_b32 v16, v18, s[12:13] offset:1536
	s_waitcnt vmcnt(0)
	v_lshrrev_b32_e32 v17, 16, v16
	s_delay_alu instid0(VALU_DEP_1) | instskip(NEXT) | instid1(VALU_DEP_1)
	v_or_b32_e32 v16, v16, v17
	v_and_b32_e32 v16, 0x7fff, v16
	s_delay_alu instid0(VALU_DEP_1)
	v_cmp_ne_u16_e32 vcc_lo, 0, v16
	v_cndmask_b32_e64 v17, 0, 1, vcc_lo
.LBB668_15:
	s_or_b32 exec_lo, exec_lo, s3
	v_cmp_gt_u32_e32 vcc_lo, s2, v14
	v_mov_b32_e32 v14, 0
	v_mov_b32_e32 v16, 0
	s_and_saveexec_b32 s3, vcc_lo
	s_cbranch_execz .LBB668_17
; %bb.16:
	global_load_b32 v16, v18, s[12:13] offset:2048
	s_waitcnt vmcnt(0)
	v_lshrrev_b32_e32 v22, 16, v16
	s_delay_alu instid0(VALU_DEP_1) | instskip(NEXT) | instid1(VALU_DEP_1)
	v_or_b32_e32 v16, v16, v22
	v_and_b32_e32 v16, 0x7fff, v16
	s_delay_alu instid0(VALU_DEP_1)
	v_cmp_ne_u16_e32 vcc_lo, 0, v16
	v_cndmask_b32_e64 v16, 0, 1, vcc_lo
.LBB668_17:
	s_or_b32 exec_lo, exec_lo, s3
	v_cmp_gt_u32_e32 vcc_lo, s2, v13
	s_and_saveexec_b32 s2, vcc_lo
	s_cbranch_execz .LBB668_19
; %bb.18:
	global_load_b32 v13, v18, s[12:13] offset:2560
	s_waitcnt vmcnt(0)
	v_lshrrev_b32_e32 v14, 16, v13
	s_delay_alu instid0(VALU_DEP_1) | instskip(NEXT) | instid1(VALU_DEP_1)
	v_or_b32_e32 v13, v13, v14
	v_and_b32_e32 v13, 0x7fff, v13
	s_delay_alu instid0(VALU_DEP_1)
	v_cmp_ne_u16_e32 vcc_lo, 0, v13
	v_cndmask_b32_e64 v14, 0, 1, vcc_lo
.LBB668_19:
	s_or_b32 exec_lo, exec_lo, s2
	ds_store_b8 v0, v20
	ds_store_b8 v0, v19 offset:128
	ds_store_b8 v0, v21 offset:256
	;; [unrolled: 1-line block ×5, first 2 shown]
	s_waitcnt lgkmcnt(0)
	s_barrier
.LBB668_20:
	v_mad_i32_i24 v43, 0xffffffd6, v0, v15
	s_waitcnt lgkmcnt(0)
	buffer_gl0_inv
	v_mbcnt_lo_u32_b32 v42, -1, 0
	s_cmp_lg_u32 s15, 0
	s_mov_b32 s3, -1
	ds_load_u16 v36, v43
	ds_load_u16 v33, v43 offset:2
	ds_load_u16 v31, v43 offset:4
	v_mov_b32_e32 v14, 0
	v_and_b32_e32 v44, 15, v42
	s_waitcnt lgkmcnt(0)
	s_barrier
	buffer_gl0_inv
	v_and_b32_e32 v41, 0xff, v36
	v_lshrrev_b16 v34, 8, v36
	v_lshrrev_b16 v35, 8, v33
	v_and_b32_e32 v39, 0xff, v33
	v_lshrrev_b16 v32, 8, v31
	v_and_b32_e32 v37, 0xff, v31
	v_and_b32_e32 v40, 0xffff, v34
	;; [unrolled: 1-line block ×3, first 2 shown]
	s_delay_alu instid0(VALU_DEP_4) | instskip(NEXT) | instid1(VALU_DEP_3)
	v_and_b32_e32 v16, 0xffff, v32
	v_add_co_u32 v13, s2, v40, v41
	s_delay_alu instid0(VALU_DEP_1) | instskip(SKIP_1) | instid1(VALU_DEP_3)
	v_add_co_ci_u32_e64 v15, null, 0, 0, s2
	v_cmp_ne_u32_e64 s2, 0, v44
	v_add_co_u32 v13, vcc_lo, v13, v39
	s_delay_alu instid0(VALU_DEP_3) | instskip(NEXT) | instid1(VALU_DEP_2)
	v_add_co_ci_u32_e32 v15, vcc_lo, 0, v15, vcc_lo
	v_add_co_u32 v13, vcc_lo, v13, v38
	s_delay_alu instid0(VALU_DEP_2) | instskip(NEXT) | instid1(VALU_DEP_2)
	v_add_co_ci_u32_e32 v15, vcc_lo, 0, v15, vcc_lo
	v_add_co_u32 v13, vcc_lo, v13, v37
	s_delay_alu instid0(VALU_DEP_2) | instskip(NEXT) | instid1(VALU_DEP_2)
	v_add_co_ci_u32_e32 v15, vcc_lo, 0, v15, vcc_lo
	v_add_co_u32 v21, vcc_lo, v13, v16
	s_delay_alu instid0(VALU_DEP_2)
	v_add_co_ci_u32_e32 v22, vcc_lo, 0, v15, vcc_lo
	s_cbranch_scc0 .LBB668_84
; %bb.21:
	s_delay_alu instid0(VALU_DEP_2)
	v_mov_b32_e32 v15, v21
	v_mov_b32_dpp v13, v21 row_shr:1 row_mask:0xf bank_mask:0xf
	v_mov_b32_dpp v18, v14 row_shr:1 row_mask:0xf bank_mask:0xf
	v_dual_mov_b32 v17, v21 :: v_dual_mov_b32 v16, v22
	s_and_saveexec_b32 s3, s2
; %bb.22:
	s_delay_alu instid0(VALU_DEP_3) | instskip(SKIP_1) | instid1(VALU_DEP_2)
	v_add_co_u32 v17, vcc_lo, v21, v13
	v_add_co_ci_u32_e32 v14, vcc_lo, 0, v22, vcc_lo
	v_add_co_u32 v13, vcc_lo, 0, v17
	s_delay_alu instid0(VALU_DEP_2) | instskip(NEXT) | instid1(VALU_DEP_1)
	v_add_co_ci_u32_e32 v14, vcc_lo, v18, v14, vcc_lo
	v_dual_mov_b32 v16, v14 :: v_dual_mov_b32 v15, v13
; %bb.23:
	s_or_b32 exec_lo, exec_lo, s3
	v_mov_b32_dpp v13, v17 row_shr:2 row_mask:0xf bank_mask:0xf
	v_mov_b32_dpp v18, v14 row_shr:2 row_mask:0xf bank_mask:0xf
	s_mov_b32 s3, exec_lo
	v_cmpx_lt_u32_e32 1, v44
; %bb.24:
	s_delay_alu instid0(VALU_DEP_3) | instskip(SKIP_1) | instid1(VALU_DEP_2)
	v_add_co_u32 v17, vcc_lo, v15, v13
	v_add_co_ci_u32_e32 v14, vcc_lo, 0, v16, vcc_lo
	v_add_co_u32 v13, vcc_lo, 0, v17
	s_delay_alu instid0(VALU_DEP_2) | instskip(NEXT) | instid1(VALU_DEP_1)
	v_add_co_ci_u32_e32 v14, vcc_lo, v18, v14, vcc_lo
	v_dual_mov_b32 v16, v14 :: v_dual_mov_b32 v15, v13
; %bb.25:
	s_or_b32 exec_lo, exec_lo, s3
	v_mov_b32_dpp v13, v17 row_shr:4 row_mask:0xf bank_mask:0xf
	v_mov_b32_dpp v18, v14 row_shr:4 row_mask:0xf bank_mask:0xf
	s_mov_b32 s3, exec_lo
	v_cmpx_lt_u32_e32 3, v44
	;; [unrolled: 14-line block ×3, first 2 shown]
; %bb.28:
	s_delay_alu instid0(VALU_DEP_3) | instskip(SKIP_1) | instid1(VALU_DEP_2)
	v_add_co_u32 v17, vcc_lo, v15, v18
	v_add_co_ci_u32_e32 v14, vcc_lo, 0, v16, vcc_lo
	v_add_co_u32 v15, vcc_lo, 0, v17
	s_delay_alu instid0(VALU_DEP_2) | instskip(NEXT) | instid1(VALU_DEP_1)
	v_add_co_ci_u32_e32 v16, vcc_lo, v13, v14, vcc_lo
	v_mov_b32_e32 v14, v16
; %bb.29:
	s_or_b32 exec_lo, exec_lo, s3
	ds_swizzle_b32 v13, v17 offset:swizzle(BROADCAST,32,15)
	ds_swizzle_b32 v18, v14 offset:swizzle(BROADCAST,32,15)
	v_and_b32_e32 v19, 16, v42
	s_mov_b32 s3, exec_lo
	s_delay_alu instid0(VALU_DEP_1)
	v_cmpx_ne_u32_e32 0, v19
	s_cbranch_execz .LBB668_31
; %bb.30:
	s_waitcnt lgkmcnt(1)
	v_add_co_u32 v17, vcc_lo, v15, v13
	v_add_co_ci_u32_e32 v14, vcc_lo, 0, v16, vcc_lo
	s_delay_alu instid0(VALU_DEP_2) | instskip(SKIP_1) | instid1(VALU_DEP_2)
	v_add_co_u32 v13, vcc_lo, 0, v17
	s_waitcnt lgkmcnt(0)
	v_add_co_ci_u32_e32 v14, vcc_lo, v18, v14, vcc_lo
	s_delay_alu instid0(VALU_DEP_1)
	v_dual_mov_b32 v16, v14 :: v_dual_mov_b32 v15, v13
.LBB668_31:
	s_or_b32 exec_lo, exec_lo, s3
	s_waitcnt lgkmcnt(0)
	v_or_b32_e32 v18, 31, v0
	v_lshrrev_b32_e32 v13, 5, v0
	s_mov_b32 s3, exec_lo
	s_delay_alu instid0(VALU_DEP_2)
	v_cmpx_eq_u32_e64 v18, v0
	s_cbranch_execz .LBB668_33
; %bb.32:
	s_delay_alu instid0(VALU_DEP_2)
	v_lshlrev_b32_e32 v18, 3, v13
	ds_store_b64 v18, v[15:16]
.LBB668_33:
	s_or_b32 exec_lo, exec_lo, s3
	s_delay_alu instid0(SALU_CYCLE_1)
	s_mov_b32 s3, exec_lo
	s_waitcnt lgkmcnt(0)
	s_barrier
	buffer_gl0_inv
	v_cmpx_gt_u32_e32 4, v0
	s_cbranch_execz .LBB668_39
; %bb.34:
	v_lshlrev_b32_e32 v18, 3, v0
	s_mov_b32 s10, exec_lo
	ds_load_b64 v[15:16], v18
	s_waitcnt lgkmcnt(0)
	v_dual_mov_b32 v20, v15 :: v_dual_and_b32 v19, 3, v42
	v_mov_b32_dpp v24, v15 row_shr:1 row_mask:0xf bank_mask:0xf
	v_mov_b32_dpp v23, v16 row_shr:1 row_mask:0xf bank_mask:0xf
	s_delay_alu instid0(VALU_DEP_3)
	v_cmpx_ne_u32_e32 0, v19
; %bb.35:
	s_delay_alu instid0(VALU_DEP_3) | instskip(SKIP_1) | instid1(VALU_DEP_2)
	v_add_co_u32 v20, vcc_lo, v15, v24
	v_add_co_ci_u32_e32 v16, vcc_lo, 0, v16, vcc_lo
	v_add_co_u32 v15, vcc_lo, 0, v20
	s_delay_alu instid0(VALU_DEP_2)
	v_add_co_ci_u32_e32 v16, vcc_lo, v23, v16, vcc_lo
; %bb.36:
	s_or_b32 exec_lo, exec_lo, s10
	v_mov_b32_dpp v23, v20 row_shr:2 row_mask:0xf bank_mask:0xf
	s_delay_alu instid0(VALU_DEP_2)
	v_mov_b32_dpp v20, v16 row_shr:2 row_mask:0xf bank_mask:0xf
	s_mov_b32 s10, exec_lo
	v_cmpx_lt_u32_e32 1, v19
; %bb.37:
	s_delay_alu instid0(VALU_DEP_3) | instskip(SKIP_1) | instid1(VALU_DEP_2)
	v_add_co_u32 v15, vcc_lo, v15, v23
	v_add_co_ci_u32_e32 v16, vcc_lo, 0, v16, vcc_lo
	v_add_co_u32 v15, vcc_lo, v15, 0
	s_delay_alu instid0(VALU_DEP_2)
	v_add_co_ci_u32_e32 v16, vcc_lo, v16, v20, vcc_lo
; %bb.38:
	s_or_b32 exec_lo, exec_lo, s10
	ds_store_b64 v18, v[15:16]
.LBB668_39:
	s_or_b32 exec_lo, exec_lo, s3
	v_cmp_gt_u32_e32 vcc_lo, 32, v0
	s_mov_b32 s10, exec_lo
	s_waitcnt lgkmcnt(0)
	s_barrier
	buffer_gl0_inv
                                        ; implicit-def: $vgpr23_vgpr24
	v_cmpx_lt_u32_e32 31, v0
	s_cbranch_execz .LBB668_41
; %bb.40:
	v_lshl_add_u32 v13, v13, 3, -8
	ds_load_b64 v[23:24], v13
	s_waitcnt lgkmcnt(0)
	v_add_co_u32 v17, s3, v17, v23
	s_delay_alu instid0(VALU_DEP_1)
	v_add_co_ci_u32_e64 v14, s3, v14, v24, s3
.LBB668_41:
	s_or_b32 exec_lo, exec_lo, s10
	v_add_nc_u32_e32 v13, -1, v42
	s_delay_alu instid0(VALU_DEP_1) | instskip(NEXT) | instid1(VALU_DEP_1)
	v_cmp_gt_i32_e64 s3, 0, v13
	v_cndmask_b32_e64 v13, v13, v42, s3
	v_cmp_eq_u32_e64 s3, 0, v42
	s_delay_alu instid0(VALU_DEP_2)
	v_lshlrev_b32_e32 v13, 2, v13
	ds_bpermute_b32 v29, v13, v17
	ds_bpermute_b32 v30, v13, v14
	s_and_saveexec_b32 s10, vcc_lo
	s_cbranch_execz .LBB668_79
; %bb.42:
	v_mov_b32_e32 v16, 0
	ds_load_b64 v[13:14], v16 offset:24
	s_and_saveexec_b32 s11, s3
	s_cbranch_execz .LBB668_44
; %bb.43:
	s_add_i32 s12, s15, 32
	s_mov_b32 s13, 0
	s_delay_alu instid0(SALU_CYCLE_1) | instskip(NEXT) | instid1(SALU_CYCLE_1)
	s_lshl_b64 s[12:13], s[12:13], 4
	s_add_u32 s12, s8, s12
	s_addc_u32 s13, s9, s13
	s_delay_alu instid0(SALU_CYCLE_1)
	v_dual_mov_b32 v15, 1 :: v_dual_mov_b32 v18, s13
	v_mov_b32_e32 v17, s12
	s_waitcnt lgkmcnt(0)
	;;#ASMSTART
	global_store_dwordx4 v[17:18], v[13:16] off	
s_waitcnt vmcnt(0)
	;;#ASMEND
.LBB668_44:
	s_or_b32 exec_lo, exec_lo, s11
	v_xad_u32 v25, v42, -1, s15
	s_mov_b32 s12, 0
	s_mov_b32 s11, exec_lo
	s_delay_alu instid0(VALU_DEP_1) | instskip(NEXT) | instid1(VALU_DEP_1)
	v_add_nc_u32_e32 v15, 32, v25
	v_lshlrev_b64 v[15:16], 4, v[15:16]
	s_delay_alu instid0(VALU_DEP_1) | instskip(NEXT) | instid1(VALU_DEP_2)
	v_add_co_u32 v15, vcc_lo, s8, v15
	v_add_co_ci_u32_e32 v16, vcc_lo, s9, v16, vcc_lo
	;;#ASMSTART
	global_load_dwordx4 v[17:20], v[15:16] off glc	
s_waitcnt vmcnt(0)
	;;#ASMEND
	v_and_b32_e32 v20, 0xff, v18
	v_and_b32_e32 v26, 0xff00, v18
	v_or3_b32 v17, v17, 0, 0
	v_and_b32_e32 v27, 0xff000000, v18
	v_and_b32_e32 v18, 0xff0000, v18
	s_delay_alu instid0(VALU_DEP_4) | instskip(SKIP_2) | instid1(VALU_DEP_3)
	v_or3_b32 v20, 0, v20, v26
	v_and_b32_e32 v26, 0xff, v19
	v_or3_b32 v17, v17, 0, 0
	v_or3_b32 v18, v20, v18, v27
	s_delay_alu instid0(VALU_DEP_3)
	v_cmpx_eq_u16_e32 0, v26
	s_cbranch_execz .LBB668_47
.LBB668_45:                             ; =>This Inner Loop Header: Depth=1
	;;#ASMSTART
	global_load_dwordx4 v[17:20], v[15:16] off glc	
s_waitcnt vmcnt(0)
	;;#ASMEND
	v_and_b32_e32 v20, 0xff, v19
	s_delay_alu instid0(VALU_DEP_1) | instskip(SKIP_1) | instid1(SALU_CYCLE_1)
	v_cmp_ne_u16_e32 vcc_lo, 0, v20
	s_or_b32 s12, vcc_lo, s12
	s_and_not1_b32 exec_lo, exec_lo, s12
	s_cbranch_execnz .LBB668_45
; %bb.46:
	s_or_b32 exec_lo, exec_lo, s12
.LBB668_47:
	s_delay_alu instid0(SALU_CYCLE_1)
	s_or_b32 exec_lo, exec_lo, s11
	v_cmp_ne_u32_e32 vcc_lo, 31, v42
	v_and_b32_e32 v16, 0xff, v19
	v_lshlrev_b32_e64 v46, v42, -1
	s_mov_b32 s11, exec_lo
	v_add_co_ci_u32_e32 v15, vcc_lo, 0, v42, vcc_lo
	s_delay_alu instid0(VALU_DEP_3) | instskip(NEXT) | instid1(VALU_DEP_2)
	v_cmp_eq_u16_e32 vcc_lo, 2, v16
	v_dual_mov_b32 v16, v17 :: v_dual_lshlrev_b32 v45, 2, v15
	v_and_or_b32 v15, vcc_lo, v46, 0x80000000
	ds_bpermute_b32 v26, v45, v17
	ds_bpermute_b32 v20, v45, v18
	v_ctz_i32_b32_e32 v15, v15
	s_delay_alu instid0(VALU_DEP_1)
	v_cmpx_lt_u32_e64 v42, v15
	s_cbranch_execz .LBB668_49
; %bb.48:
	s_waitcnt lgkmcnt(1)
	v_add_co_u32 v16, vcc_lo, v17, v26
	v_add_co_ci_u32_e32 v18, vcc_lo, 0, v18, vcc_lo
	s_delay_alu instid0(VALU_DEP_2) | instskip(SKIP_1) | instid1(VALU_DEP_2)
	v_add_co_u32 v17, vcc_lo, 0, v16
	s_waitcnt lgkmcnt(0)
	v_add_co_ci_u32_e32 v18, vcc_lo, v20, v18, vcc_lo
.LBB668_49:
	s_or_b32 exec_lo, exec_lo, s11
	v_cmp_gt_u32_e32 vcc_lo, 30, v42
	v_add_nc_u32_e32 v48, 2, v42
	s_mov_b32 s11, exec_lo
	s_waitcnt lgkmcnt(0)
	v_cndmask_b32_e64 v20, 0, 1, vcc_lo
	s_delay_alu instid0(VALU_DEP_1) | instskip(NEXT) | instid1(VALU_DEP_1)
	v_lshlrev_b32_e32 v20, 1, v20
	v_add_lshl_u32 v47, v20, v42, 2
	ds_bpermute_b32 v26, v47, v16
	ds_bpermute_b32 v20, v47, v18
	v_cmpx_le_u32_e64 v48, v15
	s_cbranch_execz .LBB668_51
; %bb.50:
	s_waitcnt lgkmcnt(1)
	v_add_co_u32 v16, vcc_lo, v17, v26
	v_add_co_ci_u32_e32 v18, vcc_lo, 0, v18, vcc_lo
	s_delay_alu instid0(VALU_DEP_2) | instskip(SKIP_1) | instid1(VALU_DEP_2)
	v_add_co_u32 v17, vcc_lo, 0, v16
	s_waitcnt lgkmcnt(0)
	v_add_co_ci_u32_e32 v18, vcc_lo, v20, v18, vcc_lo
.LBB668_51:
	s_or_b32 exec_lo, exec_lo, s11
	v_cmp_gt_u32_e32 vcc_lo, 28, v42
	v_add_nc_u32_e32 v50, 4, v42
	s_mov_b32 s11, exec_lo
	s_waitcnt lgkmcnt(0)
	v_cndmask_b32_e64 v20, 0, 1, vcc_lo
	s_delay_alu instid0(VALU_DEP_1) | instskip(NEXT) | instid1(VALU_DEP_1)
	v_lshlrev_b32_e32 v20, 2, v20
	v_add_lshl_u32 v49, v20, v42, 2
	ds_bpermute_b32 v26, v49, v16
	ds_bpermute_b32 v20, v49, v18
	v_cmpx_le_u32_e64 v50, v15
	;; [unrolled: 22-line block ×4, first 2 shown]
	s_cbranch_execz .LBB668_57
; %bb.56:
	s_waitcnt lgkmcnt(1)
	v_add_co_u32 v15, vcc_lo, v17, v20
	v_add_co_ci_u32_e32 v18, vcc_lo, 0, v18, vcc_lo
	s_delay_alu instid0(VALU_DEP_2) | instskip(SKIP_1) | instid1(VALU_DEP_2)
	v_add_co_u32 v17, vcc_lo, v15, 0
	s_waitcnt lgkmcnt(0)
	v_add_co_ci_u32_e32 v18, vcc_lo, v18, v16, vcc_lo
.LBB668_57:
	s_or_b32 exec_lo, exec_lo, s11
	v_mov_b32_e32 v26, 0
	s_branch .LBB668_59
.LBB668_58:                             ;   in Loop: Header=BB668_59 Depth=1
	s_or_b32 exec_lo, exec_lo, s11
	v_add_co_u32 v17, vcc_lo, v17, v15
	v_subrev_nc_u32_e32 v25, 32, v25
	v_add_co_ci_u32_e32 v18, vcc_lo, v18, v16, vcc_lo
.LBB668_59:                             ; =>This Loop Header: Depth=1
                                        ;     Child Loop BB668_62 Depth 2
	v_and_b32_e32 v15, 0xff, v19
	s_delay_alu instid0(VALU_DEP_1) | instskip(SKIP_2) | instid1(VALU_DEP_1)
	v_cmp_ne_u16_e32 vcc_lo, 2, v15
	v_cndmask_b32_e64 v15, 0, 1, vcc_lo
	;;#ASMSTART
	;;#ASMEND
	v_cmp_ne_u32_e32 vcc_lo, 0, v15
	s_waitcnt lgkmcnt(0)
	v_dual_mov_b32 v15, v17 :: v_dual_mov_b32 v16, v18
	s_cmp_lg_u32 vcc_lo, exec_lo
	s_cbranch_scc1 .LBB668_74
; %bb.60:                               ;   in Loop: Header=BB668_59 Depth=1
	v_lshlrev_b64 v[17:18], 4, v[25:26]
	s_mov_b32 s11, exec_lo
	s_delay_alu instid0(VALU_DEP_1) | instskip(NEXT) | instid1(VALU_DEP_2)
	v_add_co_u32 v27, vcc_lo, s8, v17
	v_add_co_ci_u32_e32 v28, vcc_lo, s9, v18, vcc_lo
	;;#ASMSTART
	global_load_dwordx4 v[17:20], v[27:28] off glc	
s_waitcnt vmcnt(0)
	;;#ASMEND
	v_and_b32_e32 v20, 0xff, v18
	v_and_b32_e32 v55, 0xff00, v18
	v_or3_b32 v17, v17, 0, 0
	v_and_b32_e32 v56, 0xff000000, v18
	v_and_b32_e32 v18, 0xff0000, v18
	s_delay_alu instid0(VALU_DEP_4) | instskip(SKIP_2) | instid1(VALU_DEP_3)
	v_or3_b32 v20, 0, v20, v55
	v_and_b32_e32 v55, 0xff, v19
	v_or3_b32 v17, v17, 0, 0
	v_or3_b32 v18, v20, v18, v56
	s_delay_alu instid0(VALU_DEP_3)
	v_cmpx_eq_u16_e32 0, v55
	s_cbranch_execz .LBB668_64
; %bb.61:                               ;   in Loop: Header=BB668_59 Depth=1
	s_mov_b32 s12, 0
.LBB668_62:                             ;   Parent Loop BB668_59 Depth=1
                                        ; =>  This Inner Loop Header: Depth=2
	;;#ASMSTART
	global_load_dwordx4 v[17:20], v[27:28] off glc	
s_waitcnt vmcnt(0)
	;;#ASMEND
	v_and_b32_e32 v20, 0xff, v19
	s_delay_alu instid0(VALU_DEP_1) | instskip(SKIP_1) | instid1(SALU_CYCLE_1)
	v_cmp_ne_u16_e32 vcc_lo, 0, v20
	s_or_b32 s12, vcc_lo, s12
	s_and_not1_b32 exec_lo, exec_lo, s12
	s_cbranch_execnz .LBB668_62
; %bb.63:                               ;   in Loop: Header=BB668_59 Depth=1
	s_or_b32 exec_lo, exec_lo, s12
.LBB668_64:                             ;   in Loop: Header=BB668_59 Depth=1
	s_delay_alu instid0(SALU_CYCLE_1)
	s_or_b32 exec_lo, exec_lo, s11
	v_dual_mov_b32 v27, v17 :: v_dual_and_b32 v20, 0xff, v19
	ds_bpermute_b32 v55, v45, v17
	ds_bpermute_b32 v28, v45, v18
	s_mov_b32 s11, exec_lo
	v_cmp_eq_u16_e32 vcc_lo, 2, v20
	v_and_or_b32 v20, vcc_lo, v46, 0x80000000
	s_delay_alu instid0(VALU_DEP_1) | instskip(NEXT) | instid1(VALU_DEP_1)
	v_ctz_i32_b32_e32 v20, v20
	v_cmpx_lt_u32_e64 v42, v20
	s_cbranch_execz .LBB668_66
; %bb.65:                               ;   in Loop: Header=BB668_59 Depth=1
	s_waitcnt lgkmcnt(1)
	v_add_co_u32 v27, vcc_lo, v17, v55
	v_add_co_ci_u32_e32 v18, vcc_lo, 0, v18, vcc_lo
	s_delay_alu instid0(VALU_DEP_2) | instskip(SKIP_1) | instid1(VALU_DEP_2)
	v_add_co_u32 v17, vcc_lo, 0, v27
	s_waitcnt lgkmcnt(0)
	v_add_co_ci_u32_e32 v18, vcc_lo, v28, v18, vcc_lo
.LBB668_66:                             ;   in Loop: Header=BB668_59 Depth=1
	s_or_b32 exec_lo, exec_lo, s11
	s_waitcnt lgkmcnt(1)
	ds_bpermute_b32 v55, v47, v27
	s_waitcnt lgkmcnt(1)
	ds_bpermute_b32 v28, v47, v18
	s_mov_b32 s11, exec_lo
	v_cmpx_le_u32_e64 v48, v20
	s_cbranch_execz .LBB668_68
; %bb.67:                               ;   in Loop: Header=BB668_59 Depth=1
	s_waitcnt lgkmcnt(1)
	v_add_co_u32 v27, vcc_lo, v17, v55
	v_add_co_ci_u32_e32 v18, vcc_lo, 0, v18, vcc_lo
	s_delay_alu instid0(VALU_DEP_2) | instskip(SKIP_1) | instid1(VALU_DEP_2)
	v_add_co_u32 v17, vcc_lo, 0, v27
	s_waitcnt lgkmcnt(0)
	v_add_co_ci_u32_e32 v18, vcc_lo, v28, v18, vcc_lo
.LBB668_68:                             ;   in Loop: Header=BB668_59 Depth=1
	s_or_b32 exec_lo, exec_lo, s11
	s_waitcnt lgkmcnt(1)
	ds_bpermute_b32 v55, v49, v27
	s_waitcnt lgkmcnt(1)
	ds_bpermute_b32 v28, v49, v18
	s_mov_b32 s11, exec_lo
	v_cmpx_le_u32_e64 v50, v20
	;; [unrolled: 17-line block ×3, first 2 shown]
	s_cbranch_execz .LBB668_72
; %bb.71:                               ;   in Loop: Header=BB668_59 Depth=1
	s_waitcnt lgkmcnt(1)
	v_add_co_u32 v27, vcc_lo, v17, v55
	v_add_co_ci_u32_e32 v18, vcc_lo, 0, v18, vcc_lo
	s_delay_alu instid0(VALU_DEP_2) | instskip(SKIP_1) | instid1(VALU_DEP_2)
	v_add_co_u32 v17, vcc_lo, 0, v27
	s_waitcnt lgkmcnt(0)
	v_add_co_ci_u32_e32 v18, vcc_lo, v28, v18, vcc_lo
.LBB668_72:                             ;   in Loop: Header=BB668_59 Depth=1
	s_or_b32 exec_lo, exec_lo, s11
	s_waitcnt lgkmcnt(0)
	ds_bpermute_b32 v28, v53, v27
	ds_bpermute_b32 v27, v53, v18
	s_mov_b32 s11, exec_lo
	v_cmpx_le_u32_e64 v54, v20
	s_cbranch_execz .LBB668_58
; %bb.73:                               ;   in Loop: Header=BB668_59 Depth=1
	s_waitcnt lgkmcnt(1)
	v_add_co_u32 v17, vcc_lo, v17, v28
	v_add_co_ci_u32_e32 v18, vcc_lo, 0, v18, vcc_lo
	s_delay_alu instid0(VALU_DEP_2) | instskip(SKIP_1) | instid1(VALU_DEP_2)
	v_add_co_u32 v17, vcc_lo, v17, 0
	s_waitcnt lgkmcnt(0)
	v_add_co_ci_u32_e32 v18, vcc_lo, v18, v27, vcc_lo
	s_branch .LBB668_58
.LBB668_74:                             ;   in Loop: Header=BB668_59 Depth=1
                                        ; implicit-def: $vgpr17_vgpr18
	s_cbranch_execz .LBB668_59
; %bb.75:
	s_and_saveexec_b32 s11, s3
	s_cbranch_execz .LBB668_77
; %bb.76:
	s_add_i32 s12, s15, 32
	s_mov_b32 s13, 0
	v_add_co_u32 v17, vcc_lo, v15, v13
	s_lshl_b64 s[12:13], s[12:13], 4
	v_dual_mov_b32 v19, 2 :: v_dual_mov_b32 v20, 0
	s_add_u32 s12, s8, s12
	s_addc_u32 s13, s9, s13
	v_add_co_ci_u32_e32 v18, vcc_lo, v16, v14, vcc_lo
	v_dual_mov_b32 v26, s13 :: v_dual_mov_b32 v25, s12
	;;#ASMSTART
	global_store_dwordx4 v[25:26], v[17:20] off	
s_waitcnt vmcnt(0)
	;;#ASMEND
	ds_store_b128 v20, v[13:16] offset:6144
.LBB668_77:
	s_or_b32 exec_lo, exec_lo, s11
	v_cmp_eq_u32_e32 vcc_lo, 0, v0
	s_and_b32 exec_lo, exec_lo, vcc_lo
	s_cbranch_execz .LBB668_79
; %bb.78:
	v_mov_b32_e32 v13, 0
	ds_store_b64 v13, v[15:16] offset:24
.LBB668_79:
	s_or_b32 exec_lo, exec_lo, s10
	s_waitcnt lgkmcnt(1)
	v_cndmask_b32_e64 v16, v29, v23, s3
	v_cmp_ne_u32_e32 vcc_lo, 0, v0
	v_mov_b32_e32 v15, 0
	s_waitcnt lgkmcnt(0)
	s_barrier
	buffer_gl0_inv
	v_cndmask_b32_e32 v16, 0, v16, vcc_lo
	ds_load_b64 v[13:14], v15 offset:24
	v_cndmask_b32_e64 v17, v30, v24, s3
	s_waitcnt lgkmcnt(0)
	s_barrier
	buffer_gl0_inv
	v_cndmask_b32_e32 v17, 0, v17, vcc_lo
	v_add_co_u32 v29, vcc_lo, v13, v16
	s_delay_alu instid0(VALU_DEP_2) | instskip(SKIP_3) | instid1(VALU_DEP_2)
	v_add_co_ci_u32_e32 v30, vcc_lo, v14, v17, vcc_lo
	ds_load_b128 v[13:16], v15 offset:6144
	v_add_co_u32 v27, vcc_lo, v29, v41
	v_add_co_ci_u32_e32 v28, vcc_lo, 0, v30, vcc_lo
	v_add_co_u32 v25, vcc_lo, v27, v40
	s_delay_alu instid0(VALU_DEP_2) | instskip(NEXT) | instid1(VALU_DEP_2)
	v_add_co_ci_u32_e32 v26, vcc_lo, 0, v28, vcc_lo
	v_add_co_u32 v23, vcc_lo, v25, v39
	s_delay_alu instid0(VALU_DEP_2) | instskip(NEXT) | instid1(VALU_DEP_2)
	;; [unrolled: 3-line block ×3, first 2 shown]
	v_add_co_ci_u32_e32 v20, vcc_lo, 0, v24, vcc_lo
	v_add_co_u32 v17, vcc_lo, v19, v37
	s_delay_alu instid0(VALU_DEP_2)
	v_add_co_ci_u32_e32 v18, vcc_lo, 0, v20, vcc_lo
	s_load_b64 s[10:11], s[0:1], 0x30
.LBB668_80:
	s_waitcnt lgkmcnt(0)
	v_cmp_gt_u64_e32 vcc_lo, 0x81, v[13:14]
	s_mov_b32 s0, -1
	s_cbranch_vccnz .LBB668_108
.LBB668_81:
	s_and_b32 vcc_lo, exec_lo, s0
	s_cbranch_vccnz .LBB668_127
.LBB668_82:
	v_cmp_eq_u32_e32 vcc_lo, 0, v0
	s_and_b32 s0, vcc_lo, s14
	s_delay_alu instid0(SALU_CYCLE_1)
	s_and_saveexec_b32 s1, s0
	s_cbranch_execnz .LBB668_143
.LBB668_83:
	s_nop 0
	s_sendmsg sendmsg(MSG_DEALLOC_VGPRS)
	s_endpgm
.LBB668_84:
                                        ; kill: def $vgpr13_vgpr14 killed $sgpr0_sgpr1 killed $exec
                                        ; implicit-def: $vgpr17_vgpr18
                                        ; implicit-def: $vgpr19_vgpr20
                                        ; implicit-def: $vgpr23_vgpr24
                                        ; implicit-def: $vgpr25_vgpr26
                                        ; implicit-def: $vgpr27_vgpr28
                                        ; implicit-def: $vgpr29_vgpr30
                                        ; implicit-def: $vgpr15_vgpr16
	s_load_b64 s[10:11], s[0:1], 0x30
	s_and_b32 vcc_lo, exec_lo, s3
	s_cbranch_vccz .LBB668_80
; %bb.85:
	s_waitcnt lgkmcnt(0)
	v_dual_mov_b32 v14, 0 :: v_dual_mov_b32 v15, v21
	v_mov_b32_dpp v16, v21 row_shr:1 row_mask:0xf bank_mask:0xf
	s_delay_alu instid0(VALU_DEP_2)
	v_mov_b32_dpp v13, v14 row_shr:1 row_mask:0xf bank_mask:0xf
	s_and_saveexec_b32 s0, s2
; %bb.86:
	s_delay_alu instid0(VALU_DEP_2) | instskip(SKIP_1) | instid1(VALU_DEP_2)
	v_add_co_u32 v15, vcc_lo, v21, v16
	v_add_co_ci_u32_e32 v14, vcc_lo, 0, v22, vcc_lo
	v_add_co_u32 v21, vcc_lo, 0, v15
	s_delay_alu instid0(VALU_DEP_2) | instskip(NEXT) | instid1(VALU_DEP_1)
	v_add_co_ci_u32_e32 v22, vcc_lo, v13, v14, vcc_lo
	v_mov_b32_e32 v14, v22
; %bb.87:
	s_or_b32 exec_lo, exec_lo, s0
	v_mov_b32_dpp v13, v15 row_shr:2 row_mask:0xf bank_mask:0xf
	s_delay_alu instid0(VALU_DEP_2)
	v_mov_b32_dpp v16, v14 row_shr:2 row_mask:0xf bank_mask:0xf
	s_mov_b32 s0, exec_lo
	v_cmpx_lt_u32_e32 1, v44
; %bb.88:
	s_delay_alu instid0(VALU_DEP_3) | instskip(SKIP_1) | instid1(VALU_DEP_2)
	v_add_co_u32 v15, vcc_lo, v21, v13
	v_add_co_ci_u32_e32 v14, vcc_lo, 0, v22, vcc_lo
	v_add_co_u32 v13, vcc_lo, 0, v15
	s_delay_alu instid0(VALU_DEP_2) | instskip(NEXT) | instid1(VALU_DEP_1)
	v_add_co_ci_u32_e32 v14, vcc_lo, v16, v14, vcc_lo
	v_dual_mov_b32 v22, v14 :: v_dual_mov_b32 v21, v13
; %bb.89:
	s_or_b32 exec_lo, exec_lo, s0
	v_mov_b32_dpp v13, v15 row_shr:4 row_mask:0xf bank_mask:0xf
	v_mov_b32_dpp v16, v14 row_shr:4 row_mask:0xf bank_mask:0xf
	s_mov_b32 s0, exec_lo
	v_cmpx_lt_u32_e32 3, v44
; %bb.90:
	s_delay_alu instid0(VALU_DEP_3) | instskip(SKIP_1) | instid1(VALU_DEP_2)
	v_add_co_u32 v15, vcc_lo, v21, v13
	v_add_co_ci_u32_e32 v14, vcc_lo, 0, v22, vcc_lo
	v_add_co_u32 v13, vcc_lo, 0, v15
	s_delay_alu instid0(VALU_DEP_2) | instskip(NEXT) | instid1(VALU_DEP_1)
	v_add_co_ci_u32_e32 v14, vcc_lo, v16, v14, vcc_lo
	v_dual_mov_b32 v22, v14 :: v_dual_mov_b32 v21, v13
; %bb.91:
	s_or_b32 exec_lo, exec_lo, s0
	v_mov_b32_dpp v16, v15 row_shr:8 row_mask:0xf bank_mask:0xf
	v_mov_b32_dpp v13, v14 row_shr:8 row_mask:0xf bank_mask:0xf
	s_mov_b32 s0, exec_lo
	v_cmpx_lt_u32_e32 7, v44
; %bb.92:
	s_delay_alu instid0(VALU_DEP_3) | instskip(SKIP_1) | instid1(VALU_DEP_2)
	v_add_co_u32 v15, vcc_lo, v21, v16
	v_add_co_ci_u32_e32 v14, vcc_lo, 0, v22, vcc_lo
	v_add_co_u32 v21, vcc_lo, 0, v15
	s_delay_alu instid0(VALU_DEP_2) | instskip(NEXT) | instid1(VALU_DEP_1)
	v_add_co_ci_u32_e32 v22, vcc_lo, v13, v14, vcc_lo
	v_mov_b32_e32 v14, v22
; %bb.93:
	s_or_b32 exec_lo, exec_lo, s0
	ds_swizzle_b32 v15, v15 offset:swizzle(BROADCAST,32,15)
	ds_swizzle_b32 v13, v14 offset:swizzle(BROADCAST,32,15)
	v_and_b32_e32 v14, 16, v42
	s_mov_b32 s0, exec_lo
	s_delay_alu instid0(VALU_DEP_1)
	v_cmpx_ne_u32_e32 0, v14
	s_cbranch_execz .LBB668_95
; %bb.94:
	s_waitcnt lgkmcnt(1)
	v_add_co_u32 v14, vcc_lo, v21, v15
	v_add_co_ci_u32_e32 v15, vcc_lo, 0, v22, vcc_lo
	s_delay_alu instid0(VALU_DEP_2) | instskip(SKIP_1) | instid1(VALU_DEP_2)
	v_add_co_u32 v21, vcc_lo, v14, 0
	s_waitcnt lgkmcnt(0)
	v_add_co_ci_u32_e32 v22, vcc_lo, v15, v13, vcc_lo
.LBB668_95:
	s_or_b32 exec_lo, exec_lo, s0
	s_waitcnt lgkmcnt(0)
	v_or_b32_e32 v13, 31, v0
	v_lshrrev_b32_e32 v15, 5, v0
	s_mov_b32 s0, exec_lo
	s_delay_alu instid0(VALU_DEP_2)
	v_cmpx_eq_u32_e64 v13, v0
	s_cbranch_execz .LBB668_97
; %bb.96:
	s_delay_alu instid0(VALU_DEP_2)
	v_lshlrev_b32_e32 v13, 3, v15
	ds_store_b64 v13, v[21:22]
.LBB668_97:
	s_or_b32 exec_lo, exec_lo, s0
	s_delay_alu instid0(SALU_CYCLE_1)
	s_mov_b32 s0, exec_lo
	s_waitcnt lgkmcnt(0)
	s_barrier
	buffer_gl0_inv
	v_cmpx_gt_u32_e32 4, v0
	s_cbranch_execz .LBB668_103
; %bb.98:
	v_lshlrev_b32_e32 v13, 1, v0
	s_mov_b32 s1, exec_lo
	s_delay_alu instid0(VALU_DEP_1)
	v_add_nc_u32_e32 v16, v43, v13
	ds_load_b64 v[13:14], v16
	s_waitcnt lgkmcnt(0)
	v_dual_mov_b32 v18, v13 :: v_dual_and_b32 v17, 3, v42
	v_mov_b32_dpp v20, v13 row_shr:1 row_mask:0xf bank_mask:0xf
	v_mov_b32_dpp v19, v14 row_shr:1 row_mask:0xf bank_mask:0xf
	s_delay_alu instid0(VALU_DEP_3)
	v_cmpx_ne_u32_e32 0, v17
; %bb.99:
	s_delay_alu instid0(VALU_DEP_3) | instskip(SKIP_1) | instid1(VALU_DEP_2)
	v_add_co_u32 v18, vcc_lo, v13, v20
	v_add_co_ci_u32_e32 v14, vcc_lo, 0, v14, vcc_lo
	v_add_co_u32 v13, vcc_lo, 0, v18
	s_delay_alu instid0(VALU_DEP_2)
	v_add_co_ci_u32_e32 v14, vcc_lo, v19, v14, vcc_lo
; %bb.100:
	s_or_b32 exec_lo, exec_lo, s1
	v_mov_b32_dpp v19, v18 row_shr:2 row_mask:0xf bank_mask:0xf
	s_delay_alu instid0(VALU_DEP_2)
	v_mov_b32_dpp v18, v14 row_shr:2 row_mask:0xf bank_mask:0xf
	s_mov_b32 s1, exec_lo
	v_cmpx_lt_u32_e32 1, v17
; %bb.101:
	s_delay_alu instid0(VALU_DEP_3) | instskip(SKIP_1) | instid1(VALU_DEP_2)
	v_add_co_u32 v13, vcc_lo, v13, v19
	v_add_co_ci_u32_e32 v14, vcc_lo, 0, v14, vcc_lo
	v_add_co_u32 v13, vcc_lo, v13, 0
	s_delay_alu instid0(VALU_DEP_2)
	v_add_co_ci_u32_e32 v14, vcc_lo, v14, v18, vcc_lo
; %bb.102:
	s_or_b32 exec_lo, exec_lo, s1
	ds_store_b64 v16, v[13:14]
.LBB668_103:
	s_or_b32 exec_lo, exec_lo, s0
	v_mov_b32_e32 v17, 0
	v_mov_b32_e32 v18, 0
	s_mov_b32 s0, exec_lo
	s_waitcnt lgkmcnt(0)
	s_barrier
	buffer_gl0_inv
	v_cmpx_lt_u32_e32 31, v0
	s_cbranch_execz .LBB668_105
; %bb.104:
	v_lshl_add_u32 v13, v15, 3, -8
	ds_load_b64 v[17:18], v13
.LBB668_105:
	s_or_b32 exec_lo, exec_lo, s0
	v_dual_mov_b32 v16, 0 :: v_dual_add_nc_u32 v13, -1, v42
	s_delay_alu instid0(VALU_DEP_1) | instskip(SKIP_4) | instid1(VALU_DEP_3)
	v_cmp_gt_i32_e32 vcc_lo, 0, v13
	v_cndmask_b32_e32 v13, v13, v42, vcc_lo
	s_waitcnt lgkmcnt(0)
	v_add_co_u32 v14, vcc_lo, v17, v21
	v_add_co_ci_u32_e32 v15, vcc_lo, v18, v22, vcc_lo
	v_lshlrev_b32_e32 v13, 2, v13
	v_cmp_eq_u32_e32 vcc_lo, 0, v0
	ds_bpermute_b32 v19, v13, v14
	ds_bpermute_b32 v20, v13, v15
	ds_load_b64 v[13:14], v16 offset:24
	s_and_saveexec_b32 s0, vcc_lo
	s_cbranch_execz .LBB668_107
; %bb.106:
	s_add_u32 s2, s8, 0x200
	s_addc_u32 s3, s9, 0
	s_delay_alu instid0(SALU_CYCLE_1)
	v_dual_mov_b32 v15, 2 :: v_dual_mov_b32 v22, s3
	v_mov_b32_e32 v21, s2
	s_waitcnt lgkmcnt(0)
	;;#ASMSTART
	global_store_dwordx4 v[21:22], v[13:16] off	
s_waitcnt vmcnt(0)
	;;#ASMEND
.LBB668_107:
	s_or_b32 exec_lo, exec_lo, s0
	v_cmp_eq_u32_e64 s0, 0, v42
	s_waitcnt lgkmcnt(0)
	s_barrier
	buffer_gl0_inv
	v_cndmask_b32_e64 v15, v19, v17, s0
	v_cndmask_b32_e64 v16, v20, v18, s0
	s_delay_alu instid0(VALU_DEP_2) | instskip(NEXT) | instid1(VALU_DEP_2)
	v_cndmask_b32_e64 v29, v15, 0, vcc_lo
	v_cndmask_b32_e64 v30, v16, 0, vcc_lo
	v_mov_b32_e32 v15, 0
	v_mov_b32_e32 v16, 0
	s_delay_alu instid0(VALU_DEP_4) | instskip(NEXT) | instid1(VALU_DEP_4)
	v_add_co_u32 v27, vcc_lo, v29, v41
	v_add_co_ci_u32_e32 v28, vcc_lo, 0, v30, vcc_lo
	s_delay_alu instid0(VALU_DEP_2) | instskip(NEXT) | instid1(VALU_DEP_2)
	v_add_co_u32 v25, vcc_lo, v27, v40
	v_add_co_ci_u32_e32 v26, vcc_lo, 0, v28, vcc_lo
	s_delay_alu instid0(VALU_DEP_2) | instskip(NEXT) | instid1(VALU_DEP_2)
	;; [unrolled: 3-line block ×4, first 2 shown]
	v_add_co_u32 v17, vcc_lo, v19, v37
	v_add_co_ci_u32_e32 v18, vcc_lo, 0, v20, vcc_lo
	v_cmp_gt_u64_e32 vcc_lo, 0x81, v[13:14]
	s_mov_b32 s0, -1
	s_cbranch_vccz .LBB668_81
.LBB668_108:
	v_add_co_u32 v21, vcc_lo, v15, v13
	v_add_co_ci_u32_e32 v22, vcc_lo, v16, v14, vcc_lo
	s_delay_alu instid0(VALU_DEP_1) | instskip(SKIP_1) | instid1(SALU_CYCLE_1)
	v_cmp_lt_u64_e32 vcc_lo, v[29:30], v[21:22]
	s_or_b32 s1, s16, vcc_lo
	s_and_saveexec_b32 s0, s1
	s_cbranch_execz .LBB668_111
; %bb.109:
	v_and_b32_e32 v37, 1, v36
	s_delay_alu instid0(VALU_DEP_1)
	v_cmp_eq_u32_e32 vcc_lo, 1, v37
	s_and_b32 exec_lo, exec_lo, vcc_lo
	s_cbranch_execz .LBB668_111
; %bb.110:
	v_lshlrev_b64 v[37:38], 3, v[29:30]
	s_lshl_b64 s[2:3], s[6:7], 3
	s_delay_alu instid0(SALU_CYCLE_1) | instskip(SKIP_1) | instid1(VALU_DEP_1)
	s_add_u32 s1, s10, s2
	s_addc_u32 s2, s11, s3
	v_add_co_u32 v37, vcc_lo, s1, v37
	s_delay_alu instid0(VALU_DEP_2)
	v_add_co_ci_u32_e32 v38, vcc_lo, s2, v38, vcc_lo
	global_store_b64 v[37:38], v[9:10], off
.LBB668_111:
	s_or_b32 exec_lo, exec_lo, s0
	v_cmp_lt_u64_e32 vcc_lo, v[27:28], v[21:22]
	s_or_b32 s1, s16, vcc_lo
	s_delay_alu instid0(SALU_CYCLE_1)
	s_and_saveexec_b32 s0, s1
	s_cbranch_execz .LBB668_114
; %bb.112:
	v_and_b32_e32 v30, 1, v34
	s_delay_alu instid0(VALU_DEP_1)
	v_cmp_eq_u32_e32 vcc_lo, 1, v30
	s_and_b32 exec_lo, exec_lo, vcc_lo
	s_cbranch_execz .LBB668_114
; %bb.113:
	v_lshlrev_b64 v[37:38], 3, v[27:28]
	s_lshl_b64 s[2:3], s[6:7], 3
	s_delay_alu instid0(SALU_CYCLE_1) | instskip(SKIP_1) | instid1(VALU_DEP_1)
	s_add_u32 s1, s10, s2
	s_addc_u32 s2, s11, s3
	v_add_co_u32 v37, vcc_lo, s1, v37
	s_delay_alu instid0(VALU_DEP_2)
	v_add_co_ci_u32_e32 v38, vcc_lo, s2, v38, vcc_lo
	global_store_b64 v[37:38], v[11:12], off
.LBB668_114:
	s_or_b32 exec_lo, exec_lo, s0
	v_cmp_lt_u64_e32 vcc_lo, v[25:26], v[21:22]
	s_or_b32 s1, s16, vcc_lo
	s_delay_alu instid0(SALU_CYCLE_1)
	s_and_saveexec_b32 s0, s1
	s_cbranch_execz .LBB668_117
; %bb.115:
	v_and_b32_e32 v28, 1, v33
	s_delay_alu instid0(VALU_DEP_1)
	v_cmp_eq_u32_e32 vcc_lo, 1, v28
	s_and_b32 exec_lo, exec_lo, vcc_lo
	s_cbranch_execz .LBB668_117
; %bb.116:
	v_lshlrev_b64 v[37:38], 3, v[25:26]
	s_lshl_b64 s[2:3], s[6:7], 3
	s_delay_alu instid0(SALU_CYCLE_1) | instskip(SKIP_1) | instid1(VALU_DEP_1)
	s_add_u32 s1, s10, s2
	s_addc_u32 s2, s11, s3
	v_add_co_u32 v37, vcc_lo, s1, v37
	s_delay_alu instid0(VALU_DEP_2)
	v_add_co_ci_u32_e32 v38, vcc_lo, s2, v38, vcc_lo
	global_store_b64 v[37:38], v[5:6], off
.LBB668_117:
	s_or_b32 exec_lo, exec_lo, s0
	v_cmp_lt_u64_e32 vcc_lo, v[23:24], v[21:22]
	s_or_b32 s1, s16, vcc_lo
	s_delay_alu instid0(SALU_CYCLE_1)
	s_and_saveexec_b32 s0, s1
	s_cbranch_execz .LBB668_120
; %bb.118:
	v_and_b32_e32 v26, 1, v35
	s_delay_alu instid0(VALU_DEP_1)
	v_cmp_eq_u32_e32 vcc_lo, 1, v26
	s_and_b32 exec_lo, exec_lo, vcc_lo
	s_cbranch_execz .LBB668_120
; %bb.119:
	v_lshlrev_b64 v[37:38], 3, v[23:24]
	s_lshl_b64 s[2:3], s[6:7], 3
	s_delay_alu instid0(SALU_CYCLE_1) | instskip(SKIP_1) | instid1(VALU_DEP_1)
	s_add_u32 s1, s10, s2
	s_addc_u32 s2, s11, s3
	v_add_co_u32 v37, vcc_lo, s1, v37
	s_delay_alu instid0(VALU_DEP_2)
	v_add_co_ci_u32_e32 v38, vcc_lo, s2, v38, vcc_lo
	global_store_b64 v[37:38], v[7:8], off
.LBB668_120:
	s_or_b32 exec_lo, exec_lo, s0
	v_cmp_lt_u64_e32 vcc_lo, v[19:20], v[21:22]
	s_or_b32 s1, s16, vcc_lo
	s_delay_alu instid0(SALU_CYCLE_1)
	s_and_saveexec_b32 s0, s1
	s_cbranch_execz .LBB668_123
; %bb.121:
	v_and_b32_e32 v24, 1, v31
	s_delay_alu instid0(VALU_DEP_1)
	v_cmp_eq_u32_e32 vcc_lo, 1, v24
	s_and_b32 exec_lo, exec_lo, vcc_lo
	s_cbranch_execz .LBB668_123
; %bb.122:
	v_lshlrev_b64 v[37:38], 3, v[19:20]
	s_lshl_b64 s[2:3], s[6:7], 3
	s_delay_alu instid0(SALU_CYCLE_1) | instskip(SKIP_1) | instid1(VALU_DEP_1)
	s_add_u32 s1, s10, s2
	s_addc_u32 s2, s11, s3
	v_add_co_u32 v37, vcc_lo, s1, v37
	s_delay_alu instid0(VALU_DEP_2)
	v_add_co_ci_u32_e32 v38, vcc_lo, s2, v38, vcc_lo
	global_store_b64 v[37:38], v[1:2], off
.LBB668_123:
	s_or_b32 exec_lo, exec_lo, s0
	v_cmp_lt_u64_e32 vcc_lo, v[17:18], v[21:22]
	s_or_b32 s1, s16, vcc_lo
	s_delay_alu instid0(SALU_CYCLE_1)
	s_and_saveexec_b32 s0, s1
	s_cbranch_execz .LBB668_126
; %bb.124:
	v_and_b32_e32 v20, 1, v32
	s_delay_alu instid0(VALU_DEP_1)
	v_cmp_eq_u32_e32 vcc_lo, 1, v20
	s_and_b32 exec_lo, exec_lo, vcc_lo
	s_cbranch_execz .LBB668_126
; %bb.125:
	v_lshlrev_b64 v[20:21], 3, v[17:18]
	s_lshl_b64 s[2:3], s[6:7], 3
	s_delay_alu instid0(SALU_CYCLE_1) | instskip(SKIP_1) | instid1(VALU_DEP_1)
	s_add_u32 s1, s10, s2
	s_addc_u32 s2, s11, s3
	v_add_co_u32 v20, vcc_lo, s1, v20
	s_delay_alu instid0(VALU_DEP_2)
	v_add_co_ci_u32_e32 v21, vcc_lo, s2, v21, vcc_lo
	global_store_b64 v[20:21], v[3:4], off
.LBB668_126:
	s_or_b32 exec_lo, exec_lo, s0
	s_branch .LBB668_82
.LBB668_127:
	v_and_b32_e32 v18, 1, v36
	s_mov_b32 s0, exec_lo
	s_delay_alu instid0(VALU_DEP_1)
	v_cmpx_eq_u32_e32 1, v18
	s_cbranch_execz .LBB668_129
; %bb.128:
	v_sub_nc_u32_e32 v18, v29, v15
	s_delay_alu instid0(VALU_DEP_1)
	v_lshlrev_b32_e32 v18, 3, v18
	ds_store_b64 v18, v[9:10]
.LBB668_129:
	s_or_b32 exec_lo, exec_lo, s0
	v_and_b32_e32 v9, 1, v34
	s_mov_b32 s0, exec_lo
	s_delay_alu instid0(VALU_DEP_1)
	v_cmpx_eq_u32_e32 1, v9
	s_cbranch_execz .LBB668_131
; %bb.130:
	v_sub_nc_u32_e32 v9, v27, v15
	s_delay_alu instid0(VALU_DEP_1)
	v_lshlrev_b32_e32 v9, 3, v9
	ds_store_b64 v9, v[11:12]
.LBB668_131:
	s_or_b32 exec_lo, exec_lo, s0
	;; [unrolled: 12-line block ×6, first 2 shown]
	v_mov_b32_e32 v3, 0
	s_mov_b32 s1, exec_lo
	s_waitcnt lgkmcnt(0)
	s_waitcnt_vscnt null, 0x0
	s_barrier
	buffer_gl0_inv
	v_mov_b32_e32 v1, v3
	s_delay_alu instid0(VALU_DEP_1)
	v_cmpx_gt_u64_e64 v[13:14], v[0:1]
	s_cbranch_execz .LBB668_142
; %bb.140:
	v_lshlrev_b64 v[4:5], 3, v[15:16]
	s_lshl_b64 s[2:3], s[6:7], 3
	v_or_b32_e32 v2, 0x80, v0
	s_delay_alu instid0(VALU_DEP_2) | instskip(NEXT) | instid1(VALU_DEP_3)
	v_add_co_u32 v4, vcc_lo, s10, v4
	v_add_co_ci_u32_e32 v5, vcc_lo, s11, v5, vcc_lo
	s_delay_alu instid0(VALU_DEP_2) | instskip(NEXT) | instid1(VALU_DEP_2)
	v_add_co_u32 v6, vcc_lo, v4, s2
	v_add_co_ci_u32_e32 v7, vcc_lo, s3, v5, vcc_lo
	v_dual_mov_b32 v5, v1 :: v_dual_mov_b32 v4, v0
	s_mov_b32 s2, 0
	.p2align	6
.LBB668_141:                            ; =>This Inner Loop Header: Depth=1
	s_delay_alu instid0(VALU_DEP_1) | instskip(NEXT) | instid1(VALU_DEP_2)
	v_lshlrev_b32_e32 v1, 3, v4
	v_lshlrev_b64 v[10:11], 3, v[4:5]
	v_dual_mov_b32 v5, v3 :: v_dual_mov_b32 v4, v2
	v_cmp_le_u64_e32 vcc_lo, v[13:14], v[2:3]
	v_add_nc_u32_e32 v2, 0x80, v2
	ds_load_b64 v[8:9], v1
	v_add_co_u32 v10, s0, v6, v10
	s_delay_alu instid0(VALU_DEP_1)
	v_add_co_ci_u32_e64 v11, s0, v7, v11, s0
	s_or_b32 s2, vcc_lo, s2
	s_waitcnt lgkmcnt(0)
	global_store_b64 v[10:11], v[8:9], off
	s_and_not1_b32 exec_lo, exec_lo, s2
	s_cbranch_execnz .LBB668_141
.LBB668_142:
	s_or_b32 exec_lo, exec_lo, s1
	v_cmp_eq_u32_e32 vcc_lo, 0, v0
	s_and_b32 s0, vcc_lo, s14
	s_delay_alu instid0(SALU_CYCLE_1)
	s_and_saveexec_b32 s1, s0
	s_cbranch_execz .LBB668_83
.LBB668_143:
	v_add_co_u32 v0, vcc_lo, v15, v13
	v_add_co_ci_u32_e32 v1, vcc_lo, v16, v14, vcc_lo
	v_mov_b32_e32 v2, 0
	s_delay_alu instid0(VALU_DEP_3) | instskip(NEXT) | instid1(VALU_DEP_3)
	v_add_co_u32 v0, vcc_lo, v0, s6
	v_add_co_ci_u32_e32 v1, vcc_lo, s7, v1, vcc_lo
	global_store_b64 v2, v[0:1], s[4:5]
	s_nop 0
	s_sendmsg sendmsg(MSG_DEALLOC_VGPRS)
	s_endpgm
	.section	.rodata,"a",@progbits
	.p2align	6, 0x0
	.amdhsa_kernel _ZN7rocprim17ROCPRIM_400000_NS6detail17trampoline_kernelINS0_14default_configENS1_25partition_config_selectorILNS1_17partition_subalgoE5ElNS0_10empty_typeEbEEZZNS1_14partition_implILS5_5ELb0ES3_mN6hipcub16HIPCUB_304000_NS21CountingInputIteratorIllEEPS6_NSA_22TransformInputIteratorIbN2at6native12_GLOBAL__N_19NonZeroOpIN3c107complexINSJ_4HalfEEEEEPKSM_lEENS0_5tupleIJPlS6_EEENSR_IJSD_SD_EEES6_PiJS6_EEE10hipError_tPvRmT3_T4_T5_T6_T7_T9_mT8_P12ihipStream_tbDpT10_ENKUlT_T0_E_clISt17integral_constantIbLb0EES1F_EEDaS1A_S1B_EUlS1A_E_NS1_11comp_targetILNS1_3genE9ELNS1_11target_archE1100ELNS1_3gpuE3ELNS1_3repE0EEENS1_30default_config_static_selectorELNS0_4arch9wavefront6targetE0EEEvT1_
		.amdhsa_group_segment_fixed_size 6160
		.amdhsa_private_segment_fixed_size 0
		.amdhsa_kernarg_size 120
		.amdhsa_user_sgpr_count 15
		.amdhsa_user_sgpr_dispatch_ptr 0
		.amdhsa_user_sgpr_queue_ptr 0
		.amdhsa_user_sgpr_kernarg_segment_ptr 1
		.amdhsa_user_sgpr_dispatch_id 0
		.amdhsa_user_sgpr_private_segment_size 0
		.amdhsa_wavefront_size32 1
		.amdhsa_uses_dynamic_stack 0
		.amdhsa_enable_private_segment 0
		.amdhsa_system_sgpr_workgroup_id_x 1
		.amdhsa_system_sgpr_workgroup_id_y 0
		.amdhsa_system_sgpr_workgroup_id_z 0
		.amdhsa_system_sgpr_workgroup_info 0
		.amdhsa_system_vgpr_workitem_id 0
		.amdhsa_next_free_vgpr 57
		.amdhsa_next_free_sgpr 21
		.amdhsa_reserve_vcc 1
		.amdhsa_float_round_mode_32 0
		.amdhsa_float_round_mode_16_64 0
		.amdhsa_float_denorm_mode_32 3
		.amdhsa_float_denorm_mode_16_64 3
		.amdhsa_dx10_clamp 1
		.amdhsa_ieee_mode 1
		.amdhsa_fp16_overflow 0
		.amdhsa_workgroup_processor_mode 1
		.amdhsa_memory_ordered 1
		.amdhsa_forward_progress 0
		.amdhsa_shared_vgpr_count 0
		.amdhsa_exception_fp_ieee_invalid_op 0
		.amdhsa_exception_fp_denorm_src 0
		.amdhsa_exception_fp_ieee_div_zero 0
		.amdhsa_exception_fp_ieee_overflow 0
		.amdhsa_exception_fp_ieee_underflow 0
		.amdhsa_exception_fp_ieee_inexact 0
		.amdhsa_exception_int_div_zero 0
	.end_amdhsa_kernel
	.section	.text._ZN7rocprim17ROCPRIM_400000_NS6detail17trampoline_kernelINS0_14default_configENS1_25partition_config_selectorILNS1_17partition_subalgoE5ElNS0_10empty_typeEbEEZZNS1_14partition_implILS5_5ELb0ES3_mN6hipcub16HIPCUB_304000_NS21CountingInputIteratorIllEEPS6_NSA_22TransformInputIteratorIbN2at6native12_GLOBAL__N_19NonZeroOpIN3c107complexINSJ_4HalfEEEEEPKSM_lEENS0_5tupleIJPlS6_EEENSR_IJSD_SD_EEES6_PiJS6_EEE10hipError_tPvRmT3_T4_T5_T6_T7_T9_mT8_P12ihipStream_tbDpT10_ENKUlT_T0_E_clISt17integral_constantIbLb0EES1F_EEDaS1A_S1B_EUlS1A_E_NS1_11comp_targetILNS1_3genE9ELNS1_11target_archE1100ELNS1_3gpuE3ELNS1_3repE0EEENS1_30default_config_static_selectorELNS0_4arch9wavefront6targetE0EEEvT1_,"axG",@progbits,_ZN7rocprim17ROCPRIM_400000_NS6detail17trampoline_kernelINS0_14default_configENS1_25partition_config_selectorILNS1_17partition_subalgoE5ElNS0_10empty_typeEbEEZZNS1_14partition_implILS5_5ELb0ES3_mN6hipcub16HIPCUB_304000_NS21CountingInputIteratorIllEEPS6_NSA_22TransformInputIteratorIbN2at6native12_GLOBAL__N_19NonZeroOpIN3c107complexINSJ_4HalfEEEEEPKSM_lEENS0_5tupleIJPlS6_EEENSR_IJSD_SD_EEES6_PiJS6_EEE10hipError_tPvRmT3_T4_T5_T6_T7_T9_mT8_P12ihipStream_tbDpT10_ENKUlT_T0_E_clISt17integral_constantIbLb0EES1F_EEDaS1A_S1B_EUlS1A_E_NS1_11comp_targetILNS1_3genE9ELNS1_11target_archE1100ELNS1_3gpuE3ELNS1_3repE0EEENS1_30default_config_static_selectorELNS0_4arch9wavefront6targetE0EEEvT1_,comdat
.Lfunc_end668:
	.size	_ZN7rocprim17ROCPRIM_400000_NS6detail17trampoline_kernelINS0_14default_configENS1_25partition_config_selectorILNS1_17partition_subalgoE5ElNS0_10empty_typeEbEEZZNS1_14partition_implILS5_5ELb0ES3_mN6hipcub16HIPCUB_304000_NS21CountingInputIteratorIllEEPS6_NSA_22TransformInputIteratorIbN2at6native12_GLOBAL__N_19NonZeroOpIN3c107complexINSJ_4HalfEEEEEPKSM_lEENS0_5tupleIJPlS6_EEENSR_IJSD_SD_EEES6_PiJS6_EEE10hipError_tPvRmT3_T4_T5_T6_T7_T9_mT8_P12ihipStream_tbDpT10_ENKUlT_T0_E_clISt17integral_constantIbLb0EES1F_EEDaS1A_S1B_EUlS1A_E_NS1_11comp_targetILNS1_3genE9ELNS1_11target_archE1100ELNS1_3gpuE3ELNS1_3repE0EEENS1_30default_config_static_selectorELNS0_4arch9wavefront6targetE0EEEvT1_, .Lfunc_end668-_ZN7rocprim17ROCPRIM_400000_NS6detail17trampoline_kernelINS0_14default_configENS1_25partition_config_selectorILNS1_17partition_subalgoE5ElNS0_10empty_typeEbEEZZNS1_14partition_implILS5_5ELb0ES3_mN6hipcub16HIPCUB_304000_NS21CountingInputIteratorIllEEPS6_NSA_22TransformInputIteratorIbN2at6native12_GLOBAL__N_19NonZeroOpIN3c107complexINSJ_4HalfEEEEEPKSM_lEENS0_5tupleIJPlS6_EEENSR_IJSD_SD_EEES6_PiJS6_EEE10hipError_tPvRmT3_T4_T5_T6_T7_T9_mT8_P12ihipStream_tbDpT10_ENKUlT_T0_E_clISt17integral_constantIbLb0EES1F_EEDaS1A_S1B_EUlS1A_E_NS1_11comp_targetILNS1_3genE9ELNS1_11target_archE1100ELNS1_3gpuE3ELNS1_3repE0EEENS1_30default_config_static_selectorELNS0_4arch9wavefront6targetE0EEEvT1_
                                        ; -- End function
	.section	.AMDGPU.csdata,"",@progbits
; Kernel info:
; codeLenInByte = 6592
; NumSgprs: 23
; NumVgprs: 57
; ScratchSize: 0
; MemoryBound: 0
; FloatMode: 240
; IeeeMode: 1
; LDSByteSize: 6160 bytes/workgroup (compile time only)
; SGPRBlocks: 2
; VGPRBlocks: 7
; NumSGPRsForWavesPerEU: 23
; NumVGPRsForWavesPerEU: 57
; Occupancy: 16
; WaveLimiterHint : 1
; COMPUTE_PGM_RSRC2:SCRATCH_EN: 0
; COMPUTE_PGM_RSRC2:USER_SGPR: 15
; COMPUTE_PGM_RSRC2:TRAP_HANDLER: 0
; COMPUTE_PGM_RSRC2:TGID_X_EN: 1
; COMPUTE_PGM_RSRC2:TGID_Y_EN: 0
; COMPUTE_PGM_RSRC2:TGID_Z_EN: 0
; COMPUTE_PGM_RSRC2:TIDIG_COMP_CNT: 0
	.section	.text._ZN7rocprim17ROCPRIM_400000_NS6detail17trampoline_kernelINS0_14default_configENS1_25partition_config_selectorILNS1_17partition_subalgoE5ElNS0_10empty_typeEbEEZZNS1_14partition_implILS5_5ELb0ES3_mN6hipcub16HIPCUB_304000_NS21CountingInputIteratorIllEEPS6_NSA_22TransformInputIteratorIbN2at6native12_GLOBAL__N_19NonZeroOpIN3c107complexINSJ_4HalfEEEEEPKSM_lEENS0_5tupleIJPlS6_EEENSR_IJSD_SD_EEES6_PiJS6_EEE10hipError_tPvRmT3_T4_T5_T6_T7_T9_mT8_P12ihipStream_tbDpT10_ENKUlT_T0_E_clISt17integral_constantIbLb0EES1F_EEDaS1A_S1B_EUlS1A_E_NS1_11comp_targetILNS1_3genE8ELNS1_11target_archE1030ELNS1_3gpuE2ELNS1_3repE0EEENS1_30default_config_static_selectorELNS0_4arch9wavefront6targetE0EEEvT1_,"axG",@progbits,_ZN7rocprim17ROCPRIM_400000_NS6detail17trampoline_kernelINS0_14default_configENS1_25partition_config_selectorILNS1_17partition_subalgoE5ElNS0_10empty_typeEbEEZZNS1_14partition_implILS5_5ELb0ES3_mN6hipcub16HIPCUB_304000_NS21CountingInputIteratorIllEEPS6_NSA_22TransformInputIteratorIbN2at6native12_GLOBAL__N_19NonZeroOpIN3c107complexINSJ_4HalfEEEEEPKSM_lEENS0_5tupleIJPlS6_EEENSR_IJSD_SD_EEES6_PiJS6_EEE10hipError_tPvRmT3_T4_T5_T6_T7_T9_mT8_P12ihipStream_tbDpT10_ENKUlT_T0_E_clISt17integral_constantIbLb0EES1F_EEDaS1A_S1B_EUlS1A_E_NS1_11comp_targetILNS1_3genE8ELNS1_11target_archE1030ELNS1_3gpuE2ELNS1_3repE0EEENS1_30default_config_static_selectorELNS0_4arch9wavefront6targetE0EEEvT1_,comdat
	.globl	_ZN7rocprim17ROCPRIM_400000_NS6detail17trampoline_kernelINS0_14default_configENS1_25partition_config_selectorILNS1_17partition_subalgoE5ElNS0_10empty_typeEbEEZZNS1_14partition_implILS5_5ELb0ES3_mN6hipcub16HIPCUB_304000_NS21CountingInputIteratorIllEEPS6_NSA_22TransformInputIteratorIbN2at6native12_GLOBAL__N_19NonZeroOpIN3c107complexINSJ_4HalfEEEEEPKSM_lEENS0_5tupleIJPlS6_EEENSR_IJSD_SD_EEES6_PiJS6_EEE10hipError_tPvRmT3_T4_T5_T6_T7_T9_mT8_P12ihipStream_tbDpT10_ENKUlT_T0_E_clISt17integral_constantIbLb0EES1F_EEDaS1A_S1B_EUlS1A_E_NS1_11comp_targetILNS1_3genE8ELNS1_11target_archE1030ELNS1_3gpuE2ELNS1_3repE0EEENS1_30default_config_static_selectorELNS0_4arch9wavefront6targetE0EEEvT1_ ; -- Begin function _ZN7rocprim17ROCPRIM_400000_NS6detail17trampoline_kernelINS0_14default_configENS1_25partition_config_selectorILNS1_17partition_subalgoE5ElNS0_10empty_typeEbEEZZNS1_14partition_implILS5_5ELb0ES3_mN6hipcub16HIPCUB_304000_NS21CountingInputIteratorIllEEPS6_NSA_22TransformInputIteratorIbN2at6native12_GLOBAL__N_19NonZeroOpIN3c107complexINSJ_4HalfEEEEEPKSM_lEENS0_5tupleIJPlS6_EEENSR_IJSD_SD_EEES6_PiJS6_EEE10hipError_tPvRmT3_T4_T5_T6_T7_T9_mT8_P12ihipStream_tbDpT10_ENKUlT_T0_E_clISt17integral_constantIbLb0EES1F_EEDaS1A_S1B_EUlS1A_E_NS1_11comp_targetILNS1_3genE8ELNS1_11target_archE1030ELNS1_3gpuE2ELNS1_3repE0EEENS1_30default_config_static_selectorELNS0_4arch9wavefront6targetE0EEEvT1_
	.p2align	8
	.type	_ZN7rocprim17ROCPRIM_400000_NS6detail17trampoline_kernelINS0_14default_configENS1_25partition_config_selectorILNS1_17partition_subalgoE5ElNS0_10empty_typeEbEEZZNS1_14partition_implILS5_5ELb0ES3_mN6hipcub16HIPCUB_304000_NS21CountingInputIteratorIllEEPS6_NSA_22TransformInputIteratorIbN2at6native12_GLOBAL__N_19NonZeroOpIN3c107complexINSJ_4HalfEEEEEPKSM_lEENS0_5tupleIJPlS6_EEENSR_IJSD_SD_EEES6_PiJS6_EEE10hipError_tPvRmT3_T4_T5_T6_T7_T9_mT8_P12ihipStream_tbDpT10_ENKUlT_T0_E_clISt17integral_constantIbLb0EES1F_EEDaS1A_S1B_EUlS1A_E_NS1_11comp_targetILNS1_3genE8ELNS1_11target_archE1030ELNS1_3gpuE2ELNS1_3repE0EEENS1_30default_config_static_selectorELNS0_4arch9wavefront6targetE0EEEvT1_,@function
_ZN7rocprim17ROCPRIM_400000_NS6detail17trampoline_kernelINS0_14default_configENS1_25partition_config_selectorILNS1_17partition_subalgoE5ElNS0_10empty_typeEbEEZZNS1_14partition_implILS5_5ELb0ES3_mN6hipcub16HIPCUB_304000_NS21CountingInputIteratorIllEEPS6_NSA_22TransformInputIteratorIbN2at6native12_GLOBAL__N_19NonZeroOpIN3c107complexINSJ_4HalfEEEEEPKSM_lEENS0_5tupleIJPlS6_EEENSR_IJSD_SD_EEES6_PiJS6_EEE10hipError_tPvRmT3_T4_T5_T6_T7_T9_mT8_P12ihipStream_tbDpT10_ENKUlT_T0_E_clISt17integral_constantIbLb0EES1F_EEDaS1A_S1B_EUlS1A_E_NS1_11comp_targetILNS1_3genE8ELNS1_11target_archE1030ELNS1_3gpuE2ELNS1_3repE0EEENS1_30default_config_static_selectorELNS0_4arch9wavefront6targetE0EEEvT1_: ; @_ZN7rocprim17ROCPRIM_400000_NS6detail17trampoline_kernelINS0_14default_configENS1_25partition_config_selectorILNS1_17partition_subalgoE5ElNS0_10empty_typeEbEEZZNS1_14partition_implILS5_5ELb0ES3_mN6hipcub16HIPCUB_304000_NS21CountingInputIteratorIllEEPS6_NSA_22TransformInputIteratorIbN2at6native12_GLOBAL__N_19NonZeroOpIN3c107complexINSJ_4HalfEEEEEPKSM_lEENS0_5tupleIJPlS6_EEENSR_IJSD_SD_EEES6_PiJS6_EEE10hipError_tPvRmT3_T4_T5_T6_T7_T9_mT8_P12ihipStream_tbDpT10_ENKUlT_T0_E_clISt17integral_constantIbLb0EES1F_EEDaS1A_S1B_EUlS1A_E_NS1_11comp_targetILNS1_3genE8ELNS1_11target_archE1030ELNS1_3gpuE2ELNS1_3repE0EEENS1_30default_config_static_selectorELNS0_4arch9wavefront6targetE0EEEvT1_
; %bb.0:
	.section	.rodata,"a",@progbits
	.p2align	6, 0x0
	.amdhsa_kernel _ZN7rocprim17ROCPRIM_400000_NS6detail17trampoline_kernelINS0_14default_configENS1_25partition_config_selectorILNS1_17partition_subalgoE5ElNS0_10empty_typeEbEEZZNS1_14partition_implILS5_5ELb0ES3_mN6hipcub16HIPCUB_304000_NS21CountingInputIteratorIllEEPS6_NSA_22TransformInputIteratorIbN2at6native12_GLOBAL__N_19NonZeroOpIN3c107complexINSJ_4HalfEEEEEPKSM_lEENS0_5tupleIJPlS6_EEENSR_IJSD_SD_EEES6_PiJS6_EEE10hipError_tPvRmT3_T4_T5_T6_T7_T9_mT8_P12ihipStream_tbDpT10_ENKUlT_T0_E_clISt17integral_constantIbLb0EES1F_EEDaS1A_S1B_EUlS1A_E_NS1_11comp_targetILNS1_3genE8ELNS1_11target_archE1030ELNS1_3gpuE2ELNS1_3repE0EEENS1_30default_config_static_selectorELNS0_4arch9wavefront6targetE0EEEvT1_
		.amdhsa_group_segment_fixed_size 0
		.amdhsa_private_segment_fixed_size 0
		.amdhsa_kernarg_size 120
		.amdhsa_user_sgpr_count 15
		.amdhsa_user_sgpr_dispatch_ptr 0
		.amdhsa_user_sgpr_queue_ptr 0
		.amdhsa_user_sgpr_kernarg_segment_ptr 1
		.amdhsa_user_sgpr_dispatch_id 0
		.amdhsa_user_sgpr_private_segment_size 0
		.amdhsa_wavefront_size32 1
		.amdhsa_uses_dynamic_stack 0
		.amdhsa_enable_private_segment 0
		.amdhsa_system_sgpr_workgroup_id_x 1
		.amdhsa_system_sgpr_workgroup_id_y 0
		.amdhsa_system_sgpr_workgroup_id_z 0
		.amdhsa_system_sgpr_workgroup_info 0
		.amdhsa_system_vgpr_workitem_id 0
		.amdhsa_next_free_vgpr 1
		.amdhsa_next_free_sgpr 1
		.amdhsa_reserve_vcc 0
		.amdhsa_float_round_mode_32 0
		.amdhsa_float_round_mode_16_64 0
		.amdhsa_float_denorm_mode_32 3
		.amdhsa_float_denorm_mode_16_64 3
		.amdhsa_dx10_clamp 1
		.amdhsa_ieee_mode 1
		.amdhsa_fp16_overflow 0
		.amdhsa_workgroup_processor_mode 1
		.amdhsa_memory_ordered 1
		.amdhsa_forward_progress 0
		.amdhsa_shared_vgpr_count 0
		.amdhsa_exception_fp_ieee_invalid_op 0
		.amdhsa_exception_fp_denorm_src 0
		.amdhsa_exception_fp_ieee_div_zero 0
		.amdhsa_exception_fp_ieee_overflow 0
		.amdhsa_exception_fp_ieee_underflow 0
		.amdhsa_exception_fp_ieee_inexact 0
		.amdhsa_exception_int_div_zero 0
	.end_amdhsa_kernel
	.section	.text._ZN7rocprim17ROCPRIM_400000_NS6detail17trampoline_kernelINS0_14default_configENS1_25partition_config_selectorILNS1_17partition_subalgoE5ElNS0_10empty_typeEbEEZZNS1_14partition_implILS5_5ELb0ES3_mN6hipcub16HIPCUB_304000_NS21CountingInputIteratorIllEEPS6_NSA_22TransformInputIteratorIbN2at6native12_GLOBAL__N_19NonZeroOpIN3c107complexINSJ_4HalfEEEEEPKSM_lEENS0_5tupleIJPlS6_EEENSR_IJSD_SD_EEES6_PiJS6_EEE10hipError_tPvRmT3_T4_T5_T6_T7_T9_mT8_P12ihipStream_tbDpT10_ENKUlT_T0_E_clISt17integral_constantIbLb0EES1F_EEDaS1A_S1B_EUlS1A_E_NS1_11comp_targetILNS1_3genE8ELNS1_11target_archE1030ELNS1_3gpuE2ELNS1_3repE0EEENS1_30default_config_static_selectorELNS0_4arch9wavefront6targetE0EEEvT1_,"axG",@progbits,_ZN7rocprim17ROCPRIM_400000_NS6detail17trampoline_kernelINS0_14default_configENS1_25partition_config_selectorILNS1_17partition_subalgoE5ElNS0_10empty_typeEbEEZZNS1_14partition_implILS5_5ELb0ES3_mN6hipcub16HIPCUB_304000_NS21CountingInputIteratorIllEEPS6_NSA_22TransformInputIteratorIbN2at6native12_GLOBAL__N_19NonZeroOpIN3c107complexINSJ_4HalfEEEEEPKSM_lEENS0_5tupleIJPlS6_EEENSR_IJSD_SD_EEES6_PiJS6_EEE10hipError_tPvRmT3_T4_T5_T6_T7_T9_mT8_P12ihipStream_tbDpT10_ENKUlT_T0_E_clISt17integral_constantIbLb0EES1F_EEDaS1A_S1B_EUlS1A_E_NS1_11comp_targetILNS1_3genE8ELNS1_11target_archE1030ELNS1_3gpuE2ELNS1_3repE0EEENS1_30default_config_static_selectorELNS0_4arch9wavefront6targetE0EEEvT1_,comdat
.Lfunc_end669:
	.size	_ZN7rocprim17ROCPRIM_400000_NS6detail17trampoline_kernelINS0_14default_configENS1_25partition_config_selectorILNS1_17partition_subalgoE5ElNS0_10empty_typeEbEEZZNS1_14partition_implILS5_5ELb0ES3_mN6hipcub16HIPCUB_304000_NS21CountingInputIteratorIllEEPS6_NSA_22TransformInputIteratorIbN2at6native12_GLOBAL__N_19NonZeroOpIN3c107complexINSJ_4HalfEEEEEPKSM_lEENS0_5tupleIJPlS6_EEENSR_IJSD_SD_EEES6_PiJS6_EEE10hipError_tPvRmT3_T4_T5_T6_T7_T9_mT8_P12ihipStream_tbDpT10_ENKUlT_T0_E_clISt17integral_constantIbLb0EES1F_EEDaS1A_S1B_EUlS1A_E_NS1_11comp_targetILNS1_3genE8ELNS1_11target_archE1030ELNS1_3gpuE2ELNS1_3repE0EEENS1_30default_config_static_selectorELNS0_4arch9wavefront6targetE0EEEvT1_, .Lfunc_end669-_ZN7rocprim17ROCPRIM_400000_NS6detail17trampoline_kernelINS0_14default_configENS1_25partition_config_selectorILNS1_17partition_subalgoE5ElNS0_10empty_typeEbEEZZNS1_14partition_implILS5_5ELb0ES3_mN6hipcub16HIPCUB_304000_NS21CountingInputIteratorIllEEPS6_NSA_22TransformInputIteratorIbN2at6native12_GLOBAL__N_19NonZeroOpIN3c107complexINSJ_4HalfEEEEEPKSM_lEENS0_5tupleIJPlS6_EEENSR_IJSD_SD_EEES6_PiJS6_EEE10hipError_tPvRmT3_T4_T5_T6_T7_T9_mT8_P12ihipStream_tbDpT10_ENKUlT_T0_E_clISt17integral_constantIbLb0EES1F_EEDaS1A_S1B_EUlS1A_E_NS1_11comp_targetILNS1_3genE8ELNS1_11target_archE1030ELNS1_3gpuE2ELNS1_3repE0EEENS1_30default_config_static_selectorELNS0_4arch9wavefront6targetE0EEEvT1_
                                        ; -- End function
	.section	.AMDGPU.csdata,"",@progbits
; Kernel info:
; codeLenInByte = 0
; NumSgprs: 0
; NumVgprs: 0
; ScratchSize: 0
; MemoryBound: 0
; FloatMode: 240
; IeeeMode: 1
; LDSByteSize: 0 bytes/workgroup (compile time only)
; SGPRBlocks: 0
; VGPRBlocks: 0
; NumSGPRsForWavesPerEU: 1
; NumVGPRsForWavesPerEU: 1
; Occupancy: 16
; WaveLimiterHint : 0
; COMPUTE_PGM_RSRC2:SCRATCH_EN: 0
; COMPUTE_PGM_RSRC2:USER_SGPR: 15
; COMPUTE_PGM_RSRC2:TRAP_HANDLER: 0
; COMPUTE_PGM_RSRC2:TGID_X_EN: 1
; COMPUTE_PGM_RSRC2:TGID_Y_EN: 0
; COMPUTE_PGM_RSRC2:TGID_Z_EN: 0
; COMPUTE_PGM_RSRC2:TIDIG_COMP_CNT: 0
	.section	.text._ZN7rocprim17ROCPRIM_400000_NS6detail17trampoline_kernelINS0_14default_configENS1_25partition_config_selectorILNS1_17partition_subalgoE5ElNS0_10empty_typeEbEEZZNS1_14partition_implILS5_5ELb0ES3_mN6hipcub16HIPCUB_304000_NS21CountingInputIteratorIllEEPS6_NSA_22TransformInputIteratorIbN2at6native12_GLOBAL__N_19NonZeroOpIN3c107complexINSJ_4HalfEEEEEPKSM_lEENS0_5tupleIJPlS6_EEENSR_IJSD_SD_EEES6_PiJS6_EEE10hipError_tPvRmT3_T4_T5_T6_T7_T9_mT8_P12ihipStream_tbDpT10_ENKUlT_T0_E_clISt17integral_constantIbLb1EES1F_EEDaS1A_S1B_EUlS1A_E_NS1_11comp_targetILNS1_3genE0ELNS1_11target_archE4294967295ELNS1_3gpuE0ELNS1_3repE0EEENS1_30default_config_static_selectorELNS0_4arch9wavefront6targetE0EEEvT1_,"axG",@progbits,_ZN7rocprim17ROCPRIM_400000_NS6detail17trampoline_kernelINS0_14default_configENS1_25partition_config_selectorILNS1_17partition_subalgoE5ElNS0_10empty_typeEbEEZZNS1_14partition_implILS5_5ELb0ES3_mN6hipcub16HIPCUB_304000_NS21CountingInputIteratorIllEEPS6_NSA_22TransformInputIteratorIbN2at6native12_GLOBAL__N_19NonZeroOpIN3c107complexINSJ_4HalfEEEEEPKSM_lEENS0_5tupleIJPlS6_EEENSR_IJSD_SD_EEES6_PiJS6_EEE10hipError_tPvRmT3_T4_T5_T6_T7_T9_mT8_P12ihipStream_tbDpT10_ENKUlT_T0_E_clISt17integral_constantIbLb1EES1F_EEDaS1A_S1B_EUlS1A_E_NS1_11comp_targetILNS1_3genE0ELNS1_11target_archE4294967295ELNS1_3gpuE0ELNS1_3repE0EEENS1_30default_config_static_selectorELNS0_4arch9wavefront6targetE0EEEvT1_,comdat
	.globl	_ZN7rocprim17ROCPRIM_400000_NS6detail17trampoline_kernelINS0_14default_configENS1_25partition_config_selectorILNS1_17partition_subalgoE5ElNS0_10empty_typeEbEEZZNS1_14partition_implILS5_5ELb0ES3_mN6hipcub16HIPCUB_304000_NS21CountingInputIteratorIllEEPS6_NSA_22TransformInputIteratorIbN2at6native12_GLOBAL__N_19NonZeroOpIN3c107complexINSJ_4HalfEEEEEPKSM_lEENS0_5tupleIJPlS6_EEENSR_IJSD_SD_EEES6_PiJS6_EEE10hipError_tPvRmT3_T4_T5_T6_T7_T9_mT8_P12ihipStream_tbDpT10_ENKUlT_T0_E_clISt17integral_constantIbLb1EES1F_EEDaS1A_S1B_EUlS1A_E_NS1_11comp_targetILNS1_3genE0ELNS1_11target_archE4294967295ELNS1_3gpuE0ELNS1_3repE0EEENS1_30default_config_static_selectorELNS0_4arch9wavefront6targetE0EEEvT1_ ; -- Begin function _ZN7rocprim17ROCPRIM_400000_NS6detail17trampoline_kernelINS0_14default_configENS1_25partition_config_selectorILNS1_17partition_subalgoE5ElNS0_10empty_typeEbEEZZNS1_14partition_implILS5_5ELb0ES3_mN6hipcub16HIPCUB_304000_NS21CountingInputIteratorIllEEPS6_NSA_22TransformInputIteratorIbN2at6native12_GLOBAL__N_19NonZeroOpIN3c107complexINSJ_4HalfEEEEEPKSM_lEENS0_5tupleIJPlS6_EEENSR_IJSD_SD_EEES6_PiJS6_EEE10hipError_tPvRmT3_T4_T5_T6_T7_T9_mT8_P12ihipStream_tbDpT10_ENKUlT_T0_E_clISt17integral_constantIbLb1EES1F_EEDaS1A_S1B_EUlS1A_E_NS1_11comp_targetILNS1_3genE0ELNS1_11target_archE4294967295ELNS1_3gpuE0ELNS1_3repE0EEENS1_30default_config_static_selectorELNS0_4arch9wavefront6targetE0EEEvT1_
	.p2align	8
	.type	_ZN7rocprim17ROCPRIM_400000_NS6detail17trampoline_kernelINS0_14default_configENS1_25partition_config_selectorILNS1_17partition_subalgoE5ElNS0_10empty_typeEbEEZZNS1_14partition_implILS5_5ELb0ES3_mN6hipcub16HIPCUB_304000_NS21CountingInputIteratorIllEEPS6_NSA_22TransformInputIteratorIbN2at6native12_GLOBAL__N_19NonZeroOpIN3c107complexINSJ_4HalfEEEEEPKSM_lEENS0_5tupleIJPlS6_EEENSR_IJSD_SD_EEES6_PiJS6_EEE10hipError_tPvRmT3_T4_T5_T6_T7_T9_mT8_P12ihipStream_tbDpT10_ENKUlT_T0_E_clISt17integral_constantIbLb1EES1F_EEDaS1A_S1B_EUlS1A_E_NS1_11comp_targetILNS1_3genE0ELNS1_11target_archE4294967295ELNS1_3gpuE0ELNS1_3repE0EEENS1_30default_config_static_selectorELNS0_4arch9wavefront6targetE0EEEvT1_,@function
_ZN7rocprim17ROCPRIM_400000_NS6detail17trampoline_kernelINS0_14default_configENS1_25partition_config_selectorILNS1_17partition_subalgoE5ElNS0_10empty_typeEbEEZZNS1_14partition_implILS5_5ELb0ES3_mN6hipcub16HIPCUB_304000_NS21CountingInputIteratorIllEEPS6_NSA_22TransformInputIteratorIbN2at6native12_GLOBAL__N_19NonZeroOpIN3c107complexINSJ_4HalfEEEEEPKSM_lEENS0_5tupleIJPlS6_EEENSR_IJSD_SD_EEES6_PiJS6_EEE10hipError_tPvRmT3_T4_T5_T6_T7_T9_mT8_P12ihipStream_tbDpT10_ENKUlT_T0_E_clISt17integral_constantIbLb1EES1F_EEDaS1A_S1B_EUlS1A_E_NS1_11comp_targetILNS1_3genE0ELNS1_11target_archE4294967295ELNS1_3gpuE0ELNS1_3repE0EEENS1_30default_config_static_selectorELNS0_4arch9wavefront6targetE0EEEvT1_: ; @_ZN7rocprim17ROCPRIM_400000_NS6detail17trampoline_kernelINS0_14default_configENS1_25partition_config_selectorILNS1_17partition_subalgoE5ElNS0_10empty_typeEbEEZZNS1_14partition_implILS5_5ELb0ES3_mN6hipcub16HIPCUB_304000_NS21CountingInputIteratorIllEEPS6_NSA_22TransformInputIteratorIbN2at6native12_GLOBAL__N_19NonZeroOpIN3c107complexINSJ_4HalfEEEEEPKSM_lEENS0_5tupleIJPlS6_EEENSR_IJSD_SD_EEES6_PiJS6_EEE10hipError_tPvRmT3_T4_T5_T6_T7_T9_mT8_P12ihipStream_tbDpT10_ENKUlT_T0_E_clISt17integral_constantIbLb1EES1F_EEDaS1A_S1B_EUlS1A_E_NS1_11comp_targetILNS1_3genE0ELNS1_11target_archE4294967295ELNS1_3gpuE0ELNS1_3repE0EEENS1_30default_config_static_selectorELNS0_4arch9wavefront6targetE0EEEvT1_
; %bb.0:
	.section	.rodata,"a",@progbits
	.p2align	6, 0x0
	.amdhsa_kernel _ZN7rocprim17ROCPRIM_400000_NS6detail17trampoline_kernelINS0_14default_configENS1_25partition_config_selectorILNS1_17partition_subalgoE5ElNS0_10empty_typeEbEEZZNS1_14partition_implILS5_5ELb0ES3_mN6hipcub16HIPCUB_304000_NS21CountingInputIteratorIllEEPS6_NSA_22TransformInputIteratorIbN2at6native12_GLOBAL__N_19NonZeroOpIN3c107complexINSJ_4HalfEEEEEPKSM_lEENS0_5tupleIJPlS6_EEENSR_IJSD_SD_EEES6_PiJS6_EEE10hipError_tPvRmT3_T4_T5_T6_T7_T9_mT8_P12ihipStream_tbDpT10_ENKUlT_T0_E_clISt17integral_constantIbLb1EES1F_EEDaS1A_S1B_EUlS1A_E_NS1_11comp_targetILNS1_3genE0ELNS1_11target_archE4294967295ELNS1_3gpuE0ELNS1_3repE0EEENS1_30default_config_static_selectorELNS0_4arch9wavefront6targetE0EEEvT1_
		.amdhsa_group_segment_fixed_size 0
		.amdhsa_private_segment_fixed_size 0
		.amdhsa_kernarg_size 136
		.amdhsa_user_sgpr_count 15
		.amdhsa_user_sgpr_dispatch_ptr 0
		.amdhsa_user_sgpr_queue_ptr 0
		.amdhsa_user_sgpr_kernarg_segment_ptr 1
		.amdhsa_user_sgpr_dispatch_id 0
		.amdhsa_user_sgpr_private_segment_size 0
		.amdhsa_wavefront_size32 1
		.amdhsa_uses_dynamic_stack 0
		.amdhsa_enable_private_segment 0
		.amdhsa_system_sgpr_workgroup_id_x 1
		.amdhsa_system_sgpr_workgroup_id_y 0
		.amdhsa_system_sgpr_workgroup_id_z 0
		.amdhsa_system_sgpr_workgroup_info 0
		.amdhsa_system_vgpr_workitem_id 0
		.amdhsa_next_free_vgpr 1
		.amdhsa_next_free_sgpr 1
		.amdhsa_reserve_vcc 0
		.amdhsa_float_round_mode_32 0
		.amdhsa_float_round_mode_16_64 0
		.amdhsa_float_denorm_mode_32 3
		.amdhsa_float_denorm_mode_16_64 3
		.amdhsa_dx10_clamp 1
		.amdhsa_ieee_mode 1
		.amdhsa_fp16_overflow 0
		.amdhsa_workgroup_processor_mode 1
		.amdhsa_memory_ordered 1
		.amdhsa_forward_progress 0
		.amdhsa_shared_vgpr_count 0
		.amdhsa_exception_fp_ieee_invalid_op 0
		.amdhsa_exception_fp_denorm_src 0
		.amdhsa_exception_fp_ieee_div_zero 0
		.amdhsa_exception_fp_ieee_overflow 0
		.amdhsa_exception_fp_ieee_underflow 0
		.amdhsa_exception_fp_ieee_inexact 0
		.amdhsa_exception_int_div_zero 0
	.end_amdhsa_kernel
	.section	.text._ZN7rocprim17ROCPRIM_400000_NS6detail17trampoline_kernelINS0_14default_configENS1_25partition_config_selectorILNS1_17partition_subalgoE5ElNS0_10empty_typeEbEEZZNS1_14partition_implILS5_5ELb0ES3_mN6hipcub16HIPCUB_304000_NS21CountingInputIteratorIllEEPS6_NSA_22TransformInputIteratorIbN2at6native12_GLOBAL__N_19NonZeroOpIN3c107complexINSJ_4HalfEEEEEPKSM_lEENS0_5tupleIJPlS6_EEENSR_IJSD_SD_EEES6_PiJS6_EEE10hipError_tPvRmT3_T4_T5_T6_T7_T9_mT8_P12ihipStream_tbDpT10_ENKUlT_T0_E_clISt17integral_constantIbLb1EES1F_EEDaS1A_S1B_EUlS1A_E_NS1_11comp_targetILNS1_3genE0ELNS1_11target_archE4294967295ELNS1_3gpuE0ELNS1_3repE0EEENS1_30default_config_static_selectorELNS0_4arch9wavefront6targetE0EEEvT1_,"axG",@progbits,_ZN7rocprim17ROCPRIM_400000_NS6detail17trampoline_kernelINS0_14default_configENS1_25partition_config_selectorILNS1_17partition_subalgoE5ElNS0_10empty_typeEbEEZZNS1_14partition_implILS5_5ELb0ES3_mN6hipcub16HIPCUB_304000_NS21CountingInputIteratorIllEEPS6_NSA_22TransformInputIteratorIbN2at6native12_GLOBAL__N_19NonZeroOpIN3c107complexINSJ_4HalfEEEEEPKSM_lEENS0_5tupleIJPlS6_EEENSR_IJSD_SD_EEES6_PiJS6_EEE10hipError_tPvRmT3_T4_T5_T6_T7_T9_mT8_P12ihipStream_tbDpT10_ENKUlT_T0_E_clISt17integral_constantIbLb1EES1F_EEDaS1A_S1B_EUlS1A_E_NS1_11comp_targetILNS1_3genE0ELNS1_11target_archE4294967295ELNS1_3gpuE0ELNS1_3repE0EEENS1_30default_config_static_selectorELNS0_4arch9wavefront6targetE0EEEvT1_,comdat
.Lfunc_end670:
	.size	_ZN7rocprim17ROCPRIM_400000_NS6detail17trampoline_kernelINS0_14default_configENS1_25partition_config_selectorILNS1_17partition_subalgoE5ElNS0_10empty_typeEbEEZZNS1_14partition_implILS5_5ELb0ES3_mN6hipcub16HIPCUB_304000_NS21CountingInputIteratorIllEEPS6_NSA_22TransformInputIteratorIbN2at6native12_GLOBAL__N_19NonZeroOpIN3c107complexINSJ_4HalfEEEEEPKSM_lEENS0_5tupleIJPlS6_EEENSR_IJSD_SD_EEES6_PiJS6_EEE10hipError_tPvRmT3_T4_T5_T6_T7_T9_mT8_P12ihipStream_tbDpT10_ENKUlT_T0_E_clISt17integral_constantIbLb1EES1F_EEDaS1A_S1B_EUlS1A_E_NS1_11comp_targetILNS1_3genE0ELNS1_11target_archE4294967295ELNS1_3gpuE0ELNS1_3repE0EEENS1_30default_config_static_selectorELNS0_4arch9wavefront6targetE0EEEvT1_, .Lfunc_end670-_ZN7rocprim17ROCPRIM_400000_NS6detail17trampoline_kernelINS0_14default_configENS1_25partition_config_selectorILNS1_17partition_subalgoE5ElNS0_10empty_typeEbEEZZNS1_14partition_implILS5_5ELb0ES3_mN6hipcub16HIPCUB_304000_NS21CountingInputIteratorIllEEPS6_NSA_22TransformInputIteratorIbN2at6native12_GLOBAL__N_19NonZeroOpIN3c107complexINSJ_4HalfEEEEEPKSM_lEENS0_5tupleIJPlS6_EEENSR_IJSD_SD_EEES6_PiJS6_EEE10hipError_tPvRmT3_T4_T5_T6_T7_T9_mT8_P12ihipStream_tbDpT10_ENKUlT_T0_E_clISt17integral_constantIbLb1EES1F_EEDaS1A_S1B_EUlS1A_E_NS1_11comp_targetILNS1_3genE0ELNS1_11target_archE4294967295ELNS1_3gpuE0ELNS1_3repE0EEENS1_30default_config_static_selectorELNS0_4arch9wavefront6targetE0EEEvT1_
                                        ; -- End function
	.section	.AMDGPU.csdata,"",@progbits
; Kernel info:
; codeLenInByte = 0
; NumSgprs: 0
; NumVgprs: 0
; ScratchSize: 0
; MemoryBound: 0
; FloatMode: 240
; IeeeMode: 1
; LDSByteSize: 0 bytes/workgroup (compile time only)
; SGPRBlocks: 0
; VGPRBlocks: 0
; NumSGPRsForWavesPerEU: 1
; NumVGPRsForWavesPerEU: 1
; Occupancy: 16
; WaveLimiterHint : 0
; COMPUTE_PGM_RSRC2:SCRATCH_EN: 0
; COMPUTE_PGM_RSRC2:USER_SGPR: 15
; COMPUTE_PGM_RSRC2:TRAP_HANDLER: 0
; COMPUTE_PGM_RSRC2:TGID_X_EN: 1
; COMPUTE_PGM_RSRC2:TGID_Y_EN: 0
; COMPUTE_PGM_RSRC2:TGID_Z_EN: 0
; COMPUTE_PGM_RSRC2:TIDIG_COMP_CNT: 0
	.section	.text._ZN7rocprim17ROCPRIM_400000_NS6detail17trampoline_kernelINS0_14default_configENS1_25partition_config_selectorILNS1_17partition_subalgoE5ElNS0_10empty_typeEbEEZZNS1_14partition_implILS5_5ELb0ES3_mN6hipcub16HIPCUB_304000_NS21CountingInputIteratorIllEEPS6_NSA_22TransformInputIteratorIbN2at6native12_GLOBAL__N_19NonZeroOpIN3c107complexINSJ_4HalfEEEEEPKSM_lEENS0_5tupleIJPlS6_EEENSR_IJSD_SD_EEES6_PiJS6_EEE10hipError_tPvRmT3_T4_T5_T6_T7_T9_mT8_P12ihipStream_tbDpT10_ENKUlT_T0_E_clISt17integral_constantIbLb1EES1F_EEDaS1A_S1B_EUlS1A_E_NS1_11comp_targetILNS1_3genE5ELNS1_11target_archE942ELNS1_3gpuE9ELNS1_3repE0EEENS1_30default_config_static_selectorELNS0_4arch9wavefront6targetE0EEEvT1_,"axG",@progbits,_ZN7rocprim17ROCPRIM_400000_NS6detail17trampoline_kernelINS0_14default_configENS1_25partition_config_selectorILNS1_17partition_subalgoE5ElNS0_10empty_typeEbEEZZNS1_14partition_implILS5_5ELb0ES3_mN6hipcub16HIPCUB_304000_NS21CountingInputIteratorIllEEPS6_NSA_22TransformInputIteratorIbN2at6native12_GLOBAL__N_19NonZeroOpIN3c107complexINSJ_4HalfEEEEEPKSM_lEENS0_5tupleIJPlS6_EEENSR_IJSD_SD_EEES6_PiJS6_EEE10hipError_tPvRmT3_T4_T5_T6_T7_T9_mT8_P12ihipStream_tbDpT10_ENKUlT_T0_E_clISt17integral_constantIbLb1EES1F_EEDaS1A_S1B_EUlS1A_E_NS1_11comp_targetILNS1_3genE5ELNS1_11target_archE942ELNS1_3gpuE9ELNS1_3repE0EEENS1_30default_config_static_selectorELNS0_4arch9wavefront6targetE0EEEvT1_,comdat
	.globl	_ZN7rocprim17ROCPRIM_400000_NS6detail17trampoline_kernelINS0_14default_configENS1_25partition_config_selectorILNS1_17partition_subalgoE5ElNS0_10empty_typeEbEEZZNS1_14partition_implILS5_5ELb0ES3_mN6hipcub16HIPCUB_304000_NS21CountingInputIteratorIllEEPS6_NSA_22TransformInputIteratorIbN2at6native12_GLOBAL__N_19NonZeroOpIN3c107complexINSJ_4HalfEEEEEPKSM_lEENS0_5tupleIJPlS6_EEENSR_IJSD_SD_EEES6_PiJS6_EEE10hipError_tPvRmT3_T4_T5_T6_T7_T9_mT8_P12ihipStream_tbDpT10_ENKUlT_T0_E_clISt17integral_constantIbLb1EES1F_EEDaS1A_S1B_EUlS1A_E_NS1_11comp_targetILNS1_3genE5ELNS1_11target_archE942ELNS1_3gpuE9ELNS1_3repE0EEENS1_30default_config_static_selectorELNS0_4arch9wavefront6targetE0EEEvT1_ ; -- Begin function _ZN7rocprim17ROCPRIM_400000_NS6detail17trampoline_kernelINS0_14default_configENS1_25partition_config_selectorILNS1_17partition_subalgoE5ElNS0_10empty_typeEbEEZZNS1_14partition_implILS5_5ELb0ES3_mN6hipcub16HIPCUB_304000_NS21CountingInputIteratorIllEEPS6_NSA_22TransformInputIteratorIbN2at6native12_GLOBAL__N_19NonZeroOpIN3c107complexINSJ_4HalfEEEEEPKSM_lEENS0_5tupleIJPlS6_EEENSR_IJSD_SD_EEES6_PiJS6_EEE10hipError_tPvRmT3_T4_T5_T6_T7_T9_mT8_P12ihipStream_tbDpT10_ENKUlT_T0_E_clISt17integral_constantIbLb1EES1F_EEDaS1A_S1B_EUlS1A_E_NS1_11comp_targetILNS1_3genE5ELNS1_11target_archE942ELNS1_3gpuE9ELNS1_3repE0EEENS1_30default_config_static_selectorELNS0_4arch9wavefront6targetE0EEEvT1_
	.p2align	8
	.type	_ZN7rocprim17ROCPRIM_400000_NS6detail17trampoline_kernelINS0_14default_configENS1_25partition_config_selectorILNS1_17partition_subalgoE5ElNS0_10empty_typeEbEEZZNS1_14partition_implILS5_5ELb0ES3_mN6hipcub16HIPCUB_304000_NS21CountingInputIteratorIllEEPS6_NSA_22TransformInputIteratorIbN2at6native12_GLOBAL__N_19NonZeroOpIN3c107complexINSJ_4HalfEEEEEPKSM_lEENS0_5tupleIJPlS6_EEENSR_IJSD_SD_EEES6_PiJS6_EEE10hipError_tPvRmT3_T4_T5_T6_T7_T9_mT8_P12ihipStream_tbDpT10_ENKUlT_T0_E_clISt17integral_constantIbLb1EES1F_EEDaS1A_S1B_EUlS1A_E_NS1_11comp_targetILNS1_3genE5ELNS1_11target_archE942ELNS1_3gpuE9ELNS1_3repE0EEENS1_30default_config_static_selectorELNS0_4arch9wavefront6targetE0EEEvT1_,@function
_ZN7rocprim17ROCPRIM_400000_NS6detail17trampoline_kernelINS0_14default_configENS1_25partition_config_selectorILNS1_17partition_subalgoE5ElNS0_10empty_typeEbEEZZNS1_14partition_implILS5_5ELb0ES3_mN6hipcub16HIPCUB_304000_NS21CountingInputIteratorIllEEPS6_NSA_22TransformInputIteratorIbN2at6native12_GLOBAL__N_19NonZeroOpIN3c107complexINSJ_4HalfEEEEEPKSM_lEENS0_5tupleIJPlS6_EEENSR_IJSD_SD_EEES6_PiJS6_EEE10hipError_tPvRmT3_T4_T5_T6_T7_T9_mT8_P12ihipStream_tbDpT10_ENKUlT_T0_E_clISt17integral_constantIbLb1EES1F_EEDaS1A_S1B_EUlS1A_E_NS1_11comp_targetILNS1_3genE5ELNS1_11target_archE942ELNS1_3gpuE9ELNS1_3repE0EEENS1_30default_config_static_selectorELNS0_4arch9wavefront6targetE0EEEvT1_: ; @_ZN7rocprim17ROCPRIM_400000_NS6detail17trampoline_kernelINS0_14default_configENS1_25partition_config_selectorILNS1_17partition_subalgoE5ElNS0_10empty_typeEbEEZZNS1_14partition_implILS5_5ELb0ES3_mN6hipcub16HIPCUB_304000_NS21CountingInputIteratorIllEEPS6_NSA_22TransformInputIteratorIbN2at6native12_GLOBAL__N_19NonZeroOpIN3c107complexINSJ_4HalfEEEEEPKSM_lEENS0_5tupleIJPlS6_EEENSR_IJSD_SD_EEES6_PiJS6_EEE10hipError_tPvRmT3_T4_T5_T6_T7_T9_mT8_P12ihipStream_tbDpT10_ENKUlT_T0_E_clISt17integral_constantIbLb1EES1F_EEDaS1A_S1B_EUlS1A_E_NS1_11comp_targetILNS1_3genE5ELNS1_11target_archE942ELNS1_3gpuE9ELNS1_3repE0EEENS1_30default_config_static_selectorELNS0_4arch9wavefront6targetE0EEEvT1_
; %bb.0:
	.section	.rodata,"a",@progbits
	.p2align	6, 0x0
	.amdhsa_kernel _ZN7rocprim17ROCPRIM_400000_NS6detail17trampoline_kernelINS0_14default_configENS1_25partition_config_selectorILNS1_17partition_subalgoE5ElNS0_10empty_typeEbEEZZNS1_14partition_implILS5_5ELb0ES3_mN6hipcub16HIPCUB_304000_NS21CountingInputIteratorIllEEPS6_NSA_22TransformInputIteratorIbN2at6native12_GLOBAL__N_19NonZeroOpIN3c107complexINSJ_4HalfEEEEEPKSM_lEENS0_5tupleIJPlS6_EEENSR_IJSD_SD_EEES6_PiJS6_EEE10hipError_tPvRmT3_T4_T5_T6_T7_T9_mT8_P12ihipStream_tbDpT10_ENKUlT_T0_E_clISt17integral_constantIbLb1EES1F_EEDaS1A_S1B_EUlS1A_E_NS1_11comp_targetILNS1_3genE5ELNS1_11target_archE942ELNS1_3gpuE9ELNS1_3repE0EEENS1_30default_config_static_selectorELNS0_4arch9wavefront6targetE0EEEvT1_
		.amdhsa_group_segment_fixed_size 0
		.amdhsa_private_segment_fixed_size 0
		.amdhsa_kernarg_size 136
		.amdhsa_user_sgpr_count 15
		.amdhsa_user_sgpr_dispatch_ptr 0
		.amdhsa_user_sgpr_queue_ptr 0
		.amdhsa_user_sgpr_kernarg_segment_ptr 1
		.amdhsa_user_sgpr_dispatch_id 0
		.amdhsa_user_sgpr_private_segment_size 0
		.amdhsa_wavefront_size32 1
		.amdhsa_uses_dynamic_stack 0
		.amdhsa_enable_private_segment 0
		.amdhsa_system_sgpr_workgroup_id_x 1
		.amdhsa_system_sgpr_workgroup_id_y 0
		.amdhsa_system_sgpr_workgroup_id_z 0
		.amdhsa_system_sgpr_workgroup_info 0
		.amdhsa_system_vgpr_workitem_id 0
		.amdhsa_next_free_vgpr 1
		.amdhsa_next_free_sgpr 1
		.amdhsa_reserve_vcc 0
		.amdhsa_float_round_mode_32 0
		.amdhsa_float_round_mode_16_64 0
		.amdhsa_float_denorm_mode_32 3
		.amdhsa_float_denorm_mode_16_64 3
		.amdhsa_dx10_clamp 1
		.amdhsa_ieee_mode 1
		.amdhsa_fp16_overflow 0
		.amdhsa_workgroup_processor_mode 1
		.amdhsa_memory_ordered 1
		.amdhsa_forward_progress 0
		.amdhsa_shared_vgpr_count 0
		.amdhsa_exception_fp_ieee_invalid_op 0
		.amdhsa_exception_fp_denorm_src 0
		.amdhsa_exception_fp_ieee_div_zero 0
		.amdhsa_exception_fp_ieee_overflow 0
		.amdhsa_exception_fp_ieee_underflow 0
		.amdhsa_exception_fp_ieee_inexact 0
		.amdhsa_exception_int_div_zero 0
	.end_amdhsa_kernel
	.section	.text._ZN7rocprim17ROCPRIM_400000_NS6detail17trampoline_kernelINS0_14default_configENS1_25partition_config_selectorILNS1_17partition_subalgoE5ElNS0_10empty_typeEbEEZZNS1_14partition_implILS5_5ELb0ES3_mN6hipcub16HIPCUB_304000_NS21CountingInputIteratorIllEEPS6_NSA_22TransformInputIteratorIbN2at6native12_GLOBAL__N_19NonZeroOpIN3c107complexINSJ_4HalfEEEEEPKSM_lEENS0_5tupleIJPlS6_EEENSR_IJSD_SD_EEES6_PiJS6_EEE10hipError_tPvRmT3_T4_T5_T6_T7_T9_mT8_P12ihipStream_tbDpT10_ENKUlT_T0_E_clISt17integral_constantIbLb1EES1F_EEDaS1A_S1B_EUlS1A_E_NS1_11comp_targetILNS1_3genE5ELNS1_11target_archE942ELNS1_3gpuE9ELNS1_3repE0EEENS1_30default_config_static_selectorELNS0_4arch9wavefront6targetE0EEEvT1_,"axG",@progbits,_ZN7rocprim17ROCPRIM_400000_NS6detail17trampoline_kernelINS0_14default_configENS1_25partition_config_selectorILNS1_17partition_subalgoE5ElNS0_10empty_typeEbEEZZNS1_14partition_implILS5_5ELb0ES3_mN6hipcub16HIPCUB_304000_NS21CountingInputIteratorIllEEPS6_NSA_22TransformInputIteratorIbN2at6native12_GLOBAL__N_19NonZeroOpIN3c107complexINSJ_4HalfEEEEEPKSM_lEENS0_5tupleIJPlS6_EEENSR_IJSD_SD_EEES6_PiJS6_EEE10hipError_tPvRmT3_T4_T5_T6_T7_T9_mT8_P12ihipStream_tbDpT10_ENKUlT_T0_E_clISt17integral_constantIbLb1EES1F_EEDaS1A_S1B_EUlS1A_E_NS1_11comp_targetILNS1_3genE5ELNS1_11target_archE942ELNS1_3gpuE9ELNS1_3repE0EEENS1_30default_config_static_selectorELNS0_4arch9wavefront6targetE0EEEvT1_,comdat
.Lfunc_end671:
	.size	_ZN7rocprim17ROCPRIM_400000_NS6detail17trampoline_kernelINS0_14default_configENS1_25partition_config_selectorILNS1_17partition_subalgoE5ElNS0_10empty_typeEbEEZZNS1_14partition_implILS5_5ELb0ES3_mN6hipcub16HIPCUB_304000_NS21CountingInputIteratorIllEEPS6_NSA_22TransformInputIteratorIbN2at6native12_GLOBAL__N_19NonZeroOpIN3c107complexINSJ_4HalfEEEEEPKSM_lEENS0_5tupleIJPlS6_EEENSR_IJSD_SD_EEES6_PiJS6_EEE10hipError_tPvRmT3_T4_T5_T6_T7_T9_mT8_P12ihipStream_tbDpT10_ENKUlT_T0_E_clISt17integral_constantIbLb1EES1F_EEDaS1A_S1B_EUlS1A_E_NS1_11comp_targetILNS1_3genE5ELNS1_11target_archE942ELNS1_3gpuE9ELNS1_3repE0EEENS1_30default_config_static_selectorELNS0_4arch9wavefront6targetE0EEEvT1_, .Lfunc_end671-_ZN7rocprim17ROCPRIM_400000_NS6detail17trampoline_kernelINS0_14default_configENS1_25partition_config_selectorILNS1_17partition_subalgoE5ElNS0_10empty_typeEbEEZZNS1_14partition_implILS5_5ELb0ES3_mN6hipcub16HIPCUB_304000_NS21CountingInputIteratorIllEEPS6_NSA_22TransformInputIteratorIbN2at6native12_GLOBAL__N_19NonZeroOpIN3c107complexINSJ_4HalfEEEEEPKSM_lEENS0_5tupleIJPlS6_EEENSR_IJSD_SD_EEES6_PiJS6_EEE10hipError_tPvRmT3_T4_T5_T6_T7_T9_mT8_P12ihipStream_tbDpT10_ENKUlT_T0_E_clISt17integral_constantIbLb1EES1F_EEDaS1A_S1B_EUlS1A_E_NS1_11comp_targetILNS1_3genE5ELNS1_11target_archE942ELNS1_3gpuE9ELNS1_3repE0EEENS1_30default_config_static_selectorELNS0_4arch9wavefront6targetE0EEEvT1_
                                        ; -- End function
	.section	.AMDGPU.csdata,"",@progbits
; Kernel info:
; codeLenInByte = 0
; NumSgprs: 0
; NumVgprs: 0
; ScratchSize: 0
; MemoryBound: 0
; FloatMode: 240
; IeeeMode: 1
; LDSByteSize: 0 bytes/workgroup (compile time only)
; SGPRBlocks: 0
; VGPRBlocks: 0
; NumSGPRsForWavesPerEU: 1
; NumVGPRsForWavesPerEU: 1
; Occupancy: 16
; WaveLimiterHint : 0
; COMPUTE_PGM_RSRC2:SCRATCH_EN: 0
; COMPUTE_PGM_RSRC2:USER_SGPR: 15
; COMPUTE_PGM_RSRC2:TRAP_HANDLER: 0
; COMPUTE_PGM_RSRC2:TGID_X_EN: 1
; COMPUTE_PGM_RSRC2:TGID_Y_EN: 0
; COMPUTE_PGM_RSRC2:TGID_Z_EN: 0
; COMPUTE_PGM_RSRC2:TIDIG_COMP_CNT: 0
	.section	.text._ZN7rocprim17ROCPRIM_400000_NS6detail17trampoline_kernelINS0_14default_configENS1_25partition_config_selectorILNS1_17partition_subalgoE5ElNS0_10empty_typeEbEEZZNS1_14partition_implILS5_5ELb0ES3_mN6hipcub16HIPCUB_304000_NS21CountingInputIteratorIllEEPS6_NSA_22TransformInputIteratorIbN2at6native12_GLOBAL__N_19NonZeroOpIN3c107complexINSJ_4HalfEEEEEPKSM_lEENS0_5tupleIJPlS6_EEENSR_IJSD_SD_EEES6_PiJS6_EEE10hipError_tPvRmT3_T4_T5_T6_T7_T9_mT8_P12ihipStream_tbDpT10_ENKUlT_T0_E_clISt17integral_constantIbLb1EES1F_EEDaS1A_S1B_EUlS1A_E_NS1_11comp_targetILNS1_3genE4ELNS1_11target_archE910ELNS1_3gpuE8ELNS1_3repE0EEENS1_30default_config_static_selectorELNS0_4arch9wavefront6targetE0EEEvT1_,"axG",@progbits,_ZN7rocprim17ROCPRIM_400000_NS6detail17trampoline_kernelINS0_14default_configENS1_25partition_config_selectorILNS1_17partition_subalgoE5ElNS0_10empty_typeEbEEZZNS1_14partition_implILS5_5ELb0ES3_mN6hipcub16HIPCUB_304000_NS21CountingInputIteratorIllEEPS6_NSA_22TransformInputIteratorIbN2at6native12_GLOBAL__N_19NonZeroOpIN3c107complexINSJ_4HalfEEEEEPKSM_lEENS0_5tupleIJPlS6_EEENSR_IJSD_SD_EEES6_PiJS6_EEE10hipError_tPvRmT3_T4_T5_T6_T7_T9_mT8_P12ihipStream_tbDpT10_ENKUlT_T0_E_clISt17integral_constantIbLb1EES1F_EEDaS1A_S1B_EUlS1A_E_NS1_11comp_targetILNS1_3genE4ELNS1_11target_archE910ELNS1_3gpuE8ELNS1_3repE0EEENS1_30default_config_static_selectorELNS0_4arch9wavefront6targetE0EEEvT1_,comdat
	.globl	_ZN7rocprim17ROCPRIM_400000_NS6detail17trampoline_kernelINS0_14default_configENS1_25partition_config_selectorILNS1_17partition_subalgoE5ElNS0_10empty_typeEbEEZZNS1_14partition_implILS5_5ELb0ES3_mN6hipcub16HIPCUB_304000_NS21CountingInputIteratorIllEEPS6_NSA_22TransformInputIteratorIbN2at6native12_GLOBAL__N_19NonZeroOpIN3c107complexINSJ_4HalfEEEEEPKSM_lEENS0_5tupleIJPlS6_EEENSR_IJSD_SD_EEES6_PiJS6_EEE10hipError_tPvRmT3_T4_T5_T6_T7_T9_mT8_P12ihipStream_tbDpT10_ENKUlT_T0_E_clISt17integral_constantIbLb1EES1F_EEDaS1A_S1B_EUlS1A_E_NS1_11comp_targetILNS1_3genE4ELNS1_11target_archE910ELNS1_3gpuE8ELNS1_3repE0EEENS1_30default_config_static_selectorELNS0_4arch9wavefront6targetE0EEEvT1_ ; -- Begin function _ZN7rocprim17ROCPRIM_400000_NS6detail17trampoline_kernelINS0_14default_configENS1_25partition_config_selectorILNS1_17partition_subalgoE5ElNS0_10empty_typeEbEEZZNS1_14partition_implILS5_5ELb0ES3_mN6hipcub16HIPCUB_304000_NS21CountingInputIteratorIllEEPS6_NSA_22TransformInputIteratorIbN2at6native12_GLOBAL__N_19NonZeroOpIN3c107complexINSJ_4HalfEEEEEPKSM_lEENS0_5tupleIJPlS6_EEENSR_IJSD_SD_EEES6_PiJS6_EEE10hipError_tPvRmT3_T4_T5_T6_T7_T9_mT8_P12ihipStream_tbDpT10_ENKUlT_T0_E_clISt17integral_constantIbLb1EES1F_EEDaS1A_S1B_EUlS1A_E_NS1_11comp_targetILNS1_3genE4ELNS1_11target_archE910ELNS1_3gpuE8ELNS1_3repE0EEENS1_30default_config_static_selectorELNS0_4arch9wavefront6targetE0EEEvT1_
	.p2align	8
	.type	_ZN7rocprim17ROCPRIM_400000_NS6detail17trampoline_kernelINS0_14default_configENS1_25partition_config_selectorILNS1_17partition_subalgoE5ElNS0_10empty_typeEbEEZZNS1_14partition_implILS5_5ELb0ES3_mN6hipcub16HIPCUB_304000_NS21CountingInputIteratorIllEEPS6_NSA_22TransformInputIteratorIbN2at6native12_GLOBAL__N_19NonZeroOpIN3c107complexINSJ_4HalfEEEEEPKSM_lEENS0_5tupleIJPlS6_EEENSR_IJSD_SD_EEES6_PiJS6_EEE10hipError_tPvRmT3_T4_T5_T6_T7_T9_mT8_P12ihipStream_tbDpT10_ENKUlT_T0_E_clISt17integral_constantIbLb1EES1F_EEDaS1A_S1B_EUlS1A_E_NS1_11comp_targetILNS1_3genE4ELNS1_11target_archE910ELNS1_3gpuE8ELNS1_3repE0EEENS1_30default_config_static_selectorELNS0_4arch9wavefront6targetE0EEEvT1_,@function
_ZN7rocprim17ROCPRIM_400000_NS6detail17trampoline_kernelINS0_14default_configENS1_25partition_config_selectorILNS1_17partition_subalgoE5ElNS0_10empty_typeEbEEZZNS1_14partition_implILS5_5ELb0ES3_mN6hipcub16HIPCUB_304000_NS21CountingInputIteratorIllEEPS6_NSA_22TransformInputIteratorIbN2at6native12_GLOBAL__N_19NonZeroOpIN3c107complexINSJ_4HalfEEEEEPKSM_lEENS0_5tupleIJPlS6_EEENSR_IJSD_SD_EEES6_PiJS6_EEE10hipError_tPvRmT3_T4_T5_T6_T7_T9_mT8_P12ihipStream_tbDpT10_ENKUlT_T0_E_clISt17integral_constantIbLb1EES1F_EEDaS1A_S1B_EUlS1A_E_NS1_11comp_targetILNS1_3genE4ELNS1_11target_archE910ELNS1_3gpuE8ELNS1_3repE0EEENS1_30default_config_static_selectorELNS0_4arch9wavefront6targetE0EEEvT1_: ; @_ZN7rocprim17ROCPRIM_400000_NS6detail17trampoline_kernelINS0_14default_configENS1_25partition_config_selectorILNS1_17partition_subalgoE5ElNS0_10empty_typeEbEEZZNS1_14partition_implILS5_5ELb0ES3_mN6hipcub16HIPCUB_304000_NS21CountingInputIteratorIllEEPS6_NSA_22TransformInputIteratorIbN2at6native12_GLOBAL__N_19NonZeroOpIN3c107complexINSJ_4HalfEEEEEPKSM_lEENS0_5tupleIJPlS6_EEENSR_IJSD_SD_EEES6_PiJS6_EEE10hipError_tPvRmT3_T4_T5_T6_T7_T9_mT8_P12ihipStream_tbDpT10_ENKUlT_T0_E_clISt17integral_constantIbLb1EES1F_EEDaS1A_S1B_EUlS1A_E_NS1_11comp_targetILNS1_3genE4ELNS1_11target_archE910ELNS1_3gpuE8ELNS1_3repE0EEENS1_30default_config_static_selectorELNS0_4arch9wavefront6targetE0EEEvT1_
; %bb.0:
	.section	.rodata,"a",@progbits
	.p2align	6, 0x0
	.amdhsa_kernel _ZN7rocprim17ROCPRIM_400000_NS6detail17trampoline_kernelINS0_14default_configENS1_25partition_config_selectorILNS1_17partition_subalgoE5ElNS0_10empty_typeEbEEZZNS1_14partition_implILS5_5ELb0ES3_mN6hipcub16HIPCUB_304000_NS21CountingInputIteratorIllEEPS6_NSA_22TransformInputIteratorIbN2at6native12_GLOBAL__N_19NonZeroOpIN3c107complexINSJ_4HalfEEEEEPKSM_lEENS0_5tupleIJPlS6_EEENSR_IJSD_SD_EEES6_PiJS6_EEE10hipError_tPvRmT3_T4_T5_T6_T7_T9_mT8_P12ihipStream_tbDpT10_ENKUlT_T0_E_clISt17integral_constantIbLb1EES1F_EEDaS1A_S1B_EUlS1A_E_NS1_11comp_targetILNS1_3genE4ELNS1_11target_archE910ELNS1_3gpuE8ELNS1_3repE0EEENS1_30default_config_static_selectorELNS0_4arch9wavefront6targetE0EEEvT1_
		.amdhsa_group_segment_fixed_size 0
		.amdhsa_private_segment_fixed_size 0
		.amdhsa_kernarg_size 136
		.amdhsa_user_sgpr_count 15
		.amdhsa_user_sgpr_dispatch_ptr 0
		.amdhsa_user_sgpr_queue_ptr 0
		.amdhsa_user_sgpr_kernarg_segment_ptr 1
		.amdhsa_user_sgpr_dispatch_id 0
		.amdhsa_user_sgpr_private_segment_size 0
		.amdhsa_wavefront_size32 1
		.amdhsa_uses_dynamic_stack 0
		.amdhsa_enable_private_segment 0
		.amdhsa_system_sgpr_workgroup_id_x 1
		.amdhsa_system_sgpr_workgroup_id_y 0
		.amdhsa_system_sgpr_workgroup_id_z 0
		.amdhsa_system_sgpr_workgroup_info 0
		.amdhsa_system_vgpr_workitem_id 0
		.amdhsa_next_free_vgpr 1
		.amdhsa_next_free_sgpr 1
		.amdhsa_reserve_vcc 0
		.amdhsa_float_round_mode_32 0
		.amdhsa_float_round_mode_16_64 0
		.amdhsa_float_denorm_mode_32 3
		.amdhsa_float_denorm_mode_16_64 3
		.amdhsa_dx10_clamp 1
		.amdhsa_ieee_mode 1
		.amdhsa_fp16_overflow 0
		.amdhsa_workgroup_processor_mode 1
		.amdhsa_memory_ordered 1
		.amdhsa_forward_progress 0
		.amdhsa_shared_vgpr_count 0
		.amdhsa_exception_fp_ieee_invalid_op 0
		.amdhsa_exception_fp_denorm_src 0
		.amdhsa_exception_fp_ieee_div_zero 0
		.amdhsa_exception_fp_ieee_overflow 0
		.amdhsa_exception_fp_ieee_underflow 0
		.amdhsa_exception_fp_ieee_inexact 0
		.amdhsa_exception_int_div_zero 0
	.end_amdhsa_kernel
	.section	.text._ZN7rocprim17ROCPRIM_400000_NS6detail17trampoline_kernelINS0_14default_configENS1_25partition_config_selectorILNS1_17partition_subalgoE5ElNS0_10empty_typeEbEEZZNS1_14partition_implILS5_5ELb0ES3_mN6hipcub16HIPCUB_304000_NS21CountingInputIteratorIllEEPS6_NSA_22TransformInputIteratorIbN2at6native12_GLOBAL__N_19NonZeroOpIN3c107complexINSJ_4HalfEEEEEPKSM_lEENS0_5tupleIJPlS6_EEENSR_IJSD_SD_EEES6_PiJS6_EEE10hipError_tPvRmT3_T4_T5_T6_T7_T9_mT8_P12ihipStream_tbDpT10_ENKUlT_T0_E_clISt17integral_constantIbLb1EES1F_EEDaS1A_S1B_EUlS1A_E_NS1_11comp_targetILNS1_3genE4ELNS1_11target_archE910ELNS1_3gpuE8ELNS1_3repE0EEENS1_30default_config_static_selectorELNS0_4arch9wavefront6targetE0EEEvT1_,"axG",@progbits,_ZN7rocprim17ROCPRIM_400000_NS6detail17trampoline_kernelINS0_14default_configENS1_25partition_config_selectorILNS1_17partition_subalgoE5ElNS0_10empty_typeEbEEZZNS1_14partition_implILS5_5ELb0ES3_mN6hipcub16HIPCUB_304000_NS21CountingInputIteratorIllEEPS6_NSA_22TransformInputIteratorIbN2at6native12_GLOBAL__N_19NonZeroOpIN3c107complexINSJ_4HalfEEEEEPKSM_lEENS0_5tupleIJPlS6_EEENSR_IJSD_SD_EEES6_PiJS6_EEE10hipError_tPvRmT3_T4_T5_T6_T7_T9_mT8_P12ihipStream_tbDpT10_ENKUlT_T0_E_clISt17integral_constantIbLb1EES1F_EEDaS1A_S1B_EUlS1A_E_NS1_11comp_targetILNS1_3genE4ELNS1_11target_archE910ELNS1_3gpuE8ELNS1_3repE0EEENS1_30default_config_static_selectorELNS0_4arch9wavefront6targetE0EEEvT1_,comdat
.Lfunc_end672:
	.size	_ZN7rocprim17ROCPRIM_400000_NS6detail17trampoline_kernelINS0_14default_configENS1_25partition_config_selectorILNS1_17partition_subalgoE5ElNS0_10empty_typeEbEEZZNS1_14partition_implILS5_5ELb0ES3_mN6hipcub16HIPCUB_304000_NS21CountingInputIteratorIllEEPS6_NSA_22TransformInputIteratorIbN2at6native12_GLOBAL__N_19NonZeroOpIN3c107complexINSJ_4HalfEEEEEPKSM_lEENS0_5tupleIJPlS6_EEENSR_IJSD_SD_EEES6_PiJS6_EEE10hipError_tPvRmT3_T4_T5_T6_T7_T9_mT8_P12ihipStream_tbDpT10_ENKUlT_T0_E_clISt17integral_constantIbLb1EES1F_EEDaS1A_S1B_EUlS1A_E_NS1_11comp_targetILNS1_3genE4ELNS1_11target_archE910ELNS1_3gpuE8ELNS1_3repE0EEENS1_30default_config_static_selectorELNS0_4arch9wavefront6targetE0EEEvT1_, .Lfunc_end672-_ZN7rocprim17ROCPRIM_400000_NS6detail17trampoline_kernelINS0_14default_configENS1_25partition_config_selectorILNS1_17partition_subalgoE5ElNS0_10empty_typeEbEEZZNS1_14partition_implILS5_5ELb0ES3_mN6hipcub16HIPCUB_304000_NS21CountingInputIteratorIllEEPS6_NSA_22TransformInputIteratorIbN2at6native12_GLOBAL__N_19NonZeroOpIN3c107complexINSJ_4HalfEEEEEPKSM_lEENS0_5tupleIJPlS6_EEENSR_IJSD_SD_EEES6_PiJS6_EEE10hipError_tPvRmT3_T4_T5_T6_T7_T9_mT8_P12ihipStream_tbDpT10_ENKUlT_T0_E_clISt17integral_constantIbLb1EES1F_EEDaS1A_S1B_EUlS1A_E_NS1_11comp_targetILNS1_3genE4ELNS1_11target_archE910ELNS1_3gpuE8ELNS1_3repE0EEENS1_30default_config_static_selectorELNS0_4arch9wavefront6targetE0EEEvT1_
                                        ; -- End function
	.section	.AMDGPU.csdata,"",@progbits
; Kernel info:
; codeLenInByte = 0
; NumSgprs: 0
; NumVgprs: 0
; ScratchSize: 0
; MemoryBound: 0
; FloatMode: 240
; IeeeMode: 1
; LDSByteSize: 0 bytes/workgroup (compile time only)
; SGPRBlocks: 0
; VGPRBlocks: 0
; NumSGPRsForWavesPerEU: 1
; NumVGPRsForWavesPerEU: 1
; Occupancy: 15
; WaveLimiterHint : 0
; COMPUTE_PGM_RSRC2:SCRATCH_EN: 0
; COMPUTE_PGM_RSRC2:USER_SGPR: 15
; COMPUTE_PGM_RSRC2:TRAP_HANDLER: 0
; COMPUTE_PGM_RSRC2:TGID_X_EN: 1
; COMPUTE_PGM_RSRC2:TGID_Y_EN: 0
; COMPUTE_PGM_RSRC2:TGID_Z_EN: 0
; COMPUTE_PGM_RSRC2:TIDIG_COMP_CNT: 0
	.section	.text._ZN7rocprim17ROCPRIM_400000_NS6detail17trampoline_kernelINS0_14default_configENS1_25partition_config_selectorILNS1_17partition_subalgoE5ElNS0_10empty_typeEbEEZZNS1_14partition_implILS5_5ELb0ES3_mN6hipcub16HIPCUB_304000_NS21CountingInputIteratorIllEEPS6_NSA_22TransformInputIteratorIbN2at6native12_GLOBAL__N_19NonZeroOpIN3c107complexINSJ_4HalfEEEEEPKSM_lEENS0_5tupleIJPlS6_EEENSR_IJSD_SD_EEES6_PiJS6_EEE10hipError_tPvRmT3_T4_T5_T6_T7_T9_mT8_P12ihipStream_tbDpT10_ENKUlT_T0_E_clISt17integral_constantIbLb1EES1F_EEDaS1A_S1B_EUlS1A_E_NS1_11comp_targetILNS1_3genE3ELNS1_11target_archE908ELNS1_3gpuE7ELNS1_3repE0EEENS1_30default_config_static_selectorELNS0_4arch9wavefront6targetE0EEEvT1_,"axG",@progbits,_ZN7rocprim17ROCPRIM_400000_NS6detail17trampoline_kernelINS0_14default_configENS1_25partition_config_selectorILNS1_17partition_subalgoE5ElNS0_10empty_typeEbEEZZNS1_14partition_implILS5_5ELb0ES3_mN6hipcub16HIPCUB_304000_NS21CountingInputIteratorIllEEPS6_NSA_22TransformInputIteratorIbN2at6native12_GLOBAL__N_19NonZeroOpIN3c107complexINSJ_4HalfEEEEEPKSM_lEENS0_5tupleIJPlS6_EEENSR_IJSD_SD_EEES6_PiJS6_EEE10hipError_tPvRmT3_T4_T5_T6_T7_T9_mT8_P12ihipStream_tbDpT10_ENKUlT_T0_E_clISt17integral_constantIbLb1EES1F_EEDaS1A_S1B_EUlS1A_E_NS1_11comp_targetILNS1_3genE3ELNS1_11target_archE908ELNS1_3gpuE7ELNS1_3repE0EEENS1_30default_config_static_selectorELNS0_4arch9wavefront6targetE0EEEvT1_,comdat
	.globl	_ZN7rocprim17ROCPRIM_400000_NS6detail17trampoline_kernelINS0_14default_configENS1_25partition_config_selectorILNS1_17partition_subalgoE5ElNS0_10empty_typeEbEEZZNS1_14partition_implILS5_5ELb0ES3_mN6hipcub16HIPCUB_304000_NS21CountingInputIteratorIllEEPS6_NSA_22TransformInputIteratorIbN2at6native12_GLOBAL__N_19NonZeroOpIN3c107complexINSJ_4HalfEEEEEPKSM_lEENS0_5tupleIJPlS6_EEENSR_IJSD_SD_EEES6_PiJS6_EEE10hipError_tPvRmT3_T4_T5_T6_T7_T9_mT8_P12ihipStream_tbDpT10_ENKUlT_T0_E_clISt17integral_constantIbLb1EES1F_EEDaS1A_S1B_EUlS1A_E_NS1_11comp_targetILNS1_3genE3ELNS1_11target_archE908ELNS1_3gpuE7ELNS1_3repE0EEENS1_30default_config_static_selectorELNS0_4arch9wavefront6targetE0EEEvT1_ ; -- Begin function _ZN7rocprim17ROCPRIM_400000_NS6detail17trampoline_kernelINS0_14default_configENS1_25partition_config_selectorILNS1_17partition_subalgoE5ElNS0_10empty_typeEbEEZZNS1_14partition_implILS5_5ELb0ES3_mN6hipcub16HIPCUB_304000_NS21CountingInputIteratorIllEEPS6_NSA_22TransformInputIteratorIbN2at6native12_GLOBAL__N_19NonZeroOpIN3c107complexINSJ_4HalfEEEEEPKSM_lEENS0_5tupleIJPlS6_EEENSR_IJSD_SD_EEES6_PiJS6_EEE10hipError_tPvRmT3_T4_T5_T6_T7_T9_mT8_P12ihipStream_tbDpT10_ENKUlT_T0_E_clISt17integral_constantIbLb1EES1F_EEDaS1A_S1B_EUlS1A_E_NS1_11comp_targetILNS1_3genE3ELNS1_11target_archE908ELNS1_3gpuE7ELNS1_3repE0EEENS1_30default_config_static_selectorELNS0_4arch9wavefront6targetE0EEEvT1_
	.p2align	8
	.type	_ZN7rocprim17ROCPRIM_400000_NS6detail17trampoline_kernelINS0_14default_configENS1_25partition_config_selectorILNS1_17partition_subalgoE5ElNS0_10empty_typeEbEEZZNS1_14partition_implILS5_5ELb0ES3_mN6hipcub16HIPCUB_304000_NS21CountingInputIteratorIllEEPS6_NSA_22TransformInputIteratorIbN2at6native12_GLOBAL__N_19NonZeroOpIN3c107complexINSJ_4HalfEEEEEPKSM_lEENS0_5tupleIJPlS6_EEENSR_IJSD_SD_EEES6_PiJS6_EEE10hipError_tPvRmT3_T4_T5_T6_T7_T9_mT8_P12ihipStream_tbDpT10_ENKUlT_T0_E_clISt17integral_constantIbLb1EES1F_EEDaS1A_S1B_EUlS1A_E_NS1_11comp_targetILNS1_3genE3ELNS1_11target_archE908ELNS1_3gpuE7ELNS1_3repE0EEENS1_30default_config_static_selectorELNS0_4arch9wavefront6targetE0EEEvT1_,@function
_ZN7rocprim17ROCPRIM_400000_NS6detail17trampoline_kernelINS0_14default_configENS1_25partition_config_selectorILNS1_17partition_subalgoE5ElNS0_10empty_typeEbEEZZNS1_14partition_implILS5_5ELb0ES3_mN6hipcub16HIPCUB_304000_NS21CountingInputIteratorIllEEPS6_NSA_22TransformInputIteratorIbN2at6native12_GLOBAL__N_19NonZeroOpIN3c107complexINSJ_4HalfEEEEEPKSM_lEENS0_5tupleIJPlS6_EEENSR_IJSD_SD_EEES6_PiJS6_EEE10hipError_tPvRmT3_T4_T5_T6_T7_T9_mT8_P12ihipStream_tbDpT10_ENKUlT_T0_E_clISt17integral_constantIbLb1EES1F_EEDaS1A_S1B_EUlS1A_E_NS1_11comp_targetILNS1_3genE3ELNS1_11target_archE908ELNS1_3gpuE7ELNS1_3repE0EEENS1_30default_config_static_selectorELNS0_4arch9wavefront6targetE0EEEvT1_: ; @_ZN7rocprim17ROCPRIM_400000_NS6detail17trampoline_kernelINS0_14default_configENS1_25partition_config_selectorILNS1_17partition_subalgoE5ElNS0_10empty_typeEbEEZZNS1_14partition_implILS5_5ELb0ES3_mN6hipcub16HIPCUB_304000_NS21CountingInputIteratorIllEEPS6_NSA_22TransformInputIteratorIbN2at6native12_GLOBAL__N_19NonZeroOpIN3c107complexINSJ_4HalfEEEEEPKSM_lEENS0_5tupleIJPlS6_EEENSR_IJSD_SD_EEES6_PiJS6_EEE10hipError_tPvRmT3_T4_T5_T6_T7_T9_mT8_P12ihipStream_tbDpT10_ENKUlT_T0_E_clISt17integral_constantIbLb1EES1F_EEDaS1A_S1B_EUlS1A_E_NS1_11comp_targetILNS1_3genE3ELNS1_11target_archE908ELNS1_3gpuE7ELNS1_3repE0EEENS1_30default_config_static_selectorELNS0_4arch9wavefront6targetE0EEEvT1_
; %bb.0:
	.section	.rodata,"a",@progbits
	.p2align	6, 0x0
	.amdhsa_kernel _ZN7rocprim17ROCPRIM_400000_NS6detail17trampoline_kernelINS0_14default_configENS1_25partition_config_selectorILNS1_17partition_subalgoE5ElNS0_10empty_typeEbEEZZNS1_14partition_implILS5_5ELb0ES3_mN6hipcub16HIPCUB_304000_NS21CountingInputIteratorIllEEPS6_NSA_22TransformInputIteratorIbN2at6native12_GLOBAL__N_19NonZeroOpIN3c107complexINSJ_4HalfEEEEEPKSM_lEENS0_5tupleIJPlS6_EEENSR_IJSD_SD_EEES6_PiJS6_EEE10hipError_tPvRmT3_T4_T5_T6_T7_T9_mT8_P12ihipStream_tbDpT10_ENKUlT_T0_E_clISt17integral_constantIbLb1EES1F_EEDaS1A_S1B_EUlS1A_E_NS1_11comp_targetILNS1_3genE3ELNS1_11target_archE908ELNS1_3gpuE7ELNS1_3repE0EEENS1_30default_config_static_selectorELNS0_4arch9wavefront6targetE0EEEvT1_
		.amdhsa_group_segment_fixed_size 0
		.amdhsa_private_segment_fixed_size 0
		.amdhsa_kernarg_size 136
		.amdhsa_user_sgpr_count 15
		.amdhsa_user_sgpr_dispatch_ptr 0
		.amdhsa_user_sgpr_queue_ptr 0
		.amdhsa_user_sgpr_kernarg_segment_ptr 1
		.amdhsa_user_sgpr_dispatch_id 0
		.amdhsa_user_sgpr_private_segment_size 0
		.amdhsa_wavefront_size32 1
		.amdhsa_uses_dynamic_stack 0
		.amdhsa_enable_private_segment 0
		.amdhsa_system_sgpr_workgroup_id_x 1
		.amdhsa_system_sgpr_workgroup_id_y 0
		.amdhsa_system_sgpr_workgroup_id_z 0
		.amdhsa_system_sgpr_workgroup_info 0
		.amdhsa_system_vgpr_workitem_id 0
		.amdhsa_next_free_vgpr 1
		.amdhsa_next_free_sgpr 1
		.amdhsa_reserve_vcc 0
		.amdhsa_float_round_mode_32 0
		.amdhsa_float_round_mode_16_64 0
		.amdhsa_float_denorm_mode_32 3
		.amdhsa_float_denorm_mode_16_64 3
		.amdhsa_dx10_clamp 1
		.amdhsa_ieee_mode 1
		.amdhsa_fp16_overflow 0
		.amdhsa_workgroup_processor_mode 1
		.amdhsa_memory_ordered 1
		.amdhsa_forward_progress 0
		.amdhsa_shared_vgpr_count 0
		.amdhsa_exception_fp_ieee_invalid_op 0
		.amdhsa_exception_fp_denorm_src 0
		.amdhsa_exception_fp_ieee_div_zero 0
		.amdhsa_exception_fp_ieee_overflow 0
		.amdhsa_exception_fp_ieee_underflow 0
		.amdhsa_exception_fp_ieee_inexact 0
		.amdhsa_exception_int_div_zero 0
	.end_amdhsa_kernel
	.section	.text._ZN7rocprim17ROCPRIM_400000_NS6detail17trampoline_kernelINS0_14default_configENS1_25partition_config_selectorILNS1_17partition_subalgoE5ElNS0_10empty_typeEbEEZZNS1_14partition_implILS5_5ELb0ES3_mN6hipcub16HIPCUB_304000_NS21CountingInputIteratorIllEEPS6_NSA_22TransformInputIteratorIbN2at6native12_GLOBAL__N_19NonZeroOpIN3c107complexINSJ_4HalfEEEEEPKSM_lEENS0_5tupleIJPlS6_EEENSR_IJSD_SD_EEES6_PiJS6_EEE10hipError_tPvRmT3_T4_T5_T6_T7_T9_mT8_P12ihipStream_tbDpT10_ENKUlT_T0_E_clISt17integral_constantIbLb1EES1F_EEDaS1A_S1B_EUlS1A_E_NS1_11comp_targetILNS1_3genE3ELNS1_11target_archE908ELNS1_3gpuE7ELNS1_3repE0EEENS1_30default_config_static_selectorELNS0_4arch9wavefront6targetE0EEEvT1_,"axG",@progbits,_ZN7rocprim17ROCPRIM_400000_NS6detail17trampoline_kernelINS0_14default_configENS1_25partition_config_selectorILNS1_17partition_subalgoE5ElNS0_10empty_typeEbEEZZNS1_14partition_implILS5_5ELb0ES3_mN6hipcub16HIPCUB_304000_NS21CountingInputIteratorIllEEPS6_NSA_22TransformInputIteratorIbN2at6native12_GLOBAL__N_19NonZeroOpIN3c107complexINSJ_4HalfEEEEEPKSM_lEENS0_5tupleIJPlS6_EEENSR_IJSD_SD_EEES6_PiJS6_EEE10hipError_tPvRmT3_T4_T5_T6_T7_T9_mT8_P12ihipStream_tbDpT10_ENKUlT_T0_E_clISt17integral_constantIbLb1EES1F_EEDaS1A_S1B_EUlS1A_E_NS1_11comp_targetILNS1_3genE3ELNS1_11target_archE908ELNS1_3gpuE7ELNS1_3repE0EEENS1_30default_config_static_selectorELNS0_4arch9wavefront6targetE0EEEvT1_,comdat
.Lfunc_end673:
	.size	_ZN7rocprim17ROCPRIM_400000_NS6detail17trampoline_kernelINS0_14default_configENS1_25partition_config_selectorILNS1_17partition_subalgoE5ElNS0_10empty_typeEbEEZZNS1_14partition_implILS5_5ELb0ES3_mN6hipcub16HIPCUB_304000_NS21CountingInputIteratorIllEEPS6_NSA_22TransformInputIteratorIbN2at6native12_GLOBAL__N_19NonZeroOpIN3c107complexINSJ_4HalfEEEEEPKSM_lEENS0_5tupleIJPlS6_EEENSR_IJSD_SD_EEES6_PiJS6_EEE10hipError_tPvRmT3_T4_T5_T6_T7_T9_mT8_P12ihipStream_tbDpT10_ENKUlT_T0_E_clISt17integral_constantIbLb1EES1F_EEDaS1A_S1B_EUlS1A_E_NS1_11comp_targetILNS1_3genE3ELNS1_11target_archE908ELNS1_3gpuE7ELNS1_3repE0EEENS1_30default_config_static_selectorELNS0_4arch9wavefront6targetE0EEEvT1_, .Lfunc_end673-_ZN7rocprim17ROCPRIM_400000_NS6detail17trampoline_kernelINS0_14default_configENS1_25partition_config_selectorILNS1_17partition_subalgoE5ElNS0_10empty_typeEbEEZZNS1_14partition_implILS5_5ELb0ES3_mN6hipcub16HIPCUB_304000_NS21CountingInputIteratorIllEEPS6_NSA_22TransformInputIteratorIbN2at6native12_GLOBAL__N_19NonZeroOpIN3c107complexINSJ_4HalfEEEEEPKSM_lEENS0_5tupleIJPlS6_EEENSR_IJSD_SD_EEES6_PiJS6_EEE10hipError_tPvRmT3_T4_T5_T6_T7_T9_mT8_P12ihipStream_tbDpT10_ENKUlT_T0_E_clISt17integral_constantIbLb1EES1F_EEDaS1A_S1B_EUlS1A_E_NS1_11comp_targetILNS1_3genE3ELNS1_11target_archE908ELNS1_3gpuE7ELNS1_3repE0EEENS1_30default_config_static_selectorELNS0_4arch9wavefront6targetE0EEEvT1_
                                        ; -- End function
	.section	.AMDGPU.csdata,"",@progbits
; Kernel info:
; codeLenInByte = 0
; NumSgprs: 0
; NumVgprs: 0
; ScratchSize: 0
; MemoryBound: 0
; FloatMode: 240
; IeeeMode: 1
; LDSByteSize: 0 bytes/workgroup (compile time only)
; SGPRBlocks: 0
; VGPRBlocks: 0
; NumSGPRsForWavesPerEU: 1
; NumVGPRsForWavesPerEU: 1
; Occupancy: 16
; WaveLimiterHint : 0
; COMPUTE_PGM_RSRC2:SCRATCH_EN: 0
; COMPUTE_PGM_RSRC2:USER_SGPR: 15
; COMPUTE_PGM_RSRC2:TRAP_HANDLER: 0
; COMPUTE_PGM_RSRC2:TGID_X_EN: 1
; COMPUTE_PGM_RSRC2:TGID_Y_EN: 0
; COMPUTE_PGM_RSRC2:TGID_Z_EN: 0
; COMPUTE_PGM_RSRC2:TIDIG_COMP_CNT: 0
	.section	.text._ZN7rocprim17ROCPRIM_400000_NS6detail17trampoline_kernelINS0_14default_configENS1_25partition_config_selectorILNS1_17partition_subalgoE5ElNS0_10empty_typeEbEEZZNS1_14partition_implILS5_5ELb0ES3_mN6hipcub16HIPCUB_304000_NS21CountingInputIteratorIllEEPS6_NSA_22TransformInputIteratorIbN2at6native12_GLOBAL__N_19NonZeroOpIN3c107complexINSJ_4HalfEEEEEPKSM_lEENS0_5tupleIJPlS6_EEENSR_IJSD_SD_EEES6_PiJS6_EEE10hipError_tPvRmT3_T4_T5_T6_T7_T9_mT8_P12ihipStream_tbDpT10_ENKUlT_T0_E_clISt17integral_constantIbLb1EES1F_EEDaS1A_S1B_EUlS1A_E_NS1_11comp_targetILNS1_3genE2ELNS1_11target_archE906ELNS1_3gpuE6ELNS1_3repE0EEENS1_30default_config_static_selectorELNS0_4arch9wavefront6targetE0EEEvT1_,"axG",@progbits,_ZN7rocprim17ROCPRIM_400000_NS6detail17trampoline_kernelINS0_14default_configENS1_25partition_config_selectorILNS1_17partition_subalgoE5ElNS0_10empty_typeEbEEZZNS1_14partition_implILS5_5ELb0ES3_mN6hipcub16HIPCUB_304000_NS21CountingInputIteratorIllEEPS6_NSA_22TransformInputIteratorIbN2at6native12_GLOBAL__N_19NonZeroOpIN3c107complexINSJ_4HalfEEEEEPKSM_lEENS0_5tupleIJPlS6_EEENSR_IJSD_SD_EEES6_PiJS6_EEE10hipError_tPvRmT3_T4_T5_T6_T7_T9_mT8_P12ihipStream_tbDpT10_ENKUlT_T0_E_clISt17integral_constantIbLb1EES1F_EEDaS1A_S1B_EUlS1A_E_NS1_11comp_targetILNS1_3genE2ELNS1_11target_archE906ELNS1_3gpuE6ELNS1_3repE0EEENS1_30default_config_static_selectorELNS0_4arch9wavefront6targetE0EEEvT1_,comdat
	.globl	_ZN7rocprim17ROCPRIM_400000_NS6detail17trampoline_kernelINS0_14default_configENS1_25partition_config_selectorILNS1_17partition_subalgoE5ElNS0_10empty_typeEbEEZZNS1_14partition_implILS5_5ELb0ES3_mN6hipcub16HIPCUB_304000_NS21CountingInputIteratorIllEEPS6_NSA_22TransformInputIteratorIbN2at6native12_GLOBAL__N_19NonZeroOpIN3c107complexINSJ_4HalfEEEEEPKSM_lEENS0_5tupleIJPlS6_EEENSR_IJSD_SD_EEES6_PiJS6_EEE10hipError_tPvRmT3_T4_T5_T6_T7_T9_mT8_P12ihipStream_tbDpT10_ENKUlT_T0_E_clISt17integral_constantIbLb1EES1F_EEDaS1A_S1B_EUlS1A_E_NS1_11comp_targetILNS1_3genE2ELNS1_11target_archE906ELNS1_3gpuE6ELNS1_3repE0EEENS1_30default_config_static_selectorELNS0_4arch9wavefront6targetE0EEEvT1_ ; -- Begin function _ZN7rocprim17ROCPRIM_400000_NS6detail17trampoline_kernelINS0_14default_configENS1_25partition_config_selectorILNS1_17partition_subalgoE5ElNS0_10empty_typeEbEEZZNS1_14partition_implILS5_5ELb0ES3_mN6hipcub16HIPCUB_304000_NS21CountingInputIteratorIllEEPS6_NSA_22TransformInputIteratorIbN2at6native12_GLOBAL__N_19NonZeroOpIN3c107complexINSJ_4HalfEEEEEPKSM_lEENS0_5tupleIJPlS6_EEENSR_IJSD_SD_EEES6_PiJS6_EEE10hipError_tPvRmT3_T4_T5_T6_T7_T9_mT8_P12ihipStream_tbDpT10_ENKUlT_T0_E_clISt17integral_constantIbLb1EES1F_EEDaS1A_S1B_EUlS1A_E_NS1_11comp_targetILNS1_3genE2ELNS1_11target_archE906ELNS1_3gpuE6ELNS1_3repE0EEENS1_30default_config_static_selectorELNS0_4arch9wavefront6targetE0EEEvT1_
	.p2align	8
	.type	_ZN7rocprim17ROCPRIM_400000_NS6detail17trampoline_kernelINS0_14default_configENS1_25partition_config_selectorILNS1_17partition_subalgoE5ElNS0_10empty_typeEbEEZZNS1_14partition_implILS5_5ELb0ES3_mN6hipcub16HIPCUB_304000_NS21CountingInputIteratorIllEEPS6_NSA_22TransformInputIteratorIbN2at6native12_GLOBAL__N_19NonZeroOpIN3c107complexINSJ_4HalfEEEEEPKSM_lEENS0_5tupleIJPlS6_EEENSR_IJSD_SD_EEES6_PiJS6_EEE10hipError_tPvRmT3_T4_T5_T6_T7_T9_mT8_P12ihipStream_tbDpT10_ENKUlT_T0_E_clISt17integral_constantIbLb1EES1F_EEDaS1A_S1B_EUlS1A_E_NS1_11comp_targetILNS1_3genE2ELNS1_11target_archE906ELNS1_3gpuE6ELNS1_3repE0EEENS1_30default_config_static_selectorELNS0_4arch9wavefront6targetE0EEEvT1_,@function
_ZN7rocprim17ROCPRIM_400000_NS6detail17trampoline_kernelINS0_14default_configENS1_25partition_config_selectorILNS1_17partition_subalgoE5ElNS0_10empty_typeEbEEZZNS1_14partition_implILS5_5ELb0ES3_mN6hipcub16HIPCUB_304000_NS21CountingInputIteratorIllEEPS6_NSA_22TransformInputIteratorIbN2at6native12_GLOBAL__N_19NonZeroOpIN3c107complexINSJ_4HalfEEEEEPKSM_lEENS0_5tupleIJPlS6_EEENSR_IJSD_SD_EEES6_PiJS6_EEE10hipError_tPvRmT3_T4_T5_T6_T7_T9_mT8_P12ihipStream_tbDpT10_ENKUlT_T0_E_clISt17integral_constantIbLb1EES1F_EEDaS1A_S1B_EUlS1A_E_NS1_11comp_targetILNS1_3genE2ELNS1_11target_archE906ELNS1_3gpuE6ELNS1_3repE0EEENS1_30default_config_static_selectorELNS0_4arch9wavefront6targetE0EEEvT1_: ; @_ZN7rocprim17ROCPRIM_400000_NS6detail17trampoline_kernelINS0_14default_configENS1_25partition_config_selectorILNS1_17partition_subalgoE5ElNS0_10empty_typeEbEEZZNS1_14partition_implILS5_5ELb0ES3_mN6hipcub16HIPCUB_304000_NS21CountingInputIteratorIllEEPS6_NSA_22TransformInputIteratorIbN2at6native12_GLOBAL__N_19NonZeroOpIN3c107complexINSJ_4HalfEEEEEPKSM_lEENS0_5tupleIJPlS6_EEENSR_IJSD_SD_EEES6_PiJS6_EEE10hipError_tPvRmT3_T4_T5_T6_T7_T9_mT8_P12ihipStream_tbDpT10_ENKUlT_T0_E_clISt17integral_constantIbLb1EES1F_EEDaS1A_S1B_EUlS1A_E_NS1_11comp_targetILNS1_3genE2ELNS1_11target_archE906ELNS1_3gpuE6ELNS1_3repE0EEENS1_30default_config_static_selectorELNS0_4arch9wavefront6targetE0EEEvT1_
; %bb.0:
	.section	.rodata,"a",@progbits
	.p2align	6, 0x0
	.amdhsa_kernel _ZN7rocprim17ROCPRIM_400000_NS6detail17trampoline_kernelINS0_14default_configENS1_25partition_config_selectorILNS1_17partition_subalgoE5ElNS0_10empty_typeEbEEZZNS1_14partition_implILS5_5ELb0ES3_mN6hipcub16HIPCUB_304000_NS21CountingInputIteratorIllEEPS6_NSA_22TransformInputIteratorIbN2at6native12_GLOBAL__N_19NonZeroOpIN3c107complexINSJ_4HalfEEEEEPKSM_lEENS0_5tupleIJPlS6_EEENSR_IJSD_SD_EEES6_PiJS6_EEE10hipError_tPvRmT3_T4_T5_T6_T7_T9_mT8_P12ihipStream_tbDpT10_ENKUlT_T0_E_clISt17integral_constantIbLb1EES1F_EEDaS1A_S1B_EUlS1A_E_NS1_11comp_targetILNS1_3genE2ELNS1_11target_archE906ELNS1_3gpuE6ELNS1_3repE0EEENS1_30default_config_static_selectorELNS0_4arch9wavefront6targetE0EEEvT1_
		.amdhsa_group_segment_fixed_size 0
		.amdhsa_private_segment_fixed_size 0
		.amdhsa_kernarg_size 136
		.amdhsa_user_sgpr_count 15
		.amdhsa_user_sgpr_dispatch_ptr 0
		.amdhsa_user_sgpr_queue_ptr 0
		.amdhsa_user_sgpr_kernarg_segment_ptr 1
		.amdhsa_user_sgpr_dispatch_id 0
		.amdhsa_user_sgpr_private_segment_size 0
		.amdhsa_wavefront_size32 1
		.amdhsa_uses_dynamic_stack 0
		.amdhsa_enable_private_segment 0
		.amdhsa_system_sgpr_workgroup_id_x 1
		.amdhsa_system_sgpr_workgroup_id_y 0
		.amdhsa_system_sgpr_workgroup_id_z 0
		.amdhsa_system_sgpr_workgroup_info 0
		.amdhsa_system_vgpr_workitem_id 0
		.amdhsa_next_free_vgpr 1
		.amdhsa_next_free_sgpr 1
		.amdhsa_reserve_vcc 0
		.amdhsa_float_round_mode_32 0
		.amdhsa_float_round_mode_16_64 0
		.amdhsa_float_denorm_mode_32 3
		.amdhsa_float_denorm_mode_16_64 3
		.amdhsa_dx10_clamp 1
		.amdhsa_ieee_mode 1
		.amdhsa_fp16_overflow 0
		.amdhsa_workgroup_processor_mode 1
		.amdhsa_memory_ordered 1
		.amdhsa_forward_progress 0
		.amdhsa_shared_vgpr_count 0
		.amdhsa_exception_fp_ieee_invalid_op 0
		.amdhsa_exception_fp_denorm_src 0
		.amdhsa_exception_fp_ieee_div_zero 0
		.amdhsa_exception_fp_ieee_overflow 0
		.amdhsa_exception_fp_ieee_underflow 0
		.amdhsa_exception_fp_ieee_inexact 0
		.amdhsa_exception_int_div_zero 0
	.end_amdhsa_kernel
	.section	.text._ZN7rocprim17ROCPRIM_400000_NS6detail17trampoline_kernelINS0_14default_configENS1_25partition_config_selectorILNS1_17partition_subalgoE5ElNS0_10empty_typeEbEEZZNS1_14partition_implILS5_5ELb0ES3_mN6hipcub16HIPCUB_304000_NS21CountingInputIteratorIllEEPS6_NSA_22TransformInputIteratorIbN2at6native12_GLOBAL__N_19NonZeroOpIN3c107complexINSJ_4HalfEEEEEPKSM_lEENS0_5tupleIJPlS6_EEENSR_IJSD_SD_EEES6_PiJS6_EEE10hipError_tPvRmT3_T4_T5_T6_T7_T9_mT8_P12ihipStream_tbDpT10_ENKUlT_T0_E_clISt17integral_constantIbLb1EES1F_EEDaS1A_S1B_EUlS1A_E_NS1_11comp_targetILNS1_3genE2ELNS1_11target_archE906ELNS1_3gpuE6ELNS1_3repE0EEENS1_30default_config_static_selectorELNS0_4arch9wavefront6targetE0EEEvT1_,"axG",@progbits,_ZN7rocprim17ROCPRIM_400000_NS6detail17trampoline_kernelINS0_14default_configENS1_25partition_config_selectorILNS1_17partition_subalgoE5ElNS0_10empty_typeEbEEZZNS1_14partition_implILS5_5ELb0ES3_mN6hipcub16HIPCUB_304000_NS21CountingInputIteratorIllEEPS6_NSA_22TransformInputIteratorIbN2at6native12_GLOBAL__N_19NonZeroOpIN3c107complexINSJ_4HalfEEEEEPKSM_lEENS0_5tupleIJPlS6_EEENSR_IJSD_SD_EEES6_PiJS6_EEE10hipError_tPvRmT3_T4_T5_T6_T7_T9_mT8_P12ihipStream_tbDpT10_ENKUlT_T0_E_clISt17integral_constantIbLb1EES1F_EEDaS1A_S1B_EUlS1A_E_NS1_11comp_targetILNS1_3genE2ELNS1_11target_archE906ELNS1_3gpuE6ELNS1_3repE0EEENS1_30default_config_static_selectorELNS0_4arch9wavefront6targetE0EEEvT1_,comdat
.Lfunc_end674:
	.size	_ZN7rocprim17ROCPRIM_400000_NS6detail17trampoline_kernelINS0_14default_configENS1_25partition_config_selectorILNS1_17partition_subalgoE5ElNS0_10empty_typeEbEEZZNS1_14partition_implILS5_5ELb0ES3_mN6hipcub16HIPCUB_304000_NS21CountingInputIteratorIllEEPS6_NSA_22TransformInputIteratorIbN2at6native12_GLOBAL__N_19NonZeroOpIN3c107complexINSJ_4HalfEEEEEPKSM_lEENS0_5tupleIJPlS6_EEENSR_IJSD_SD_EEES6_PiJS6_EEE10hipError_tPvRmT3_T4_T5_T6_T7_T9_mT8_P12ihipStream_tbDpT10_ENKUlT_T0_E_clISt17integral_constantIbLb1EES1F_EEDaS1A_S1B_EUlS1A_E_NS1_11comp_targetILNS1_3genE2ELNS1_11target_archE906ELNS1_3gpuE6ELNS1_3repE0EEENS1_30default_config_static_selectorELNS0_4arch9wavefront6targetE0EEEvT1_, .Lfunc_end674-_ZN7rocprim17ROCPRIM_400000_NS6detail17trampoline_kernelINS0_14default_configENS1_25partition_config_selectorILNS1_17partition_subalgoE5ElNS0_10empty_typeEbEEZZNS1_14partition_implILS5_5ELb0ES3_mN6hipcub16HIPCUB_304000_NS21CountingInputIteratorIllEEPS6_NSA_22TransformInputIteratorIbN2at6native12_GLOBAL__N_19NonZeroOpIN3c107complexINSJ_4HalfEEEEEPKSM_lEENS0_5tupleIJPlS6_EEENSR_IJSD_SD_EEES6_PiJS6_EEE10hipError_tPvRmT3_T4_T5_T6_T7_T9_mT8_P12ihipStream_tbDpT10_ENKUlT_T0_E_clISt17integral_constantIbLb1EES1F_EEDaS1A_S1B_EUlS1A_E_NS1_11comp_targetILNS1_3genE2ELNS1_11target_archE906ELNS1_3gpuE6ELNS1_3repE0EEENS1_30default_config_static_selectorELNS0_4arch9wavefront6targetE0EEEvT1_
                                        ; -- End function
	.section	.AMDGPU.csdata,"",@progbits
; Kernel info:
; codeLenInByte = 0
; NumSgprs: 0
; NumVgprs: 0
; ScratchSize: 0
; MemoryBound: 0
; FloatMode: 240
; IeeeMode: 1
; LDSByteSize: 0 bytes/workgroup (compile time only)
; SGPRBlocks: 0
; VGPRBlocks: 0
; NumSGPRsForWavesPerEU: 1
; NumVGPRsForWavesPerEU: 1
; Occupancy: 16
; WaveLimiterHint : 0
; COMPUTE_PGM_RSRC2:SCRATCH_EN: 0
; COMPUTE_PGM_RSRC2:USER_SGPR: 15
; COMPUTE_PGM_RSRC2:TRAP_HANDLER: 0
; COMPUTE_PGM_RSRC2:TGID_X_EN: 1
; COMPUTE_PGM_RSRC2:TGID_Y_EN: 0
; COMPUTE_PGM_RSRC2:TGID_Z_EN: 0
; COMPUTE_PGM_RSRC2:TIDIG_COMP_CNT: 0
	.section	.text._ZN7rocprim17ROCPRIM_400000_NS6detail17trampoline_kernelINS0_14default_configENS1_25partition_config_selectorILNS1_17partition_subalgoE5ElNS0_10empty_typeEbEEZZNS1_14partition_implILS5_5ELb0ES3_mN6hipcub16HIPCUB_304000_NS21CountingInputIteratorIllEEPS6_NSA_22TransformInputIteratorIbN2at6native12_GLOBAL__N_19NonZeroOpIN3c107complexINSJ_4HalfEEEEEPKSM_lEENS0_5tupleIJPlS6_EEENSR_IJSD_SD_EEES6_PiJS6_EEE10hipError_tPvRmT3_T4_T5_T6_T7_T9_mT8_P12ihipStream_tbDpT10_ENKUlT_T0_E_clISt17integral_constantIbLb1EES1F_EEDaS1A_S1B_EUlS1A_E_NS1_11comp_targetILNS1_3genE10ELNS1_11target_archE1200ELNS1_3gpuE4ELNS1_3repE0EEENS1_30default_config_static_selectorELNS0_4arch9wavefront6targetE0EEEvT1_,"axG",@progbits,_ZN7rocprim17ROCPRIM_400000_NS6detail17trampoline_kernelINS0_14default_configENS1_25partition_config_selectorILNS1_17partition_subalgoE5ElNS0_10empty_typeEbEEZZNS1_14partition_implILS5_5ELb0ES3_mN6hipcub16HIPCUB_304000_NS21CountingInputIteratorIllEEPS6_NSA_22TransformInputIteratorIbN2at6native12_GLOBAL__N_19NonZeroOpIN3c107complexINSJ_4HalfEEEEEPKSM_lEENS0_5tupleIJPlS6_EEENSR_IJSD_SD_EEES6_PiJS6_EEE10hipError_tPvRmT3_T4_T5_T6_T7_T9_mT8_P12ihipStream_tbDpT10_ENKUlT_T0_E_clISt17integral_constantIbLb1EES1F_EEDaS1A_S1B_EUlS1A_E_NS1_11comp_targetILNS1_3genE10ELNS1_11target_archE1200ELNS1_3gpuE4ELNS1_3repE0EEENS1_30default_config_static_selectorELNS0_4arch9wavefront6targetE0EEEvT1_,comdat
	.globl	_ZN7rocprim17ROCPRIM_400000_NS6detail17trampoline_kernelINS0_14default_configENS1_25partition_config_selectorILNS1_17partition_subalgoE5ElNS0_10empty_typeEbEEZZNS1_14partition_implILS5_5ELb0ES3_mN6hipcub16HIPCUB_304000_NS21CountingInputIteratorIllEEPS6_NSA_22TransformInputIteratorIbN2at6native12_GLOBAL__N_19NonZeroOpIN3c107complexINSJ_4HalfEEEEEPKSM_lEENS0_5tupleIJPlS6_EEENSR_IJSD_SD_EEES6_PiJS6_EEE10hipError_tPvRmT3_T4_T5_T6_T7_T9_mT8_P12ihipStream_tbDpT10_ENKUlT_T0_E_clISt17integral_constantIbLb1EES1F_EEDaS1A_S1B_EUlS1A_E_NS1_11comp_targetILNS1_3genE10ELNS1_11target_archE1200ELNS1_3gpuE4ELNS1_3repE0EEENS1_30default_config_static_selectorELNS0_4arch9wavefront6targetE0EEEvT1_ ; -- Begin function _ZN7rocprim17ROCPRIM_400000_NS6detail17trampoline_kernelINS0_14default_configENS1_25partition_config_selectorILNS1_17partition_subalgoE5ElNS0_10empty_typeEbEEZZNS1_14partition_implILS5_5ELb0ES3_mN6hipcub16HIPCUB_304000_NS21CountingInputIteratorIllEEPS6_NSA_22TransformInputIteratorIbN2at6native12_GLOBAL__N_19NonZeroOpIN3c107complexINSJ_4HalfEEEEEPKSM_lEENS0_5tupleIJPlS6_EEENSR_IJSD_SD_EEES6_PiJS6_EEE10hipError_tPvRmT3_T4_T5_T6_T7_T9_mT8_P12ihipStream_tbDpT10_ENKUlT_T0_E_clISt17integral_constantIbLb1EES1F_EEDaS1A_S1B_EUlS1A_E_NS1_11comp_targetILNS1_3genE10ELNS1_11target_archE1200ELNS1_3gpuE4ELNS1_3repE0EEENS1_30default_config_static_selectorELNS0_4arch9wavefront6targetE0EEEvT1_
	.p2align	8
	.type	_ZN7rocprim17ROCPRIM_400000_NS6detail17trampoline_kernelINS0_14default_configENS1_25partition_config_selectorILNS1_17partition_subalgoE5ElNS0_10empty_typeEbEEZZNS1_14partition_implILS5_5ELb0ES3_mN6hipcub16HIPCUB_304000_NS21CountingInputIteratorIllEEPS6_NSA_22TransformInputIteratorIbN2at6native12_GLOBAL__N_19NonZeroOpIN3c107complexINSJ_4HalfEEEEEPKSM_lEENS0_5tupleIJPlS6_EEENSR_IJSD_SD_EEES6_PiJS6_EEE10hipError_tPvRmT3_T4_T5_T6_T7_T9_mT8_P12ihipStream_tbDpT10_ENKUlT_T0_E_clISt17integral_constantIbLb1EES1F_EEDaS1A_S1B_EUlS1A_E_NS1_11comp_targetILNS1_3genE10ELNS1_11target_archE1200ELNS1_3gpuE4ELNS1_3repE0EEENS1_30default_config_static_selectorELNS0_4arch9wavefront6targetE0EEEvT1_,@function
_ZN7rocprim17ROCPRIM_400000_NS6detail17trampoline_kernelINS0_14default_configENS1_25partition_config_selectorILNS1_17partition_subalgoE5ElNS0_10empty_typeEbEEZZNS1_14partition_implILS5_5ELb0ES3_mN6hipcub16HIPCUB_304000_NS21CountingInputIteratorIllEEPS6_NSA_22TransformInputIteratorIbN2at6native12_GLOBAL__N_19NonZeroOpIN3c107complexINSJ_4HalfEEEEEPKSM_lEENS0_5tupleIJPlS6_EEENSR_IJSD_SD_EEES6_PiJS6_EEE10hipError_tPvRmT3_T4_T5_T6_T7_T9_mT8_P12ihipStream_tbDpT10_ENKUlT_T0_E_clISt17integral_constantIbLb1EES1F_EEDaS1A_S1B_EUlS1A_E_NS1_11comp_targetILNS1_3genE10ELNS1_11target_archE1200ELNS1_3gpuE4ELNS1_3repE0EEENS1_30default_config_static_selectorELNS0_4arch9wavefront6targetE0EEEvT1_: ; @_ZN7rocprim17ROCPRIM_400000_NS6detail17trampoline_kernelINS0_14default_configENS1_25partition_config_selectorILNS1_17partition_subalgoE5ElNS0_10empty_typeEbEEZZNS1_14partition_implILS5_5ELb0ES3_mN6hipcub16HIPCUB_304000_NS21CountingInputIteratorIllEEPS6_NSA_22TransformInputIteratorIbN2at6native12_GLOBAL__N_19NonZeroOpIN3c107complexINSJ_4HalfEEEEEPKSM_lEENS0_5tupleIJPlS6_EEENSR_IJSD_SD_EEES6_PiJS6_EEE10hipError_tPvRmT3_T4_T5_T6_T7_T9_mT8_P12ihipStream_tbDpT10_ENKUlT_T0_E_clISt17integral_constantIbLb1EES1F_EEDaS1A_S1B_EUlS1A_E_NS1_11comp_targetILNS1_3genE10ELNS1_11target_archE1200ELNS1_3gpuE4ELNS1_3repE0EEENS1_30default_config_static_selectorELNS0_4arch9wavefront6targetE0EEEvT1_
; %bb.0:
	.section	.rodata,"a",@progbits
	.p2align	6, 0x0
	.amdhsa_kernel _ZN7rocprim17ROCPRIM_400000_NS6detail17trampoline_kernelINS0_14default_configENS1_25partition_config_selectorILNS1_17partition_subalgoE5ElNS0_10empty_typeEbEEZZNS1_14partition_implILS5_5ELb0ES3_mN6hipcub16HIPCUB_304000_NS21CountingInputIteratorIllEEPS6_NSA_22TransformInputIteratorIbN2at6native12_GLOBAL__N_19NonZeroOpIN3c107complexINSJ_4HalfEEEEEPKSM_lEENS0_5tupleIJPlS6_EEENSR_IJSD_SD_EEES6_PiJS6_EEE10hipError_tPvRmT3_T4_T5_T6_T7_T9_mT8_P12ihipStream_tbDpT10_ENKUlT_T0_E_clISt17integral_constantIbLb1EES1F_EEDaS1A_S1B_EUlS1A_E_NS1_11comp_targetILNS1_3genE10ELNS1_11target_archE1200ELNS1_3gpuE4ELNS1_3repE0EEENS1_30default_config_static_selectorELNS0_4arch9wavefront6targetE0EEEvT1_
		.amdhsa_group_segment_fixed_size 0
		.amdhsa_private_segment_fixed_size 0
		.amdhsa_kernarg_size 136
		.amdhsa_user_sgpr_count 15
		.amdhsa_user_sgpr_dispatch_ptr 0
		.amdhsa_user_sgpr_queue_ptr 0
		.amdhsa_user_sgpr_kernarg_segment_ptr 1
		.amdhsa_user_sgpr_dispatch_id 0
		.amdhsa_user_sgpr_private_segment_size 0
		.amdhsa_wavefront_size32 1
		.amdhsa_uses_dynamic_stack 0
		.amdhsa_enable_private_segment 0
		.amdhsa_system_sgpr_workgroup_id_x 1
		.amdhsa_system_sgpr_workgroup_id_y 0
		.amdhsa_system_sgpr_workgroup_id_z 0
		.amdhsa_system_sgpr_workgroup_info 0
		.amdhsa_system_vgpr_workitem_id 0
		.amdhsa_next_free_vgpr 1
		.amdhsa_next_free_sgpr 1
		.amdhsa_reserve_vcc 0
		.amdhsa_float_round_mode_32 0
		.amdhsa_float_round_mode_16_64 0
		.amdhsa_float_denorm_mode_32 3
		.amdhsa_float_denorm_mode_16_64 3
		.amdhsa_dx10_clamp 1
		.amdhsa_ieee_mode 1
		.amdhsa_fp16_overflow 0
		.amdhsa_workgroup_processor_mode 1
		.amdhsa_memory_ordered 1
		.amdhsa_forward_progress 0
		.amdhsa_shared_vgpr_count 0
		.amdhsa_exception_fp_ieee_invalid_op 0
		.amdhsa_exception_fp_denorm_src 0
		.amdhsa_exception_fp_ieee_div_zero 0
		.amdhsa_exception_fp_ieee_overflow 0
		.amdhsa_exception_fp_ieee_underflow 0
		.amdhsa_exception_fp_ieee_inexact 0
		.amdhsa_exception_int_div_zero 0
	.end_amdhsa_kernel
	.section	.text._ZN7rocprim17ROCPRIM_400000_NS6detail17trampoline_kernelINS0_14default_configENS1_25partition_config_selectorILNS1_17partition_subalgoE5ElNS0_10empty_typeEbEEZZNS1_14partition_implILS5_5ELb0ES3_mN6hipcub16HIPCUB_304000_NS21CountingInputIteratorIllEEPS6_NSA_22TransformInputIteratorIbN2at6native12_GLOBAL__N_19NonZeroOpIN3c107complexINSJ_4HalfEEEEEPKSM_lEENS0_5tupleIJPlS6_EEENSR_IJSD_SD_EEES6_PiJS6_EEE10hipError_tPvRmT3_T4_T5_T6_T7_T9_mT8_P12ihipStream_tbDpT10_ENKUlT_T0_E_clISt17integral_constantIbLb1EES1F_EEDaS1A_S1B_EUlS1A_E_NS1_11comp_targetILNS1_3genE10ELNS1_11target_archE1200ELNS1_3gpuE4ELNS1_3repE0EEENS1_30default_config_static_selectorELNS0_4arch9wavefront6targetE0EEEvT1_,"axG",@progbits,_ZN7rocprim17ROCPRIM_400000_NS6detail17trampoline_kernelINS0_14default_configENS1_25partition_config_selectorILNS1_17partition_subalgoE5ElNS0_10empty_typeEbEEZZNS1_14partition_implILS5_5ELb0ES3_mN6hipcub16HIPCUB_304000_NS21CountingInputIteratorIllEEPS6_NSA_22TransformInputIteratorIbN2at6native12_GLOBAL__N_19NonZeroOpIN3c107complexINSJ_4HalfEEEEEPKSM_lEENS0_5tupleIJPlS6_EEENSR_IJSD_SD_EEES6_PiJS6_EEE10hipError_tPvRmT3_T4_T5_T6_T7_T9_mT8_P12ihipStream_tbDpT10_ENKUlT_T0_E_clISt17integral_constantIbLb1EES1F_EEDaS1A_S1B_EUlS1A_E_NS1_11comp_targetILNS1_3genE10ELNS1_11target_archE1200ELNS1_3gpuE4ELNS1_3repE0EEENS1_30default_config_static_selectorELNS0_4arch9wavefront6targetE0EEEvT1_,comdat
.Lfunc_end675:
	.size	_ZN7rocprim17ROCPRIM_400000_NS6detail17trampoline_kernelINS0_14default_configENS1_25partition_config_selectorILNS1_17partition_subalgoE5ElNS0_10empty_typeEbEEZZNS1_14partition_implILS5_5ELb0ES3_mN6hipcub16HIPCUB_304000_NS21CountingInputIteratorIllEEPS6_NSA_22TransformInputIteratorIbN2at6native12_GLOBAL__N_19NonZeroOpIN3c107complexINSJ_4HalfEEEEEPKSM_lEENS0_5tupleIJPlS6_EEENSR_IJSD_SD_EEES6_PiJS6_EEE10hipError_tPvRmT3_T4_T5_T6_T7_T9_mT8_P12ihipStream_tbDpT10_ENKUlT_T0_E_clISt17integral_constantIbLb1EES1F_EEDaS1A_S1B_EUlS1A_E_NS1_11comp_targetILNS1_3genE10ELNS1_11target_archE1200ELNS1_3gpuE4ELNS1_3repE0EEENS1_30default_config_static_selectorELNS0_4arch9wavefront6targetE0EEEvT1_, .Lfunc_end675-_ZN7rocprim17ROCPRIM_400000_NS6detail17trampoline_kernelINS0_14default_configENS1_25partition_config_selectorILNS1_17partition_subalgoE5ElNS0_10empty_typeEbEEZZNS1_14partition_implILS5_5ELb0ES3_mN6hipcub16HIPCUB_304000_NS21CountingInputIteratorIllEEPS6_NSA_22TransformInputIteratorIbN2at6native12_GLOBAL__N_19NonZeroOpIN3c107complexINSJ_4HalfEEEEEPKSM_lEENS0_5tupleIJPlS6_EEENSR_IJSD_SD_EEES6_PiJS6_EEE10hipError_tPvRmT3_T4_T5_T6_T7_T9_mT8_P12ihipStream_tbDpT10_ENKUlT_T0_E_clISt17integral_constantIbLb1EES1F_EEDaS1A_S1B_EUlS1A_E_NS1_11comp_targetILNS1_3genE10ELNS1_11target_archE1200ELNS1_3gpuE4ELNS1_3repE0EEENS1_30default_config_static_selectorELNS0_4arch9wavefront6targetE0EEEvT1_
                                        ; -- End function
	.section	.AMDGPU.csdata,"",@progbits
; Kernel info:
; codeLenInByte = 0
; NumSgprs: 0
; NumVgprs: 0
; ScratchSize: 0
; MemoryBound: 0
; FloatMode: 240
; IeeeMode: 1
; LDSByteSize: 0 bytes/workgroup (compile time only)
; SGPRBlocks: 0
; VGPRBlocks: 0
; NumSGPRsForWavesPerEU: 1
; NumVGPRsForWavesPerEU: 1
; Occupancy: 16
; WaveLimiterHint : 0
; COMPUTE_PGM_RSRC2:SCRATCH_EN: 0
; COMPUTE_PGM_RSRC2:USER_SGPR: 15
; COMPUTE_PGM_RSRC2:TRAP_HANDLER: 0
; COMPUTE_PGM_RSRC2:TGID_X_EN: 1
; COMPUTE_PGM_RSRC2:TGID_Y_EN: 0
; COMPUTE_PGM_RSRC2:TGID_Z_EN: 0
; COMPUTE_PGM_RSRC2:TIDIG_COMP_CNT: 0
	.section	.text._ZN7rocprim17ROCPRIM_400000_NS6detail17trampoline_kernelINS0_14default_configENS1_25partition_config_selectorILNS1_17partition_subalgoE5ElNS0_10empty_typeEbEEZZNS1_14partition_implILS5_5ELb0ES3_mN6hipcub16HIPCUB_304000_NS21CountingInputIteratorIllEEPS6_NSA_22TransformInputIteratorIbN2at6native12_GLOBAL__N_19NonZeroOpIN3c107complexINSJ_4HalfEEEEEPKSM_lEENS0_5tupleIJPlS6_EEENSR_IJSD_SD_EEES6_PiJS6_EEE10hipError_tPvRmT3_T4_T5_T6_T7_T9_mT8_P12ihipStream_tbDpT10_ENKUlT_T0_E_clISt17integral_constantIbLb1EES1F_EEDaS1A_S1B_EUlS1A_E_NS1_11comp_targetILNS1_3genE9ELNS1_11target_archE1100ELNS1_3gpuE3ELNS1_3repE0EEENS1_30default_config_static_selectorELNS0_4arch9wavefront6targetE0EEEvT1_,"axG",@progbits,_ZN7rocprim17ROCPRIM_400000_NS6detail17trampoline_kernelINS0_14default_configENS1_25partition_config_selectorILNS1_17partition_subalgoE5ElNS0_10empty_typeEbEEZZNS1_14partition_implILS5_5ELb0ES3_mN6hipcub16HIPCUB_304000_NS21CountingInputIteratorIllEEPS6_NSA_22TransformInputIteratorIbN2at6native12_GLOBAL__N_19NonZeroOpIN3c107complexINSJ_4HalfEEEEEPKSM_lEENS0_5tupleIJPlS6_EEENSR_IJSD_SD_EEES6_PiJS6_EEE10hipError_tPvRmT3_T4_T5_T6_T7_T9_mT8_P12ihipStream_tbDpT10_ENKUlT_T0_E_clISt17integral_constantIbLb1EES1F_EEDaS1A_S1B_EUlS1A_E_NS1_11comp_targetILNS1_3genE9ELNS1_11target_archE1100ELNS1_3gpuE3ELNS1_3repE0EEENS1_30default_config_static_selectorELNS0_4arch9wavefront6targetE0EEEvT1_,comdat
	.globl	_ZN7rocprim17ROCPRIM_400000_NS6detail17trampoline_kernelINS0_14default_configENS1_25partition_config_selectorILNS1_17partition_subalgoE5ElNS0_10empty_typeEbEEZZNS1_14partition_implILS5_5ELb0ES3_mN6hipcub16HIPCUB_304000_NS21CountingInputIteratorIllEEPS6_NSA_22TransformInputIteratorIbN2at6native12_GLOBAL__N_19NonZeroOpIN3c107complexINSJ_4HalfEEEEEPKSM_lEENS0_5tupleIJPlS6_EEENSR_IJSD_SD_EEES6_PiJS6_EEE10hipError_tPvRmT3_T4_T5_T6_T7_T9_mT8_P12ihipStream_tbDpT10_ENKUlT_T0_E_clISt17integral_constantIbLb1EES1F_EEDaS1A_S1B_EUlS1A_E_NS1_11comp_targetILNS1_3genE9ELNS1_11target_archE1100ELNS1_3gpuE3ELNS1_3repE0EEENS1_30default_config_static_selectorELNS0_4arch9wavefront6targetE0EEEvT1_ ; -- Begin function _ZN7rocprim17ROCPRIM_400000_NS6detail17trampoline_kernelINS0_14default_configENS1_25partition_config_selectorILNS1_17partition_subalgoE5ElNS0_10empty_typeEbEEZZNS1_14partition_implILS5_5ELb0ES3_mN6hipcub16HIPCUB_304000_NS21CountingInputIteratorIllEEPS6_NSA_22TransformInputIteratorIbN2at6native12_GLOBAL__N_19NonZeroOpIN3c107complexINSJ_4HalfEEEEEPKSM_lEENS0_5tupleIJPlS6_EEENSR_IJSD_SD_EEES6_PiJS6_EEE10hipError_tPvRmT3_T4_T5_T6_T7_T9_mT8_P12ihipStream_tbDpT10_ENKUlT_T0_E_clISt17integral_constantIbLb1EES1F_EEDaS1A_S1B_EUlS1A_E_NS1_11comp_targetILNS1_3genE9ELNS1_11target_archE1100ELNS1_3gpuE3ELNS1_3repE0EEENS1_30default_config_static_selectorELNS0_4arch9wavefront6targetE0EEEvT1_
	.p2align	8
	.type	_ZN7rocprim17ROCPRIM_400000_NS6detail17trampoline_kernelINS0_14default_configENS1_25partition_config_selectorILNS1_17partition_subalgoE5ElNS0_10empty_typeEbEEZZNS1_14partition_implILS5_5ELb0ES3_mN6hipcub16HIPCUB_304000_NS21CountingInputIteratorIllEEPS6_NSA_22TransformInputIteratorIbN2at6native12_GLOBAL__N_19NonZeroOpIN3c107complexINSJ_4HalfEEEEEPKSM_lEENS0_5tupleIJPlS6_EEENSR_IJSD_SD_EEES6_PiJS6_EEE10hipError_tPvRmT3_T4_T5_T6_T7_T9_mT8_P12ihipStream_tbDpT10_ENKUlT_T0_E_clISt17integral_constantIbLb1EES1F_EEDaS1A_S1B_EUlS1A_E_NS1_11comp_targetILNS1_3genE9ELNS1_11target_archE1100ELNS1_3gpuE3ELNS1_3repE0EEENS1_30default_config_static_selectorELNS0_4arch9wavefront6targetE0EEEvT1_,@function
_ZN7rocprim17ROCPRIM_400000_NS6detail17trampoline_kernelINS0_14default_configENS1_25partition_config_selectorILNS1_17partition_subalgoE5ElNS0_10empty_typeEbEEZZNS1_14partition_implILS5_5ELb0ES3_mN6hipcub16HIPCUB_304000_NS21CountingInputIteratorIllEEPS6_NSA_22TransformInputIteratorIbN2at6native12_GLOBAL__N_19NonZeroOpIN3c107complexINSJ_4HalfEEEEEPKSM_lEENS0_5tupleIJPlS6_EEENSR_IJSD_SD_EEES6_PiJS6_EEE10hipError_tPvRmT3_T4_T5_T6_T7_T9_mT8_P12ihipStream_tbDpT10_ENKUlT_T0_E_clISt17integral_constantIbLb1EES1F_EEDaS1A_S1B_EUlS1A_E_NS1_11comp_targetILNS1_3genE9ELNS1_11target_archE1100ELNS1_3gpuE3ELNS1_3repE0EEENS1_30default_config_static_selectorELNS0_4arch9wavefront6targetE0EEEvT1_: ; @_ZN7rocprim17ROCPRIM_400000_NS6detail17trampoline_kernelINS0_14default_configENS1_25partition_config_selectorILNS1_17partition_subalgoE5ElNS0_10empty_typeEbEEZZNS1_14partition_implILS5_5ELb0ES3_mN6hipcub16HIPCUB_304000_NS21CountingInputIteratorIllEEPS6_NSA_22TransformInputIteratorIbN2at6native12_GLOBAL__N_19NonZeroOpIN3c107complexINSJ_4HalfEEEEEPKSM_lEENS0_5tupleIJPlS6_EEENSR_IJSD_SD_EEES6_PiJS6_EEE10hipError_tPvRmT3_T4_T5_T6_T7_T9_mT8_P12ihipStream_tbDpT10_ENKUlT_T0_E_clISt17integral_constantIbLb1EES1F_EEDaS1A_S1B_EUlS1A_E_NS1_11comp_targetILNS1_3genE9ELNS1_11target_archE1100ELNS1_3gpuE3ELNS1_3repE0EEENS1_30default_config_static_selectorELNS0_4arch9wavefront6targetE0EEEvT1_
; %bb.0:
	s_clause 0x4
	s_load_b64 s[18:19], s[0:1], 0x20
	s_load_b64 s[12:13], s[0:1], 0x30
	;; [unrolled: 1-line block ×3, first 2 shown]
	s_load_b128 s[4:7], s[0:1], 0x48
	s_load_b64 s[14:15], s[0:1], 0x68
	v_cmp_eq_u32_e64 s2, 0, v0
	s_delay_alu instid0(VALU_DEP_1)
	s_and_saveexec_b32 s3, s2
	s_cbranch_execz .LBB676_4
; %bb.1:
	s_mov_b32 s9, exec_lo
	s_mov_b32 s8, exec_lo
	v_mbcnt_lo_u32_b32 v1, s9, 0
                                        ; implicit-def: $vgpr2
	s_delay_alu instid0(VALU_DEP_1)
	v_cmpx_eq_u32_e32 0, v1
	s_cbranch_execz .LBB676_3
; %bb.2:
	s_load_b64 s[10:11], s[0:1], 0x78
	s_bcnt1_i32_b32 s9, s9
	s_delay_alu instid0(SALU_CYCLE_1)
	v_dual_mov_b32 v2, 0 :: v_dual_mov_b32 v3, s9
	s_waitcnt lgkmcnt(0)
	global_atomic_add_u32 v2, v2, v3, s[10:11] glc
.LBB676_3:
	s_or_b32 exec_lo, exec_lo, s8
	s_waitcnt vmcnt(0)
	v_readfirstlane_b32 s8, v2
	s_delay_alu instid0(VALU_DEP_1)
	v_dual_mov_b32 v2, 0 :: v_dual_add_nc_u32 v1, s8, v1
	ds_store_b32 v2, v1
.LBB676_4:
	s_or_b32 exec_lo, exec_lo, s3
	v_mov_b32_e32 v1, 0
	s_clause 0x1
	s_load_b128 s[8:11], s[0:1], 0x8
	s_load_b32 s0, s[0:1], 0x70
	s_waitcnt lgkmcnt(0)
	s_barrier
	buffer_gl0_inv
	ds_load_b32 v3, v1
	s_waitcnt lgkmcnt(0)
	s_barrier
	buffer_gl0_inv
	global_load_b64 v[1:2], v1, s[6:7]
	s_add_u32 s21, s10, s8
	s_mul_i32 s20, s0, 0x300
	s_addc_u32 s22, s11, s9
	s_add_i32 s3, s0, -1
	s_add_u32 s0, s10, s20
	v_readfirstlane_b32 s9, v3
	s_addc_u32 s1, s11, 0
	s_delay_alu instid0(SALU_CYCLE_1) | instskip(SKIP_1) | instid1(VALU_DEP_2)
	v_cmp_ge_u64_e64 s0, s[0:1], s[16:17]
	s_mov_b32 s17, -1
	s_cmp_eq_u32 s9, s3
	s_cselect_b32 s3, -1, 0
	s_delay_alu instid0(VALU_DEP_1) | instid1(SALU_CYCLE_1)
	s_and_b32 s1, s0, s3
	s_mul_i32 s0, s9, 0x300
	s_xor_b32 s8, s1, -1
	s_mov_b32 s1, 0
	s_and_b32 vcc_lo, exec_lo, s8
	s_waitcnt vmcnt(0)
	v_readfirstlane_b32 s6, v1
	v_readfirstlane_b32 s7, v2
	s_cbranch_vccz .LBB676_6
; %bb.5:
	s_add_u32 s17, s0, s21
	s_addc_u32 s23, 0, s22
	v_add_co_u32 v1, s17, s17, v0
	s_delay_alu instid0(VALU_DEP_1) | instskip(SKIP_1) | instid1(VALU_DEP_3)
	v_add_co_ci_u32_e64 v2, null, s23, 0, s17
	v_lshlrev_b32_e32 v13, 3, v0
	v_add_co_u32 v3, vcc_lo, 0x80, v1
	s_delay_alu instid0(VALU_DEP_3)
	v_add_co_ci_u32_e32 v4, vcc_lo, 0, v2, vcc_lo
	v_add_co_u32 v5, vcc_lo, 0x100, v1
	v_add_co_ci_u32_e32 v6, vcc_lo, 0, v2, vcc_lo
	v_add_co_u32 v7, vcc_lo, 0x180, v1
	;; [unrolled: 2-line block ×4, first 2 shown]
	v_add_co_ci_u32_e32 v12, vcc_lo, 0, v2, vcc_lo
	ds_store_2addr_stride64_b64 v13, v[1:2], v[3:4] offset1:2
	ds_store_2addr_stride64_b64 v13, v[5:6], v[7:8] offset0:4 offset1:6
	ds_store_2addr_stride64_b64 v13, v[9:10], v[11:12] offset0:8 offset1:10
	s_waitcnt lgkmcnt(0)
	s_mov_b32 s17, s1
	s_barrier
.LBB676_6:
	v_or_b32_e32 v17, 0x100, v0
	v_or_b32_e32 v16, 0x180, v0
	;; [unrolled: 1-line block ×4, first 2 shown]
	s_and_not1_b32 vcc_lo, exec_lo, s17
	s_cbranch_vccnz .LBB676_8
; %bb.7:
	v_or_b32_e32 v3, 0x80, v0
	s_add_u32 s17, s21, s0
	s_addc_u32 s21, s22, 0
	v_add_co_u32 v1, s22, s17, v0
	s_delay_alu instid0(VALU_DEP_1) | instskip(SKIP_1) | instid1(VALU_DEP_1)
	v_add_co_ci_u32_e64 v2, null, s21, 0, s22
	v_add_co_u32 v3, s22, s17, v3
	v_add_co_ci_u32_e64 v4, null, s21, 0, s22
	v_add_co_u32 v5, s22, s17, v17
	s_delay_alu instid0(VALU_DEP_1) | instskip(SKIP_1) | instid1(VALU_DEP_1)
	v_add_co_ci_u32_e64 v6, null, s21, 0, s22
	v_add_co_u32 v7, s22, s17, v16
	v_add_co_ci_u32_e64 v8, null, s21, 0, s22
	v_add_co_u32 v9, s22, s17, v15
	v_lshlrev_b32_e32 v14, 3, v0
	v_add_co_u32 v11, s17, s17, v13
	v_add_co_ci_u32_e64 v10, null, s21, 0, s22
	v_add_co_ci_u32_e64 v12, null, s21, 0, s17
	ds_store_2addr_stride64_b64 v14, v[1:2], v[3:4] offset1:2
	ds_store_2addr_stride64_b64 v14, v[5:6], v[7:8] offset0:4 offset1:6
	ds_store_2addr_stride64_b64 v14, v[9:10], v[11:12] offset0:8 offset1:10
	s_waitcnt lgkmcnt(0)
	s_barrier
.LBB676_8:
	v_mul_u32_u24_e32 v1, 6, v0
	buffer_gl0_inv
	s_lshl_b64 s[22:23], s[10:11], 2
	s_delay_alu instid0(SALU_CYCLE_1)
	s_add_u32 s11, s18, s22
	v_lshlrev_b32_e32 v14, 3, v1
	s_addc_u32 s17, s19, s23
	s_lshl_b64 s[0:1], s[0:1], 2
	ds_load_b128 v[9:12], v14
	ds_load_b128 v[5:8], v14 offset:16
	ds_load_b128 v[1:4], v14 offset:32
	s_add_u32 s0, s11, s0
	s_addc_u32 s1, s17, s1
	s_and_b32 vcc_lo, exec_lo, s8
	s_mov_b32 s11, -1
	s_waitcnt lgkmcnt(0)
	s_barrier
	buffer_gl0_inv
	s_cbranch_vccz .LBB676_10
; %bb.9:
	v_lshlrev_b32_e32 v18, 2, v0
	s_mov_b32 s11, 0
	s_clause 0x5
	global_load_b32 v19, v18, s[0:1]
	global_load_b32 v20, v18, s[0:1] offset:512
	global_load_b32 v21, v18, s[0:1] offset:1024
	;; [unrolled: 1-line block ×5, first 2 shown]
	s_waitcnt vmcnt(5)
	v_lshrrev_b32_e32 v24, 16, v19
	s_waitcnt vmcnt(4)
	v_lshrrev_b32_e32 v25, 16, v20
	;; [unrolled: 2-line block ×5, first 2 shown]
	v_or_b32_e32 v19, v19, v24
	v_or_b32_e32 v20, v20, v25
	;; [unrolled: 1-line block ×4, first 2 shown]
	s_waitcnt vmcnt(0)
	v_lshrrev_b32_e32 v29, 16, v18
	v_and_b32_e32 v19, 0x7fff, v19
	v_and_b32_e32 v20, 0x7fff, v20
	;; [unrolled: 1-line block ×3, first 2 shown]
	v_or_b32_e32 v23, v23, v28
	v_and_b32_e32 v22, 0x7fff, v22
	v_cmp_ne_u16_e32 vcc_lo, 0, v19
	v_or_b32_e32 v18, v18, v29
	s_delay_alu instid0(VALU_DEP_4) | instskip(SKIP_2) | instid1(VALU_DEP_4)
	v_and_b32_e32 v23, 0x7fff, v23
	v_cndmask_b32_e64 v19, 0, 1, vcc_lo
	v_cmp_ne_u16_e32 vcc_lo, 0, v20
	v_and_b32_e32 v18, 0x7fff, v18
	v_cndmask_b32_e64 v20, 0, 1, vcc_lo
	v_cmp_ne_u16_e32 vcc_lo, 0, v21
	v_cndmask_b32_e64 v21, 0, 1, vcc_lo
	v_cmp_ne_u16_e32 vcc_lo, 0, v22
	;; [unrolled: 2-line block ×4, first 2 shown]
	v_cndmask_b32_e64 v18, 0, 1, vcc_lo
	ds_store_b8 v0, v19
	ds_store_b8 v0, v20 offset:128
	ds_store_b8 v0, v21 offset:256
	;; [unrolled: 1-line block ×5, first 2 shown]
	s_waitcnt lgkmcnt(0)
	s_barrier
.LBB676_10:
	s_and_not1_b32 vcc_lo, exec_lo, s11
	s_cbranch_vccnz .LBB676_24
; %bb.11:
	s_add_i32 s20, s20, s10
	v_dual_mov_b32 v18, 0 :: v_dual_mov_b32 v19, 0
	s_sub_i32 s10, s16, s20
	s_mov_b32 s11, exec_lo
	s_addk_i32 s10, 0x300
	s_delay_alu instid0(SALU_CYCLE_1)
	v_cmpx_gt_u32_e64 s10, v0
	s_cbranch_execz .LBB676_13
; %bb.12:
	v_lshlrev_b32_e32 v19, 2, v0
	global_load_b32 v19, v19, s[0:1]
	s_waitcnt vmcnt(0)
	v_lshrrev_b32_e32 v20, 16, v19
	s_delay_alu instid0(VALU_DEP_1) | instskip(NEXT) | instid1(VALU_DEP_1)
	v_or_b32_e32 v19, v19, v20
	v_and_b32_e32 v19, 0x7fff, v19
	s_delay_alu instid0(VALU_DEP_1)
	v_cmp_ne_u16_e32 vcc_lo, 0, v19
	v_cndmask_b32_e64 v19, 0, 1, vcc_lo
.LBB676_13:
	s_or_b32 exec_lo, exec_lo, s11
	v_or_b32_e32 v20, 0x80, v0
	s_mov_b32 s11, exec_lo
	s_delay_alu instid0(VALU_DEP_1)
	v_cmpx_gt_u32_e64 s10, v20
	s_cbranch_execz .LBB676_15
; %bb.14:
	v_lshlrev_b32_e32 v18, 2, v0
	global_load_b32 v18, v18, s[0:1] offset:512
	s_waitcnt vmcnt(0)
	v_lshrrev_b32_e32 v20, 16, v18
	s_delay_alu instid0(VALU_DEP_1) | instskip(NEXT) | instid1(VALU_DEP_1)
	v_or_b32_e32 v18, v18, v20
	v_and_b32_e32 v18, 0x7fff, v18
	s_delay_alu instid0(VALU_DEP_1)
	v_cmp_ne_u16_e32 vcc_lo, 0, v18
	v_cndmask_b32_e64 v18, 0, 1, vcc_lo
.LBB676_15:
	s_or_b32 exec_lo, exec_lo, s11
	v_cmp_gt_u32_e32 vcc_lo, s10, v17
	v_dual_mov_b32 v17, 0 :: v_dual_mov_b32 v20, 0
	s_and_saveexec_b32 s11, vcc_lo
	s_cbranch_execz .LBB676_17
; %bb.16:
	v_lshlrev_b32_e32 v20, 2, v0
	global_load_b32 v20, v20, s[0:1] offset:1024
	s_waitcnt vmcnt(0)
	v_lshrrev_b32_e32 v21, 16, v20
	s_delay_alu instid0(VALU_DEP_1) | instskip(NEXT) | instid1(VALU_DEP_1)
	v_or_b32_e32 v20, v20, v21
	v_and_b32_e32 v20, 0x7fff, v20
	s_delay_alu instid0(VALU_DEP_1)
	v_cmp_ne_u16_e32 vcc_lo, 0, v20
	v_cndmask_b32_e64 v20, 0, 1, vcc_lo
.LBB676_17:
	s_or_b32 exec_lo, exec_lo, s11
	s_delay_alu instid0(SALU_CYCLE_1)
	s_mov_b32 s11, exec_lo
	v_cmpx_gt_u32_e64 s10, v16
	s_cbranch_execz .LBB676_19
; %bb.18:
	v_lshlrev_b32_e32 v16, 2, v0
	global_load_b32 v16, v16, s[0:1] offset:1536
	s_waitcnt vmcnt(0)
	v_lshrrev_b32_e32 v17, 16, v16
	s_delay_alu instid0(VALU_DEP_1) | instskip(NEXT) | instid1(VALU_DEP_1)
	v_or_b32_e32 v16, v16, v17
	v_and_b32_e32 v16, 0x7fff, v16
	s_delay_alu instid0(VALU_DEP_1)
	v_cmp_ne_u16_e32 vcc_lo, 0, v16
	v_cndmask_b32_e64 v17, 0, 1, vcc_lo
.LBB676_19:
	s_or_b32 exec_lo, exec_lo, s11
	v_cmp_gt_u32_e32 vcc_lo, s10, v15
	v_dual_mov_b32 v15, 0 :: v_dual_mov_b32 v16, 0
	s_and_saveexec_b32 s11, vcc_lo
	s_cbranch_execz .LBB676_21
; %bb.20:
	v_lshlrev_b32_e32 v16, 2, v0
	global_load_b32 v16, v16, s[0:1] offset:2048
	s_waitcnt vmcnt(0)
	v_lshrrev_b32_e32 v21, 16, v16
	s_delay_alu instid0(VALU_DEP_1) | instskip(NEXT) | instid1(VALU_DEP_1)
	v_or_b32_e32 v16, v16, v21
	v_and_b32_e32 v16, 0x7fff, v16
	s_delay_alu instid0(VALU_DEP_1)
	v_cmp_ne_u16_e32 vcc_lo, 0, v16
	v_cndmask_b32_e64 v16, 0, 1, vcc_lo
.LBB676_21:
	s_or_b32 exec_lo, exec_lo, s11
	v_cmp_gt_u32_e32 vcc_lo, s10, v13
	s_and_saveexec_b32 s10, vcc_lo
	s_cbranch_execz .LBB676_23
; %bb.22:
	v_lshlrev_b32_e32 v13, 2, v0
	global_load_b32 v13, v13, s[0:1] offset:2560
	s_waitcnt vmcnt(0)
	v_lshrrev_b32_e32 v15, 16, v13
	s_delay_alu instid0(VALU_DEP_1) | instskip(NEXT) | instid1(VALU_DEP_1)
	v_or_b32_e32 v13, v13, v15
	v_and_b32_e32 v13, 0x7fff, v13
	s_delay_alu instid0(VALU_DEP_1)
	v_cmp_ne_u16_e32 vcc_lo, 0, v13
	v_cndmask_b32_e64 v15, 0, 1, vcc_lo
.LBB676_23:
	s_or_b32 exec_lo, exec_lo, s10
	ds_store_b8 v0, v19
	ds_store_b8 v0, v18 offset:128
	ds_store_b8 v0, v20 offset:256
	;; [unrolled: 1-line block ×5, first 2 shown]
	s_waitcnt lgkmcnt(0)
	s_barrier
.LBB676_24:
	v_mad_i32_i24 v43, 0xffffffd6, v0, v14
	buffer_gl0_inv
	v_mbcnt_lo_u32_b32 v42, -1, 0
	s_cmp_lg_u32 s9, 0
	s_mov_b32 s1, -1
	ds_load_u16 v36, v43
	ds_load_u16 v33, v43 offset:2
	ds_load_u16 v31, v43 offset:4
	v_mov_b32_e32 v14, 0
	v_and_b32_e32 v44, 15, v42
	s_waitcnt lgkmcnt(0)
	s_barrier
	buffer_gl0_inv
	v_and_b32_e32 v41, 0xff, v36
	v_lshrrev_b16 v34, 8, v36
	v_lshrrev_b16 v35, 8, v33
	v_and_b32_e32 v39, 0xff, v33
	v_lshrrev_b16 v32, 8, v31
	v_and_b32_e32 v37, 0xff, v31
	v_and_b32_e32 v40, 0xffff, v34
	;; [unrolled: 1-line block ×3, first 2 shown]
	s_delay_alu instid0(VALU_DEP_4) | instskip(NEXT) | instid1(VALU_DEP_3)
	v_and_b32_e32 v16, 0xffff, v32
	v_add_co_u32 v13, s0, v40, v41
	s_delay_alu instid0(VALU_DEP_1) | instskip(SKIP_1) | instid1(VALU_DEP_3)
	v_add_co_ci_u32_e64 v15, null, 0, 0, s0
	v_cmp_ne_u32_e64 s0, 0, v44
	v_add_co_u32 v13, vcc_lo, v13, v39
	s_delay_alu instid0(VALU_DEP_3) | instskip(NEXT) | instid1(VALU_DEP_2)
	v_add_co_ci_u32_e32 v15, vcc_lo, 0, v15, vcc_lo
	v_add_co_u32 v13, vcc_lo, v13, v38
	s_delay_alu instid0(VALU_DEP_2) | instskip(NEXT) | instid1(VALU_DEP_2)
	v_add_co_ci_u32_e32 v15, vcc_lo, 0, v15, vcc_lo
	v_add_co_u32 v13, vcc_lo, v13, v37
	s_delay_alu instid0(VALU_DEP_2) | instskip(NEXT) | instid1(VALU_DEP_2)
	v_add_co_ci_u32_e32 v15, vcc_lo, 0, v15, vcc_lo
	v_add_co_u32 v21, vcc_lo, v13, v16
	s_delay_alu instid0(VALU_DEP_2)
	v_add_co_ci_u32_e32 v22, vcc_lo, 0, v15, vcc_lo
	s_cbranch_scc0 .LBB676_93
; %bb.25:
	s_delay_alu instid0(VALU_DEP_2)
	v_mov_b32_e32 v15, v21
	v_mov_b32_dpp v13, v21 row_shr:1 row_mask:0xf bank_mask:0xf
	v_mov_b32_dpp v18, v14 row_shr:1 row_mask:0xf bank_mask:0xf
	v_dual_mov_b32 v17, v21 :: v_dual_mov_b32 v16, v22
	s_and_saveexec_b32 s1, s0
; %bb.26:
	s_delay_alu instid0(VALU_DEP_3) | instskip(SKIP_1) | instid1(VALU_DEP_2)
	v_add_co_u32 v17, vcc_lo, v21, v13
	v_add_co_ci_u32_e32 v14, vcc_lo, 0, v22, vcc_lo
	v_add_co_u32 v13, vcc_lo, 0, v17
	s_delay_alu instid0(VALU_DEP_2) | instskip(NEXT) | instid1(VALU_DEP_1)
	v_add_co_ci_u32_e32 v14, vcc_lo, v18, v14, vcc_lo
	v_dual_mov_b32 v16, v14 :: v_dual_mov_b32 v15, v13
; %bb.27:
	s_or_b32 exec_lo, exec_lo, s1
	v_mov_b32_dpp v13, v17 row_shr:2 row_mask:0xf bank_mask:0xf
	v_mov_b32_dpp v18, v14 row_shr:2 row_mask:0xf bank_mask:0xf
	s_mov_b32 s1, exec_lo
	v_cmpx_lt_u32_e32 1, v44
; %bb.28:
	s_delay_alu instid0(VALU_DEP_3) | instskip(SKIP_1) | instid1(VALU_DEP_2)
	v_add_co_u32 v17, vcc_lo, v15, v13
	v_add_co_ci_u32_e32 v14, vcc_lo, 0, v16, vcc_lo
	v_add_co_u32 v13, vcc_lo, 0, v17
	s_delay_alu instid0(VALU_DEP_2) | instskip(NEXT) | instid1(VALU_DEP_1)
	v_add_co_ci_u32_e32 v14, vcc_lo, v18, v14, vcc_lo
	v_dual_mov_b32 v16, v14 :: v_dual_mov_b32 v15, v13
; %bb.29:
	s_or_b32 exec_lo, exec_lo, s1
	v_mov_b32_dpp v13, v17 row_shr:4 row_mask:0xf bank_mask:0xf
	v_mov_b32_dpp v18, v14 row_shr:4 row_mask:0xf bank_mask:0xf
	s_mov_b32 s1, exec_lo
	v_cmpx_lt_u32_e32 3, v44
	;; [unrolled: 14-line block ×3, first 2 shown]
; %bb.32:
	s_delay_alu instid0(VALU_DEP_3) | instskip(SKIP_1) | instid1(VALU_DEP_2)
	v_add_co_u32 v17, vcc_lo, v15, v18
	v_add_co_ci_u32_e32 v14, vcc_lo, 0, v16, vcc_lo
	v_add_co_u32 v15, vcc_lo, 0, v17
	s_delay_alu instid0(VALU_DEP_2) | instskip(NEXT) | instid1(VALU_DEP_1)
	v_add_co_ci_u32_e32 v16, vcc_lo, v13, v14, vcc_lo
	v_mov_b32_e32 v14, v16
; %bb.33:
	s_or_b32 exec_lo, exec_lo, s1
	ds_swizzle_b32 v13, v17 offset:swizzle(BROADCAST,32,15)
	ds_swizzle_b32 v18, v14 offset:swizzle(BROADCAST,32,15)
	v_and_b32_e32 v19, 16, v42
	s_mov_b32 s1, exec_lo
	s_delay_alu instid0(VALU_DEP_1)
	v_cmpx_ne_u32_e32 0, v19
	s_cbranch_execz .LBB676_35
; %bb.34:
	s_waitcnt lgkmcnt(1)
	v_add_co_u32 v17, vcc_lo, v15, v13
	v_add_co_ci_u32_e32 v14, vcc_lo, 0, v16, vcc_lo
	s_delay_alu instid0(VALU_DEP_2) | instskip(SKIP_1) | instid1(VALU_DEP_2)
	v_add_co_u32 v13, vcc_lo, 0, v17
	s_waitcnt lgkmcnt(0)
	v_add_co_ci_u32_e32 v14, vcc_lo, v18, v14, vcc_lo
	s_delay_alu instid0(VALU_DEP_1)
	v_dual_mov_b32 v16, v14 :: v_dual_mov_b32 v15, v13
.LBB676_35:
	s_or_b32 exec_lo, exec_lo, s1
	s_waitcnt lgkmcnt(0)
	v_or_b32_e32 v18, 31, v0
	v_lshrrev_b32_e32 v13, 5, v0
	s_mov_b32 s1, exec_lo
	s_delay_alu instid0(VALU_DEP_2)
	v_cmpx_eq_u32_e64 v18, v0
	s_cbranch_execz .LBB676_37
; %bb.36:
	s_delay_alu instid0(VALU_DEP_2)
	v_lshlrev_b32_e32 v18, 3, v13
	ds_store_b64 v18, v[15:16]
.LBB676_37:
	s_or_b32 exec_lo, exec_lo, s1
	s_delay_alu instid0(SALU_CYCLE_1)
	s_mov_b32 s1, exec_lo
	s_waitcnt lgkmcnt(0)
	s_barrier
	buffer_gl0_inv
	v_cmpx_gt_u32_e32 4, v0
	s_cbranch_execz .LBB676_43
; %bb.38:
	v_lshlrev_b32_e32 v18, 3, v0
	s_mov_b32 s10, exec_lo
	ds_load_b64 v[15:16], v18
	s_waitcnt lgkmcnt(0)
	v_dual_mov_b32 v20, v15 :: v_dual_and_b32 v19, 3, v42
	v_mov_b32_dpp v24, v15 row_shr:1 row_mask:0xf bank_mask:0xf
	v_mov_b32_dpp v23, v16 row_shr:1 row_mask:0xf bank_mask:0xf
	s_delay_alu instid0(VALU_DEP_3)
	v_cmpx_ne_u32_e32 0, v19
; %bb.39:
	s_delay_alu instid0(VALU_DEP_3) | instskip(SKIP_1) | instid1(VALU_DEP_2)
	v_add_co_u32 v20, vcc_lo, v15, v24
	v_add_co_ci_u32_e32 v16, vcc_lo, 0, v16, vcc_lo
	v_add_co_u32 v15, vcc_lo, 0, v20
	s_delay_alu instid0(VALU_DEP_2)
	v_add_co_ci_u32_e32 v16, vcc_lo, v23, v16, vcc_lo
; %bb.40:
	s_or_b32 exec_lo, exec_lo, s10
	v_mov_b32_dpp v23, v20 row_shr:2 row_mask:0xf bank_mask:0xf
	s_delay_alu instid0(VALU_DEP_2)
	v_mov_b32_dpp v20, v16 row_shr:2 row_mask:0xf bank_mask:0xf
	s_mov_b32 s10, exec_lo
	v_cmpx_lt_u32_e32 1, v19
; %bb.41:
	s_delay_alu instid0(VALU_DEP_3) | instskip(SKIP_1) | instid1(VALU_DEP_2)
	v_add_co_u32 v15, vcc_lo, v15, v23
	v_add_co_ci_u32_e32 v16, vcc_lo, 0, v16, vcc_lo
	v_add_co_u32 v15, vcc_lo, v15, 0
	s_delay_alu instid0(VALU_DEP_2)
	v_add_co_ci_u32_e32 v16, vcc_lo, v16, v20, vcc_lo
; %bb.42:
	s_or_b32 exec_lo, exec_lo, s10
	ds_store_b64 v18, v[15:16]
.LBB676_43:
	s_or_b32 exec_lo, exec_lo, s1
	v_cmp_gt_u32_e32 vcc_lo, 32, v0
	s_mov_b32 s10, exec_lo
	s_waitcnt lgkmcnt(0)
	s_barrier
	buffer_gl0_inv
                                        ; implicit-def: $vgpr23_vgpr24
	v_cmpx_lt_u32_e32 31, v0
	s_cbranch_execz .LBB676_45
; %bb.44:
	v_lshl_add_u32 v13, v13, 3, -8
	ds_load_b64 v[23:24], v13
	s_waitcnt lgkmcnt(0)
	v_add_co_u32 v17, s1, v17, v23
	s_delay_alu instid0(VALU_DEP_1)
	v_add_co_ci_u32_e64 v14, s1, v14, v24, s1
.LBB676_45:
	s_or_b32 exec_lo, exec_lo, s10
	v_add_nc_u32_e32 v13, -1, v42
	s_delay_alu instid0(VALU_DEP_1) | instskip(NEXT) | instid1(VALU_DEP_1)
	v_cmp_gt_i32_e64 s1, 0, v13
	v_cndmask_b32_e64 v13, v13, v42, s1
	v_cmp_eq_u32_e64 s1, 0, v42
	s_delay_alu instid0(VALU_DEP_2)
	v_lshlrev_b32_e32 v13, 2, v13
	ds_bpermute_b32 v29, v13, v17
	ds_bpermute_b32 v30, v13, v14
	s_and_saveexec_b32 s10, vcc_lo
	s_cbranch_execz .LBB676_88
; %bb.46:
	v_mov_b32_e32 v16, 0
	ds_load_b64 v[13:14], v16 offset:24
	s_and_saveexec_b32 s11, s1
	s_cbranch_execz .LBB676_48
; %bb.47:
	s_add_i32 s16, s9, 32
	s_mov_b32 s17, 0
	s_delay_alu instid0(SALU_CYCLE_1) | instskip(NEXT) | instid1(SALU_CYCLE_1)
	s_lshl_b64 s[16:17], s[16:17], 4
	s_add_u32 s16, s14, s16
	s_addc_u32 s17, s15, s17
	s_delay_alu instid0(SALU_CYCLE_1)
	v_dual_mov_b32 v15, 1 :: v_dual_mov_b32 v18, s17
	v_mov_b32_e32 v17, s16
	s_waitcnt lgkmcnt(0)
	;;#ASMSTART
	global_store_dwordx4 v[17:18], v[13:16] off	
s_waitcnt vmcnt(0)
	;;#ASMEND
.LBB676_48:
	s_or_b32 exec_lo, exec_lo, s11
	v_xad_u32 v25, v42, -1, s9
	s_mov_b32 s16, 0
	s_mov_b32 s11, exec_lo
	s_delay_alu instid0(VALU_DEP_1) | instskip(NEXT) | instid1(VALU_DEP_1)
	v_add_nc_u32_e32 v15, 32, v25
	v_lshlrev_b64 v[15:16], 4, v[15:16]
	s_delay_alu instid0(VALU_DEP_1) | instskip(NEXT) | instid1(VALU_DEP_2)
	v_add_co_u32 v15, vcc_lo, s14, v15
	v_add_co_ci_u32_e32 v16, vcc_lo, s15, v16, vcc_lo
	;;#ASMSTART
	global_load_dwordx4 v[17:20], v[15:16] off glc	
s_waitcnt vmcnt(0)
	;;#ASMEND
	v_and_b32_e32 v20, 0xff, v18
	v_and_b32_e32 v26, 0xff00, v18
	v_or3_b32 v17, v17, 0, 0
	v_and_b32_e32 v27, 0xff000000, v18
	v_and_b32_e32 v18, 0xff0000, v18
	s_delay_alu instid0(VALU_DEP_4) | instskip(SKIP_2) | instid1(VALU_DEP_3)
	v_or3_b32 v20, 0, v20, v26
	v_and_b32_e32 v26, 0xff, v19
	v_or3_b32 v17, v17, 0, 0
	v_or3_b32 v18, v20, v18, v27
	s_delay_alu instid0(VALU_DEP_3)
	v_cmpx_eq_u16_e32 0, v26
	s_cbranch_execz .LBB676_54
; %bb.49:
	s_mov_b32 s17, 1
	.p2align	6
.LBB676_50:                             ; =>This Loop Header: Depth=1
                                        ;     Child Loop BB676_51 Depth 2
	s_delay_alu instid0(SALU_CYCLE_1)
	s_max_u32 s18, s17, 1
.LBB676_51:                             ;   Parent Loop BB676_50 Depth=1
                                        ; =>  This Inner Loop Header: Depth=2
	s_delay_alu instid0(SALU_CYCLE_1)
	s_add_i32 s18, s18, -1
	s_sleep 1
	s_cmp_eq_u32 s18, 0
	s_cbranch_scc0 .LBB676_51
; %bb.52:                               ;   in Loop: Header=BB676_50 Depth=1
	;;#ASMSTART
	global_load_dwordx4 v[17:20], v[15:16] off glc	
s_waitcnt vmcnt(0)
	;;#ASMEND
	v_and_b32_e32 v20, 0xff, v19
	s_cmp_lt_u32 s17, 32
	s_cselect_b32 s18, -1, 0
	s_delay_alu instid0(SALU_CYCLE_1) | instskip(NEXT) | instid1(VALU_DEP_1)
	s_cmp_lg_u32 s18, 0
	v_cmp_ne_u16_e32 vcc_lo, 0, v20
	s_addc_u32 s17, s17, 0
	s_or_b32 s16, vcc_lo, s16
	s_delay_alu instid0(SALU_CYCLE_1)
	s_and_not1_b32 exec_lo, exec_lo, s16
	s_cbranch_execnz .LBB676_50
; %bb.53:
	s_or_b32 exec_lo, exec_lo, s16
.LBB676_54:
	s_delay_alu instid0(SALU_CYCLE_1)
	s_or_b32 exec_lo, exec_lo, s11
	v_cmp_ne_u32_e32 vcc_lo, 31, v42
	v_and_b32_e32 v16, 0xff, v19
	v_lshlrev_b32_e64 v46, v42, -1
	s_mov_b32 s11, exec_lo
	v_add_co_ci_u32_e32 v15, vcc_lo, 0, v42, vcc_lo
	s_delay_alu instid0(VALU_DEP_3) | instskip(NEXT) | instid1(VALU_DEP_2)
	v_cmp_eq_u16_e32 vcc_lo, 2, v16
	v_dual_mov_b32 v16, v17 :: v_dual_lshlrev_b32 v45, 2, v15
	v_and_or_b32 v15, vcc_lo, v46, 0x80000000
	ds_bpermute_b32 v26, v45, v17
	ds_bpermute_b32 v20, v45, v18
	v_ctz_i32_b32_e32 v15, v15
	s_delay_alu instid0(VALU_DEP_1)
	v_cmpx_lt_u32_e64 v42, v15
	s_cbranch_execz .LBB676_56
; %bb.55:
	s_waitcnt lgkmcnt(1)
	v_add_co_u32 v16, vcc_lo, v17, v26
	v_add_co_ci_u32_e32 v18, vcc_lo, 0, v18, vcc_lo
	s_delay_alu instid0(VALU_DEP_2) | instskip(SKIP_1) | instid1(VALU_DEP_2)
	v_add_co_u32 v17, vcc_lo, 0, v16
	s_waitcnt lgkmcnt(0)
	v_add_co_ci_u32_e32 v18, vcc_lo, v20, v18, vcc_lo
.LBB676_56:
	s_or_b32 exec_lo, exec_lo, s11
	v_cmp_gt_u32_e32 vcc_lo, 30, v42
	v_add_nc_u32_e32 v48, 2, v42
	s_mov_b32 s11, exec_lo
	s_waitcnt lgkmcnt(0)
	v_cndmask_b32_e64 v20, 0, 1, vcc_lo
	s_delay_alu instid0(VALU_DEP_1) | instskip(NEXT) | instid1(VALU_DEP_1)
	v_lshlrev_b32_e32 v20, 1, v20
	v_add_lshl_u32 v47, v20, v42, 2
	ds_bpermute_b32 v26, v47, v16
	ds_bpermute_b32 v20, v47, v18
	v_cmpx_le_u32_e64 v48, v15
	s_cbranch_execz .LBB676_58
; %bb.57:
	s_waitcnt lgkmcnt(1)
	v_add_co_u32 v16, vcc_lo, v17, v26
	v_add_co_ci_u32_e32 v18, vcc_lo, 0, v18, vcc_lo
	s_delay_alu instid0(VALU_DEP_2) | instskip(SKIP_1) | instid1(VALU_DEP_2)
	v_add_co_u32 v17, vcc_lo, 0, v16
	s_waitcnt lgkmcnt(0)
	v_add_co_ci_u32_e32 v18, vcc_lo, v20, v18, vcc_lo
.LBB676_58:
	s_or_b32 exec_lo, exec_lo, s11
	v_cmp_gt_u32_e32 vcc_lo, 28, v42
	v_add_nc_u32_e32 v50, 4, v42
	s_mov_b32 s11, exec_lo
	s_waitcnt lgkmcnt(0)
	v_cndmask_b32_e64 v20, 0, 1, vcc_lo
	s_delay_alu instid0(VALU_DEP_1) | instskip(NEXT) | instid1(VALU_DEP_1)
	v_lshlrev_b32_e32 v20, 2, v20
	v_add_lshl_u32 v49, v20, v42, 2
	ds_bpermute_b32 v26, v49, v16
	ds_bpermute_b32 v20, v49, v18
	v_cmpx_le_u32_e64 v50, v15
	;; [unrolled: 22-line block ×4, first 2 shown]
	s_cbranch_execz .LBB676_64
; %bb.63:
	s_waitcnt lgkmcnt(1)
	v_add_co_u32 v15, vcc_lo, v17, v20
	v_add_co_ci_u32_e32 v18, vcc_lo, 0, v18, vcc_lo
	s_delay_alu instid0(VALU_DEP_2) | instskip(SKIP_1) | instid1(VALU_DEP_2)
	v_add_co_u32 v17, vcc_lo, v15, 0
	s_waitcnt lgkmcnt(0)
	v_add_co_ci_u32_e32 v18, vcc_lo, v18, v16, vcc_lo
.LBB676_64:
	s_or_b32 exec_lo, exec_lo, s11
	v_mov_b32_e32 v26, 0
	s_branch .LBB676_66
.LBB676_65:                             ;   in Loop: Header=BB676_66 Depth=1
	s_or_b32 exec_lo, exec_lo, s11
	v_add_co_u32 v17, vcc_lo, v17, v15
	v_subrev_nc_u32_e32 v25, 32, v25
	v_add_co_ci_u32_e32 v18, vcc_lo, v18, v16, vcc_lo
.LBB676_66:                             ; =>This Loop Header: Depth=1
                                        ;     Child Loop BB676_69 Depth 2
                                        ;       Child Loop BB676_70 Depth 3
	v_and_b32_e32 v15, 0xff, v19
	s_delay_alu instid0(VALU_DEP_1) | instskip(SKIP_2) | instid1(VALU_DEP_1)
	v_cmp_ne_u16_e32 vcc_lo, 2, v15
	v_cndmask_b32_e64 v15, 0, 1, vcc_lo
	;;#ASMSTART
	;;#ASMEND
	v_cmp_ne_u32_e32 vcc_lo, 0, v15
	s_waitcnt lgkmcnt(0)
	v_dual_mov_b32 v15, v17 :: v_dual_mov_b32 v16, v18
	s_cmp_lg_u32 vcc_lo, exec_lo
	s_cbranch_scc1 .LBB676_83
; %bb.67:                               ;   in Loop: Header=BB676_66 Depth=1
	v_lshlrev_b64 v[17:18], 4, v[25:26]
	s_mov_b32 s11, exec_lo
	s_delay_alu instid0(VALU_DEP_1) | instskip(NEXT) | instid1(VALU_DEP_2)
	v_add_co_u32 v27, vcc_lo, s14, v17
	v_add_co_ci_u32_e32 v28, vcc_lo, s15, v18, vcc_lo
	;;#ASMSTART
	global_load_dwordx4 v[17:20], v[27:28] off glc	
s_waitcnt vmcnt(0)
	;;#ASMEND
	v_and_b32_e32 v20, 0xff, v18
	v_and_b32_e32 v55, 0xff00, v18
	v_or3_b32 v17, v17, 0, 0
	v_and_b32_e32 v56, 0xff000000, v18
	v_and_b32_e32 v18, 0xff0000, v18
	s_delay_alu instid0(VALU_DEP_4) | instskip(SKIP_2) | instid1(VALU_DEP_3)
	v_or3_b32 v20, 0, v20, v55
	v_and_b32_e32 v55, 0xff, v19
	v_or3_b32 v17, v17, 0, 0
	v_or3_b32 v18, v20, v18, v56
	s_delay_alu instid0(VALU_DEP_3)
	v_cmpx_eq_u16_e32 0, v55
	s_cbranch_execz .LBB676_73
; %bb.68:                               ;   in Loop: Header=BB676_66 Depth=1
	s_mov_b32 s17, 1
	s_mov_b32 s16, 0
	.p2align	6
.LBB676_69:                             ;   Parent Loop BB676_66 Depth=1
                                        ; =>  This Loop Header: Depth=2
                                        ;       Child Loop BB676_70 Depth 3
	s_max_u32 s18, s17, 1
.LBB676_70:                             ;   Parent Loop BB676_66 Depth=1
                                        ;     Parent Loop BB676_69 Depth=2
                                        ; =>    This Inner Loop Header: Depth=3
	s_delay_alu instid0(SALU_CYCLE_1)
	s_add_i32 s18, s18, -1
	s_sleep 1
	s_cmp_eq_u32 s18, 0
	s_cbranch_scc0 .LBB676_70
; %bb.71:                               ;   in Loop: Header=BB676_69 Depth=2
	;;#ASMSTART
	global_load_dwordx4 v[17:20], v[27:28] off glc	
s_waitcnt vmcnt(0)
	;;#ASMEND
	v_and_b32_e32 v20, 0xff, v19
	s_cmp_lt_u32 s17, 32
	s_cselect_b32 s18, -1, 0
	s_delay_alu instid0(SALU_CYCLE_1) | instskip(NEXT) | instid1(VALU_DEP_1)
	s_cmp_lg_u32 s18, 0
	v_cmp_ne_u16_e32 vcc_lo, 0, v20
	s_addc_u32 s17, s17, 0
	s_or_b32 s16, vcc_lo, s16
	s_delay_alu instid0(SALU_CYCLE_1)
	s_and_not1_b32 exec_lo, exec_lo, s16
	s_cbranch_execnz .LBB676_69
; %bb.72:                               ;   in Loop: Header=BB676_66 Depth=1
	s_or_b32 exec_lo, exec_lo, s16
.LBB676_73:                             ;   in Loop: Header=BB676_66 Depth=1
	s_delay_alu instid0(SALU_CYCLE_1)
	s_or_b32 exec_lo, exec_lo, s11
	v_dual_mov_b32 v27, v17 :: v_dual_and_b32 v20, 0xff, v19
	ds_bpermute_b32 v55, v45, v17
	ds_bpermute_b32 v28, v45, v18
	s_mov_b32 s11, exec_lo
	v_cmp_eq_u16_e32 vcc_lo, 2, v20
	v_and_or_b32 v20, vcc_lo, v46, 0x80000000
	s_delay_alu instid0(VALU_DEP_1) | instskip(NEXT) | instid1(VALU_DEP_1)
	v_ctz_i32_b32_e32 v20, v20
	v_cmpx_lt_u32_e64 v42, v20
	s_cbranch_execz .LBB676_75
; %bb.74:                               ;   in Loop: Header=BB676_66 Depth=1
	s_waitcnt lgkmcnt(1)
	v_add_co_u32 v27, vcc_lo, v17, v55
	v_add_co_ci_u32_e32 v18, vcc_lo, 0, v18, vcc_lo
	s_delay_alu instid0(VALU_DEP_2) | instskip(SKIP_1) | instid1(VALU_DEP_2)
	v_add_co_u32 v17, vcc_lo, 0, v27
	s_waitcnt lgkmcnt(0)
	v_add_co_ci_u32_e32 v18, vcc_lo, v28, v18, vcc_lo
.LBB676_75:                             ;   in Loop: Header=BB676_66 Depth=1
	s_or_b32 exec_lo, exec_lo, s11
	s_waitcnt lgkmcnt(1)
	ds_bpermute_b32 v55, v47, v27
	s_waitcnt lgkmcnt(1)
	ds_bpermute_b32 v28, v47, v18
	s_mov_b32 s11, exec_lo
	v_cmpx_le_u32_e64 v48, v20
	s_cbranch_execz .LBB676_77
; %bb.76:                               ;   in Loop: Header=BB676_66 Depth=1
	s_waitcnt lgkmcnt(1)
	v_add_co_u32 v27, vcc_lo, v17, v55
	v_add_co_ci_u32_e32 v18, vcc_lo, 0, v18, vcc_lo
	s_delay_alu instid0(VALU_DEP_2) | instskip(SKIP_1) | instid1(VALU_DEP_2)
	v_add_co_u32 v17, vcc_lo, 0, v27
	s_waitcnt lgkmcnt(0)
	v_add_co_ci_u32_e32 v18, vcc_lo, v28, v18, vcc_lo
.LBB676_77:                             ;   in Loop: Header=BB676_66 Depth=1
	s_or_b32 exec_lo, exec_lo, s11
	s_waitcnt lgkmcnt(1)
	ds_bpermute_b32 v55, v49, v27
	s_waitcnt lgkmcnt(1)
	ds_bpermute_b32 v28, v49, v18
	s_mov_b32 s11, exec_lo
	v_cmpx_le_u32_e64 v50, v20
	;; [unrolled: 17-line block ×3, first 2 shown]
	s_cbranch_execz .LBB676_81
; %bb.80:                               ;   in Loop: Header=BB676_66 Depth=1
	s_waitcnt lgkmcnt(1)
	v_add_co_u32 v27, vcc_lo, v17, v55
	v_add_co_ci_u32_e32 v18, vcc_lo, 0, v18, vcc_lo
	s_delay_alu instid0(VALU_DEP_2) | instskip(SKIP_1) | instid1(VALU_DEP_2)
	v_add_co_u32 v17, vcc_lo, 0, v27
	s_waitcnt lgkmcnt(0)
	v_add_co_ci_u32_e32 v18, vcc_lo, v28, v18, vcc_lo
.LBB676_81:                             ;   in Loop: Header=BB676_66 Depth=1
	s_or_b32 exec_lo, exec_lo, s11
	s_waitcnt lgkmcnt(0)
	ds_bpermute_b32 v28, v53, v27
	ds_bpermute_b32 v27, v53, v18
	s_mov_b32 s11, exec_lo
	v_cmpx_le_u32_e64 v54, v20
	s_cbranch_execz .LBB676_65
; %bb.82:                               ;   in Loop: Header=BB676_66 Depth=1
	s_waitcnt lgkmcnt(1)
	v_add_co_u32 v17, vcc_lo, v17, v28
	v_add_co_ci_u32_e32 v18, vcc_lo, 0, v18, vcc_lo
	s_delay_alu instid0(VALU_DEP_2) | instskip(SKIP_1) | instid1(VALU_DEP_2)
	v_add_co_u32 v17, vcc_lo, v17, 0
	s_waitcnt lgkmcnt(0)
	v_add_co_ci_u32_e32 v18, vcc_lo, v18, v27, vcc_lo
	s_branch .LBB676_65
.LBB676_83:                             ;   in Loop: Header=BB676_66 Depth=1
                                        ; implicit-def: $vgpr17_vgpr18
	s_cbranch_execz .LBB676_66
; %bb.84:
	s_and_saveexec_b32 s11, s1
	s_cbranch_execz .LBB676_86
; %bb.85:
	s_add_i32 s16, s9, 32
	s_mov_b32 s17, 0
	v_add_co_u32 v17, vcc_lo, v15, v13
	s_lshl_b64 s[16:17], s[16:17], 4
	v_dual_mov_b32 v19, 2 :: v_dual_mov_b32 v20, 0
	s_add_u32 s16, s14, s16
	s_addc_u32 s17, s15, s17
	v_add_co_ci_u32_e32 v18, vcc_lo, v16, v14, vcc_lo
	v_dual_mov_b32 v26, s17 :: v_dual_mov_b32 v25, s16
	;;#ASMSTART
	global_store_dwordx4 v[25:26], v[17:20] off	
s_waitcnt vmcnt(0)
	;;#ASMEND
	ds_store_b128 v20, v[13:16] offset:6144
.LBB676_86:
	s_or_b32 exec_lo, exec_lo, s11
	s_delay_alu instid0(SALU_CYCLE_1)
	s_and_b32 exec_lo, exec_lo, s2
	s_cbranch_execz .LBB676_88
; %bb.87:
	v_mov_b32_e32 v13, 0
	ds_store_b64 v13, v[15:16] offset:24
.LBB676_88:
	s_or_b32 exec_lo, exec_lo, s10
	v_mov_b32_e32 v15, 0
	s_waitcnt lgkmcnt(0)
	s_barrier
	buffer_gl0_inv
	v_cndmask_b32_e64 v16, v29, v23, s1
	ds_load_b64 v[13:14], v15 offset:24
	v_cndmask_b32_e64 v17, v30, v24, s1
	s_waitcnt lgkmcnt(0)
	s_barrier
	v_cndmask_b32_e64 v16, v16, 0, s2
	buffer_gl0_inv
	v_cndmask_b32_e64 v17, v17, 0, s2
	v_add_co_u32 v29, vcc_lo, v13, v16
	s_delay_alu instid0(VALU_DEP_2) | instskip(SKIP_3) | instid1(VALU_DEP_2)
	v_add_co_ci_u32_e32 v30, vcc_lo, v14, v17, vcc_lo
	ds_load_b128 v[13:16], v15 offset:6144
	v_add_co_u32 v27, vcc_lo, v29, v41
	v_add_co_ci_u32_e32 v28, vcc_lo, 0, v30, vcc_lo
	v_add_co_u32 v25, vcc_lo, v27, v40
	s_delay_alu instid0(VALU_DEP_2) | instskip(NEXT) | instid1(VALU_DEP_2)
	v_add_co_ci_u32_e32 v26, vcc_lo, 0, v28, vcc_lo
	v_add_co_u32 v23, vcc_lo, v25, v39
	s_delay_alu instid0(VALU_DEP_2) | instskip(NEXT) | instid1(VALU_DEP_2)
	;; [unrolled: 3-line block ×3, first 2 shown]
	v_add_co_ci_u32_e32 v20, vcc_lo, 0, v24, vcc_lo
	v_add_co_u32 v17, vcc_lo, v19, v37
	s_delay_alu instid0(VALU_DEP_2)
	v_add_co_ci_u32_e32 v18, vcc_lo, 0, v20, vcc_lo
.LBB676_89:
	s_waitcnt lgkmcnt(0)
	v_cmp_gt_u64_e32 vcc_lo, 0x81, v[13:14]
	s_mov_b32 s0, -1
	s_cbranch_vccnz .LBB676_117
.LBB676_90:
	s_and_b32 vcc_lo, exec_lo, s0
	s_cbranch_vccnz .LBB676_136
.LBB676_91:
	s_and_b32 s0, s2, s3
	s_delay_alu instid0(SALU_CYCLE_1)
	s_and_saveexec_b32 s1, s0
	s_cbranch_execnz .LBB676_152
.LBB676_92:
	s_nop 0
	s_sendmsg sendmsg(MSG_DEALLOC_VGPRS)
	s_endpgm
.LBB676_93:
                                        ; kill: def $vgpr13_vgpr14 killed $sgpr0_sgpr1 killed $exec
                                        ; implicit-def: $vgpr17_vgpr18
                                        ; implicit-def: $vgpr19_vgpr20
                                        ; implicit-def: $vgpr23_vgpr24
                                        ; implicit-def: $vgpr25_vgpr26
                                        ; implicit-def: $vgpr27_vgpr28
                                        ; implicit-def: $vgpr29_vgpr30
                                        ; implicit-def: $vgpr15_vgpr16
	s_and_b32 vcc_lo, exec_lo, s1
	s_cbranch_vccz .LBB676_89
; %bb.94:
	s_waitcnt lgkmcnt(0)
	v_dual_mov_b32 v14, 0 :: v_dual_mov_b32 v15, v21
	v_mov_b32_dpp v16, v21 row_shr:1 row_mask:0xf bank_mask:0xf
	s_delay_alu instid0(VALU_DEP_2)
	v_mov_b32_dpp v13, v14 row_shr:1 row_mask:0xf bank_mask:0xf
	s_and_saveexec_b32 s1, s0
; %bb.95:
	s_delay_alu instid0(VALU_DEP_2) | instskip(SKIP_1) | instid1(VALU_DEP_2)
	v_add_co_u32 v15, vcc_lo, v21, v16
	v_add_co_ci_u32_e32 v14, vcc_lo, 0, v22, vcc_lo
	v_add_co_u32 v21, vcc_lo, 0, v15
	s_delay_alu instid0(VALU_DEP_2) | instskip(NEXT) | instid1(VALU_DEP_1)
	v_add_co_ci_u32_e32 v22, vcc_lo, v13, v14, vcc_lo
	v_mov_b32_e32 v14, v22
; %bb.96:
	s_or_b32 exec_lo, exec_lo, s1
	v_mov_b32_dpp v13, v15 row_shr:2 row_mask:0xf bank_mask:0xf
	s_delay_alu instid0(VALU_DEP_2)
	v_mov_b32_dpp v16, v14 row_shr:2 row_mask:0xf bank_mask:0xf
	s_mov_b32 s0, exec_lo
	v_cmpx_lt_u32_e32 1, v44
; %bb.97:
	s_delay_alu instid0(VALU_DEP_3) | instskip(SKIP_1) | instid1(VALU_DEP_2)
	v_add_co_u32 v15, vcc_lo, v21, v13
	v_add_co_ci_u32_e32 v14, vcc_lo, 0, v22, vcc_lo
	v_add_co_u32 v13, vcc_lo, 0, v15
	s_delay_alu instid0(VALU_DEP_2) | instskip(NEXT) | instid1(VALU_DEP_1)
	v_add_co_ci_u32_e32 v14, vcc_lo, v16, v14, vcc_lo
	v_dual_mov_b32 v22, v14 :: v_dual_mov_b32 v21, v13
; %bb.98:
	s_or_b32 exec_lo, exec_lo, s0
	v_mov_b32_dpp v13, v15 row_shr:4 row_mask:0xf bank_mask:0xf
	v_mov_b32_dpp v16, v14 row_shr:4 row_mask:0xf bank_mask:0xf
	s_mov_b32 s0, exec_lo
	v_cmpx_lt_u32_e32 3, v44
; %bb.99:
	s_delay_alu instid0(VALU_DEP_3) | instskip(SKIP_1) | instid1(VALU_DEP_2)
	v_add_co_u32 v15, vcc_lo, v21, v13
	v_add_co_ci_u32_e32 v14, vcc_lo, 0, v22, vcc_lo
	v_add_co_u32 v13, vcc_lo, 0, v15
	s_delay_alu instid0(VALU_DEP_2) | instskip(NEXT) | instid1(VALU_DEP_1)
	v_add_co_ci_u32_e32 v14, vcc_lo, v16, v14, vcc_lo
	v_dual_mov_b32 v22, v14 :: v_dual_mov_b32 v21, v13
; %bb.100:
	s_or_b32 exec_lo, exec_lo, s0
	v_mov_b32_dpp v16, v15 row_shr:8 row_mask:0xf bank_mask:0xf
	v_mov_b32_dpp v13, v14 row_shr:8 row_mask:0xf bank_mask:0xf
	s_mov_b32 s0, exec_lo
	v_cmpx_lt_u32_e32 7, v44
; %bb.101:
	s_delay_alu instid0(VALU_DEP_3) | instskip(SKIP_1) | instid1(VALU_DEP_2)
	v_add_co_u32 v15, vcc_lo, v21, v16
	v_add_co_ci_u32_e32 v14, vcc_lo, 0, v22, vcc_lo
	v_add_co_u32 v21, vcc_lo, 0, v15
	s_delay_alu instid0(VALU_DEP_2) | instskip(NEXT) | instid1(VALU_DEP_1)
	v_add_co_ci_u32_e32 v22, vcc_lo, v13, v14, vcc_lo
	v_mov_b32_e32 v14, v22
; %bb.102:
	s_or_b32 exec_lo, exec_lo, s0
	ds_swizzle_b32 v15, v15 offset:swizzle(BROADCAST,32,15)
	ds_swizzle_b32 v13, v14 offset:swizzle(BROADCAST,32,15)
	v_and_b32_e32 v14, 16, v42
	s_mov_b32 s0, exec_lo
	s_delay_alu instid0(VALU_DEP_1)
	v_cmpx_ne_u32_e32 0, v14
	s_cbranch_execz .LBB676_104
; %bb.103:
	s_waitcnt lgkmcnt(1)
	v_add_co_u32 v14, vcc_lo, v21, v15
	v_add_co_ci_u32_e32 v15, vcc_lo, 0, v22, vcc_lo
	s_delay_alu instid0(VALU_DEP_2) | instskip(SKIP_1) | instid1(VALU_DEP_2)
	v_add_co_u32 v21, vcc_lo, v14, 0
	s_waitcnt lgkmcnt(0)
	v_add_co_ci_u32_e32 v22, vcc_lo, v15, v13, vcc_lo
.LBB676_104:
	s_or_b32 exec_lo, exec_lo, s0
	s_waitcnt lgkmcnt(0)
	v_or_b32_e32 v13, 31, v0
	v_lshrrev_b32_e32 v15, 5, v0
	s_mov_b32 s0, exec_lo
	s_delay_alu instid0(VALU_DEP_2)
	v_cmpx_eq_u32_e64 v13, v0
	s_cbranch_execz .LBB676_106
; %bb.105:
	s_delay_alu instid0(VALU_DEP_2)
	v_lshlrev_b32_e32 v13, 3, v15
	ds_store_b64 v13, v[21:22]
.LBB676_106:
	s_or_b32 exec_lo, exec_lo, s0
	s_delay_alu instid0(SALU_CYCLE_1)
	s_mov_b32 s0, exec_lo
	s_waitcnt lgkmcnt(0)
	s_barrier
	buffer_gl0_inv
	v_cmpx_gt_u32_e32 4, v0
	s_cbranch_execz .LBB676_112
; %bb.107:
	v_lshlrev_b32_e32 v13, 1, v0
	s_mov_b32 s1, exec_lo
	s_delay_alu instid0(VALU_DEP_1)
	v_add_nc_u32_e32 v16, v43, v13
	ds_load_b64 v[13:14], v16
	s_waitcnt lgkmcnt(0)
	v_dual_mov_b32 v18, v13 :: v_dual_and_b32 v17, 3, v42
	v_mov_b32_dpp v20, v13 row_shr:1 row_mask:0xf bank_mask:0xf
	v_mov_b32_dpp v19, v14 row_shr:1 row_mask:0xf bank_mask:0xf
	s_delay_alu instid0(VALU_DEP_3)
	v_cmpx_ne_u32_e32 0, v17
; %bb.108:
	s_delay_alu instid0(VALU_DEP_3) | instskip(SKIP_1) | instid1(VALU_DEP_2)
	v_add_co_u32 v18, vcc_lo, v13, v20
	v_add_co_ci_u32_e32 v14, vcc_lo, 0, v14, vcc_lo
	v_add_co_u32 v13, vcc_lo, 0, v18
	s_delay_alu instid0(VALU_DEP_2)
	v_add_co_ci_u32_e32 v14, vcc_lo, v19, v14, vcc_lo
; %bb.109:
	s_or_b32 exec_lo, exec_lo, s1
	v_mov_b32_dpp v19, v18 row_shr:2 row_mask:0xf bank_mask:0xf
	s_delay_alu instid0(VALU_DEP_2)
	v_mov_b32_dpp v18, v14 row_shr:2 row_mask:0xf bank_mask:0xf
	s_mov_b32 s1, exec_lo
	v_cmpx_lt_u32_e32 1, v17
; %bb.110:
	s_delay_alu instid0(VALU_DEP_3) | instskip(SKIP_1) | instid1(VALU_DEP_2)
	v_add_co_u32 v13, vcc_lo, v13, v19
	v_add_co_ci_u32_e32 v14, vcc_lo, 0, v14, vcc_lo
	v_add_co_u32 v13, vcc_lo, v13, 0
	s_delay_alu instid0(VALU_DEP_2)
	v_add_co_ci_u32_e32 v14, vcc_lo, v14, v18, vcc_lo
; %bb.111:
	s_or_b32 exec_lo, exec_lo, s1
	ds_store_b64 v16, v[13:14]
.LBB676_112:
	s_or_b32 exec_lo, exec_lo, s0
	v_mov_b32_e32 v17, 0
	v_mov_b32_e32 v18, 0
	s_mov_b32 s0, exec_lo
	s_waitcnt lgkmcnt(0)
	s_barrier
	buffer_gl0_inv
	v_cmpx_lt_u32_e32 31, v0
	s_cbranch_execz .LBB676_114
; %bb.113:
	v_lshl_add_u32 v13, v15, 3, -8
	ds_load_b64 v[17:18], v13
.LBB676_114:
	s_or_b32 exec_lo, exec_lo, s0
	v_dual_mov_b32 v16, 0 :: v_dual_add_nc_u32 v13, -1, v42
	s_delay_alu instid0(VALU_DEP_1) | instskip(SKIP_4) | instid1(VALU_DEP_3)
	v_cmp_gt_i32_e32 vcc_lo, 0, v13
	v_cndmask_b32_e32 v13, v13, v42, vcc_lo
	s_waitcnt lgkmcnt(0)
	v_add_co_u32 v14, vcc_lo, v17, v21
	v_add_co_ci_u32_e32 v15, vcc_lo, v18, v22, vcc_lo
	v_lshlrev_b32_e32 v13, 2, v13
	ds_bpermute_b32 v19, v13, v14
	ds_bpermute_b32 v20, v13, v15
	ds_load_b64 v[13:14], v16 offset:24
	s_and_saveexec_b32 s0, s2
	s_cbranch_execz .LBB676_116
; %bb.115:
	s_add_u32 s10, s14, 0x200
	s_addc_u32 s11, s15, 0
	s_delay_alu instid0(SALU_CYCLE_1)
	v_dual_mov_b32 v15, 2 :: v_dual_mov_b32 v22, s11
	v_mov_b32_e32 v21, s10
	s_waitcnt lgkmcnt(0)
	;;#ASMSTART
	global_store_dwordx4 v[21:22], v[13:16] off	
s_waitcnt vmcnt(0)
	;;#ASMEND
.LBB676_116:
	s_or_b32 exec_lo, exec_lo, s0
	v_cmp_eq_u32_e32 vcc_lo, 0, v42
	s_waitcnt lgkmcnt(0)
	s_barrier
	buffer_gl0_inv
	v_dual_cndmask_b32 v15, v19, v17 :: v_dual_cndmask_b32 v16, v20, v18
	s_delay_alu instid0(VALU_DEP_1) | instskip(NEXT) | instid1(VALU_DEP_2)
	v_cndmask_b32_e64 v29, v15, 0, s2
	v_cndmask_b32_e64 v30, v16, 0, s2
	v_mov_b32_e32 v15, 0
	v_mov_b32_e32 v16, 0
	s_delay_alu instid0(VALU_DEP_4) | instskip(NEXT) | instid1(VALU_DEP_4)
	v_add_co_u32 v27, vcc_lo, v29, v41
	v_add_co_ci_u32_e32 v28, vcc_lo, 0, v30, vcc_lo
	s_delay_alu instid0(VALU_DEP_2) | instskip(NEXT) | instid1(VALU_DEP_2)
	v_add_co_u32 v25, vcc_lo, v27, v40
	v_add_co_ci_u32_e32 v26, vcc_lo, 0, v28, vcc_lo
	s_delay_alu instid0(VALU_DEP_2) | instskip(NEXT) | instid1(VALU_DEP_2)
	;; [unrolled: 3-line block ×4, first 2 shown]
	v_add_co_u32 v17, vcc_lo, v19, v37
	v_add_co_ci_u32_e32 v18, vcc_lo, 0, v20, vcc_lo
	v_cmp_gt_u64_e32 vcc_lo, 0x81, v[13:14]
	s_mov_b32 s0, -1
	s_cbranch_vccz .LBB676_90
.LBB676_117:
	v_add_co_u32 v21, vcc_lo, v15, v13
	v_add_co_ci_u32_e32 v22, vcc_lo, v16, v14, vcc_lo
	s_delay_alu instid0(VALU_DEP_1) | instskip(SKIP_1) | instid1(SALU_CYCLE_1)
	v_cmp_lt_u64_e32 vcc_lo, v[29:30], v[21:22]
	s_or_b32 s1, s8, vcc_lo
	s_and_saveexec_b32 s0, s1
	s_cbranch_execz .LBB676_120
; %bb.118:
	v_and_b32_e32 v37, 1, v36
	s_delay_alu instid0(VALU_DEP_1)
	v_cmp_eq_u32_e32 vcc_lo, 1, v37
	s_and_b32 exec_lo, exec_lo, vcc_lo
	s_cbranch_execz .LBB676_120
; %bb.119:
	v_lshlrev_b64 v[37:38], 3, v[29:30]
	s_lshl_b64 s[10:11], s[6:7], 3
	s_delay_alu instid0(SALU_CYCLE_1) | instskip(SKIP_1) | instid1(VALU_DEP_1)
	s_add_u32 s1, s12, s10
	s_addc_u32 s9, s13, s11
	v_add_co_u32 v37, vcc_lo, s1, v37
	s_delay_alu instid0(VALU_DEP_2)
	v_add_co_ci_u32_e32 v38, vcc_lo, s9, v38, vcc_lo
	global_store_b64 v[37:38], v[9:10], off
.LBB676_120:
	s_or_b32 exec_lo, exec_lo, s0
	v_cmp_lt_u64_e32 vcc_lo, v[27:28], v[21:22]
	s_or_b32 s1, s8, vcc_lo
	s_delay_alu instid0(SALU_CYCLE_1)
	s_and_saveexec_b32 s0, s1
	s_cbranch_execz .LBB676_123
; %bb.121:
	v_and_b32_e32 v30, 1, v34
	s_delay_alu instid0(VALU_DEP_1)
	v_cmp_eq_u32_e32 vcc_lo, 1, v30
	s_and_b32 exec_lo, exec_lo, vcc_lo
	s_cbranch_execz .LBB676_123
; %bb.122:
	v_lshlrev_b64 v[37:38], 3, v[27:28]
	s_lshl_b64 s[10:11], s[6:7], 3
	s_delay_alu instid0(SALU_CYCLE_1) | instskip(SKIP_1) | instid1(VALU_DEP_1)
	s_add_u32 s1, s12, s10
	s_addc_u32 s9, s13, s11
	v_add_co_u32 v37, vcc_lo, s1, v37
	s_delay_alu instid0(VALU_DEP_2)
	v_add_co_ci_u32_e32 v38, vcc_lo, s9, v38, vcc_lo
	global_store_b64 v[37:38], v[11:12], off
.LBB676_123:
	s_or_b32 exec_lo, exec_lo, s0
	v_cmp_lt_u64_e32 vcc_lo, v[25:26], v[21:22]
	s_or_b32 s1, s8, vcc_lo
	s_delay_alu instid0(SALU_CYCLE_1)
	;; [unrolled: 23-line block ×5, first 2 shown]
	s_and_saveexec_b32 s0, s1
	s_cbranch_execz .LBB676_135
; %bb.133:
	v_and_b32_e32 v20, 1, v32
	s_delay_alu instid0(VALU_DEP_1)
	v_cmp_eq_u32_e32 vcc_lo, 1, v20
	s_and_b32 exec_lo, exec_lo, vcc_lo
	s_cbranch_execz .LBB676_135
; %bb.134:
	v_lshlrev_b64 v[20:21], 3, v[17:18]
	s_lshl_b64 s[8:9], s[6:7], 3
	s_delay_alu instid0(SALU_CYCLE_1) | instskip(SKIP_1) | instid1(VALU_DEP_1)
	s_add_u32 s1, s12, s8
	s_addc_u32 s8, s13, s9
	v_add_co_u32 v20, vcc_lo, s1, v20
	s_delay_alu instid0(VALU_DEP_2)
	v_add_co_ci_u32_e32 v21, vcc_lo, s8, v21, vcc_lo
	global_store_b64 v[20:21], v[3:4], off
.LBB676_135:
	s_or_b32 exec_lo, exec_lo, s0
	s_branch .LBB676_91
.LBB676_136:
	v_and_b32_e32 v18, 1, v36
	s_mov_b32 s0, exec_lo
	s_delay_alu instid0(VALU_DEP_1)
	v_cmpx_eq_u32_e32 1, v18
	s_cbranch_execz .LBB676_138
; %bb.137:
	v_sub_nc_u32_e32 v18, v29, v15
	s_delay_alu instid0(VALU_DEP_1)
	v_lshlrev_b32_e32 v18, 3, v18
	ds_store_b64 v18, v[9:10]
.LBB676_138:
	s_or_b32 exec_lo, exec_lo, s0
	v_and_b32_e32 v9, 1, v34
	s_mov_b32 s0, exec_lo
	s_delay_alu instid0(VALU_DEP_1)
	v_cmpx_eq_u32_e32 1, v9
	s_cbranch_execz .LBB676_140
; %bb.139:
	v_sub_nc_u32_e32 v9, v27, v15
	s_delay_alu instid0(VALU_DEP_1)
	v_lshlrev_b32_e32 v9, 3, v9
	ds_store_b64 v9, v[11:12]
.LBB676_140:
	s_or_b32 exec_lo, exec_lo, s0
	v_and_b32_e32 v9, 1, v33
	s_mov_b32 s0, exec_lo
	s_delay_alu instid0(VALU_DEP_1)
	v_cmpx_eq_u32_e32 1, v9
	s_cbranch_execz .LBB676_142
; %bb.141:
	v_sub_nc_u32_e32 v9, v25, v15
	s_delay_alu instid0(VALU_DEP_1)
	v_lshlrev_b32_e32 v9, 3, v9
	ds_store_b64 v9, v[5:6]
.LBB676_142:
	s_or_b32 exec_lo, exec_lo, s0
	v_and_b32_e32 v5, 1, v35
	s_mov_b32 s0, exec_lo
	s_delay_alu instid0(VALU_DEP_1)
	v_cmpx_eq_u32_e32 1, v5
	s_cbranch_execz .LBB676_144
; %bb.143:
	v_sub_nc_u32_e32 v5, v23, v15
	s_delay_alu instid0(VALU_DEP_1)
	v_lshlrev_b32_e32 v5, 3, v5
	ds_store_b64 v5, v[7:8]
.LBB676_144:
	s_or_b32 exec_lo, exec_lo, s0
	v_and_b32_e32 v5, 1, v31
	s_mov_b32 s0, exec_lo
	s_delay_alu instid0(VALU_DEP_1)
	v_cmpx_eq_u32_e32 1, v5
	s_cbranch_execz .LBB676_146
; %bb.145:
	v_sub_nc_u32_e32 v5, v19, v15
	s_delay_alu instid0(VALU_DEP_1)
	v_lshlrev_b32_e32 v5, 3, v5
	ds_store_b64 v5, v[1:2]
.LBB676_146:
	s_or_b32 exec_lo, exec_lo, s0
	v_and_b32_e32 v1, 1, v32
	s_mov_b32 s0, exec_lo
	s_delay_alu instid0(VALU_DEP_1)
	v_cmpx_eq_u32_e32 1, v1
	s_cbranch_execz .LBB676_148
; %bb.147:
	v_sub_nc_u32_e32 v1, v17, v15
	s_delay_alu instid0(VALU_DEP_1)
	v_lshlrev_b32_e32 v1, 3, v1
	ds_store_b64 v1, v[3:4]
.LBB676_148:
	s_or_b32 exec_lo, exec_lo, s0
	v_mov_b32_e32 v1, 0
	s_mov_b32 s1, exec_lo
	s_waitcnt lgkmcnt(0)
	s_waitcnt_vscnt null, 0x0
	s_barrier
	buffer_gl0_inv
	v_cmpx_gt_u64_e64 v[13:14], v[0:1]
	s_cbranch_execz .LBB676_151
; %bb.149:
	v_lshlrev_b64 v[4:5], 3, v[15:16]
	s_lshl_b64 s[8:9], s[6:7], 3
	v_dual_mov_b32 v3, v1 :: v_dual_mov_b32 v2, v0
	v_or_b32_e32 v0, 0x80, v0
	s_delay_alu instid0(VALU_DEP_3) | instskip(NEXT) | instid1(VALU_DEP_4)
	v_add_co_u32 v4, vcc_lo, s12, v4
	v_add_co_ci_u32_e32 v5, vcc_lo, s13, v5, vcc_lo
	s_delay_alu instid0(VALU_DEP_2) | instskip(NEXT) | instid1(VALU_DEP_2)
	v_add_co_u32 v4, vcc_lo, v4, s8
	v_add_co_ci_u32_e32 v5, vcc_lo, s9, v5, vcc_lo
	s_mov_b32 s8, 0
	.p2align	6
.LBB676_150:                            ; =>This Inner Loop Header: Depth=1
	v_lshlrev_b32_e32 v6, 3, v2
	v_lshlrev_b64 v[8:9], 3, v[2:3]
	v_mov_b32_e32 v3, v1
	v_cmp_le_u64_e32 vcc_lo, v[13:14], v[0:1]
	v_mov_b32_e32 v2, v0
	ds_load_b64 v[6:7], v6
	v_add_nc_u32_e32 v0, 0x80, v0
	v_add_co_u32 v8, s0, v4, v8
	s_delay_alu instid0(VALU_DEP_1)
	v_add_co_ci_u32_e64 v9, s0, v5, v9, s0
	s_or_b32 s8, vcc_lo, s8
	s_waitcnt lgkmcnt(0)
	global_store_b64 v[8:9], v[6:7], off
	s_and_not1_b32 exec_lo, exec_lo, s8
	s_cbranch_execnz .LBB676_150
.LBB676_151:
	s_or_b32 exec_lo, exec_lo, s1
	s_and_b32 s0, s2, s3
	s_delay_alu instid0(SALU_CYCLE_1)
	s_and_saveexec_b32 s1, s0
	s_cbranch_execz .LBB676_92
.LBB676_152:
	v_add_co_u32 v0, vcc_lo, v15, v13
	v_add_co_ci_u32_e32 v1, vcc_lo, v16, v14, vcc_lo
	v_mov_b32_e32 v2, 0
	s_delay_alu instid0(VALU_DEP_3) | instskip(NEXT) | instid1(VALU_DEP_3)
	v_add_co_u32 v0, vcc_lo, v0, s6
	v_add_co_ci_u32_e32 v1, vcc_lo, s7, v1, vcc_lo
	global_store_b64 v2, v[0:1], s[4:5]
	s_nop 0
	s_sendmsg sendmsg(MSG_DEALLOC_VGPRS)
	s_endpgm
	.section	.rodata,"a",@progbits
	.p2align	6, 0x0
	.amdhsa_kernel _ZN7rocprim17ROCPRIM_400000_NS6detail17trampoline_kernelINS0_14default_configENS1_25partition_config_selectorILNS1_17partition_subalgoE5ElNS0_10empty_typeEbEEZZNS1_14partition_implILS5_5ELb0ES3_mN6hipcub16HIPCUB_304000_NS21CountingInputIteratorIllEEPS6_NSA_22TransformInputIteratorIbN2at6native12_GLOBAL__N_19NonZeroOpIN3c107complexINSJ_4HalfEEEEEPKSM_lEENS0_5tupleIJPlS6_EEENSR_IJSD_SD_EEES6_PiJS6_EEE10hipError_tPvRmT3_T4_T5_T6_T7_T9_mT8_P12ihipStream_tbDpT10_ENKUlT_T0_E_clISt17integral_constantIbLb1EES1F_EEDaS1A_S1B_EUlS1A_E_NS1_11comp_targetILNS1_3genE9ELNS1_11target_archE1100ELNS1_3gpuE3ELNS1_3repE0EEENS1_30default_config_static_selectorELNS0_4arch9wavefront6targetE0EEEvT1_
		.amdhsa_group_segment_fixed_size 6160
		.amdhsa_private_segment_fixed_size 0
		.amdhsa_kernarg_size 136
		.amdhsa_user_sgpr_count 15
		.amdhsa_user_sgpr_dispatch_ptr 0
		.amdhsa_user_sgpr_queue_ptr 0
		.amdhsa_user_sgpr_kernarg_segment_ptr 1
		.amdhsa_user_sgpr_dispatch_id 0
		.amdhsa_user_sgpr_private_segment_size 0
		.amdhsa_wavefront_size32 1
		.amdhsa_uses_dynamic_stack 0
		.amdhsa_enable_private_segment 0
		.amdhsa_system_sgpr_workgroup_id_x 1
		.amdhsa_system_sgpr_workgroup_id_y 0
		.amdhsa_system_sgpr_workgroup_id_z 0
		.amdhsa_system_sgpr_workgroup_info 0
		.amdhsa_system_vgpr_workitem_id 0
		.amdhsa_next_free_vgpr 57
		.amdhsa_next_free_sgpr 24
		.amdhsa_reserve_vcc 1
		.amdhsa_float_round_mode_32 0
		.amdhsa_float_round_mode_16_64 0
		.amdhsa_float_denorm_mode_32 3
		.amdhsa_float_denorm_mode_16_64 3
		.amdhsa_dx10_clamp 1
		.amdhsa_ieee_mode 1
		.amdhsa_fp16_overflow 0
		.amdhsa_workgroup_processor_mode 1
		.amdhsa_memory_ordered 1
		.amdhsa_forward_progress 0
		.amdhsa_shared_vgpr_count 0
		.amdhsa_exception_fp_ieee_invalid_op 0
		.amdhsa_exception_fp_denorm_src 0
		.amdhsa_exception_fp_ieee_div_zero 0
		.amdhsa_exception_fp_ieee_overflow 0
		.amdhsa_exception_fp_ieee_underflow 0
		.amdhsa_exception_fp_ieee_inexact 0
		.amdhsa_exception_int_div_zero 0
	.end_amdhsa_kernel
	.section	.text._ZN7rocprim17ROCPRIM_400000_NS6detail17trampoline_kernelINS0_14default_configENS1_25partition_config_selectorILNS1_17partition_subalgoE5ElNS0_10empty_typeEbEEZZNS1_14partition_implILS5_5ELb0ES3_mN6hipcub16HIPCUB_304000_NS21CountingInputIteratorIllEEPS6_NSA_22TransformInputIteratorIbN2at6native12_GLOBAL__N_19NonZeroOpIN3c107complexINSJ_4HalfEEEEEPKSM_lEENS0_5tupleIJPlS6_EEENSR_IJSD_SD_EEES6_PiJS6_EEE10hipError_tPvRmT3_T4_T5_T6_T7_T9_mT8_P12ihipStream_tbDpT10_ENKUlT_T0_E_clISt17integral_constantIbLb1EES1F_EEDaS1A_S1B_EUlS1A_E_NS1_11comp_targetILNS1_3genE9ELNS1_11target_archE1100ELNS1_3gpuE3ELNS1_3repE0EEENS1_30default_config_static_selectorELNS0_4arch9wavefront6targetE0EEEvT1_,"axG",@progbits,_ZN7rocprim17ROCPRIM_400000_NS6detail17trampoline_kernelINS0_14default_configENS1_25partition_config_selectorILNS1_17partition_subalgoE5ElNS0_10empty_typeEbEEZZNS1_14partition_implILS5_5ELb0ES3_mN6hipcub16HIPCUB_304000_NS21CountingInputIteratorIllEEPS6_NSA_22TransformInputIteratorIbN2at6native12_GLOBAL__N_19NonZeroOpIN3c107complexINSJ_4HalfEEEEEPKSM_lEENS0_5tupleIJPlS6_EEENSR_IJSD_SD_EEES6_PiJS6_EEE10hipError_tPvRmT3_T4_T5_T6_T7_T9_mT8_P12ihipStream_tbDpT10_ENKUlT_T0_E_clISt17integral_constantIbLb1EES1F_EEDaS1A_S1B_EUlS1A_E_NS1_11comp_targetILNS1_3genE9ELNS1_11target_archE1100ELNS1_3gpuE3ELNS1_3repE0EEENS1_30default_config_static_selectorELNS0_4arch9wavefront6targetE0EEEvT1_,comdat
.Lfunc_end676:
	.size	_ZN7rocprim17ROCPRIM_400000_NS6detail17trampoline_kernelINS0_14default_configENS1_25partition_config_selectorILNS1_17partition_subalgoE5ElNS0_10empty_typeEbEEZZNS1_14partition_implILS5_5ELb0ES3_mN6hipcub16HIPCUB_304000_NS21CountingInputIteratorIllEEPS6_NSA_22TransformInputIteratorIbN2at6native12_GLOBAL__N_19NonZeroOpIN3c107complexINSJ_4HalfEEEEEPKSM_lEENS0_5tupleIJPlS6_EEENSR_IJSD_SD_EEES6_PiJS6_EEE10hipError_tPvRmT3_T4_T5_T6_T7_T9_mT8_P12ihipStream_tbDpT10_ENKUlT_T0_E_clISt17integral_constantIbLb1EES1F_EEDaS1A_S1B_EUlS1A_E_NS1_11comp_targetILNS1_3genE9ELNS1_11target_archE1100ELNS1_3gpuE3ELNS1_3repE0EEENS1_30default_config_static_selectorELNS0_4arch9wavefront6targetE0EEEvT1_, .Lfunc_end676-_ZN7rocprim17ROCPRIM_400000_NS6detail17trampoline_kernelINS0_14default_configENS1_25partition_config_selectorILNS1_17partition_subalgoE5ElNS0_10empty_typeEbEEZZNS1_14partition_implILS5_5ELb0ES3_mN6hipcub16HIPCUB_304000_NS21CountingInputIteratorIllEEPS6_NSA_22TransformInputIteratorIbN2at6native12_GLOBAL__N_19NonZeroOpIN3c107complexINSJ_4HalfEEEEEPKSM_lEENS0_5tupleIJPlS6_EEENSR_IJSD_SD_EEES6_PiJS6_EEE10hipError_tPvRmT3_T4_T5_T6_T7_T9_mT8_P12ihipStream_tbDpT10_ENKUlT_T0_E_clISt17integral_constantIbLb1EES1F_EEDaS1A_S1B_EUlS1A_E_NS1_11comp_targetILNS1_3genE9ELNS1_11target_archE1100ELNS1_3gpuE3ELNS1_3repE0EEENS1_30default_config_static_selectorELNS0_4arch9wavefront6targetE0EEEvT1_
                                        ; -- End function
	.section	.AMDGPU.csdata,"",@progbits
; Kernel info:
; codeLenInByte = 6852
; NumSgprs: 26
; NumVgprs: 57
; ScratchSize: 0
; MemoryBound: 0
; FloatMode: 240
; IeeeMode: 1
; LDSByteSize: 6160 bytes/workgroup (compile time only)
; SGPRBlocks: 3
; VGPRBlocks: 7
; NumSGPRsForWavesPerEU: 26
; NumVGPRsForWavesPerEU: 57
; Occupancy: 16
; WaveLimiterHint : 1
; COMPUTE_PGM_RSRC2:SCRATCH_EN: 0
; COMPUTE_PGM_RSRC2:USER_SGPR: 15
; COMPUTE_PGM_RSRC2:TRAP_HANDLER: 0
; COMPUTE_PGM_RSRC2:TGID_X_EN: 1
; COMPUTE_PGM_RSRC2:TGID_Y_EN: 0
; COMPUTE_PGM_RSRC2:TGID_Z_EN: 0
; COMPUTE_PGM_RSRC2:TIDIG_COMP_CNT: 0
	.section	.text._ZN7rocprim17ROCPRIM_400000_NS6detail17trampoline_kernelINS0_14default_configENS1_25partition_config_selectorILNS1_17partition_subalgoE5ElNS0_10empty_typeEbEEZZNS1_14partition_implILS5_5ELb0ES3_mN6hipcub16HIPCUB_304000_NS21CountingInputIteratorIllEEPS6_NSA_22TransformInputIteratorIbN2at6native12_GLOBAL__N_19NonZeroOpIN3c107complexINSJ_4HalfEEEEEPKSM_lEENS0_5tupleIJPlS6_EEENSR_IJSD_SD_EEES6_PiJS6_EEE10hipError_tPvRmT3_T4_T5_T6_T7_T9_mT8_P12ihipStream_tbDpT10_ENKUlT_T0_E_clISt17integral_constantIbLb1EES1F_EEDaS1A_S1B_EUlS1A_E_NS1_11comp_targetILNS1_3genE8ELNS1_11target_archE1030ELNS1_3gpuE2ELNS1_3repE0EEENS1_30default_config_static_selectorELNS0_4arch9wavefront6targetE0EEEvT1_,"axG",@progbits,_ZN7rocprim17ROCPRIM_400000_NS6detail17trampoline_kernelINS0_14default_configENS1_25partition_config_selectorILNS1_17partition_subalgoE5ElNS0_10empty_typeEbEEZZNS1_14partition_implILS5_5ELb0ES3_mN6hipcub16HIPCUB_304000_NS21CountingInputIteratorIllEEPS6_NSA_22TransformInputIteratorIbN2at6native12_GLOBAL__N_19NonZeroOpIN3c107complexINSJ_4HalfEEEEEPKSM_lEENS0_5tupleIJPlS6_EEENSR_IJSD_SD_EEES6_PiJS6_EEE10hipError_tPvRmT3_T4_T5_T6_T7_T9_mT8_P12ihipStream_tbDpT10_ENKUlT_T0_E_clISt17integral_constantIbLb1EES1F_EEDaS1A_S1B_EUlS1A_E_NS1_11comp_targetILNS1_3genE8ELNS1_11target_archE1030ELNS1_3gpuE2ELNS1_3repE0EEENS1_30default_config_static_selectorELNS0_4arch9wavefront6targetE0EEEvT1_,comdat
	.globl	_ZN7rocprim17ROCPRIM_400000_NS6detail17trampoline_kernelINS0_14default_configENS1_25partition_config_selectorILNS1_17partition_subalgoE5ElNS0_10empty_typeEbEEZZNS1_14partition_implILS5_5ELb0ES3_mN6hipcub16HIPCUB_304000_NS21CountingInputIteratorIllEEPS6_NSA_22TransformInputIteratorIbN2at6native12_GLOBAL__N_19NonZeroOpIN3c107complexINSJ_4HalfEEEEEPKSM_lEENS0_5tupleIJPlS6_EEENSR_IJSD_SD_EEES6_PiJS6_EEE10hipError_tPvRmT3_T4_T5_T6_T7_T9_mT8_P12ihipStream_tbDpT10_ENKUlT_T0_E_clISt17integral_constantIbLb1EES1F_EEDaS1A_S1B_EUlS1A_E_NS1_11comp_targetILNS1_3genE8ELNS1_11target_archE1030ELNS1_3gpuE2ELNS1_3repE0EEENS1_30default_config_static_selectorELNS0_4arch9wavefront6targetE0EEEvT1_ ; -- Begin function _ZN7rocprim17ROCPRIM_400000_NS6detail17trampoline_kernelINS0_14default_configENS1_25partition_config_selectorILNS1_17partition_subalgoE5ElNS0_10empty_typeEbEEZZNS1_14partition_implILS5_5ELb0ES3_mN6hipcub16HIPCUB_304000_NS21CountingInputIteratorIllEEPS6_NSA_22TransformInputIteratorIbN2at6native12_GLOBAL__N_19NonZeroOpIN3c107complexINSJ_4HalfEEEEEPKSM_lEENS0_5tupleIJPlS6_EEENSR_IJSD_SD_EEES6_PiJS6_EEE10hipError_tPvRmT3_T4_T5_T6_T7_T9_mT8_P12ihipStream_tbDpT10_ENKUlT_T0_E_clISt17integral_constantIbLb1EES1F_EEDaS1A_S1B_EUlS1A_E_NS1_11comp_targetILNS1_3genE8ELNS1_11target_archE1030ELNS1_3gpuE2ELNS1_3repE0EEENS1_30default_config_static_selectorELNS0_4arch9wavefront6targetE0EEEvT1_
	.p2align	8
	.type	_ZN7rocprim17ROCPRIM_400000_NS6detail17trampoline_kernelINS0_14default_configENS1_25partition_config_selectorILNS1_17partition_subalgoE5ElNS0_10empty_typeEbEEZZNS1_14partition_implILS5_5ELb0ES3_mN6hipcub16HIPCUB_304000_NS21CountingInputIteratorIllEEPS6_NSA_22TransformInputIteratorIbN2at6native12_GLOBAL__N_19NonZeroOpIN3c107complexINSJ_4HalfEEEEEPKSM_lEENS0_5tupleIJPlS6_EEENSR_IJSD_SD_EEES6_PiJS6_EEE10hipError_tPvRmT3_T4_T5_T6_T7_T9_mT8_P12ihipStream_tbDpT10_ENKUlT_T0_E_clISt17integral_constantIbLb1EES1F_EEDaS1A_S1B_EUlS1A_E_NS1_11comp_targetILNS1_3genE8ELNS1_11target_archE1030ELNS1_3gpuE2ELNS1_3repE0EEENS1_30default_config_static_selectorELNS0_4arch9wavefront6targetE0EEEvT1_,@function
_ZN7rocprim17ROCPRIM_400000_NS6detail17trampoline_kernelINS0_14default_configENS1_25partition_config_selectorILNS1_17partition_subalgoE5ElNS0_10empty_typeEbEEZZNS1_14partition_implILS5_5ELb0ES3_mN6hipcub16HIPCUB_304000_NS21CountingInputIteratorIllEEPS6_NSA_22TransformInputIteratorIbN2at6native12_GLOBAL__N_19NonZeroOpIN3c107complexINSJ_4HalfEEEEEPKSM_lEENS0_5tupleIJPlS6_EEENSR_IJSD_SD_EEES6_PiJS6_EEE10hipError_tPvRmT3_T4_T5_T6_T7_T9_mT8_P12ihipStream_tbDpT10_ENKUlT_T0_E_clISt17integral_constantIbLb1EES1F_EEDaS1A_S1B_EUlS1A_E_NS1_11comp_targetILNS1_3genE8ELNS1_11target_archE1030ELNS1_3gpuE2ELNS1_3repE0EEENS1_30default_config_static_selectorELNS0_4arch9wavefront6targetE0EEEvT1_: ; @_ZN7rocprim17ROCPRIM_400000_NS6detail17trampoline_kernelINS0_14default_configENS1_25partition_config_selectorILNS1_17partition_subalgoE5ElNS0_10empty_typeEbEEZZNS1_14partition_implILS5_5ELb0ES3_mN6hipcub16HIPCUB_304000_NS21CountingInputIteratorIllEEPS6_NSA_22TransformInputIteratorIbN2at6native12_GLOBAL__N_19NonZeroOpIN3c107complexINSJ_4HalfEEEEEPKSM_lEENS0_5tupleIJPlS6_EEENSR_IJSD_SD_EEES6_PiJS6_EEE10hipError_tPvRmT3_T4_T5_T6_T7_T9_mT8_P12ihipStream_tbDpT10_ENKUlT_T0_E_clISt17integral_constantIbLb1EES1F_EEDaS1A_S1B_EUlS1A_E_NS1_11comp_targetILNS1_3genE8ELNS1_11target_archE1030ELNS1_3gpuE2ELNS1_3repE0EEENS1_30default_config_static_selectorELNS0_4arch9wavefront6targetE0EEEvT1_
; %bb.0:
	.section	.rodata,"a",@progbits
	.p2align	6, 0x0
	.amdhsa_kernel _ZN7rocprim17ROCPRIM_400000_NS6detail17trampoline_kernelINS0_14default_configENS1_25partition_config_selectorILNS1_17partition_subalgoE5ElNS0_10empty_typeEbEEZZNS1_14partition_implILS5_5ELb0ES3_mN6hipcub16HIPCUB_304000_NS21CountingInputIteratorIllEEPS6_NSA_22TransformInputIteratorIbN2at6native12_GLOBAL__N_19NonZeroOpIN3c107complexINSJ_4HalfEEEEEPKSM_lEENS0_5tupleIJPlS6_EEENSR_IJSD_SD_EEES6_PiJS6_EEE10hipError_tPvRmT3_T4_T5_T6_T7_T9_mT8_P12ihipStream_tbDpT10_ENKUlT_T0_E_clISt17integral_constantIbLb1EES1F_EEDaS1A_S1B_EUlS1A_E_NS1_11comp_targetILNS1_3genE8ELNS1_11target_archE1030ELNS1_3gpuE2ELNS1_3repE0EEENS1_30default_config_static_selectorELNS0_4arch9wavefront6targetE0EEEvT1_
		.amdhsa_group_segment_fixed_size 0
		.amdhsa_private_segment_fixed_size 0
		.amdhsa_kernarg_size 136
		.amdhsa_user_sgpr_count 15
		.amdhsa_user_sgpr_dispatch_ptr 0
		.amdhsa_user_sgpr_queue_ptr 0
		.amdhsa_user_sgpr_kernarg_segment_ptr 1
		.amdhsa_user_sgpr_dispatch_id 0
		.amdhsa_user_sgpr_private_segment_size 0
		.amdhsa_wavefront_size32 1
		.amdhsa_uses_dynamic_stack 0
		.amdhsa_enable_private_segment 0
		.amdhsa_system_sgpr_workgroup_id_x 1
		.amdhsa_system_sgpr_workgroup_id_y 0
		.amdhsa_system_sgpr_workgroup_id_z 0
		.amdhsa_system_sgpr_workgroup_info 0
		.amdhsa_system_vgpr_workitem_id 0
		.amdhsa_next_free_vgpr 1
		.amdhsa_next_free_sgpr 1
		.amdhsa_reserve_vcc 0
		.amdhsa_float_round_mode_32 0
		.amdhsa_float_round_mode_16_64 0
		.amdhsa_float_denorm_mode_32 3
		.amdhsa_float_denorm_mode_16_64 3
		.amdhsa_dx10_clamp 1
		.amdhsa_ieee_mode 1
		.amdhsa_fp16_overflow 0
		.amdhsa_workgroup_processor_mode 1
		.amdhsa_memory_ordered 1
		.amdhsa_forward_progress 0
		.amdhsa_shared_vgpr_count 0
		.amdhsa_exception_fp_ieee_invalid_op 0
		.amdhsa_exception_fp_denorm_src 0
		.amdhsa_exception_fp_ieee_div_zero 0
		.amdhsa_exception_fp_ieee_overflow 0
		.amdhsa_exception_fp_ieee_underflow 0
		.amdhsa_exception_fp_ieee_inexact 0
		.amdhsa_exception_int_div_zero 0
	.end_amdhsa_kernel
	.section	.text._ZN7rocprim17ROCPRIM_400000_NS6detail17trampoline_kernelINS0_14default_configENS1_25partition_config_selectorILNS1_17partition_subalgoE5ElNS0_10empty_typeEbEEZZNS1_14partition_implILS5_5ELb0ES3_mN6hipcub16HIPCUB_304000_NS21CountingInputIteratorIllEEPS6_NSA_22TransformInputIteratorIbN2at6native12_GLOBAL__N_19NonZeroOpIN3c107complexINSJ_4HalfEEEEEPKSM_lEENS0_5tupleIJPlS6_EEENSR_IJSD_SD_EEES6_PiJS6_EEE10hipError_tPvRmT3_T4_T5_T6_T7_T9_mT8_P12ihipStream_tbDpT10_ENKUlT_T0_E_clISt17integral_constantIbLb1EES1F_EEDaS1A_S1B_EUlS1A_E_NS1_11comp_targetILNS1_3genE8ELNS1_11target_archE1030ELNS1_3gpuE2ELNS1_3repE0EEENS1_30default_config_static_selectorELNS0_4arch9wavefront6targetE0EEEvT1_,"axG",@progbits,_ZN7rocprim17ROCPRIM_400000_NS6detail17trampoline_kernelINS0_14default_configENS1_25partition_config_selectorILNS1_17partition_subalgoE5ElNS0_10empty_typeEbEEZZNS1_14partition_implILS5_5ELb0ES3_mN6hipcub16HIPCUB_304000_NS21CountingInputIteratorIllEEPS6_NSA_22TransformInputIteratorIbN2at6native12_GLOBAL__N_19NonZeroOpIN3c107complexINSJ_4HalfEEEEEPKSM_lEENS0_5tupleIJPlS6_EEENSR_IJSD_SD_EEES6_PiJS6_EEE10hipError_tPvRmT3_T4_T5_T6_T7_T9_mT8_P12ihipStream_tbDpT10_ENKUlT_T0_E_clISt17integral_constantIbLb1EES1F_EEDaS1A_S1B_EUlS1A_E_NS1_11comp_targetILNS1_3genE8ELNS1_11target_archE1030ELNS1_3gpuE2ELNS1_3repE0EEENS1_30default_config_static_selectorELNS0_4arch9wavefront6targetE0EEEvT1_,comdat
.Lfunc_end677:
	.size	_ZN7rocprim17ROCPRIM_400000_NS6detail17trampoline_kernelINS0_14default_configENS1_25partition_config_selectorILNS1_17partition_subalgoE5ElNS0_10empty_typeEbEEZZNS1_14partition_implILS5_5ELb0ES3_mN6hipcub16HIPCUB_304000_NS21CountingInputIteratorIllEEPS6_NSA_22TransformInputIteratorIbN2at6native12_GLOBAL__N_19NonZeroOpIN3c107complexINSJ_4HalfEEEEEPKSM_lEENS0_5tupleIJPlS6_EEENSR_IJSD_SD_EEES6_PiJS6_EEE10hipError_tPvRmT3_T4_T5_T6_T7_T9_mT8_P12ihipStream_tbDpT10_ENKUlT_T0_E_clISt17integral_constantIbLb1EES1F_EEDaS1A_S1B_EUlS1A_E_NS1_11comp_targetILNS1_3genE8ELNS1_11target_archE1030ELNS1_3gpuE2ELNS1_3repE0EEENS1_30default_config_static_selectorELNS0_4arch9wavefront6targetE0EEEvT1_, .Lfunc_end677-_ZN7rocprim17ROCPRIM_400000_NS6detail17trampoline_kernelINS0_14default_configENS1_25partition_config_selectorILNS1_17partition_subalgoE5ElNS0_10empty_typeEbEEZZNS1_14partition_implILS5_5ELb0ES3_mN6hipcub16HIPCUB_304000_NS21CountingInputIteratorIllEEPS6_NSA_22TransformInputIteratorIbN2at6native12_GLOBAL__N_19NonZeroOpIN3c107complexINSJ_4HalfEEEEEPKSM_lEENS0_5tupleIJPlS6_EEENSR_IJSD_SD_EEES6_PiJS6_EEE10hipError_tPvRmT3_T4_T5_T6_T7_T9_mT8_P12ihipStream_tbDpT10_ENKUlT_T0_E_clISt17integral_constantIbLb1EES1F_EEDaS1A_S1B_EUlS1A_E_NS1_11comp_targetILNS1_3genE8ELNS1_11target_archE1030ELNS1_3gpuE2ELNS1_3repE0EEENS1_30default_config_static_selectorELNS0_4arch9wavefront6targetE0EEEvT1_
                                        ; -- End function
	.section	.AMDGPU.csdata,"",@progbits
; Kernel info:
; codeLenInByte = 0
; NumSgprs: 0
; NumVgprs: 0
; ScratchSize: 0
; MemoryBound: 0
; FloatMode: 240
; IeeeMode: 1
; LDSByteSize: 0 bytes/workgroup (compile time only)
; SGPRBlocks: 0
; VGPRBlocks: 0
; NumSGPRsForWavesPerEU: 1
; NumVGPRsForWavesPerEU: 1
; Occupancy: 16
; WaveLimiterHint : 0
; COMPUTE_PGM_RSRC2:SCRATCH_EN: 0
; COMPUTE_PGM_RSRC2:USER_SGPR: 15
; COMPUTE_PGM_RSRC2:TRAP_HANDLER: 0
; COMPUTE_PGM_RSRC2:TGID_X_EN: 1
; COMPUTE_PGM_RSRC2:TGID_Y_EN: 0
; COMPUTE_PGM_RSRC2:TGID_Z_EN: 0
; COMPUTE_PGM_RSRC2:TIDIG_COMP_CNT: 0
	.section	.text._ZN7rocprim17ROCPRIM_400000_NS6detail17trampoline_kernelINS0_14default_configENS1_25partition_config_selectorILNS1_17partition_subalgoE5ElNS0_10empty_typeEbEEZZNS1_14partition_implILS5_5ELb0ES3_mN6hipcub16HIPCUB_304000_NS21CountingInputIteratorIllEEPS6_NSA_22TransformInputIteratorIbN2at6native12_GLOBAL__N_19NonZeroOpIN3c107complexINSJ_4HalfEEEEEPKSM_lEENS0_5tupleIJPlS6_EEENSR_IJSD_SD_EEES6_PiJS6_EEE10hipError_tPvRmT3_T4_T5_T6_T7_T9_mT8_P12ihipStream_tbDpT10_ENKUlT_T0_E_clISt17integral_constantIbLb1EES1E_IbLb0EEEEDaS1A_S1B_EUlS1A_E_NS1_11comp_targetILNS1_3genE0ELNS1_11target_archE4294967295ELNS1_3gpuE0ELNS1_3repE0EEENS1_30default_config_static_selectorELNS0_4arch9wavefront6targetE0EEEvT1_,"axG",@progbits,_ZN7rocprim17ROCPRIM_400000_NS6detail17trampoline_kernelINS0_14default_configENS1_25partition_config_selectorILNS1_17partition_subalgoE5ElNS0_10empty_typeEbEEZZNS1_14partition_implILS5_5ELb0ES3_mN6hipcub16HIPCUB_304000_NS21CountingInputIteratorIllEEPS6_NSA_22TransformInputIteratorIbN2at6native12_GLOBAL__N_19NonZeroOpIN3c107complexINSJ_4HalfEEEEEPKSM_lEENS0_5tupleIJPlS6_EEENSR_IJSD_SD_EEES6_PiJS6_EEE10hipError_tPvRmT3_T4_T5_T6_T7_T9_mT8_P12ihipStream_tbDpT10_ENKUlT_T0_E_clISt17integral_constantIbLb1EES1E_IbLb0EEEEDaS1A_S1B_EUlS1A_E_NS1_11comp_targetILNS1_3genE0ELNS1_11target_archE4294967295ELNS1_3gpuE0ELNS1_3repE0EEENS1_30default_config_static_selectorELNS0_4arch9wavefront6targetE0EEEvT1_,comdat
	.globl	_ZN7rocprim17ROCPRIM_400000_NS6detail17trampoline_kernelINS0_14default_configENS1_25partition_config_selectorILNS1_17partition_subalgoE5ElNS0_10empty_typeEbEEZZNS1_14partition_implILS5_5ELb0ES3_mN6hipcub16HIPCUB_304000_NS21CountingInputIteratorIllEEPS6_NSA_22TransformInputIteratorIbN2at6native12_GLOBAL__N_19NonZeroOpIN3c107complexINSJ_4HalfEEEEEPKSM_lEENS0_5tupleIJPlS6_EEENSR_IJSD_SD_EEES6_PiJS6_EEE10hipError_tPvRmT3_T4_T5_T6_T7_T9_mT8_P12ihipStream_tbDpT10_ENKUlT_T0_E_clISt17integral_constantIbLb1EES1E_IbLb0EEEEDaS1A_S1B_EUlS1A_E_NS1_11comp_targetILNS1_3genE0ELNS1_11target_archE4294967295ELNS1_3gpuE0ELNS1_3repE0EEENS1_30default_config_static_selectorELNS0_4arch9wavefront6targetE0EEEvT1_ ; -- Begin function _ZN7rocprim17ROCPRIM_400000_NS6detail17trampoline_kernelINS0_14default_configENS1_25partition_config_selectorILNS1_17partition_subalgoE5ElNS0_10empty_typeEbEEZZNS1_14partition_implILS5_5ELb0ES3_mN6hipcub16HIPCUB_304000_NS21CountingInputIteratorIllEEPS6_NSA_22TransformInputIteratorIbN2at6native12_GLOBAL__N_19NonZeroOpIN3c107complexINSJ_4HalfEEEEEPKSM_lEENS0_5tupleIJPlS6_EEENSR_IJSD_SD_EEES6_PiJS6_EEE10hipError_tPvRmT3_T4_T5_T6_T7_T9_mT8_P12ihipStream_tbDpT10_ENKUlT_T0_E_clISt17integral_constantIbLb1EES1E_IbLb0EEEEDaS1A_S1B_EUlS1A_E_NS1_11comp_targetILNS1_3genE0ELNS1_11target_archE4294967295ELNS1_3gpuE0ELNS1_3repE0EEENS1_30default_config_static_selectorELNS0_4arch9wavefront6targetE0EEEvT1_
	.p2align	8
	.type	_ZN7rocprim17ROCPRIM_400000_NS6detail17trampoline_kernelINS0_14default_configENS1_25partition_config_selectorILNS1_17partition_subalgoE5ElNS0_10empty_typeEbEEZZNS1_14partition_implILS5_5ELb0ES3_mN6hipcub16HIPCUB_304000_NS21CountingInputIteratorIllEEPS6_NSA_22TransformInputIteratorIbN2at6native12_GLOBAL__N_19NonZeroOpIN3c107complexINSJ_4HalfEEEEEPKSM_lEENS0_5tupleIJPlS6_EEENSR_IJSD_SD_EEES6_PiJS6_EEE10hipError_tPvRmT3_T4_T5_T6_T7_T9_mT8_P12ihipStream_tbDpT10_ENKUlT_T0_E_clISt17integral_constantIbLb1EES1E_IbLb0EEEEDaS1A_S1B_EUlS1A_E_NS1_11comp_targetILNS1_3genE0ELNS1_11target_archE4294967295ELNS1_3gpuE0ELNS1_3repE0EEENS1_30default_config_static_selectorELNS0_4arch9wavefront6targetE0EEEvT1_,@function
_ZN7rocprim17ROCPRIM_400000_NS6detail17trampoline_kernelINS0_14default_configENS1_25partition_config_selectorILNS1_17partition_subalgoE5ElNS0_10empty_typeEbEEZZNS1_14partition_implILS5_5ELb0ES3_mN6hipcub16HIPCUB_304000_NS21CountingInputIteratorIllEEPS6_NSA_22TransformInputIteratorIbN2at6native12_GLOBAL__N_19NonZeroOpIN3c107complexINSJ_4HalfEEEEEPKSM_lEENS0_5tupleIJPlS6_EEENSR_IJSD_SD_EEES6_PiJS6_EEE10hipError_tPvRmT3_T4_T5_T6_T7_T9_mT8_P12ihipStream_tbDpT10_ENKUlT_T0_E_clISt17integral_constantIbLb1EES1E_IbLb0EEEEDaS1A_S1B_EUlS1A_E_NS1_11comp_targetILNS1_3genE0ELNS1_11target_archE4294967295ELNS1_3gpuE0ELNS1_3repE0EEENS1_30default_config_static_selectorELNS0_4arch9wavefront6targetE0EEEvT1_: ; @_ZN7rocprim17ROCPRIM_400000_NS6detail17trampoline_kernelINS0_14default_configENS1_25partition_config_selectorILNS1_17partition_subalgoE5ElNS0_10empty_typeEbEEZZNS1_14partition_implILS5_5ELb0ES3_mN6hipcub16HIPCUB_304000_NS21CountingInputIteratorIllEEPS6_NSA_22TransformInputIteratorIbN2at6native12_GLOBAL__N_19NonZeroOpIN3c107complexINSJ_4HalfEEEEEPKSM_lEENS0_5tupleIJPlS6_EEENSR_IJSD_SD_EEES6_PiJS6_EEE10hipError_tPvRmT3_T4_T5_T6_T7_T9_mT8_P12ihipStream_tbDpT10_ENKUlT_T0_E_clISt17integral_constantIbLb1EES1E_IbLb0EEEEDaS1A_S1B_EUlS1A_E_NS1_11comp_targetILNS1_3genE0ELNS1_11target_archE4294967295ELNS1_3gpuE0ELNS1_3repE0EEENS1_30default_config_static_selectorELNS0_4arch9wavefront6targetE0EEEvT1_
; %bb.0:
	.section	.rodata,"a",@progbits
	.p2align	6, 0x0
	.amdhsa_kernel _ZN7rocprim17ROCPRIM_400000_NS6detail17trampoline_kernelINS0_14default_configENS1_25partition_config_selectorILNS1_17partition_subalgoE5ElNS0_10empty_typeEbEEZZNS1_14partition_implILS5_5ELb0ES3_mN6hipcub16HIPCUB_304000_NS21CountingInputIteratorIllEEPS6_NSA_22TransformInputIteratorIbN2at6native12_GLOBAL__N_19NonZeroOpIN3c107complexINSJ_4HalfEEEEEPKSM_lEENS0_5tupleIJPlS6_EEENSR_IJSD_SD_EEES6_PiJS6_EEE10hipError_tPvRmT3_T4_T5_T6_T7_T9_mT8_P12ihipStream_tbDpT10_ENKUlT_T0_E_clISt17integral_constantIbLb1EES1E_IbLb0EEEEDaS1A_S1B_EUlS1A_E_NS1_11comp_targetILNS1_3genE0ELNS1_11target_archE4294967295ELNS1_3gpuE0ELNS1_3repE0EEENS1_30default_config_static_selectorELNS0_4arch9wavefront6targetE0EEEvT1_
		.amdhsa_group_segment_fixed_size 0
		.amdhsa_private_segment_fixed_size 0
		.amdhsa_kernarg_size 120
		.amdhsa_user_sgpr_count 15
		.amdhsa_user_sgpr_dispatch_ptr 0
		.amdhsa_user_sgpr_queue_ptr 0
		.amdhsa_user_sgpr_kernarg_segment_ptr 1
		.amdhsa_user_sgpr_dispatch_id 0
		.amdhsa_user_sgpr_private_segment_size 0
		.amdhsa_wavefront_size32 1
		.amdhsa_uses_dynamic_stack 0
		.amdhsa_enable_private_segment 0
		.amdhsa_system_sgpr_workgroup_id_x 1
		.amdhsa_system_sgpr_workgroup_id_y 0
		.amdhsa_system_sgpr_workgroup_id_z 0
		.amdhsa_system_sgpr_workgroup_info 0
		.amdhsa_system_vgpr_workitem_id 0
		.amdhsa_next_free_vgpr 1
		.amdhsa_next_free_sgpr 1
		.amdhsa_reserve_vcc 0
		.amdhsa_float_round_mode_32 0
		.amdhsa_float_round_mode_16_64 0
		.amdhsa_float_denorm_mode_32 3
		.amdhsa_float_denorm_mode_16_64 3
		.amdhsa_dx10_clamp 1
		.amdhsa_ieee_mode 1
		.amdhsa_fp16_overflow 0
		.amdhsa_workgroup_processor_mode 1
		.amdhsa_memory_ordered 1
		.amdhsa_forward_progress 0
		.amdhsa_shared_vgpr_count 0
		.amdhsa_exception_fp_ieee_invalid_op 0
		.amdhsa_exception_fp_denorm_src 0
		.amdhsa_exception_fp_ieee_div_zero 0
		.amdhsa_exception_fp_ieee_overflow 0
		.amdhsa_exception_fp_ieee_underflow 0
		.amdhsa_exception_fp_ieee_inexact 0
		.amdhsa_exception_int_div_zero 0
	.end_amdhsa_kernel
	.section	.text._ZN7rocprim17ROCPRIM_400000_NS6detail17trampoline_kernelINS0_14default_configENS1_25partition_config_selectorILNS1_17partition_subalgoE5ElNS0_10empty_typeEbEEZZNS1_14partition_implILS5_5ELb0ES3_mN6hipcub16HIPCUB_304000_NS21CountingInputIteratorIllEEPS6_NSA_22TransformInputIteratorIbN2at6native12_GLOBAL__N_19NonZeroOpIN3c107complexINSJ_4HalfEEEEEPKSM_lEENS0_5tupleIJPlS6_EEENSR_IJSD_SD_EEES6_PiJS6_EEE10hipError_tPvRmT3_T4_T5_T6_T7_T9_mT8_P12ihipStream_tbDpT10_ENKUlT_T0_E_clISt17integral_constantIbLb1EES1E_IbLb0EEEEDaS1A_S1B_EUlS1A_E_NS1_11comp_targetILNS1_3genE0ELNS1_11target_archE4294967295ELNS1_3gpuE0ELNS1_3repE0EEENS1_30default_config_static_selectorELNS0_4arch9wavefront6targetE0EEEvT1_,"axG",@progbits,_ZN7rocprim17ROCPRIM_400000_NS6detail17trampoline_kernelINS0_14default_configENS1_25partition_config_selectorILNS1_17partition_subalgoE5ElNS0_10empty_typeEbEEZZNS1_14partition_implILS5_5ELb0ES3_mN6hipcub16HIPCUB_304000_NS21CountingInputIteratorIllEEPS6_NSA_22TransformInputIteratorIbN2at6native12_GLOBAL__N_19NonZeroOpIN3c107complexINSJ_4HalfEEEEEPKSM_lEENS0_5tupleIJPlS6_EEENSR_IJSD_SD_EEES6_PiJS6_EEE10hipError_tPvRmT3_T4_T5_T6_T7_T9_mT8_P12ihipStream_tbDpT10_ENKUlT_T0_E_clISt17integral_constantIbLb1EES1E_IbLb0EEEEDaS1A_S1B_EUlS1A_E_NS1_11comp_targetILNS1_3genE0ELNS1_11target_archE4294967295ELNS1_3gpuE0ELNS1_3repE0EEENS1_30default_config_static_selectorELNS0_4arch9wavefront6targetE0EEEvT1_,comdat
.Lfunc_end678:
	.size	_ZN7rocprim17ROCPRIM_400000_NS6detail17trampoline_kernelINS0_14default_configENS1_25partition_config_selectorILNS1_17partition_subalgoE5ElNS0_10empty_typeEbEEZZNS1_14partition_implILS5_5ELb0ES3_mN6hipcub16HIPCUB_304000_NS21CountingInputIteratorIllEEPS6_NSA_22TransformInputIteratorIbN2at6native12_GLOBAL__N_19NonZeroOpIN3c107complexINSJ_4HalfEEEEEPKSM_lEENS0_5tupleIJPlS6_EEENSR_IJSD_SD_EEES6_PiJS6_EEE10hipError_tPvRmT3_T4_T5_T6_T7_T9_mT8_P12ihipStream_tbDpT10_ENKUlT_T0_E_clISt17integral_constantIbLb1EES1E_IbLb0EEEEDaS1A_S1B_EUlS1A_E_NS1_11comp_targetILNS1_3genE0ELNS1_11target_archE4294967295ELNS1_3gpuE0ELNS1_3repE0EEENS1_30default_config_static_selectorELNS0_4arch9wavefront6targetE0EEEvT1_, .Lfunc_end678-_ZN7rocprim17ROCPRIM_400000_NS6detail17trampoline_kernelINS0_14default_configENS1_25partition_config_selectorILNS1_17partition_subalgoE5ElNS0_10empty_typeEbEEZZNS1_14partition_implILS5_5ELb0ES3_mN6hipcub16HIPCUB_304000_NS21CountingInputIteratorIllEEPS6_NSA_22TransformInputIteratorIbN2at6native12_GLOBAL__N_19NonZeroOpIN3c107complexINSJ_4HalfEEEEEPKSM_lEENS0_5tupleIJPlS6_EEENSR_IJSD_SD_EEES6_PiJS6_EEE10hipError_tPvRmT3_T4_T5_T6_T7_T9_mT8_P12ihipStream_tbDpT10_ENKUlT_T0_E_clISt17integral_constantIbLb1EES1E_IbLb0EEEEDaS1A_S1B_EUlS1A_E_NS1_11comp_targetILNS1_3genE0ELNS1_11target_archE4294967295ELNS1_3gpuE0ELNS1_3repE0EEENS1_30default_config_static_selectorELNS0_4arch9wavefront6targetE0EEEvT1_
                                        ; -- End function
	.section	.AMDGPU.csdata,"",@progbits
; Kernel info:
; codeLenInByte = 0
; NumSgprs: 0
; NumVgprs: 0
; ScratchSize: 0
; MemoryBound: 0
; FloatMode: 240
; IeeeMode: 1
; LDSByteSize: 0 bytes/workgroup (compile time only)
; SGPRBlocks: 0
; VGPRBlocks: 0
; NumSGPRsForWavesPerEU: 1
; NumVGPRsForWavesPerEU: 1
; Occupancy: 16
; WaveLimiterHint : 0
; COMPUTE_PGM_RSRC2:SCRATCH_EN: 0
; COMPUTE_PGM_RSRC2:USER_SGPR: 15
; COMPUTE_PGM_RSRC2:TRAP_HANDLER: 0
; COMPUTE_PGM_RSRC2:TGID_X_EN: 1
; COMPUTE_PGM_RSRC2:TGID_Y_EN: 0
; COMPUTE_PGM_RSRC2:TGID_Z_EN: 0
; COMPUTE_PGM_RSRC2:TIDIG_COMP_CNT: 0
	.section	.text._ZN7rocprim17ROCPRIM_400000_NS6detail17trampoline_kernelINS0_14default_configENS1_25partition_config_selectorILNS1_17partition_subalgoE5ElNS0_10empty_typeEbEEZZNS1_14partition_implILS5_5ELb0ES3_mN6hipcub16HIPCUB_304000_NS21CountingInputIteratorIllEEPS6_NSA_22TransformInputIteratorIbN2at6native12_GLOBAL__N_19NonZeroOpIN3c107complexINSJ_4HalfEEEEEPKSM_lEENS0_5tupleIJPlS6_EEENSR_IJSD_SD_EEES6_PiJS6_EEE10hipError_tPvRmT3_T4_T5_T6_T7_T9_mT8_P12ihipStream_tbDpT10_ENKUlT_T0_E_clISt17integral_constantIbLb1EES1E_IbLb0EEEEDaS1A_S1B_EUlS1A_E_NS1_11comp_targetILNS1_3genE5ELNS1_11target_archE942ELNS1_3gpuE9ELNS1_3repE0EEENS1_30default_config_static_selectorELNS0_4arch9wavefront6targetE0EEEvT1_,"axG",@progbits,_ZN7rocprim17ROCPRIM_400000_NS6detail17trampoline_kernelINS0_14default_configENS1_25partition_config_selectorILNS1_17partition_subalgoE5ElNS0_10empty_typeEbEEZZNS1_14partition_implILS5_5ELb0ES3_mN6hipcub16HIPCUB_304000_NS21CountingInputIteratorIllEEPS6_NSA_22TransformInputIteratorIbN2at6native12_GLOBAL__N_19NonZeroOpIN3c107complexINSJ_4HalfEEEEEPKSM_lEENS0_5tupleIJPlS6_EEENSR_IJSD_SD_EEES6_PiJS6_EEE10hipError_tPvRmT3_T4_T5_T6_T7_T9_mT8_P12ihipStream_tbDpT10_ENKUlT_T0_E_clISt17integral_constantIbLb1EES1E_IbLb0EEEEDaS1A_S1B_EUlS1A_E_NS1_11comp_targetILNS1_3genE5ELNS1_11target_archE942ELNS1_3gpuE9ELNS1_3repE0EEENS1_30default_config_static_selectorELNS0_4arch9wavefront6targetE0EEEvT1_,comdat
	.globl	_ZN7rocprim17ROCPRIM_400000_NS6detail17trampoline_kernelINS0_14default_configENS1_25partition_config_selectorILNS1_17partition_subalgoE5ElNS0_10empty_typeEbEEZZNS1_14partition_implILS5_5ELb0ES3_mN6hipcub16HIPCUB_304000_NS21CountingInputIteratorIllEEPS6_NSA_22TransformInputIteratorIbN2at6native12_GLOBAL__N_19NonZeroOpIN3c107complexINSJ_4HalfEEEEEPKSM_lEENS0_5tupleIJPlS6_EEENSR_IJSD_SD_EEES6_PiJS6_EEE10hipError_tPvRmT3_T4_T5_T6_T7_T9_mT8_P12ihipStream_tbDpT10_ENKUlT_T0_E_clISt17integral_constantIbLb1EES1E_IbLb0EEEEDaS1A_S1B_EUlS1A_E_NS1_11comp_targetILNS1_3genE5ELNS1_11target_archE942ELNS1_3gpuE9ELNS1_3repE0EEENS1_30default_config_static_selectorELNS0_4arch9wavefront6targetE0EEEvT1_ ; -- Begin function _ZN7rocprim17ROCPRIM_400000_NS6detail17trampoline_kernelINS0_14default_configENS1_25partition_config_selectorILNS1_17partition_subalgoE5ElNS0_10empty_typeEbEEZZNS1_14partition_implILS5_5ELb0ES3_mN6hipcub16HIPCUB_304000_NS21CountingInputIteratorIllEEPS6_NSA_22TransformInputIteratorIbN2at6native12_GLOBAL__N_19NonZeroOpIN3c107complexINSJ_4HalfEEEEEPKSM_lEENS0_5tupleIJPlS6_EEENSR_IJSD_SD_EEES6_PiJS6_EEE10hipError_tPvRmT3_T4_T5_T6_T7_T9_mT8_P12ihipStream_tbDpT10_ENKUlT_T0_E_clISt17integral_constantIbLb1EES1E_IbLb0EEEEDaS1A_S1B_EUlS1A_E_NS1_11comp_targetILNS1_3genE5ELNS1_11target_archE942ELNS1_3gpuE9ELNS1_3repE0EEENS1_30default_config_static_selectorELNS0_4arch9wavefront6targetE0EEEvT1_
	.p2align	8
	.type	_ZN7rocprim17ROCPRIM_400000_NS6detail17trampoline_kernelINS0_14default_configENS1_25partition_config_selectorILNS1_17partition_subalgoE5ElNS0_10empty_typeEbEEZZNS1_14partition_implILS5_5ELb0ES3_mN6hipcub16HIPCUB_304000_NS21CountingInputIteratorIllEEPS6_NSA_22TransformInputIteratorIbN2at6native12_GLOBAL__N_19NonZeroOpIN3c107complexINSJ_4HalfEEEEEPKSM_lEENS0_5tupleIJPlS6_EEENSR_IJSD_SD_EEES6_PiJS6_EEE10hipError_tPvRmT3_T4_T5_T6_T7_T9_mT8_P12ihipStream_tbDpT10_ENKUlT_T0_E_clISt17integral_constantIbLb1EES1E_IbLb0EEEEDaS1A_S1B_EUlS1A_E_NS1_11comp_targetILNS1_3genE5ELNS1_11target_archE942ELNS1_3gpuE9ELNS1_3repE0EEENS1_30default_config_static_selectorELNS0_4arch9wavefront6targetE0EEEvT1_,@function
_ZN7rocprim17ROCPRIM_400000_NS6detail17trampoline_kernelINS0_14default_configENS1_25partition_config_selectorILNS1_17partition_subalgoE5ElNS0_10empty_typeEbEEZZNS1_14partition_implILS5_5ELb0ES3_mN6hipcub16HIPCUB_304000_NS21CountingInputIteratorIllEEPS6_NSA_22TransformInputIteratorIbN2at6native12_GLOBAL__N_19NonZeroOpIN3c107complexINSJ_4HalfEEEEEPKSM_lEENS0_5tupleIJPlS6_EEENSR_IJSD_SD_EEES6_PiJS6_EEE10hipError_tPvRmT3_T4_T5_T6_T7_T9_mT8_P12ihipStream_tbDpT10_ENKUlT_T0_E_clISt17integral_constantIbLb1EES1E_IbLb0EEEEDaS1A_S1B_EUlS1A_E_NS1_11comp_targetILNS1_3genE5ELNS1_11target_archE942ELNS1_3gpuE9ELNS1_3repE0EEENS1_30default_config_static_selectorELNS0_4arch9wavefront6targetE0EEEvT1_: ; @_ZN7rocprim17ROCPRIM_400000_NS6detail17trampoline_kernelINS0_14default_configENS1_25partition_config_selectorILNS1_17partition_subalgoE5ElNS0_10empty_typeEbEEZZNS1_14partition_implILS5_5ELb0ES3_mN6hipcub16HIPCUB_304000_NS21CountingInputIteratorIllEEPS6_NSA_22TransformInputIteratorIbN2at6native12_GLOBAL__N_19NonZeroOpIN3c107complexINSJ_4HalfEEEEEPKSM_lEENS0_5tupleIJPlS6_EEENSR_IJSD_SD_EEES6_PiJS6_EEE10hipError_tPvRmT3_T4_T5_T6_T7_T9_mT8_P12ihipStream_tbDpT10_ENKUlT_T0_E_clISt17integral_constantIbLb1EES1E_IbLb0EEEEDaS1A_S1B_EUlS1A_E_NS1_11comp_targetILNS1_3genE5ELNS1_11target_archE942ELNS1_3gpuE9ELNS1_3repE0EEENS1_30default_config_static_selectorELNS0_4arch9wavefront6targetE0EEEvT1_
; %bb.0:
	.section	.rodata,"a",@progbits
	.p2align	6, 0x0
	.amdhsa_kernel _ZN7rocprim17ROCPRIM_400000_NS6detail17trampoline_kernelINS0_14default_configENS1_25partition_config_selectorILNS1_17partition_subalgoE5ElNS0_10empty_typeEbEEZZNS1_14partition_implILS5_5ELb0ES3_mN6hipcub16HIPCUB_304000_NS21CountingInputIteratorIllEEPS6_NSA_22TransformInputIteratorIbN2at6native12_GLOBAL__N_19NonZeroOpIN3c107complexINSJ_4HalfEEEEEPKSM_lEENS0_5tupleIJPlS6_EEENSR_IJSD_SD_EEES6_PiJS6_EEE10hipError_tPvRmT3_T4_T5_T6_T7_T9_mT8_P12ihipStream_tbDpT10_ENKUlT_T0_E_clISt17integral_constantIbLb1EES1E_IbLb0EEEEDaS1A_S1B_EUlS1A_E_NS1_11comp_targetILNS1_3genE5ELNS1_11target_archE942ELNS1_3gpuE9ELNS1_3repE0EEENS1_30default_config_static_selectorELNS0_4arch9wavefront6targetE0EEEvT1_
		.amdhsa_group_segment_fixed_size 0
		.amdhsa_private_segment_fixed_size 0
		.amdhsa_kernarg_size 120
		.amdhsa_user_sgpr_count 15
		.amdhsa_user_sgpr_dispatch_ptr 0
		.amdhsa_user_sgpr_queue_ptr 0
		.amdhsa_user_sgpr_kernarg_segment_ptr 1
		.amdhsa_user_sgpr_dispatch_id 0
		.amdhsa_user_sgpr_private_segment_size 0
		.amdhsa_wavefront_size32 1
		.amdhsa_uses_dynamic_stack 0
		.amdhsa_enable_private_segment 0
		.amdhsa_system_sgpr_workgroup_id_x 1
		.amdhsa_system_sgpr_workgroup_id_y 0
		.amdhsa_system_sgpr_workgroup_id_z 0
		.amdhsa_system_sgpr_workgroup_info 0
		.amdhsa_system_vgpr_workitem_id 0
		.amdhsa_next_free_vgpr 1
		.amdhsa_next_free_sgpr 1
		.amdhsa_reserve_vcc 0
		.amdhsa_float_round_mode_32 0
		.amdhsa_float_round_mode_16_64 0
		.amdhsa_float_denorm_mode_32 3
		.amdhsa_float_denorm_mode_16_64 3
		.amdhsa_dx10_clamp 1
		.amdhsa_ieee_mode 1
		.amdhsa_fp16_overflow 0
		.amdhsa_workgroup_processor_mode 1
		.amdhsa_memory_ordered 1
		.amdhsa_forward_progress 0
		.amdhsa_shared_vgpr_count 0
		.amdhsa_exception_fp_ieee_invalid_op 0
		.amdhsa_exception_fp_denorm_src 0
		.amdhsa_exception_fp_ieee_div_zero 0
		.amdhsa_exception_fp_ieee_overflow 0
		.amdhsa_exception_fp_ieee_underflow 0
		.amdhsa_exception_fp_ieee_inexact 0
		.amdhsa_exception_int_div_zero 0
	.end_amdhsa_kernel
	.section	.text._ZN7rocprim17ROCPRIM_400000_NS6detail17trampoline_kernelINS0_14default_configENS1_25partition_config_selectorILNS1_17partition_subalgoE5ElNS0_10empty_typeEbEEZZNS1_14partition_implILS5_5ELb0ES3_mN6hipcub16HIPCUB_304000_NS21CountingInputIteratorIllEEPS6_NSA_22TransformInputIteratorIbN2at6native12_GLOBAL__N_19NonZeroOpIN3c107complexINSJ_4HalfEEEEEPKSM_lEENS0_5tupleIJPlS6_EEENSR_IJSD_SD_EEES6_PiJS6_EEE10hipError_tPvRmT3_T4_T5_T6_T7_T9_mT8_P12ihipStream_tbDpT10_ENKUlT_T0_E_clISt17integral_constantIbLb1EES1E_IbLb0EEEEDaS1A_S1B_EUlS1A_E_NS1_11comp_targetILNS1_3genE5ELNS1_11target_archE942ELNS1_3gpuE9ELNS1_3repE0EEENS1_30default_config_static_selectorELNS0_4arch9wavefront6targetE0EEEvT1_,"axG",@progbits,_ZN7rocprim17ROCPRIM_400000_NS6detail17trampoline_kernelINS0_14default_configENS1_25partition_config_selectorILNS1_17partition_subalgoE5ElNS0_10empty_typeEbEEZZNS1_14partition_implILS5_5ELb0ES3_mN6hipcub16HIPCUB_304000_NS21CountingInputIteratorIllEEPS6_NSA_22TransformInputIteratorIbN2at6native12_GLOBAL__N_19NonZeroOpIN3c107complexINSJ_4HalfEEEEEPKSM_lEENS0_5tupleIJPlS6_EEENSR_IJSD_SD_EEES6_PiJS6_EEE10hipError_tPvRmT3_T4_T5_T6_T7_T9_mT8_P12ihipStream_tbDpT10_ENKUlT_T0_E_clISt17integral_constantIbLb1EES1E_IbLb0EEEEDaS1A_S1B_EUlS1A_E_NS1_11comp_targetILNS1_3genE5ELNS1_11target_archE942ELNS1_3gpuE9ELNS1_3repE0EEENS1_30default_config_static_selectorELNS0_4arch9wavefront6targetE0EEEvT1_,comdat
.Lfunc_end679:
	.size	_ZN7rocprim17ROCPRIM_400000_NS6detail17trampoline_kernelINS0_14default_configENS1_25partition_config_selectorILNS1_17partition_subalgoE5ElNS0_10empty_typeEbEEZZNS1_14partition_implILS5_5ELb0ES3_mN6hipcub16HIPCUB_304000_NS21CountingInputIteratorIllEEPS6_NSA_22TransformInputIteratorIbN2at6native12_GLOBAL__N_19NonZeroOpIN3c107complexINSJ_4HalfEEEEEPKSM_lEENS0_5tupleIJPlS6_EEENSR_IJSD_SD_EEES6_PiJS6_EEE10hipError_tPvRmT3_T4_T5_T6_T7_T9_mT8_P12ihipStream_tbDpT10_ENKUlT_T0_E_clISt17integral_constantIbLb1EES1E_IbLb0EEEEDaS1A_S1B_EUlS1A_E_NS1_11comp_targetILNS1_3genE5ELNS1_11target_archE942ELNS1_3gpuE9ELNS1_3repE0EEENS1_30default_config_static_selectorELNS0_4arch9wavefront6targetE0EEEvT1_, .Lfunc_end679-_ZN7rocprim17ROCPRIM_400000_NS6detail17trampoline_kernelINS0_14default_configENS1_25partition_config_selectorILNS1_17partition_subalgoE5ElNS0_10empty_typeEbEEZZNS1_14partition_implILS5_5ELb0ES3_mN6hipcub16HIPCUB_304000_NS21CountingInputIteratorIllEEPS6_NSA_22TransformInputIteratorIbN2at6native12_GLOBAL__N_19NonZeroOpIN3c107complexINSJ_4HalfEEEEEPKSM_lEENS0_5tupleIJPlS6_EEENSR_IJSD_SD_EEES6_PiJS6_EEE10hipError_tPvRmT3_T4_T5_T6_T7_T9_mT8_P12ihipStream_tbDpT10_ENKUlT_T0_E_clISt17integral_constantIbLb1EES1E_IbLb0EEEEDaS1A_S1B_EUlS1A_E_NS1_11comp_targetILNS1_3genE5ELNS1_11target_archE942ELNS1_3gpuE9ELNS1_3repE0EEENS1_30default_config_static_selectorELNS0_4arch9wavefront6targetE0EEEvT1_
                                        ; -- End function
	.section	.AMDGPU.csdata,"",@progbits
; Kernel info:
; codeLenInByte = 0
; NumSgprs: 0
; NumVgprs: 0
; ScratchSize: 0
; MemoryBound: 0
; FloatMode: 240
; IeeeMode: 1
; LDSByteSize: 0 bytes/workgroup (compile time only)
; SGPRBlocks: 0
; VGPRBlocks: 0
; NumSGPRsForWavesPerEU: 1
; NumVGPRsForWavesPerEU: 1
; Occupancy: 16
; WaveLimiterHint : 0
; COMPUTE_PGM_RSRC2:SCRATCH_EN: 0
; COMPUTE_PGM_RSRC2:USER_SGPR: 15
; COMPUTE_PGM_RSRC2:TRAP_HANDLER: 0
; COMPUTE_PGM_RSRC2:TGID_X_EN: 1
; COMPUTE_PGM_RSRC2:TGID_Y_EN: 0
; COMPUTE_PGM_RSRC2:TGID_Z_EN: 0
; COMPUTE_PGM_RSRC2:TIDIG_COMP_CNT: 0
	.section	.text._ZN7rocprim17ROCPRIM_400000_NS6detail17trampoline_kernelINS0_14default_configENS1_25partition_config_selectorILNS1_17partition_subalgoE5ElNS0_10empty_typeEbEEZZNS1_14partition_implILS5_5ELb0ES3_mN6hipcub16HIPCUB_304000_NS21CountingInputIteratorIllEEPS6_NSA_22TransformInputIteratorIbN2at6native12_GLOBAL__N_19NonZeroOpIN3c107complexINSJ_4HalfEEEEEPKSM_lEENS0_5tupleIJPlS6_EEENSR_IJSD_SD_EEES6_PiJS6_EEE10hipError_tPvRmT3_T4_T5_T6_T7_T9_mT8_P12ihipStream_tbDpT10_ENKUlT_T0_E_clISt17integral_constantIbLb1EES1E_IbLb0EEEEDaS1A_S1B_EUlS1A_E_NS1_11comp_targetILNS1_3genE4ELNS1_11target_archE910ELNS1_3gpuE8ELNS1_3repE0EEENS1_30default_config_static_selectorELNS0_4arch9wavefront6targetE0EEEvT1_,"axG",@progbits,_ZN7rocprim17ROCPRIM_400000_NS6detail17trampoline_kernelINS0_14default_configENS1_25partition_config_selectorILNS1_17partition_subalgoE5ElNS0_10empty_typeEbEEZZNS1_14partition_implILS5_5ELb0ES3_mN6hipcub16HIPCUB_304000_NS21CountingInputIteratorIllEEPS6_NSA_22TransformInputIteratorIbN2at6native12_GLOBAL__N_19NonZeroOpIN3c107complexINSJ_4HalfEEEEEPKSM_lEENS0_5tupleIJPlS6_EEENSR_IJSD_SD_EEES6_PiJS6_EEE10hipError_tPvRmT3_T4_T5_T6_T7_T9_mT8_P12ihipStream_tbDpT10_ENKUlT_T0_E_clISt17integral_constantIbLb1EES1E_IbLb0EEEEDaS1A_S1B_EUlS1A_E_NS1_11comp_targetILNS1_3genE4ELNS1_11target_archE910ELNS1_3gpuE8ELNS1_3repE0EEENS1_30default_config_static_selectorELNS0_4arch9wavefront6targetE0EEEvT1_,comdat
	.globl	_ZN7rocprim17ROCPRIM_400000_NS6detail17trampoline_kernelINS0_14default_configENS1_25partition_config_selectorILNS1_17partition_subalgoE5ElNS0_10empty_typeEbEEZZNS1_14partition_implILS5_5ELb0ES3_mN6hipcub16HIPCUB_304000_NS21CountingInputIteratorIllEEPS6_NSA_22TransformInputIteratorIbN2at6native12_GLOBAL__N_19NonZeroOpIN3c107complexINSJ_4HalfEEEEEPKSM_lEENS0_5tupleIJPlS6_EEENSR_IJSD_SD_EEES6_PiJS6_EEE10hipError_tPvRmT3_T4_T5_T6_T7_T9_mT8_P12ihipStream_tbDpT10_ENKUlT_T0_E_clISt17integral_constantIbLb1EES1E_IbLb0EEEEDaS1A_S1B_EUlS1A_E_NS1_11comp_targetILNS1_3genE4ELNS1_11target_archE910ELNS1_3gpuE8ELNS1_3repE0EEENS1_30default_config_static_selectorELNS0_4arch9wavefront6targetE0EEEvT1_ ; -- Begin function _ZN7rocprim17ROCPRIM_400000_NS6detail17trampoline_kernelINS0_14default_configENS1_25partition_config_selectorILNS1_17partition_subalgoE5ElNS0_10empty_typeEbEEZZNS1_14partition_implILS5_5ELb0ES3_mN6hipcub16HIPCUB_304000_NS21CountingInputIteratorIllEEPS6_NSA_22TransformInputIteratorIbN2at6native12_GLOBAL__N_19NonZeroOpIN3c107complexINSJ_4HalfEEEEEPKSM_lEENS0_5tupleIJPlS6_EEENSR_IJSD_SD_EEES6_PiJS6_EEE10hipError_tPvRmT3_T4_T5_T6_T7_T9_mT8_P12ihipStream_tbDpT10_ENKUlT_T0_E_clISt17integral_constantIbLb1EES1E_IbLb0EEEEDaS1A_S1B_EUlS1A_E_NS1_11comp_targetILNS1_3genE4ELNS1_11target_archE910ELNS1_3gpuE8ELNS1_3repE0EEENS1_30default_config_static_selectorELNS0_4arch9wavefront6targetE0EEEvT1_
	.p2align	8
	.type	_ZN7rocprim17ROCPRIM_400000_NS6detail17trampoline_kernelINS0_14default_configENS1_25partition_config_selectorILNS1_17partition_subalgoE5ElNS0_10empty_typeEbEEZZNS1_14partition_implILS5_5ELb0ES3_mN6hipcub16HIPCUB_304000_NS21CountingInputIteratorIllEEPS6_NSA_22TransformInputIteratorIbN2at6native12_GLOBAL__N_19NonZeroOpIN3c107complexINSJ_4HalfEEEEEPKSM_lEENS0_5tupleIJPlS6_EEENSR_IJSD_SD_EEES6_PiJS6_EEE10hipError_tPvRmT3_T4_T5_T6_T7_T9_mT8_P12ihipStream_tbDpT10_ENKUlT_T0_E_clISt17integral_constantIbLb1EES1E_IbLb0EEEEDaS1A_S1B_EUlS1A_E_NS1_11comp_targetILNS1_3genE4ELNS1_11target_archE910ELNS1_3gpuE8ELNS1_3repE0EEENS1_30default_config_static_selectorELNS0_4arch9wavefront6targetE0EEEvT1_,@function
_ZN7rocprim17ROCPRIM_400000_NS6detail17trampoline_kernelINS0_14default_configENS1_25partition_config_selectorILNS1_17partition_subalgoE5ElNS0_10empty_typeEbEEZZNS1_14partition_implILS5_5ELb0ES3_mN6hipcub16HIPCUB_304000_NS21CountingInputIteratorIllEEPS6_NSA_22TransformInputIteratorIbN2at6native12_GLOBAL__N_19NonZeroOpIN3c107complexINSJ_4HalfEEEEEPKSM_lEENS0_5tupleIJPlS6_EEENSR_IJSD_SD_EEES6_PiJS6_EEE10hipError_tPvRmT3_T4_T5_T6_T7_T9_mT8_P12ihipStream_tbDpT10_ENKUlT_T0_E_clISt17integral_constantIbLb1EES1E_IbLb0EEEEDaS1A_S1B_EUlS1A_E_NS1_11comp_targetILNS1_3genE4ELNS1_11target_archE910ELNS1_3gpuE8ELNS1_3repE0EEENS1_30default_config_static_selectorELNS0_4arch9wavefront6targetE0EEEvT1_: ; @_ZN7rocprim17ROCPRIM_400000_NS6detail17trampoline_kernelINS0_14default_configENS1_25partition_config_selectorILNS1_17partition_subalgoE5ElNS0_10empty_typeEbEEZZNS1_14partition_implILS5_5ELb0ES3_mN6hipcub16HIPCUB_304000_NS21CountingInputIteratorIllEEPS6_NSA_22TransformInputIteratorIbN2at6native12_GLOBAL__N_19NonZeroOpIN3c107complexINSJ_4HalfEEEEEPKSM_lEENS0_5tupleIJPlS6_EEENSR_IJSD_SD_EEES6_PiJS6_EEE10hipError_tPvRmT3_T4_T5_T6_T7_T9_mT8_P12ihipStream_tbDpT10_ENKUlT_T0_E_clISt17integral_constantIbLb1EES1E_IbLb0EEEEDaS1A_S1B_EUlS1A_E_NS1_11comp_targetILNS1_3genE4ELNS1_11target_archE910ELNS1_3gpuE8ELNS1_3repE0EEENS1_30default_config_static_selectorELNS0_4arch9wavefront6targetE0EEEvT1_
; %bb.0:
	.section	.rodata,"a",@progbits
	.p2align	6, 0x0
	.amdhsa_kernel _ZN7rocprim17ROCPRIM_400000_NS6detail17trampoline_kernelINS0_14default_configENS1_25partition_config_selectorILNS1_17partition_subalgoE5ElNS0_10empty_typeEbEEZZNS1_14partition_implILS5_5ELb0ES3_mN6hipcub16HIPCUB_304000_NS21CountingInputIteratorIllEEPS6_NSA_22TransformInputIteratorIbN2at6native12_GLOBAL__N_19NonZeroOpIN3c107complexINSJ_4HalfEEEEEPKSM_lEENS0_5tupleIJPlS6_EEENSR_IJSD_SD_EEES6_PiJS6_EEE10hipError_tPvRmT3_T4_T5_T6_T7_T9_mT8_P12ihipStream_tbDpT10_ENKUlT_T0_E_clISt17integral_constantIbLb1EES1E_IbLb0EEEEDaS1A_S1B_EUlS1A_E_NS1_11comp_targetILNS1_3genE4ELNS1_11target_archE910ELNS1_3gpuE8ELNS1_3repE0EEENS1_30default_config_static_selectorELNS0_4arch9wavefront6targetE0EEEvT1_
		.amdhsa_group_segment_fixed_size 0
		.amdhsa_private_segment_fixed_size 0
		.amdhsa_kernarg_size 120
		.amdhsa_user_sgpr_count 15
		.amdhsa_user_sgpr_dispatch_ptr 0
		.amdhsa_user_sgpr_queue_ptr 0
		.amdhsa_user_sgpr_kernarg_segment_ptr 1
		.amdhsa_user_sgpr_dispatch_id 0
		.amdhsa_user_sgpr_private_segment_size 0
		.amdhsa_wavefront_size32 1
		.amdhsa_uses_dynamic_stack 0
		.amdhsa_enable_private_segment 0
		.amdhsa_system_sgpr_workgroup_id_x 1
		.amdhsa_system_sgpr_workgroup_id_y 0
		.amdhsa_system_sgpr_workgroup_id_z 0
		.amdhsa_system_sgpr_workgroup_info 0
		.amdhsa_system_vgpr_workitem_id 0
		.amdhsa_next_free_vgpr 1
		.amdhsa_next_free_sgpr 1
		.amdhsa_reserve_vcc 0
		.amdhsa_float_round_mode_32 0
		.amdhsa_float_round_mode_16_64 0
		.amdhsa_float_denorm_mode_32 3
		.amdhsa_float_denorm_mode_16_64 3
		.amdhsa_dx10_clamp 1
		.amdhsa_ieee_mode 1
		.amdhsa_fp16_overflow 0
		.amdhsa_workgroup_processor_mode 1
		.amdhsa_memory_ordered 1
		.amdhsa_forward_progress 0
		.amdhsa_shared_vgpr_count 0
		.amdhsa_exception_fp_ieee_invalid_op 0
		.amdhsa_exception_fp_denorm_src 0
		.amdhsa_exception_fp_ieee_div_zero 0
		.amdhsa_exception_fp_ieee_overflow 0
		.amdhsa_exception_fp_ieee_underflow 0
		.amdhsa_exception_fp_ieee_inexact 0
		.amdhsa_exception_int_div_zero 0
	.end_amdhsa_kernel
	.section	.text._ZN7rocprim17ROCPRIM_400000_NS6detail17trampoline_kernelINS0_14default_configENS1_25partition_config_selectorILNS1_17partition_subalgoE5ElNS0_10empty_typeEbEEZZNS1_14partition_implILS5_5ELb0ES3_mN6hipcub16HIPCUB_304000_NS21CountingInputIteratorIllEEPS6_NSA_22TransformInputIteratorIbN2at6native12_GLOBAL__N_19NonZeroOpIN3c107complexINSJ_4HalfEEEEEPKSM_lEENS0_5tupleIJPlS6_EEENSR_IJSD_SD_EEES6_PiJS6_EEE10hipError_tPvRmT3_T4_T5_T6_T7_T9_mT8_P12ihipStream_tbDpT10_ENKUlT_T0_E_clISt17integral_constantIbLb1EES1E_IbLb0EEEEDaS1A_S1B_EUlS1A_E_NS1_11comp_targetILNS1_3genE4ELNS1_11target_archE910ELNS1_3gpuE8ELNS1_3repE0EEENS1_30default_config_static_selectorELNS0_4arch9wavefront6targetE0EEEvT1_,"axG",@progbits,_ZN7rocprim17ROCPRIM_400000_NS6detail17trampoline_kernelINS0_14default_configENS1_25partition_config_selectorILNS1_17partition_subalgoE5ElNS0_10empty_typeEbEEZZNS1_14partition_implILS5_5ELb0ES3_mN6hipcub16HIPCUB_304000_NS21CountingInputIteratorIllEEPS6_NSA_22TransformInputIteratorIbN2at6native12_GLOBAL__N_19NonZeroOpIN3c107complexINSJ_4HalfEEEEEPKSM_lEENS0_5tupleIJPlS6_EEENSR_IJSD_SD_EEES6_PiJS6_EEE10hipError_tPvRmT3_T4_T5_T6_T7_T9_mT8_P12ihipStream_tbDpT10_ENKUlT_T0_E_clISt17integral_constantIbLb1EES1E_IbLb0EEEEDaS1A_S1B_EUlS1A_E_NS1_11comp_targetILNS1_3genE4ELNS1_11target_archE910ELNS1_3gpuE8ELNS1_3repE0EEENS1_30default_config_static_selectorELNS0_4arch9wavefront6targetE0EEEvT1_,comdat
.Lfunc_end680:
	.size	_ZN7rocprim17ROCPRIM_400000_NS6detail17trampoline_kernelINS0_14default_configENS1_25partition_config_selectorILNS1_17partition_subalgoE5ElNS0_10empty_typeEbEEZZNS1_14partition_implILS5_5ELb0ES3_mN6hipcub16HIPCUB_304000_NS21CountingInputIteratorIllEEPS6_NSA_22TransformInputIteratorIbN2at6native12_GLOBAL__N_19NonZeroOpIN3c107complexINSJ_4HalfEEEEEPKSM_lEENS0_5tupleIJPlS6_EEENSR_IJSD_SD_EEES6_PiJS6_EEE10hipError_tPvRmT3_T4_T5_T6_T7_T9_mT8_P12ihipStream_tbDpT10_ENKUlT_T0_E_clISt17integral_constantIbLb1EES1E_IbLb0EEEEDaS1A_S1B_EUlS1A_E_NS1_11comp_targetILNS1_3genE4ELNS1_11target_archE910ELNS1_3gpuE8ELNS1_3repE0EEENS1_30default_config_static_selectorELNS0_4arch9wavefront6targetE0EEEvT1_, .Lfunc_end680-_ZN7rocprim17ROCPRIM_400000_NS6detail17trampoline_kernelINS0_14default_configENS1_25partition_config_selectorILNS1_17partition_subalgoE5ElNS0_10empty_typeEbEEZZNS1_14partition_implILS5_5ELb0ES3_mN6hipcub16HIPCUB_304000_NS21CountingInputIteratorIllEEPS6_NSA_22TransformInputIteratorIbN2at6native12_GLOBAL__N_19NonZeroOpIN3c107complexINSJ_4HalfEEEEEPKSM_lEENS0_5tupleIJPlS6_EEENSR_IJSD_SD_EEES6_PiJS6_EEE10hipError_tPvRmT3_T4_T5_T6_T7_T9_mT8_P12ihipStream_tbDpT10_ENKUlT_T0_E_clISt17integral_constantIbLb1EES1E_IbLb0EEEEDaS1A_S1B_EUlS1A_E_NS1_11comp_targetILNS1_3genE4ELNS1_11target_archE910ELNS1_3gpuE8ELNS1_3repE0EEENS1_30default_config_static_selectorELNS0_4arch9wavefront6targetE0EEEvT1_
                                        ; -- End function
	.section	.AMDGPU.csdata,"",@progbits
; Kernel info:
; codeLenInByte = 0
; NumSgprs: 0
; NumVgprs: 0
; ScratchSize: 0
; MemoryBound: 0
; FloatMode: 240
; IeeeMode: 1
; LDSByteSize: 0 bytes/workgroup (compile time only)
; SGPRBlocks: 0
; VGPRBlocks: 0
; NumSGPRsForWavesPerEU: 1
; NumVGPRsForWavesPerEU: 1
; Occupancy: 15
; WaveLimiterHint : 0
; COMPUTE_PGM_RSRC2:SCRATCH_EN: 0
; COMPUTE_PGM_RSRC2:USER_SGPR: 15
; COMPUTE_PGM_RSRC2:TRAP_HANDLER: 0
; COMPUTE_PGM_RSRC2:TGID_X_EN: 1
; COMPUTE_PGM_RSRC2:TGID_Y_EN: 0
; COMPUTE_PGM_RSRC2:TGID_Z_EN: 0
; COMPUTE_PGM_RSRC2:TIDIG_COMP_CNT: 0
	.section	.text._ZN7rocprim17ROCPRIM_400000_NS6detail17trampoline_kernelINS0_14default_configENS1_25partition_config_selectorILNS1_17partition_subalgoE5ElNS0_10empty_typeEbEEZZNS1_14partition_implILS5_5ELb0ES3_mN6hipcub16HIPCUB_304000_NS21CountingInputIteratorIllEEPS6_NSA_22TransformInputIteratorIbN2at6native12_GLOBAL__N_19NonZeroOpIN3c107complexINSJ_4HalfEEEEEPKSM_lEENS0_5tupleIJPlS6_EEENSR_IJSD_SD_EEES6_PiJS6_EEE10hipError_tPvRmT3_T4_T5_T6_T7_T9_mT8_P12ihipStream_tbDpT10_ENKUlT_T0_E_clISt17integral_constantIbLb1EES1E_IbLb0EEEEDaS1A_S1B_EUlS1A_E_NS1_11comp_targetILNS1_3genE3ELNS1_11target_archE908ELNS1_3gpuE7ELNS1_3repE0EEENS1_30default_config_static_selectorELNS0_4arch9wavefront6targetE0EEEvT1_,"axG",@progbits,_ZN7rocprim17ROCPRIM_400000_NS6detail17trampoline_kernelINS0_14default_configENS1_25partition_config_selectorILNS1_17partition_subalgoE5ElNS0_10empty_typeEbEEZZNS1_14partition_implILS5_5ELb0ES3_mN6hipcub16HIPCUB_304000_NS21CountingInputIteratorIllEEPS6_NSA_22TransformInputIteratorIbN2at6native12_GLOBAL__N_19NonZeroOpIN3c107complexINSJ_4HalfEEEEEPKSM_lEENS0_5tupleIJPlS6_EEENSR_IJSD_SD_EEES6_PiJS6_EEE10hipError_tPvRmT3_T4_T5_T6_T7_T9_mT8_P12ihipStream_tbDpT10_ENKUlT_T0_E_clISt17integral_constantIbLb1EES1E_IbLb0EEEEDaS1A_S1B_EUlS1A_E_NS1_11comp_targetILNS1_3genE3ELNS1_11target_archE908ELNS1_3gpuE7ELNS1_3repE0EEENS1_30default_config_static_selectorELNS0_4arch9wavefront6targetE0EEEvT1_,comdat
	.globl	_ZN7rocprim17ROCPRIM_400000_NS6detail17trampoline_kernelINS0_14default_configENS1_25partition_config_selectorILNS1_17partition_subalgoE5ElNS0_10empty_typeEbEEZZNS1_14partition_implILS5_5ELb0ES3_mN6hipcub16HIPCUB_304000_NS21CountingInputIteratorIllEEPS6_NSA_22TransformInputIteratorIbN2at6native12_GLOBAL__N_19NonZeroOpIN3c107complexINSJ_4HalfEEEEEPKSM_lEENS0_5tupleIJPlS6_EEENSR_IJSD_SD_EEES6_PiJS6_EEE10hipError_tPvRmT3_T4_T5_T6_T7_T9_mT8_P12ihipStream_tbDpT10_ENKUlT_T0_E_clISt17integral_constantIbLb1EES1E_IbLb0EEEEDaS1A_S1B_EUlS1A_E_NS1_11comp_targetILNS1_3genE3ELNS1_11target_archE908ELNS1_3gpuE7ELNS1_3repE0EEENS1_30default_config_static_selectorELNS0_4arch9wavefront6targetE0EEEvT1_ ; -- Begin function _ZN7rocprim17ROCPRIM_400000_NS6detail17trampoline_kernelINS0_14default_configENS1_25partition_config_selectorILNS1_17partition_subalgoE5ElNS0_10empty_typeEbEEZZNS1_14partition_implILS5_5ELb0ES3_mN6hipcub16HIPCUB_304000_NS21CountingInputIteratorIllEEPS6_NSA_22TransformInputIteratorIbN2at6native12_GLOBAL__N_19NonZeroOpIN3c107complexINSJ_4HalfEEEEEPKSM_lEENS0_5tupleIJPlS6_EEENSR_IJSD_SD_EEES6_PiJS6_EEE10hipError_tPvRmT3_T4_T5_T6_T7_T9_mT8_P12ihipStream_tbDpT10_ENKUlT_T0_E_clISt17integral_constantIbLb1EES1E_IbLb0EEEEDaS1A_S1B_EUlS1A_E_NS1_11comp_targetILNS1_3genE3ELNS1_11target_archE908ELNS1_3gpuE7ELNS1_3repE0EEENS1_30default_config_static_selectorELNS0_4arch9wavefront6targetE0EEEvT1_
	.p2align	8
	.type	_ZN7rocprim17ROCPRIM_400000_NS6detail17trampoline_kernelINS0_14default_configENS1_25partition_config_selectorILNS1_17partition_subalgoE5ElNS0_10empty_typeEbEEZZNS1_14partition_implILS5_5ELb0ES3_mN6hipcub16HIPCUB_304000_NS21CountingInputIteratorIllEEPS6_NSA_22TransformInputIteratorIbN2at6native12_GLOBAL__N_19NonZeroOpIN3c107complexINSJ_4HalfEEEEEPKSM_lEENS0_5tupleIJPlS6_EEENSR_IJSD_SD_EEES6_PiJS6_EEE10hipError_tPvRmT3_T4_T5_T6_T7_T9_mT8_P12ihipStream_tbDpT10_ENKUlT_T0_E_clISt17integral_constantIbLb1EES1E_IbLb0EEEEDaS1A_S1B_EUlS1A_E_NS1_11comp_targetILNS1_3genE3ELNS1_11target_archE908ELNS1_3gpuE7ELNS1_3repE0EEENS1_30default_config_static_selectorELNS0_4arch9wavefront6targetE0EEEvT1_,@function
_ZN7rocprim17ROCPRIM_400000_NS6detail17trampoline_kernelINS0_14default_configENS1_25partition_config_selectorILNS1_17partition_subalgoE5ElNS0_10empty_typeEbEEZZNS1_14partition_implILS5_5ELb0ES3_mN6hipcub16HIPCUB_304000_NS21CountingInputIteratorIllEEPS6_NSA_22TransformInputIteratorIbN2at6native12_GLOBAL__N_19NonZeroOpIN3c107complexINSJ_4HalfEEEEEPKSM_lEENS0_5tupleIJPlS6_EEENSR_IJSD_SD_EEES6_PiJS6_EEE10hipError_tPvRmT3_T4_T5_T6_T7_T9_mT8_P12ihipStream_tbDpT10_ENKUlT_T0_E_clISt17integral_constantIbLb1EES1E_IbLb0EEEEDaS1A_S1B_EUlS1A_E_NS1_11comp_targetILNS1_3genE3ELNS1_11target_archE908ELNS1_3gpuE7ELNS1_3repE0EEENS1_30default_config_static_selectorELNS0_4arch9wavefront6targetE0EEEvT1_: ; @_ZN7rocprim17ROCPRIM_400000_NS6detail17trampoline_kernelINS0_14default_configENS1_25partition_config_selectorILNS1_17partition_subalgoE5ElNS0_10empty_typeEbEEZZNS1_14partition_implILS5_5ELb0ES3_mN6hipcub16HIPCUB_304000_NS21CountingInputIteratorIllEEPS6_NSA_22TransformInputIteratorIbN2at6native12_GLOBAL__N_19NonZeroOpIN3c107complexINSJ_4HalfEEEEEPKSM_lEENS0_5tupleIJPlS6_EEENSR_IJSD_SD_EEES6_PiJS6_EEE10hipError_tPvRmT3_T4_T5_T6_T7_T9_mT8_P12ihipStream_tbDpT10_ENKUlT_T0_E_clISt17integral_constantIbLb1EES1E_IbLb0EEEEDaS1A_S1B_EUlS1A_E_NS1_11comp_targetILNS1_3genE3ELNS1_11target_archE908ELNS1_3gpuE7ELNS1_3repE0EEENS1_30default_config_static_selectorELNS0_4arch9wavefront6targetE0EEEvT1_
; %bb.0:
	.section	.rodata,"a",@progbits
	.p2align	6, 0x0
	.amdhsa_kernel _ZN7rocprim17ROCPRIM_400000_NS6detail17trampoline_kernelINS0_14default_configENS1_25partition_config_selectorILNS1_17partition_subalgoE5ElNS0_10empty_typeEbEEZZNS1_14partition_implILS5_5ELb0ES3_mN6hipcub16HIPCUB_304000_NS21CountingInputIteratorIllEEPS6_NSA_22TransformInputIteratorIbN2at6native12_GLOBAL__N_19NonZeroOpIN3c107complexINSJ_4HalfEEEEEPKSM_lEENS0_5tupleIJPlS6_EEENSR_IJSD_SD_EEES6_PiJS6_EEE10hipError_tPvRmT3_T4_T5_T6_T7_T9_mT8_P12ihipStream_tbDpT10_ENKUlT_T0_E_clISt17integral_constantIbLb1EES1E_IbLb0EEEEDaS1A_S1B_EUlS1A_E_NS1_11comp_targetILNS1_3genE3ELNS1_11target_archE908ELNS1_3gpuE7ELNS1_3repE0EEENS1_30default_config_static_selectorELNS0_4arch9wavefront6targetE0EEEvT1_
		.amdhsa_group_segment_fixed_size 0
		.amdhsa_private_segment_fixed_size 0
		.amdhsa_kernarg_size 120
		.amdhsa_user_sgpr_count 15
		.amdhsa_user_sgpr_dispatch_ptr 0
		.amdhsa_user_sgpr_queue_ptr 0
		.amdhsa_user_sgpr_kernarg_segment_ptr 1
		.amdhsa_user_sgpr_dispatch_id 0
		.amdhsa_user_sgpr_private_segment_size 0
		.amdhsa_wavefront_size32 1
		.amdhsa_uses_dynamic_stack 0
		.amdhsa_enable_private_segment 0
		.amdhsa_system_sgpr_workgroup_id_x 1
		.amdhsa_system_sgpr_workgroup_id_y 0
		.amdhsa_system_sgpr_workgroup_id_z 0
		.amdhsa_system_sgpr_workgroup_info 0
		.amdhsa_system_vgpr_workitem_id 0
		.amdhsa_next_free_vgpr 1
		.amdhsa_next_free_sgpr 1
		.amdhsa_reserve_vcc 0
		.amdhsa_float_round_mode_32 0
		.amdhsa_float_round_mode_16_64 0
		.amdhsa_float_denorm_mode_32 3
		.amdhsa_float_denorm_mode_16_64 3
		.amdhsa_dx10_clamp 1
		.amdhsa_ieee_mode 1
		.amdhsa_fp16_overflow 0
		.amdhsa_workgroup_processor_mode 1
		.amdhsa_memory_ordered 1
		.amdhsa_forward_progress 0
		.amdhsa_shared_vgpr_count 0
		.amdhsa_exception_fp_ieee_invalid_op 0
		.amdhsa_exception_fp_denorm_src 0
		.amdhsa_exception_fp_ieee_div_zero 0
		.amdhsa_exception_fp_ieee_overflow 0
		.amdhsa_exception_fp_ieee_underflow 0
		.amdhsa_exception_fp_ieee_inexact 0
		.amdhsa_exception_int_div_zero 0
	.end_amdhsa_kernel
	.section	.text._ZN7rocprim17ROCPRIM_400000_NS6detail17trampoline_kernelINS0_14default_configENS1_25partition_config_selectorILNS1_17partition_subalgoE5ElNS0_10empty_typeEbEEZZNS1_14partition_implILS5_5ELb0ES3_mN6hipcub16HIPCUB_304000_NS21CountingInputIteratorIllEEPS6_NSA_22TransformInputIteratorIbN2at6native12_GLOBAL__N_19NonZeroOpIN3c107complexINSJ_4HalfEEEEEPKSM_lEENS0_5tupleIJPlS6_EEENSR_IJSD_SD_EEES6_PiJS6_EEE10hipError_tPvRmT3_T4_T5_T6_T7_T9_mT8_P12ihipStream_tbDpT10_ENKUlT_T0_E_clISt17integral_constantIbLb1EES1E_IbLb0EEEEDaS1A_S1B_EUlS1A_E_NS1_11comp_targetILNS1_3genE3ELNS1_11target_archE908ELNS1_3gpuE7ELNS1_3repE0EEENS1_30default_config_static_selectorELNS0_4arch9wavefront6targetE0EEEvT1_,"axG",@progbits,_ZN7rocprim17ROCPRIM_400000_NS6detail17trampoline_kernelINS0_14default_configENS1_25partition_config_selectorILNS1_17partition_subalgoE5ElNS0_10empty_typeEbEEZZNS1_14partition_implILS5_5ELb0ES3_mN6hipcub16HIPCUB_304000_NS21CountingInputIteratorIllEEPS6_NSA_22TransformInputIteratorIbN2at6native12_GLOBAL__N_19NonZeroOpIN3c107complexINSJ_4HalfEEEEEPKSM_lEENS0_5tupleIJPlS6_EEENSR_IJSD_SD_EEES6_PiJS6_EEE10hipError_tPvRmT3_T4_T5_T6_T7_T9_mT8_P12ihipStream_tbDpT10_ENKUlT_T0_E_clISt17integral_constantIbLb1EES1E_IbLb0EEEEDaS1A_S1B_EUlS1A_E_NS1_11comp_targetILNS1_3genE3ELNS1_11target_archE908ELNS1_3gpuE7ELNS1_3repE0EEENS1_30default_config_static_selectorELNS0_4arch9wavefront6targetE0EEEvT1_,comdat
.Lfunc_end681:
	.size	_ZN7rocprim17ROCPRIM_400000_NS6detail17trampoline_kernelINS0_14default_configENS1_25partition_config_selectorILNS1_17partition_subalgoE5ElNS0_10empty_typeEbEEZZNS1_14partition_implILS5_5ELb0ES3_mN6hipcub16HIPCUB_304000_NS21CountingInputIteratorIllEEPS6_NSA_22TransformInputIteratorIbN2at6native12_GLOBAL__N_19NonZeroOpIN3c107complexINSJ_4HalfEEEEEPKSM_lEENS0_5tupleIJPlS6_EEENSR_IJSD_SD_EEES6_PiJS6_EEE10hipError_tPvRmT3_T4_T5_T6_T7_T9_mT8_P12ihipStream_tbDpT10_ENKUlT_T0_E_clISt17integral_constantIbLb1EES1E_IbLb0EEEEDaS1A_S1B_EUlS1A_E_NS1_11comp_targetILNS1_3genE3ELNS1_11target_archE908ELNS1_3gpuE7ELNS1_3repE0EEENS1_30default_config_static_selectorELNS0_4arch9wavefront6targetE0EEEvT1_, .Lfunc_end681-_ZN7rocprim17ROCPRIM_400000_NS6detail17trampoline_kernelINS0_14default_configENS1_25partition_config_selectorILNS1_17partition_subalgoE5ElNS0_10empty_typeEbEEZZNS1_14partition_implILS5_5ELb0ES3_mN6hipcub16HIPCUB_304000_NS21CountingInputIteratorIllEEPS6_NSA_22TransformInputIteratorIbN2at6native12_GLOBAL__N_19NonZeroOpIN3c107complexINSJ_4HalfEEEEEPKSM_lEENS0_5tupleIJPlS6_EEENSR_IJSD_SD_EEES6_PiJS6_EEE10hipError_tPvRmT3_T4_T5_T6_T7_T9_mT8_P12ihipStream_tbDpT10_ENKUlT_T0_E_clISt17integral_constantIbLb1EES1E_IbLb0EEEEDaS1A_S1B_EUlS1A_E_NS1_11comp_targetILNS1_3genE3ELNS1_11target_archE908ELNS1_3gpuE7ELNS1_3repE0EEENS1_30default_config_static_selectorELNS0_4arch9wavefront6targetE0EEEvT1_
                                        ; -- End function
	.section	.AMDGPU.csdata,"",@progbits
; Kernel info:
; codeLenInByte = 0
; NumSgprs: 0
; NumVgprs: 0
; ScratchSize: 0
; MemoryBound: 0
; FloatMode: 240
; IeeeMode: 1
; LDSByteSize: 0 bytes/workgroup (compile time only)
; SGPRBlocks: 0
; VGPRBlocks: 0
; NumSGPRsForWavesPerEU: 1
; NumVGPRsForWavesPerEU: 1
; Occupancy: 16
; WaveLimiterHint : 0
; COMPUTE_PGM_RSRC2:SCRATCH_EN: 0
; COMPUTE_PGM_RSRC2:USER_SGPR: 15
; COMPUTE_PGM_RSRC2:TRAP_HANDLER: 0
; COMPUTE_PGM_RSRC2:TGID_X_EN: 1
; COMPUTE_PGM_RSRC2:TGID_Y_EN: 0
; COMPUTE_PGM_RSRC2:TGID_Z_EN: 0
; COMPUTE_PGM_RSRC2:TIDIG_COMP_CNT: 0
	.section	.text._ZN7rocprim17ROCPRIM_400000_NS6detail17trampoline_kernelINS0_14default_configENS1_25partition_config_selectorILNS1_17partition_subalgoE5ElNS0_10empty_typeEbEEZZNS1_14partition_implILS5_5ELb0ES3_mN6hipcub16HIPCUB_304000_NS21CountingInputIteratorIllEEPS6_NSA_22TransformInputIteratorIbN2at6native12_GLOBAL__N_19NonZeroOpIN3c107complexINSJ_4HalfEEEEEPKSM_lEENS0_5tupleIJPlS6_EEENSR_IJSD_SD_EEES6_PiJS6_EEE10hipError_tPvRmT3_T4_T5_T6_T7_T9_mT8_P12ihipStream_tbDpT10_ENKUlT_T0_E_clISt17integral_constantIbLb1EES1E_IbLb0EEEEDaS1A_S1B_EUlS1A_E_NS1_11comp_targetILNS1_3genE2ELNS1_11target_archE906ELNS1_3gpuE6ELNS1_3repE0EEENS1_30default_config_static_selectorELNS0_4arch9wavefront6targetE0EEEvT1_,"axG",@progbits,_ZN7rocprim17ROCPRIM_400000_NS6detail17trampoline_kernelINS0_14default_configENS1_25partition_config_selectorILNS1_17partition_subalgoE5ElNS0_10empty_typeEbEEZZNS1_14partition_implILS5_5ELb0ES3_mN6hipcub16HIPCUB_304000_NS21CountingInputIteratorIllEEPS6_NSA_22TransformInputIteratorIbN2at6native12_GLOBAL__N_19NonZeroOpIN3c107complexINSJ_4HalfEEEEEPKSM_lEENS0_5tupleIJPlS6_EEENSR_IJSD_SD_EEES6_PiJS6_EEE10hipError_tPvRmT3_T4_T5_T6_T7_T9_mT8_P12ihipStream_tbDpT10_ENKUlT_T0_E_clISt17integral_constantIbLb1EES1E_IbLb0EEEEDaS1A_S1B_EUlS1A_E_NS1_11comp_targetILNS1_3genE2ELNS1_11target_archE906ELNS1_3gpuE6ELNS1_3repE0EEENS1_30default_config_static_selectorELNS0_4arch9wavefront6targetE0EEEvT1_,comdat
	.globl	_ZN7rocprim17ROCPRIM_400000_NS6detail17trampoline_kernelINS0_14default_configENS1_25partition_config_selectorILNS1_17partition_subalgoE5ElNS0_10empty_typeEbEEZZNS1_14partition_implILS5_5ELb0ES3_mN6hipcub16HIPCUB_304000_NS21CountingInputIteratorIllEEPS6_NSA_22TransformInputIteratorIbN2at6native12_GLOBAL__N_19NonZeroOpIN3c107complexINSJ_4HalfEEEEEPKSM_lEENS0_5tupleIJPlS6_EEENSR_IJSD_SD_EEES6_PiJS6_EEE10hipError_tPvRmT3_T4_T5_T6_T7_T9_mT8_P12ihipStream_tbDpT10_ENKUlT_T0_E_clISt17integral_constantIbLb1EES1E_IbLb0EEEEDaS1A_S1B_EUlS1A_E_NS1_11comp_targetILNS1_3genE2ELNS1_11target_archE906ELNS1_3gpuE6ELNS1_3repE0EEENS1_30default_config_static_selectorELNS0_4arch9wavefront6targetE0EEEvT1_ ; -- Begin function _ZN7rocprim17ROCPRIM_400000_NS6detail17trampoline_kernelINS0_14default_configENS1_25partition_config_selectorILNS1_17partition_subalgoE5ElNS0_10empty_typeEbEEZZNS1_14partition_implILS5_5ELb0ES3_mN6hipcub16HIPCUB_304000_NS21CountingInputIteratorIllEEPS6_NSA_22TransformInputIteratorIbN2at6native12_GLOBAL__N_19NonZeroOpIN3c107complexINSJ_4HalfEEEEEPKSM_lEENS0_5tupleIJPlS6_EEENSR_IJSD_SD_EEES6_PiJS6_EEE10hipError_tPvRmT3_T4_T5_T6_T7_T9_mT8_P12ihipStream_tbDpT10_ENKUlT_T0_E_clISt17integral_constantIbLb1EES1E_IbLb0EEEEDaS1A_S1B_EUlS1A_E_NS1_11comp_targetILNS1_3genE2ELNS1_11target_archE906ELNS1_3gpuE6ELNS1_3repE0EEENS1_30default_config_static_selectorELNS0_4arch9wavefront6targetE0EEEvT1_
	.p2align	8
	.type	_ZN7rocprim17ROCPRIM_400000_NS6detail17trampoline_kernelINS0_14default_configENS1_25partition_config_selectorILNS1_17partition_subalgoE5ElNS0_10empty_typeEbEEZZNS1_14partition_implILS5_5ELb0ES3_mN6hipcub16HIPCUB_304000_NS21CountingInputIteratorIllEEPS6_NSA_22TransformInputIteratorIbN2at6native12_GLOBAL__N_19NonZeroOpIN3c107complexINSJ_4HalfEEEEEPKSM_lEENS0_5tupleIJPlS6_EEENSR_IJSD_SD_EEES6_PiJS6_EEE10hipError_tPvRmT3_T4_T5_T6_T7_T9_mT8_P12ihipStream_tbDpT10_ENKUlT_T0_E_clISt17integral_constantIbLb1EES1E_IbLb0EEEEDaS1A_S1B_EUlS1A_E_NS1_11comp_targetILNS1_3genE2ELNS1_11target_archE906ELNS1_3gpuE6ELNS1_3repE0EEENS1_30default_config_static_selectorELNS0_4arch9wavefront6targetE0EEEvT1_,@function
_ZN7rocprim17ROCPRIM_400000_NS6detail17trampoline_kernelINS0_14default_configENS1_25partition_config_selectorILNS1_17partition_subalgoE5ElNS0_10empty_typeEbEEZZNS1_14partition_implILS5_5ELb0ES3_mN6hipcub16HIPCUB_304000_NS21CountingInputIteratorIllEEPS6_NSA_22TransformInputIteratorIbN2at6native12_GLOBAL__N_19NonZeroOpIN3c107complexINSJ_4HalfEEEEEPKSM_lEENS0_5tupleIJPlS6_EEENSR_IJSD_SD_EEES6_PiJS6_EEE10hipError_tPvRmT3_T4_T5_T6_T7_T9_mT8_P12ihipStream_tbDpT10_ENKUlT_T0_E_clISt17integral_constantIbLb1EES1E_IbLb0EEEEDaS1A_S1B_EUlS1A_E_NS1_11comp_targetILNS1_3genE2ELNS1_11target_archE906ELNS1_3gpuE6ELNS1_3repE0EEENS1_30default_config_static_selectorELNS0_4arch9wavefront6targetE0EEEvT1_: ; @_ZN7rocprim17ROCPRIM_400000_NS6detail17trampoline_kernelINS0_14default_configENS1_25partition_config_selectorILNS1_17partition_subalgoE5ElNS0_10empty_typeEbEEZZNS1_14partition_implILS5_5ELb0ES3_mN6hipcub16HIPCUB_304000_NS21CountingInputIteratorIllEEPS6_NSA_22TransformInputIteratorIbN2at6native12_GLOBAL__N_19NonZeroOpIN3c107complexINSJ_4HalfEEEEEPKSM_lEENS0_5tupleIJPlS6_EEENSR_IJSD_SD_EEES6_PiJS6_EEE10hipError_tPvRmT3_T4_T5_T6_T7_T9_mT8_P12ihipStream_tbDpT10_ENKUlT_T0_E_clISt17integral_constantIbLb1EES1E_IbLb0EEEEDaS1A_S1B_EUlS1A_E_NS1_11comp_targetILNS1_3genE2ELNS1_11target_archE906ELNS1_3gpuE6ELNS1_3repE0EEENS1_30default_config_static_selectorELNS0_4arch9wavefront6targetE0EEEvT1_
; %bb.0:
	.section	.rodata,"a",@progbits
	.p2align	6, 0x0
	.amdhsa_kernel _ZN7rocprim17ROCPRIM_400000_NS6detail17trampoline_kernelINS0_14default_configENS1_25partition_config_selectorILNS1_17partition_subalgoE5ElNS0_10empty_typeEbEEZZNS1_14partition_implILS5_5ELb0ES3_mN6hipcub16HIPCUB_304000_NS21CountingInputIteratorIllEEPS6_NSA_22TransformInputIteratorIbN2at6native12_GLOBAL__N_19NonZeroOpIN3c107complexINSJ_4HalfEEEEEPKSM_lEENS0_5tupleIJPlS6_EEENSR_IJSD_SD_EEES6_PiJS6_EEE10hipError_tPvRmT3_T4_T5_T6_T7_T9_mT8_P12ihipStream_tbDpT10_ENKUlT_T0_E_clISt17integral_constantIbLb1EES1E_IbLb0EEEEDaS1A_S1B_EUlS1A_E_NS1_11comp_targetILNS1_3genE2ELNS1_11target_archE906ELNS1_3gpuE6ELNS1_3repE0EEENS1_30default_config_static_selectorELNS0_4arch9wavefront6targetE0EEEvT1_
		.amdhsa_group_segment_fixed_size 0
		.amdhsa_private_segment_fixed_size 0
		.amdhsa_kernarg_size 120
		.amdhsa_user_sgpr_count 15
		.amdhsa_user_sgpr_dispatch_ptr 0
		.amdhsa_user_sgpr_queue_ptr 0
		.amdhsa_user_sgpr_kernarg_segment_ptr 1
		.amdhsa_user_sgpr_dispatch_id 0
		.amdhsa_user_sgpr_private_segment_size 0
		.amdhsa_wavefront_size32 1
		.amdhsa_uses_dynamic_stack 0
		.amdhsa_enable_private_segment 0
		.amdhsa_system_sgpr_workgroup_id_x 1
		.amdhsa_system_sgpr_workgroup_id_y 0
		.amdhsa_system_sgpr_workgroup_id_z 0
		.amdhsa_system_sgpr_workgroup_info 0
		.amdhsa_system_vgpr_workitem_id 0
		.amdhsa_next_free_vgpr 1
		.amdhsa_next_free_sgpr 1
		.amdhsa_reserve_vcc 0
		.amdhsa_float_round_mode_32 0
		.amdhsa_float_round_mode_16_64 0
		.amdhsa_float_denorm_mode_32 3
		.amdhsa_float_denorm_mode_16_64 3
		.amdhsa_dx10_clamp 1
		.amdhsa_ieee_mode 1
		.amdhsa_fp16_overflow 0
		.amdhsa_workgroup_processor_mode 1
		.amdhsa_memory_ordered 1
		.amdhsa_forward_progress 0
		.amdhsa_shared_vgpr_count 0
		.amdhsa_exception_fp_ieee_invalid_op 0
		.amdhsa_exception_fp_denorm_src 0
		.amdhsa_exception_fp_ieee_div_zero 0
		.amdhsa_exception_fp_ieee_overflow 0
		.amdhsa_exception_fp_ieee_underflow 0
		.amdhsa_exception_fp_ieee_inexact 0
		.amdhsa_exception_int_div_zero 0
	.end_amdhsa_kernel
	.section	.text._ZN7rocprim17ROCPRIM_400000_NS6detail17trampoline_kernelINS0_14default_configENS1_25partition_config_selectorILNS1_17partition_subalgoE5ElNS0_10empty_typeEbEEZZNS1_14partition_implILS5_5ELb0ES3_mN6hipcub16HIPCUB_304000_NS21CountingInputIteratorIllEEPS6_NSA_22TransformInputIteratorIbN2at6native12_GLOBAL__N_19NonZeroOpIN3c107complexINSJ_4HalfEEEEEPKSM_lEENS0_5tupleIJPlS6_EEENSR_IJSD_SD_EEES6_PiJS6_EEE10hipError_tPvRmT3_T4_T5_T6_T7_T9_mT8_P12ihipStream_tbDpT10_ENKUlT_T0_E_clISt17integral_constantIbLb1EES1E_IbLb0EEEEDaS1A_S1B_EUlS1A_E_NS1_11comp_targetILNS1_3genE2ELNS1_11target_archE906ELNS1_3gpuE6ELNS1_3repE0EEENS1_30default_config_static_selectorELNS0_4arch9wavefront6targetE0EEEvT1_,"axG",@progbits,_ZN7rocprim17ROCPRIM_400000_NS6detail17trampoline_kernelINS0_14default_configENS1_25partition_config_selectorILNS1_17partition_subalgoE5ElNS0_10empty_typeEbEEZZNS1_14partition_implILS5_5ELb0ES3_mN6hipcub16HIPCUB_304000_NS21CountingInputIteratorIllEEPS6_NSA_22TransformInputIteratorIbN2at6native12_GLOBAL__N_19NonZeroOpIN3c107complexINSJ_4HalfEEEEEPKSM_lEENS0_5tupleIJPlS6_EEENSR_IJSD_SD_EEES6_PiJS6_EEE10hipError_tPvRmT3_T4_T5_T6_T7_T9_mT8_P12ihipStream_tbDpT10_ENKUlT_T0_E_clISt17integral_constantIbLb1EES1E_IbLb0EEEEDaS1A_S1B_EUlS1A_E_NS1_11comp_targetILNS1_3genE2ELNS1_11target_archE906ELNS1_3gpuE6ELNS1_3repE0EEENS1_30default_config_static_selectorELNS0_4arch9wavefront6targetE0EEEvT1_,comdat
.Lfunc_end682:
	.size	_ZN7rocprim17ROCPRIM_400000_NS6detail17trampoline_kernelINS0_14default_configENS1_25partition_config_selectorILNS1_17partition_subalgoE5ElNS0_10empty_typeEbEEZZNS1_14partition_implILS5_5ELb0ES3_mN6hipcub16HIPCUB_304000_NS21CountingInputIteratorIllEEPS6_NSA_22TransformInputIteratorIbN2at6native12_GLOBAL__N_19NonZeroOpIN3c107complexINSJ_4HalfEEEEEPKSM_lEENS0_5tupleIJPlS6_EEENSR_IJSD_SD_EEES6_PiJS6_EEE10hipError_tPvRmT3_T4_T5_T6_T7_T9_mT8_P12ihipStream_tbDpT10_ENKUlT_T0_E_clISt17integral_constantIbLb1EES1E_IbLb0EEEEDaS1A_S1B_EUlS1A_E_NS1_11comp_targetILNS1_3genE2ELNS1_11target_archE906ELNS1_3gpuE6ELNS1_3repE0EEENS1_30default_config_static_selectorELNS0_4arch9wavefront6targetE0EEEvT1_, .Lfunc_end682-_ZN7rocprim17ROCPRIM_400000_NS6detail17trampoline_kernelINS0_14default_configENS1_25partition_config_selectorILNS1_17partition_subalgoE5ElNS0_10empty_typeEbEEZZNS1_14partition_implILS5_5ELb0ES3_mN6hipcub16HIPCUB_304000_NS21CountingInputIteratorIllEEPS6_NSA_22TransformInputIteratorIbN2at6native12_GLOBAL__N_19NonZeroOpIN3c107complexINSJ_4HalfEEEEEPKSM_lEENS0_5tupleIJPlS6_EEENSR_IJSD_SD_EEES6_PiJS6_EEE10hipError_tPvRmT3_T4_T5_T6_T7_T9_mT8_P12ihipStream_tbDpT10_ENKUlT_T0_E_clISt17integral_constantIbLb1EES1E_IbLb0EEEEDaS1A_S1B_EUlS1A_E_NS1_11comp_targetILNS1_3genE2ELNS1_11target_archE906ELNS1_3gpuE6ELNS1_3repE0EEENS1_30default_config_static_selectorELNS0_4arch9wavefront6targetE0EEEvT1_
                                        ; -- End function
	.section	.AMDGPU.csdata,"",@progbits
; Kernel info:
; codeLenInByte = 0
; NumSgprs: 0
; NumVgprs: 0
; ScratchSize: 0
; MemoryBound: 0
; FloatMode: 240
; IeeeMode: 1
; LDSByteSize: 0 bytes/workgroup (compile time only)
; SGPRBlocks: 0
; VGPRBlocks: 0
; NumSGPRsForWavesPerEU: 1
; NumVGPRsForWavesPerEU: 1
; Occupancy: 16
; WaveLimiterHint : 0
; COMPUTE_PGM_RSRC2:SCRATCH_EN: 0
; COMPUTE_PGM_RSRC2:USER_SGPR: 15
; COMPUTE_PGM_RSRC2:TRAP_HANDLER: 0
; COMPUTE_PGM_RSRC2:TGID_X_EN: 1
; COMPUTE_PGM_RSRC2:TGID_Y_EN: 0
; COMPUTE_PGM_RSRC2:TGID_Z_EN: 0
; COMPUTE_PGM_RSRC2:TIDIG_COMP_CNT: 0
	.section	.text._ZN7rocprim17ROCPRIM_400000_NS6detail17trampoline_kernelINS0_14default_configENS1_25partition_config_selectorILNS1_17partition_subalgoE5ElNS0_10empty_typeEbEEZZNS1_14partition_implILS5_5ELb0ES3_mN6hipcub16HIPCUB_304000_NS21CountingInputIteratorIllEEPS6_NSA_22TransformInputIteratorIbN2at6native12_GLOBAL__N_19NonZeroOpIN3c107complexINSJ_4HalfEEEEEPKSM_lEENS0_5tupleIJPlS6_EEENSR_IJSD_SD_EEES6_PiJS6_EEE10hipError_tPvRmT3_T4_T5_T6_T7_T9_mT8_P12ihipStream_tbDpT10_ENKUlT_T0_E_clISt17integral_constantIbLb1EES1E_IbLb0EEEEDaS1A_S1B_EUlS1A_E_NS1_11comp_targetILNS1_3genE10ELNS1_11target_archE1200ELNS1_3gpuE4ELNS1_3repE0EEENS1_30default_config_static_selectorELNS0_4arch9wavefront6targetE0EEEvT1_,"axG",@progbits,_ZN7rocprim17ROCPRIM_400000_NS6detail17trampoline_kernelINS0_14default_configENS1_25partition_config_selectorILNS1_17partition_subalgoE5ElNS0_10empty_typeEbEEZZNS1_14partition_implILS5_5ELb0ES3_mN6hipcub16HIPCUB_304000_NS21CountingInputIteratorIllEEPS6_NSA_22TransformInputIteratorIbN2at6native12_GLOBAL__N_19NonZeroOpIN3c107complexINSJ_4HalfEEEEEPKSM_lEENS0_5tupleIJPlS6_EEENSR_IJSD_SD_EEES6_PiJS6_EEE10hipError_tPvRmT3_T4_T5_T6_T7_T9_mT8_P12ihipStream_tbDpT10_ENKUlT_T0_E_clISt17integral_constantIbLb1EES1E_IbLb0EEEEDaS1A_S1B_EUlS1A_E_NS1_11comp_targetILNS1_3genE10ELNS1_11target_archE1200ELNS1_3gpuE4ELNS1_3repE0EEENS1_30default_config_static_selectorELNS0_4arch9wavefront6targetE0EEEvT1_,comdat
	.globl	_ZN7rocprim17ROCPRIM_400000_NS6detail17trampoline_kernelINS0_14default_configENS1_25partition_config_selectorILNS1_17partition_subalgoE5ElNS0_10empty_typeEbEEZZNS1_14partition_implILS5_5ELb0ES3_mN6hipcub16HIPCUB_304000_NS21CountingInputIteratorIllEEPS6_NSA_22TransformInputIteratorIbN2at6native12_GLOBAL__N_19NonZeroOpIN3c107complexINSJ_4HalfEEEEEPKSM_lEENS0_5tupleIJPlS6_EEENSR_IJSD_SD_EEES6_PiJS6_EEE10hipError_tPvRmT3_T4_T5_T6_T7_T9_mT8_P12ihipStream_tbDpT10_ENKUlT_T0_E_clISt17integral_constantIbLb1EES1E_IbLb0EEEEDaS1A_S1B_EUlS1A_E_NS1_11comp_targetILNS1_3genE10ELNS1_11target_archE1200ELNS1_3gpuE4ELNS1_3repE0EEENS1_30default_config_static_selectorELNS0_4arch9wavefront6targetE0EEEvT1_ ; -- Begin function _ZN7rocprim17ROCPRIM_400000_NS6detail17trampoline_kernelINS0_14default_configENS1_25partition_config_selectorILNS1_17partition_subalgoE5ElNS0_10empty_typeEbEEZZNS1_14partition_implILS5_5ELb0ES3_mN6hipcub16HIPCUB_304000_NS21CountingInputIteratorIllEEPS6_NSA_22TransformInputIteratorIbN2at6native12_GLOBAL__N_19NonZeroOpIN3c107complexINSJ_4HalfEEEEEPKSM_lEENS0_5tupleIJPlS6_EEENSR_IJSD_SD_EEES6_PiJS6_EEE10hipError_tPvRmT3_T4_T5_T6_T7_T9_mT8_P12ihipStream_tbDpT10_ENKUlT_T0_E_clISt17integral_constantIbLb1EES1E_IbLb0EEEEDaS1A_S1B_EUlS1A_E_NS1_11comp_targetILNS1_3genE10ELNS1_11target_archE1200ELNS1_3gpuE4ELNS1_3repE0EEENS1_30default_config_static_selectorELNS0_4arch9wavefront6targetE0EEEvT1_
	.p2align	8
	.type	_ZN7rocprim17ROCPRIM_400000_NS6detail17trampoline_kernelINS0_14default_configENS1_25partition_config_selectorILNS1_17partition_subalgoE5ElNS0_10empty_typeEbEEZZNS1_14partition_implILS5_5ELb0ES3_mN6hipcub16HIPCUB_304000_NS21CountingInputIteratorIllEEPS6_NSA_22TransformInputIteratorIbN2at6native12_GLOBAL__N_19NonZeroOpIN3c107complexINSJ_4HalfEEEEEPKSM_lEENS0_5tupleIJPlS6_EEENSR_IJSD_SD_EEES6_PiJS6_EEE10hipError_tPvRmT3_T4_T5_T6_T7_T9_mT8_P12ihipStream_tbDpT10_ENKUlT_T0_E_clISt17integral_constantIbLb1EES1E_IbLb0EEEEDaS1A_S1B_EUlS1A_E_NS1_11comp_targetILNS1_3genE10ELNS1_11target_archE1200ELNS1_3gpuE4ELNS1_3repE0EEENS1_30default_config_static_selectorELNS0_4arch9wavefront6targetE0EEEvT1_,@function
_ZN7rocprim17ROCPRIM_400000_NS6detail17trampoline_kernelINS0_14default_configENS1_25partition_config_selectorILNS1_17partition_subalgoE5ElNS0_10empty_typeEbEEZZNS1_14partition_implILS5_5ELb0ES3_mN6hipcub16HIPCUB_304000_NS21CountingInputIteratorIllEEPS6_NSA_22TransformInputIteratorIbN2at6native12_GLOBAL__N_19NonZeroOpIN3c107complexINSJ_4HalfEEEEEPKSM_lEENS0_5tupleIJPlS6_EEENSR_IJSD_SD_EEES6_PiJS6_EEE10hipError_tPvRmT3_T4_T5_T6_T7_T9_mT8_P12ihipStream_tbDpT10_ENKUlT_T0_E_clISt17integral_constantIbLb1EES1E_IbLb0EEEEDaS1A_S1B_EUlS1A_E_NS1_11comp_targetILNS1_3genE10ELNS1_11target_archE1200ELNS1_3gpuE4ELNS1_3repE0EEENS1_30default_config_static_selectorELNS0_4arch9wavefront6targetE0EEEvT1_: ; @_ZN7rocprim17ROCPRIM_400000_NS6detail17trampoline_kernelINS0_14default_configENS1_25partition_config_selectorILNS1_17partition_subalgoE5ElNS0_10empty_typeEbEEZZNS1_14partition_implILS5_5ELb0ES3_mN6hipcub16HIPCUB_304000_NS21CountingInputIteratorIllEEPS6_NSA_22TransformInputIteratorIbN2at6native12_GLOBAL__N_19NonZeroOpIN3c107complexINSJ_4HalfEEEEEPKSM_lEENS0_5tupleIJPlS6_EEENSR_IJSD_SD_EEES6_PiJS6_EEE10hipError_tPvRmT3_T4_T5_T6_T7_T9_mT8_P12ihipStream_tbDpT10_ENKUlT_T0_E_clISt17integral_constantIbLb1EES1E_IbLb0EEEEDaS1A_S1B_EUlS1A_E_NS1_11comp_targetILNS1_3genE10ELNS1_11target_archE1200ELNS1_3gpuE4ELNS1_3repE0EEENS1_30default_config_static_selectorELNS0_4arch9wavefront6targetE0EEEvT1_
; %bb.0:
	.section	.rodata,"a",@progbits
	.p2align	6, 0x0
	.amdhsa_kernel _ZN7rocprim17ROCPRIM_400000_NS6detail17trampoline_kernelINS0_14default_configENS1_25partition_config_selectorILNS1_17partition_subalgoE5ElNS0_10empty_typeEbEEZZNS1_14partition_implILS5_5ELb0ES3_mN6hipcub16HIPCUB_304000_NS21CountingInputIteratorIllEEPS6_NSA_22TransformInputIteratorIbN2at6native12_GLOBAL__N_19NonZeroOpIN3c107complexINSJ_4HalfEEEEEPKSM_lEENS0_5tupleIJPlS6_EEENSR_IJSD_SD_EEES6_PiJS6_EEE10hipError_tPvRmT3_T4_T5_T6_T7_T9_mT8_P12ihipStream_tbDpT10_ENKUlT_T0_E_clISt17integral_constantIbLb1EES1E_IbLb0EEEEDaS1A_S1B_EUlS1A_E_NS1_11comp_targetILNS1_3genE10ELNS1_11target_archE1200ELNS1_3gpuE4ELNS1_3repE0EEENS1_30default_config_static_selectorELNS0_4arch9wavefront6targetE0EEEvT1_
		.amdhsa_group_segment_fixed_size 0
		.amdhsa_private_segment_fixed_size 0
		.amdhsa_kernarg_size 120
		.amdhsa_user_sgpr_count 15
		.amdhsa_user_sgpr_dispatch_ptr 0
		.amdhsa_user_sgpr_queue_ptr 0
		.amdhsa_user_sgpr_kernarg_segment_ptr 1
		.amdhsa_user_sgpr_dispatch_id 0
		.amdhsa_user_sgpr_private_segment_size 0
		.amdhsa_wavefront_size32 1
		.amdhsa_uses_dynamic_stack 0
		.amdhsa_enable_private_segment 0
		.amdhsa_system_sgpr_workgroup_id_x 1
		.amdhsa_system_sgpr_workgroup_id_y 0
		.amdhsa_system_sgpr_workgroup_id_z 0
		.amdhsa_system_sgpr_workgroup_info 0
		.amdhsa_system_vgpr_workitem_id 0
		.amdhsa_next_free_vgpr 1
		.amdhsa_next_free_sgpr 1
		.amdhsa_reserve_vcc 0
		.amdhsa_float_round_mode_32 0
		.amdhsa_float_round_mode_16_64 0
		.amdhsa_float_denorm_mode_32 3
		.amdhsa_float_denorm_mode_16_64 3
		.amdhsa_dx10_clamp 1
		.amdhsa_ieee_mode 1
		.amdhsa_fp16_overflow 0
		.amdhsa_workgroup_processor_mode 1
		.amdhsa_memory_ordered 1
		.amdhsa_forward_progress 0
		.amdhsa_shared_vgpr_count 0
		.amdhsa_exception_fp_ieee_invalid_op 0
		.amdhsa_exception_fp_denorm_src 0
		.amdhsa_exception_fp_ieee_div_zero 0
		.amdhsa_exception_fp_ieee_overflow 0
		.amdhsa_exception_fp_ieee_underflow 0
		.amdhsa_exception_fp_ieee_inexact 0
		.amdhsa_exception_int_div_zero 0
	.end_amdhsa_kernel
	.section	.text._ZN7rocprim17ROCPRIM_400000_NS6detail17trampoline_kernelINS0_14default_configENS1_25partition_config_selectorILNS1_17partition_subalgoE5ElNS0_10empty_typeEbEEZZNS1_14partition_implILS5_5ELb0ES3_mN6hipcub16HIPCUB_304000_NS21CountingInputIteratorIllEEPS6_NSA_22TransformInputIteratorIbN2at6native12_GLOBAL__N_19NonZeroOpIN3c107complexINSJ_4HalfEEEEEPKSM_lEENS0_5tupleIJPlS6_EEENSR_IJSD_SD_EEES6_PiJS6_EEE10hipError_tPvRmT3_T4_T5_T6_T7_T9_mT8_P12ihipStream_tbDpT10_ENKUlT_T0_E_clISt17integral_constantIbLb1EES1E_IbLb0EEEEDaS1A_S1B_EUlS1A_E_NS1_11comp_targetILNS1_3genE10ELNS1_11target_archE1200ELNS1_3gpuE4ELNS1_3repE0EEENS1_30default_config_static_selectorELNS0_4arch9wavefront6targetE0EEEvT1_,"axG",@progbits,_ZN7rocprim17ROCPRIM_400000_NS6detail17trampoline_kernelINS0_14default_configENS1_25partition_config_selectorILNS1_17partition_subalgoE5ElNS0_10empty_typeEbEEZZNS1_14partition_implILS5_5ELb0ES3_mN6hipcub16HIPCUB_304000_NS21CountingInputIteratorIllEEPS6_NSA_22TransformInputIteratorIbN2at6native12_GLOBAL__N_19NonZeroOpIN3c107complexINSJ_4HalfEEEEEPKSM_lEENS0_5tupleIJPlS6_EEENSR_IJSD_SD_EEES6_PiJS6_EEE10hipError_tPvRmT3_T4_T5_T6_T7_T9_mT8_P12ihipStream_tbDpT10_ENKUlT_T0_E_clISt17integral_constantIbLb1EES1E_IbLb0EEEEDaS1A_S1B_EUlS1A_E_NS1_11comp_targetILNS1_3genE10ELNS1_11target_archE1200ELNS1_3gpuE4ELNS1_3repE0EEENS1_30default_config_static_selectorELNS0_4arch9wavefront6targetE0EEEvT1_,comdat
.Lfunc_end683:
	.size	_ZN7rocprim17ROCPRIM_400000_NS6detail17trampoline_kernelINS0_14default_configENS1_25partition_config_selectorILNS1_17partition_subalgoE5ElNS0_10empty_typeEbEEZZNS1_14partition_implILS5_5ELb0ES3_mN6hipcub16HIPCUB_304000_NS21CountingInputIteratorIllEEPS6_NSA_22TransformInputIteratorIbN2at6native12_GLOBAL__N_19NonZeroOpIN3c107complexINSJ_4HalfEEEEEPKSM_lEENS0_5tupleIJPlS6_EEENSR_IJSD_SD_EEES6_PiJS6_EEE10hipError_tPvRmT3_T4_T5_T6_T7_T9_mT8_P12ihipStream_tbDpT10_ENKUlT_T0_E_clISt17integral_constantIbLb1EES1E_IbLb0EEEEDaS1A_S1B_EUlS1A_E_NS1_11comp_targetILNS1_3genE10ELNS1_11target_archE1200ELNS1_3gpuE4ELNS1_3repE0EEENS1_30default_config_static_selectorELNS0_4arch9wavefront6targetE0EEEvT1_, .Lfunc_end683-_ZN7rocprim17ROCPRIM_400000_NS6detail17trampoline_kernelINS0_14default_configENS1_25partition_config_selectorILNS1_17partition_subalgoE5ElNS0_10empty_typeEbEEZZNS1_14partition_implILS5_5ELb0ES3_mN6hipcub16HIPCUB_304000_NS21CountingInputIteratorIllEEPS6_NSA_22TransformInputIteratorIbN2at6native12_GLOBAL__N_19NonZeroOpIN3c107complexINSJ_4HalfEEEEEPKSM_lEENS0_5tupleIJPlS6_EEENSR_IJSD_SD_EEES6_PiJS6_EEE10hipError_tPvRmT3_T4_T5_T6_T7_T9_mT8_P12ihipStream_tbDpT10_ENKUlT_T0_E_clISt17integral_constantIbLb1EES1E_IbLb0EEEEDaS1A_S1B_EUlS1A_E_NS1_11comp_targetILNS1_3genE10ELNS1_11target_archE1200ELNS1_3gpuE4ELNS1_3repE0EEENS1_30default_config_static_selectorELNS0_4arch9wavefront6targetE0EEEvT1_
                                        ; -- End function
	.section	.AMDGPU.csdata,"",@progbits
; Kernel info:
; codeLenInByte = 0
; NumSgprs: 0
; NumVgprs: 0
; ScratchSize: 0
; MemoryBound: 0
; FloatMode: 240
; IeeeMode: 1
; LDSByteSize: 0 bytes/workgroup (compile time only)
; SGPRBlocks: 0
; VGPRBlocks: 0
; NumSGPRsForWavesPerEU: 1
; NumVGPRsForWavesPerEU: 1
; Occupancy: 16
; WaveLimiterHint : 0
; COMPUTE_PGM_RSRC2:SCRATCH_EN: 0
; COMPUTE_PGM_RSRC2:USER_SGPR: 15
; COMPUTE_PGM_RSRC2:TRAP_HANDLER: 0
; COMPUTE_PGM_RSRC2:TGID_X_EN: 1
; COMPUTE_PGM_RSRC2:TGID_Y_EN: 0
; COMPUTE_PGM_RSRC2:TGID_Z_EN: 0
; COMPUTE_PGM_RSRC2:TIDIG_COMP_CNT: 0
	.section	.text._ZN7rocprim17ROCPRIM_400000_NS6detail17trampoline_kernelINS0_14default_configENS1_25partition_config_selectorILNS1_17partition_subalgoE5ElNS0_10empty_typeEbEEZZNS1_14partition_implILS5_5ELb0ES3_mN6hipcub16HIPCUB_304000_NS21CountingInputIteratorIllEEPS6_NSA_22TransformInputIteratorIbN2at6native12_GLOBAL__N_19NonZeroOpIN3c107complexINSJ_4HalfEEEEEPKSM_lEENS0_5tupleIJPlS6_EEENSR_IJSD_SD_EEES6_PiJS6_EEE10hipError_tPvRmT3_T4_T5_T6_T7_T9_mT8_P12ihipStream_tbDpT10_ENKUlT_T0_E_clISt17integral_constantIbLb1EES1E_IbLb0EEEEDaS1A_S1B_EUlS1A_E_NS1_11comp_targetILNS1_3genE9ELNS1_11target_archE1100ELNS1_3gpuE3ELNS1_3repE0EEENS1_30default_config_static_selectorELNS0_4arch9wavefront6targetE0EEEvT1_,"axG",@progbits,_ZN7rocprim17ROCPRIM_400000_NS6detail17trampoline_kernelINS0_14default_configENS1_25partition_config_selectorILNS1_17partition_subalgoE5ElNS0_10empty_typeEbEEZZNS1_14partition_implILS5_5ELb0ES3_mN6hipcub16HIPCUB_304000_NS21CountingInputIteratorIllEEPS6_NSA_22TransformInputIteratorIbN2at6native12_GLOBAL__N_19NonZeroOpIN3c107complexINSJ_4HalfEEEEEPKSM_lEENS0_5tupleIJPlS6_EEENSR_IJSD_SD_EEES6_PiJS6_EEE10hipError_tPvRmT3_T4_T5_T6_T7_T9_mT8_P12ihipStream_tbDpT10_ENKUlT_T0_E_clISt17integral_constantIbLb1EES1E_IbLb0EEEEDaS1A_S1B_EUlS1A_E_NS1_11comp_targetILNS1_3genE9ELNS1_11target_archE1100ELNS1_3gpuE3ELNS1_3repE0EEENS1_30default_config_static_selectorELNS0_4arch9wavefront6targetE0EEEvT1_,comdat
	.globl	_ZN7rocprim17ROCPRIM_400000_NS6detail17trampoline_kernelINS0_14default_configENS1_25partition_config_selectorILNS1_17partition_subalgoE5ElNS0_10empty_typeEbEEZZNS1_14partition_implILS5_5ELb0ES3_mN6hipcub16HIPCUB_304000_NS21CountingInputIteratorIllEEPS6_NSA_22TransformInputIteratorIbN2at6native12_GLOBAL__N_19NonZeroOpIN3c107complexINSJ_4HalfEEEEEPKSM_lEENS0_5tupleIJPlS6_EEENSR_IJSD_SD_EEES6_PiJS6_EEE10hipError_tPvRmT3_T4_T5_T6_T7_T9_mT8_P12ihipStream_tbDpT10_ENKUlT_T0_E_clISt17integral_constantIbLb1EES1E_IbLb0EEEEDaS1A_S1B_EUlS1A_E_NS1_11comp_targetILNS1_3genE9ELNS1_11target_archE1100ELNS1_3gpuE3ELNS1_3repE0EEENS1_30default_config_static_selectorELNS0_4arch9wavefront6targetE0EEEvT1_ ; -- Begin function _ZN7rocprim17ROCPRIM_400000_NS6detail17trampoline_kernelINS0_14default_configENS1_25partition_config_selectorILNS1_17partition_subalgoE5ElNS0_10empty_typeEbEEZZNS1_14partition_implILS5_5ELb0ES3_mN6hipcub16HIPCUB_304000_NS21CountingInputIteratorIllEEPS6_NSA_22TransformInputIteratorIbN2at6native12_GLOBAL__N_19NonZeroOpIN3c107complexINSJ_4HalfEEEEEPKSM_lEENS0_5tupleIJPlS6_EEENSR_IJSD_SD_EEES6_PiJS6_EEE10hipError_tPvRmT3_T4_T5_T6_T7_T9_mT8_P12ihipStream_tbDpT10_ENKUlT_T0_E_clISt17integral_constantIbLb1EES1E_IbLb0EEEEDaS1A_S1B_EUlS1A_E_NS1_11comp_targetILNS1_3genE9ELNS1_11target_archE1100ELNS1_3gpuE3ELNS1_3repE0EEENS1_30default_config_static_selectorELNS0_4arch9wavefront6targetE0EEEvT1_
	.p2align	8
	.type	_ZN7rocprim17ROCPRIM_400000_NS6detail17trampoline_kernelINS0_14default_configENS1_25partition_config_selectorILNS1_17partition_subalgoE5ElNS0_10empty_typeEbEEZZNS1_14partition_implILS5_5ELb0ES3_mN6hipcub16HIPCUB_304000_NS21CountingInputIteratorIllEEPS6_NSA_22TransformInputIteratorIbN2at6native12_GLOBAL__N_19NonZeroOpIN3c107complexINSJ_4HalfEEEEEPKSM_lEENS0_5tupleIJPlS6_EEENSR_IJSD_SD_EEES6_PiJS6_EEE10hipError_tPvRmT3_T4_T5_T6_T7_T9_mT8_P12ihipStream_tbDpT10_ENKUlT_T0_E_clISt17integral_constantIbLb1EES1E_IbLb0EEEEDaS1A_S1B_EUlS1A_E_NS1_11comp_targetILNS1_3genE9ELNS1_11target_archE1100ELNS1_3gpuE3ELNS1_3repE0EEENS1_30default_config_static_selectorELNS0_4arch9wavefront6targetE0EEEvT1_,@function
_ZN7rocprim17ROCPRIM_400000_NS6detail17trampoline_kernelINS0_14default_configENS1_25partition_config_selectorILNS1_17partition_subalgoE5ElNS0_10empty_typeEbEEZZNS1_14partition_implILS5_5ELb0ES3_mN6hipcub16HIPCUB_304000_NS21CountingInputIteratorIllEEPS6_NSA_22TransformInputIteratorIbN2at6native12_GLOBAL__N_19NonZeroOpIN3c107complexINSJ_4HalfEEEEEPKSM_lEENS0_5tupleIJPlS6_EEENSR_IJSD_SD_EEES6_PiJS6_EEE10hipError_tPvRmT3_T4_T5_T6_T7_T9_mT8_P12ihipStream_tbDpT10_ENKUlT_T0_E_clISt17integral_constantIbLb1EES1E_IbLb0EEEEDaS1A_S1B_EUlS1A_E_NS1_11comp_targetILNS1_3genE9ELNS1_11target_archE1100ELNS1_3gpuE3ELNS1_3repE0EEENS1_30default_config_static_selectorELNS0_4arch9wavefront6targetE0EEEvT1_: ; @_ZN7rocprim17ROCPRIM_400000_NS6detail17trampoline_kernelINS0_14default_configENS1_25partition_config_selectorILNS1_17partition_subalgoE5ElNS0_10empty_typeEbEEZZNS1_14partition_implILS5_5ELb0ES3_mN6hipcub16HIPCUB_304000_NS21CountingInputIteratorIllEEPS6_NSA_22TransformInputIteratorIbN2at6native12_GLOBAL__N_19NonZeroOpIN3c107complexINSJ_4HalfEEEEEPKSM_lEENS0_5tupleIJPlS6_EEENSR_IJSD_SD_EEES6_PiJS6_EEE10hipError_tPvRmT3_T4_T5_T6_T7_T9_mT8_P12ihipStream_tbDpT10_ENKUlT_T0_E_clISt17integral_constantIbLb1EES1E_IbLb0EEEEDaS1A_S1B_EUlS1A_E_NS1_11comp_targetILNS1_3genE9ELNS1_11target_archE1100ELNS1_3gpuE3ELNS1_3repE0EEENS1_30default_config_static_selectorELNS0_4arch9wavefront6targetE0EEEvT1_
; %bb.0:
	s_clause 0x4
	s_load_b128 s[8:11], s[0:1], 0x8
	s_load_b128 s[4:7], s[0:1], 0x48
	s_load_b32 s14, s[0:1], 0x70
	s_load_b64 s[2:3], s[0:1], 0x58
	s_load_b64 s[12:13], s[0:1], 0x20
	s_waitcnt lgkmcnt(0)
	s_add_u32 s18, s10, s8
	s_load_b64 s[6:7], s[6:7], 0x0
	s_mul_i32 s17, s14, 0x300
	s_addc_u32 s19, s11, s9
	s_add_i32 s14, s14, -1
	s_add_u32 s8, s10, s17
	s_addc_u32 s9, s11, 0
	s_cmp_eq_u32 s15, s14
	v_cmp_ge_u64_e64 s3, s[8:9], s[2:3]
	s_cselect_b32 s14, -1, 0
	s_mul_i32 s8, s15, 0x300
	s_mov_b32 s9, 0
	s_delay_alu instid0(VALU_DEP_1) | instskip(NEXT) | instid1(SALU_CYCLE_1)
	s_and_b32 s3, s14, s3
	s_xor_b32 s16, s3, -1
	s_mov_b32 s3, -1
	s_and_b32 vcc_lo, exec_lo, s16
	s_cbranch_vccz .LBB684_2
; %bb.1:
	s_add_u32 s3, s18, s8
	s_addc_u32 s20, s19, 0
	v_add_co_u32 v1, s3, s3, v0
	s_delay_alu instid0(VALU_DEP_1) | instskip(SKIP_1) | instid1(VALU_DEP_3)
	v_add_co_ci_u32_e64 v2, null, s20, 0, s3
	v_lshlrev_b32_e32 v13, 3, v0
	v_add_co_u32 v3, vcc_lo, 0x80, v1
	s_delay_alu instid0(VALU_DEP_3)
	v_add_co_ci_u32_e32 v4, vcc_lo, 0, v2, vcc_lo
	v_add_co_u32 v5, vcc_lo, 0x100, v1
	v_add_co_ci_u32_e32 v6, vcc_lo, 0, v2, vcc_lo
	v_add_co_u32 v7, vcc_lo, 0x180, v1
	;; [unrolled: 2-line block ×4, first 2 shown]
	v_add_co_ci_u32_e32 v12, vcc_lo, 0, v2, vcc_lo
	ds_store_2addr_stride64_b64 v13, v[1:2], v[3:4] offset1:2
	ds_store_2addr_stride64_b64 v13, v[5:6], v[7:8] offset0:4 offset1:6
	ds_store_2addr_stride64_b64 v13, v[9:10], v[11:12] offset0:8 offset1:10
	s_waitcnt lgkmcnt(0)
	s_mov_b32 s3, s9
	s_barrier
.LBB684_2:
	v_or_b32_e32 v17, 0x100, v0
	v_or_b32_e32 v16, 0x180, v0
	;; [unrolled: 1-line block ×4, first 2 shown]
	s_and_not1_b32 vcc_lo, exec_lo, s3
	s_cbranch_vccnz .LBB684_4
; %bb.3:
	v_or_b32_e32 v3, 0x80, v0
	s_add_u32 s3, s18, s8
	s_addc_u32 s18, s19, 0
	v_add_co_u32 v1, s19, s3, v0
	s_delay_alu instid0(VALU_DEP_1) | instskip(SKIP_1) | instid1(VALU_DEP_1)
	v_add_co_ci_u32_e64 v2, null, s18, 0, s19
	v_add_co_u32 v3, s19, s3, v3
	v_add_co_ci_u32_e64 v4, null, s18, 0, s19
	v_add_co_u32 v5, s19, s3, v17
	s_delay_alu instid0(VALU_DEP_1) | instskip(SKIP_1) | instid1(VALU_DEP_1)
	v_add_co_ci_u32_e64 v6, null, s18, 0, s19
	v_add_co_u32 v7, s19, s3, v16
	v_add_co_ci_u32_e64 v8, null, s18, 0, s19
	v_add_co_u32 v9, s19, s3, v15
	v_lshlrev_b32_e32 v14, 3, v0
	v_add_co_u32 v11, s3, s3, v13
	v_add_co_ci_u32_e64 v10, null, s18, 0, s19
	v_add_co_ci_u32_e64 v12, null, s18, 0, s3
	ds_store_2addr_stride64_b64 v14, v[1:2], v[3:4] offset1:2
	ds_store_2addr_stride64_b64 v14, v[5:6], v[7:8] offset0:4 offset1:6
	ds_store_2addr_stride64_b64 v14, v[9:10], v[11:12] offset0:8 offset1:10
	s_waitcnt lgkmcnt(0)
	s_barrier
.LBB684_4:
	v_mul_u32_u24_e32 v1, 6, v0
	s_waitcnt lgkmcnt(0)
	buffer_gl0_inv
	s_lshl_b64 s[18:19], s[10:11], 2
	s_delay_alu instid0(SALU_CYCLE_1)
	s_add_u32 s3, s12, s18
	v_lshlrev_b32_e32 v14, 3, v1
	s_addc_u32 s11, s13, s19
	s_lshl_b64 s[8:9], s[8:9], 2
	ds_load_b128 v[9:12], v14
	ds_load_b128 v[5:8], v14 offset:16
	ds_load_b128 v[1:4], v14 offset:32
	s_add_u32 s12, s3, s8
	s_addc_u32 s13, s11, s9
	s_and_b32 vcc_lo, exec_lo, s16
	s_mov_b32 s3, -1
	s_waitcnt lgkmcnt(0)
	s_barrier
	buffer_gl0_inv
	s_cbranch_vccz .LBB684_6
; %bb.5:
	v_lshlrev_b32_e32 v18, 2, v0
	s_mov_b32 s3, 0
	s_clause 0x5
	global_load_b32 v19, v18, s[12:13]
	global_load_b32 v20, v18, s[12:13] offset:512
	global_load_b32 v21, v18, s[12:13] offset:1024
	;; [unrolled: 1-line block ×5, first 2 shown]
	s_waitcnt vmcnt(5)
	v_lshrrev_b32_e32 v24, 16, v19
	s_waitcnt vmcnt(4)
	v_lshrrev_b32_e32 v25, 16, v20
	;; [unrolled: 2-line block ×5, first 2 shown]
	v_or_b32_e32 v19, v19, v24
	v_or_b32_e32 v20, v20, v25
	;; [unrolled: 1-line block ×4, first 2 shown]
	s_waitcnt vmcnt(0)
	v_lshrrev_b32_e32 v29, 16, v18
	v_and_b32_e32 v19, 0x7fff, v19
	v_and_b32_e32 v20, 0x7fff, v20
	;; [unrolled: 1-line block ×3, first 2 shown]
	v_or_b32_e32 v23, v23, v28
	v_and_b32_e32 v22, 0x7fff, v22
	v_cmp_ne_u16_e32 vcc_lo, 0, v19
	v_or_b32_e32 v18, v18, v29
	s_delay_alu instid0(VALU_DEP_4) | instskip(SKIP_2) | instid1(VALU_DEP_4)
	v_and_b32_e32 v23, 0x7fff, v23
	v_cndmask_b32_e64 v19, 0, 1, vcc_lo
	v_cmp_ne_u16_e32 vcc_lo, 0, v20
	v_and_b32_e32 v18, 0x7fff, v18
	v_cndmask_b32_e64 v20, 0, 1, vcc_lo
	v_cmp_ne_u16_e32 vcc_lo, 0, v21
	v_cndmask_b32_e64 v21, 0, 1, vcc_lo
	v_cmp_ne_u16_e32 vcc_lo, 0, v22
	;; [unrolled: 2-line block ×4, first 2 shown]
	v_cndmask_b32_e64 v18, 0, 1, vcc_lo
	ds_store_b8 v0, v19
	ds_store_b8 v0, v20 offset:128
	ds_store_b8 v0, v21 offset:256
	ds_store_b8 v0, v22 offset:384
	ds_store_b8 v0, v23 offset:512
	ds_store_b8 v0, v18 offset:640
	s_waitcnt lgkmcnt(0)
	s_barrier
.LBB684_6:
	s_load_b64 s[8:9], s[0:1], 0x68
	s_and_not1_b32 vcc_lo, exec_lo, s3
	s_cbranch_vccnz .LBB684_20
; %bb.7:
	s_add_i32 s17, s17, s10
	v_dual_mov_b32 v18, 0 :: v_dual_mov_b32 v19, 0
	s_sub_i32 s2, s2, s17
	s_mov_b32 s3, exec_lo
	s_addk_i32 s2, 0x300
	s_delay_alu instid0(SALU_CYCLE_1)
	v_cmpx_gt_u32_e64 s2, v0
	s_cbranch_execz .LBB684_9
; %bb.8:
	v_lshlrev_b32_e32 v19, 2, v0
	global_load_b32 v19, v19, s[12:13]
	s_waitcnt vmcnt(0)
	v_lshrrev_b32_e32 v20, 16, v19
	s_delay_alu instid0(VALU_DEP_1) | instskip(NEXT) | instid1(VALU_DEP_1)
	v_or_b32_e32 v19, v19, v20
	v_and_b32_e32 v19, 0x7fff, v19
	s_delay_alu instid0(VALU_DEP_1)
	v_cmp_ne_u16_e32 vcc_lo, 0, v19
	v_cndmask_b32_e64 v19, 0, 1, vcc_lo
.LBB684_9:
	s_or_b32 exec_lo, exec_lo, s3
	v_or_b32_e32 v20, 0x80, v0
	s_mov_b32 s3, exec_lo
	s_delay_alu instid0(VALU_DEP_1)
	v_cmpx_gt_u32_e64 s2, v20
	s_cbranch_execz .LBB684_11
; %bb.10:
	v_lshlrev_b32_e32 v18, 2, v0
	global_load_b32 v18, v18, s[12:13] offset:512
	s_waitcnt vmcnt(0)
	v_lshrrev_b32_e32 v20, 16, v18
	s_delay_alu instid0(VALU_DEP_1) | instskip(NEXT) | instid1(VALU_DEP_1)
	v_or_b32_e32 v18, v18, v20
	v_and_b32_e32 v18, 0x7fff, v18
	s_delay_alu instid0(VALU_DEP_1)
	v_cmp_ne_u16_e32 vcc_lo, 0, v18
	v_cndmask_b32_e64 v18, 0, 1, vcc_lo
.LBB684_11:
	s_or_b32 exec_lo, exec_lo, s3
	v_cmp_gt_u32_e32 vcc_lo, s2, v17
	v_dual_mov_b32 v17, 0 :: v_dual_mov_b32 v20, 0
	s_and_saveexec_b32 s3, vcc_lo
	s_cbranch_execz .LBB684_13
; %bb.12:
	v_lshlrev_b32_e32 v20, 2, v0
	global_load_b32 v20, v20, s[12:13] offset:1024
	s_waitcnt vmcnt(0)
	v_lshrrev_b32_e32 v21, 16, v20
	s_delay_alu instid0(VALU_DEP_1) | instskip(NEXT) | instid1(VALU_DEP_1)
	v_or_b32_e32 v20, v20, v21
	v_and_b32_e32 v20, 0x7fff, v20
	s_delay_alu instid0(VALU_DEP_1)
	v_cmp_ne_u16_e32 vcc_lo, 0, v20
	v_cndmask_b32_e64 v20, 0, 1, vcc_lo
.LBB684_13:
	s_or_b32 exec_lo, exec_lo, s3
	s_delay_alu instid0(SALU_CYCLE_1)
	s_mov_b32 s3, exec_lo
	v_cmpx_gt_u32_e64 s2, v16
	s_cbranch_execz .LBB684_15
; %bb.14:
	v_lshlrev_b32_e32 v16, 2, v0
	global_load_b32 v16, v16, s[12:13] offset:1536
	s_waitcnt vmcnt(0)
	v_lshrrev_b32_e32 v17, 16, v16
	s_delay_alu instid0(VALU_DEP_1) | instskip(NEXT) | instid1(VALU_DEP_1)
	v_or_b32_e32 v16, v16, v17
	v_and_b32_e32 v16, 0x7fff, v16
	s_delay_alu instid0(VALU_DEP_1)
	v_cmp_ne_u16_e32 vcc_lo, 0, v16
	v_cndmask_b32_e64 v17, 0, 1, vcc_lo
.LBB684_15:
	s_or_b32 exec_lo, exec_lo, s3
	v_cmp_gt_u32_e32 vcc_lo, s2, v15
	v_dual_mov_b32 v15, 0 :: v_dual_mov_b32 v16, 0
	s_and_saveexec_b32 s3, vcc_lo
	s_cbranch_execz .LBB684_17
; %bb.16:
	v_lshlrev_b32_e32 v16, 2, v0
	global_load_b32 v16, v16, s[12:13] offset:2048
	s_waitcnt vmcnt(0)
	v_lshrrev_b32_e32 v21, 16, v16
	s_delay_alu instid0(VALU_DEP_1) | instskip(NEXT) | instid1(VALU_DEP_1)
	v_or_b32_e32 v16, v16, v21
	v_and_b32_e32 v16, 0x7fff, v16
	s_delay_alu instid0(VALU_DEP_1)
	v_cmp_ne_u16_e32 vcc_lo, 0, v16
	v_cndmask_b32_e64 v16, 0, 1, vcc_lo
.LBB684_17:
	s_or_b32 exec_lo, exec_lo, s3
	v_cmp_gt_u32_e32 vcc_lo, s2, v13
	s_and_saveexec_b32 s2, vcc_lo
	s_cbranch_execz .LBB684_19
; %bb.18:
	v_lshlrev_b32_e32 v13, 2, v0
	global_load_b32 v13, v13, s[12:13] offset:2560
	s_waitcnt vmcnt(0)
	v_lshrrev_b32_e32 v15, 16, v13
	s_delay_alu instid0(VALU_DEP_1) | instskip(NEXT) | instid1(VALU_DEP_1)
	v_or_b32_e32 v13, v13, v15
	v_and_b32_e32 v13, 0x7fff, v13
	s_delay_alu instid0(VALU_DEP_1)
	v_cmp_ne_u16_e32 vcc_lo, 0, v13
	v_cndmask_b32_e64 v15, 0, 1, vcc_lo
.LBB684_19:
	s_or_b32 exec_lo, exec_lo, s2
	ds_store_b8 v0, v19
	ds_store_b8 v0, v18 offset:128
	ds_store_b8 v0, v20 offset:256
	;; [unrolled: 1-line block ×5, first 2 shown]
	s_waitcnt lgkmcnt(0)
	s_barrier
.LBB684_20:
	v_mad_i32_i24 v43, 0xffffffd6, v0, v14
	s_waitcnt lgkmcnt(0)
	buffer_gl0_inv
	v_mbcnt_lo_u32_b32 v42, -1, 0
	s_cmp_lg_u32 s15, 0
	s_mov_b32 s3, -1
	ds_load_u16 v36, v43
	ds_load_u16 v33, v43 offset:2
	ds_load_u16 v31, v43 offset:4
	v_mov_b32_e32 v14, 0
	v_and_b32_e32 v44, 15, v42
	s_waitcnt lgkmcnt(0)
	s_barrier
	buffer_gl0_inv
	v_and_b32_e32 v41, 0xff, v36
	v_lshrrev_b16 v34, 8, v36
	v_lshrrev_b16 v35, 8, v33
	v_and_b32_e32 v39, 0xff, v33
	v_lshrrev_b16 v32, 8, v31
	v_and_b32_e32 v37, 0xff, v31
	v_and_b32_e32 v40, 0xffff, v34
	;; [unrolled: 1-line block ×3, first 2 shown]
	s_delay_alu instid0(VALU_DEP_4) | instskip(NEXT) | instid1(VALU_DEP_3)
	v_and_b32_e32 v16, 0xffff, v32
	v_add_co_u32 v13, s2, v40, v41
	s_delay_alu instid0(VALU_DEP_1) | instskip(SKIP_1) | instid1(VALU_DEP_3)
	v_add_co_ci_u32_e64 v15, null, 0, 0, s2
	v_cmp_ne_u32_e64 s2, 0, v44
	v_add_co_u32 v13, vcc_lo, v13, v39
	s_delay_alu instid0(VALU_DEP_3) | instskip(NEXT) | instid1(VALU_DEP_2)
	v_add_co_ci_u32_e32 v15, vcc_lo, 0, v15, vcc_lo
	v_add_co_u32 v13, vcc_lo, v13, v38
	s_delay_alu instid0(VALU_DEP_2) | instskip(NEXT) | instid1(VALU_DEP_2)
	v_add_co_ci_u32_e32 v15, vcc_lo, 0, v15, vcc_lo
	v_add_co_u32 v13, vcc_lo, v13, v37
	s_delay_alu instid0(VALU_DEP_2) | instskip(NEXT) | instid1(VALU_DEP_2)
	v_add_co_ci_u32_e32 v15, vcc_lo, 0, v15, vcc_lo
	v_add_co_u32 v21, vcc_lo, v13, v16
	s_delay_alu instid0(VALU_DEP_2)
	v_add_co_ci_u32_e32 v22, vcc_lo, 0, v15, vcc_lo
	s_cbranch_scc0 .LBB684_89
; %bb.21:
	s_delay_alu instid0(VALU_DEP_2)
	v_mov_b32_e32 v15, v21
	v_mov_b32_dpp v13, v21 row_shr:1 row_mask:0xf bank_mask:0xf
	v_mov_b32_dpp v18, v14 row_shr:1 row_mask:0xf bank_mask:0xf
	v_dual_mov_b32 v17, v21 :: v_dual_mov_b32 v16, v22
	s_and_saveexec_b32 s3, s2
; %bb.22:
	s_delay_alu instid0(VALU_DEP_3) | instskip(SKIP_1) | instid1(VALU_DEP_2)
	v_add_co_u32 v17, vcc_lo, v21, v13
	v_add_co_ci_u32_e32 v14, vcc_lo, 0, v22, vcc_lo
	v_add_co_u32 v13, vcc_lo, 0, v17
	s_delay_alu instid0(VALU_DEP_2) | instskip(NEXT) | instid1(VALU_DEP_1)
	v_add_co_ci_u32_e32 v14, vcc_lo, v18, v14, vcc_lo
	v_dual_mov_b32 v16, v14 :: v_dual_mov_b32 v15, v13
; %bb.23:
	s_or_b32 exec_lo, exec_lo, s3
	v_mov_b32_dpp v13, v17 row_shr:2 row_mask:0xf bank_mask:0xf
	v_mov_b32_dpp v18, v14 row_shr:2 row_mask:0xf bank_mask:0xf
	s_mov_b32 s3, exec_lo
	v_cmpx_lt_u32_e32 1, v44
; %bb.24:
	s_delay_alu instid0(VALU_DEP_3) | instskip(SKIP_1) | instid1(VALU_DEP_2)
	v_add_co_u32 v17, vcc_lo, v15, v13
	v_add_co_ci_u32_e32 v14, vcc_lo, 0, v16, vcc_lo
	v_add_co_u32 v13, vcc_lo, 0, v17
	s_delay_alu instid0(VALU_DEP_2) | instskip(NEXT) | instid1(VALU_DEP_1)
	v_add_co_ci_u32_e32 v14, vcc_lo, v18, v14, vcc_lo
	v_dual_mov_b32 v16, v14 :: v_dual_mov_b32 v15, v13
; %bb.25:
	s_or_b32 exec_lo, exec_lo, s3
	v_mov_b32_dpp v13, v17 row_shr:4 row_mask:0xf bank_mask:0xf
	v_mov_b32_dpp v18, v14 row_shr:4 row_mask:0xf bank_mask:0xf
	s_mov_b32 s3, exec_lo
	v_cmpx_lt_u32_e32 3, v44
	;; [unrolled: 14-line block ×3, first 2 shown]
; %bb.28:
	s_delay_alu instid0(VALU_DEP_3) | instskip(SKIP_1) | instid1(VALU_DEP_2)
	v_add_co_u32 v17, vcc_lo, v15, v18
	v_add_co_ci_u32_e32 v14, vcc_lo, 0, v16, vcc_lo
	v_add_co_u32 v15, vcc_lo, 0, v17
	s_delay_alu instid0(VALU_DEP_2) | instskip(NEXT) | instid1(VALU_DEP_1)
	v_add_co_ci_u32_e32 v16, vcc_lo, v13, v14, vcc_lo
	v_mov_b32_e32 v14, v16
; %bb.29:
	s_or_b32 exec_lo, exec_lo, s3
	ds_swizzle_b32 v13, v17 offset:swizzle(BROADCAST,32,15)
	ds_swizzle_b32 v18, v14 offset:swizzle(BROADCAST,32,15)
	v_and_b32_e32 v19, 16, v42
	s_mov_b32 s3, exec_lo
	s_delay_alu instid0(VALU_DEP_1)
	v_cmpx_ne_u32_e32 0, v19
	s_cbranch_execz .LBB684_31
; %bb.30:
	s_waitcnt lgkmcnt(1)
	v_add_co_u32 v17, vcc_lo, v15, v13
	v_add_co_ci_u32_e32 v14, vcc_lo, 0, v16, vcc_lo
	s_delay_alu instid0(VALU_DEP_2) | instskip(SKIP_1) | instid1(VALU_DEP_2)
	v_add_co_u32 v13, vcc_lo, 0, v17
	s_waitcnt lgkmcnt(0)
	v_add_co_ci_u32_e32 v14, vcc_lo, v18, v14, vcc_lo
	s_delay_alu instid0(VALU_DEP_1)
	v_dual_mov_b32 v16, v14 :: v_dual_mov_b32 v15, v13
.LBB684_31:
	s_or_b32 exec_lo, exec_lo, s3
	s_waitcnt lgkmcnt(0)
	v_or_b32_e32 v18, 31, v0
	v_lshrrev_b32_e32 v13, 5, v0
	s_mov_b32 s3, exec_lo
	s_delay_alu instid0(VALU_DEP_2)
	v_cmpx_eq_u32_e64 v18, v0
	s_cbranch_execz .LBB684_33
; %bb.32:
	s_delay_alu instid0(VALU_DEP_2)
	v_lshlrev_b32_e32 v18, 3, v13
	ds_store_b64 v18, v[15:16]
.LBB684_33:
	s_or_b32 exec_lo, exec_lo, s3
	s_delay_alu instid0(SALU_CYCLE_1)
	s_mov_b32 s3, exec_lo
	s_waitcnt lgkmcnt(0)
	s_barrier
	buffer_gl0_inv
	v_cmpx_gt_u32_e32 4, v0
	s_cbranch_execz .LBB684_39
; %bb.34:
	v_lshlrev_b32_e32 v18, 3, v0
	s_mov_b32 s10, exec_lo
	ds_load_b64 v[15:16], v18
	s_waitcnt lgkmcnt(0)
	v_dual_mov_b32 v20, v15 :: v_dual_and_b32 v19, 3, v42
	v_mov_b32_dpp v24, v15 row_shr:1 row_mask:0xf bank_mask:0xf
	v_mov_b32_dpp v23, v16 row_shr:1 row_mask:0xf bank_mask:0xf
	s_delay_alu instid0(VALU_DEP_3)
	v_cmpx_ne_u32_e32 0, v19
; %bb.35:
	s_delay_alu instid0(VALU_DEP_3) | instskip(SKIP_1) | instid1(VALU_DEP_2)
	v_add_co_u32 v20, vcc_lo, v15, v24
	v_add_co_ci_u32_e32 v16, vcc_lo, 0, v16, vcc_lo
	v_add_co_u32 v15, vcc_lo, 0, v20
	s_delay_alu instid0(VALU_DEP_2)
	v_add_co_ci_u32_e32 v16, vcc_lo, v23, v16, vcc_lo
; %bb.36:
	s_or_b32 exec_lo, exec_lo, s10
	v_mov_b32_dpp v23, v20 row_shr:2 row_mask:0xf bank_mask:0xf
	s_delay_alu instid0(VALU_DEP_2)
	v_mov_b32_dpp v20, v16 row_shr:2 row_mask:0xf bank_mask:0xf
	s_mov_b32 s10, exec_lo
	v_cmpx_lt_u32_e32 1, v19
; %bb.37:
	s_delay_alu instid0(VALU_DEP_3) | instskip(SKIP_1) | instid1(VALU_DEP_2)
	v_add_co_u32 v15, vcc_lo, v15, v23
	v_add_co_ci_u32_e32 v16, vcc_lo, 0, v16, vcc_lo
	v_add_co_u32 v15, vcc_lo, v15, 0
	s_delay_alu instid0(VALU_DEP_2)
	v_add_co_ci_u32_e32 v16, vcc_lo, v16, v20, vcc_lo
; %bb.38:
	s_or_b32 exec_lo, exec_lo, s10
	ds_store_b64 v18, v[15:16]
.LBB684_39:
	s_or_b32 exec_lo, exec_lo, s3
	v_cmp_gt_u32_e32 vcc_lo, 32, v0
	s_mov_b32 s10, exec_lo
	s_waitcnt lgkmcnt(0)
	s_barrier
	buffer_gl0_inv
                                        ; implicit-def: $vgpr23_vgpr24
	v_cmpx_lt_u32_e32 31, v0
	s_cbranch_execz .LBB684_41
; %bb.40:
	v_lshl_add_u32 v13, v13, 3, -8
	ds_load_b64 v[23:24], v13
	s_waitcnt lgkmcnt(0)
	v_add_co_u32 v17, s3, v17, v23
	s_delay_alu instid0(VALU_DEP_1)
	v_add_co_ci_u32_e64 v14, s3, v14, v24, s3
.LBB684_41:
	s_or_b32 exec_lo, exec_lo, s10
	v_add_nc_u32_e32 v13, -1, v42
	s_delay_alu instid0(VALU_DEP_1) | instskip(NEXT) | instid1(VALU_DEP_1)
	v_cmp_gt_i32_e64 s3, 0, v13
	v_cndmask_b32_e64 v13, v13, v42, s3
	v_cmp_eq_u32_e64 s3, 0, v42
	s_delay_alu instid0(VALU_DEP_2)
	v_lshlrev_b32_e32 v13, 2, v13
	ds_bpermute_b32 v29, v13, v17
	ds_bpermute_b32 v30, v13, v14
	s_and_saveexec_b32 s10, vcc_lo
	s_cbranch_execz .LBB684_84
; %bb.42:
	v_mov_b32_e32 v16, 0
	ds_load_b64 v[13:14], v16 offset:24
	s_and_saveexec_b32 s11, s3
	s_cbranch_execz .LBB684_44
; %bb.43:
	s_add_i32 s12, s15, 32
	s_mov_b32 s13, 0
	s_delay_alu instid0(SALU_CYCLE_1) | instskip(NEXT) | instid1(SALU_CYCLE_1)
	s_lshl_b64 s[12:13], s[12:13], 4
	s_add_u32 s12, s8, s12
	s_addc_u32 s13, s9, s13
	s_delay_alu instid0(SALU_CYCLE_1)
	v_dual_mov_b32 v15, 1 :: v_dual_mov_b32 v18, s13
	v_mov_b32_e32 v17, s12
	s_waitcnt lgkmcnt(0)
	;;#ASMSTART
	global_store_dwordx4 v[17:18], v[13:16] off	
s_waitcnt vmcnt(0)
	;;#ASMEND
.LBB684_44:
	s_or_b32 exec_lo, exec_lo, s11
	v_xad_u32 v25, v42, -1, s15
	s_mov_b32 s12, 0
	s_mov_b32 s11, exec_lo
	s_delay_alu instid0(VALU_DEP_1) | instskip(NEXT) | instid1(VALU_DEP_1)
	v_add_nc_u32_e32 v15, 32, v25
	v_lshlrev_b64 v[15:16], 4, v[15:16]
	s_delay_alu instid0(VALU_DEP_1) | instskip(NEXT) | instid1(VALU_DEP_2)
	v_add_co_u32 v15, vcc_lo, s8, v15
	v_add_co_ci_u32_e32 v16, vcc_lo, s9, v16, vcc_lo
	;;#ASMSTART
	global_load_dwordx4 v[17:20], v[15:16] off glc	
s_waitcnt vmcnt(0)
	;;#ASMEND
	v_and_b32_e32 v20, 0xff, v18
	v_and_b32_e32 v26, 0xff00, v18
	v_or3_b32 v17, v17, 0, 0
	v_and_b32_e32 v27, 0xff000000, v18
	v_and_b32_e32 v18, 0xff0000, v18
	s_delay_alu instid0(VALU_DEP_4) | instskip(SKIP_2) | instid1(VALU_DEP_3)
	v_or3_b32 v20, 0, v20, v26
	v_and_b32_e32 v26, 0xff, v19
	v_or3_b32 v17, v17, 0, 0
	v_or3_b32 v18, v20, v18, v27
	s_delay_alu instid0(VALU_DEP_3)
	v_cmpx_eq_u16_e32 0, v26
	s_cbranch_execz .LBB684_50
; %bb.45:
	s_mov_b32 s13, 1
	.p2align	6
.LBB684_46:                             ; =>This Loop Header: Depth=1
                                        ;     Child Loop BB684_47 Depth 2
	s_delay_alu instid0(SALU_CYCLE_1)
	s_max_u32 s17, s13, 1
.LBB684_47:                             ;   Parent Loop BB684_46 Depth=1
                                        ; =>  This Inner Loop Header: Depth=2
	s_delay_alu instid0(SALU_CYCLE_1)
	s_add_i32 s17, s17, -1
	s_sleep 1
	s_cmp_eq_u32 s17, 0
	s_cbranch_scc0 .LBB684_47
; %bb.48:                               ;   in Loop: Header=BB684_46 Depth=1
	;;#ASMSTART
	global_load_dwordx4 v[17:20], v[15:16] off glc	
s_waitcnt vmcnt(0)
	;;#ASMEND
	v_and_b32_e32 v20, 0xff, v19
	s_cmp_lt_u32 s13, 32
	s_cselect_b32 s17, -1, 0
	s_delay_alu instid0(SALU_CYCLE_1) | instskip(NEXT) | instid1(VALU_DEP_1)
	s_cmp_lg_u32 s17, 0
	v_cmp_ne_u16_e32 vcc_lo, 0, v20
	s_addc_u32 s13, s13, 0
	s_or_b32 s12, vcc_lo, s12
	s_delay_alu instid0(SALU_CYCLE_1)
	s_and_not1_b32 exec_lo, exec_lo, s12
	s_cbranch_execnz .LBB684_46
; %bb.49:
	s_or_b32 exec_lo, exec_lo, s12
.LBB684_50:
	s_delay_alu instid0(SALU_CYCLE_1)
	s_or_b32 exec_lo, exec_lo, s11
	v_cmp_ne_u32_e32 vcc_lo, 31, v42
	v_and_b32_e32 v16, 0xff, v19
	v_lshlrev_b32_e64 v46, v42, -1
	s_mov_b32 s11, exec_lo
	v_add_co_ci_u32_e32 v15, vcc_lo, 0, v42, vcc_lo
	s_delay_alu instid0(VALU_DEP_3) | instskip(NEXT) | instid1(VALU_DEP_2)
	v_cmp_eq_u16_e32 vcc_lo, 2, v16
	v_dual_mov_b32 v16, v17 :: v_dual_lshlrev_b32 v45, 2, v15
	v_and_or_b32 v15, vcc_lo, v46, 0x80000000
	ds_bpermute_b32 v26, v45, v17
	ds_bpermute_b32 v20, v45, v18
	v_ctz_i32_b32_e32 v15, v15
	s_delay_alu instid0(VALU_DEP_1)
	v_cmpx_lt_u32_e64 v42, v15
	s_cbranch_execz .LBB684_52
; %bb.51:
	s_waitcnt lgkmcnt(1)
	v_add_co_u32 v16, vcc_lo, v17, v26
	v_add_co_ci_u32_e32 v18, vcc_lo, 0, v18, vcc_lo
	s_delay_alu instid0(VALU_DEP_2) | instskip(SKIP_1) | instid1(VALU_DEP_2)
	v_add_co_u32 v17, vcc_lo, 0, v16
	s_waitcnt lgkmcnt(0)
	v_add_co_ci_u32_e32 v18, vcc_lo, v20, v18, vcc_lo
.LBB684_52:
	s_or_b32 exec_lo, exec_lo, s11
	v_cmp_gt_u32_e32 vcc_lo, 30, v42
	v_add_nc_u32_e32 v48, 2, v42
	s_mov_b32 s11, exec_lo
	s_waitcnt lgkmcnt(0)
	v_cndmask_b32_e64 v20, 0, 1, vcc_lo
	s_delay_alu instid0(VALU_DEP_1) | instskip(NEXT) | instid1(VALU_DEP_1)
	v_lshlrev_b32_e32 v20, 1, v20
	v_add_lshl_u32 v47, v20, v42, 2
	ds_bpermute_b32 v26, v47, v16
	ds_bpermute_b32 v20, v47, v18
	v_cmpx_le_u32_e64 v48, v15
	s_cbranch_execz .LBB684_54
; %bb.53:
	s_waitcnt lgkmcnt(1)
	v_add_co_u32 v16, vcc_lo, v17, v26
	v_add_co_ci_u32_e32 v18, vcc_lo, 0, v18, vcc_lo
	s_delay_alu instid0(VALU_DEP_2) | instskip(SKIP_1) | instid1(VALU_DEP_2)
	v_add_co_u32 v17, vcc_lo, 0, v16
	s_waitcnt lgkmcnt(0)
	v_add_co_ci_u32_e32 v18, vcc_lo, v20, v18, vcc_lo
.LBB684_54:
	s_or_b32 exec_lo, exec_lo, s11
	v_cmp_gt_u32_e32 vcc_lo, 28, v42
	v_add_nc_u32_e32 v50, 4, v42
	s_mov_b32 s11, exec_lo
	s_waitcnt lgkmcnt(0)
	v_cndmask_b32_e64 v20, 0, 1, vcc_lo
	s_delay_alu instid0(VALU_DEP_1) | instskip(NEXT) | instid1(VALU_DEP_1)
	v_lshlrev_b32_e32 v20, 2, v20
	v_add_lshl_u32 v49, v20, v42, 2
	ds_bpermute_b32 v26, v49, v16
	ds_bpermute_b32 v20, v49, v18
	v_cmpx_le_u32_e64 v50, v15
	;; [unrolled: 22-line block ×4, first 2 shown]
	s_cbranch_execz .LBB684_60
; %bb.59:
	s_waitcnt lgkmcnt(1)
	v_add_co_u32 v15, vcc_lo, v17, v20
	v_add_co_ci_u32_e32 v18, vcc_lo, 0, v18, vcc_lo
	s_delay_alu instid0(VALU_DEP_2) | instskip(SKIP_1) | instid1(VALU_DEP_2)
	v_add_co_u32 v17, vcc_lo, v15, 0
	s_waitcnt lgkmcnt(0)
	v_add_co_ci_u32_e32 v18, vcc_lo, v18, v16, vcc_lo
.LBB684_60:
	s_or_b32 exec_lo, exec_lo, s11
	v_mov_b32_e32 v26, 0
	s_branch .LBB684_62
.LBB684_61:                             ;   in Loop: Header=BB684_62 Depth=1
	s_or_b32 exec_lo, exec_lo, s11
	v_add_co_u32 v17, vcc_lo, v17, v15
	v_subrev_nc_u32_e32 v25, 32, v25
	v_add_co_ci_u32_e32 v18, vcc_lo, v18, v16, vcc_lo
.LBB684_62:                             ; =>This Loop Header: Depth=1
                                        ;     Child Loop BB684_65 Depth 2
                                        ;       Child Loop BB684_66 Depth 3
	v_and_b32_e32 v15, 0xff, v19
	s_delay_alu instid0(VALU_DEP_1) | instskip(SKIP_2) | instid1(VALU_DEP_1)
	v_cmp_ne_u16_e32 vcc_lo, 2, v15
	v_cndmask_b32_e64 v15, 0, 1, vcc_lo
	;;#ASMSTART
	;;#ASMEND
	v_cmp_ne_u32_e32 vcc_lo, 0, v15
	s_waitcnt lgkmcnt(0)
	v_dual_mov_b32 v15, v17 :: v_dual_mov_b32 v16, v18
	s_cmp_lg_u32 vcc_lo, exec_lo
	s_cbranch_scc1 .LBB684_79
; %bb.63:                               ;   in Loop: Header=BB684_62 Depth=1
	v_lshlrev_b64 v[17:18], 4, v[25:26]
	s_mov_b32 s11, exec_lo
	s_delay_alu instid0(VALU_DEP_1) | instskip(NEXT) | instid1(VALU_DEP_2)
	v_add_co_u32 v27, vcc_lo, s8, v17
	v_add_co_ci_u32_e32 v28, vcc_lo, s9, v18, vcc_lo
	;;#ASMSTART
	global_load_dwordx4 v[17:20], v[27:28] off glc	
s_waitcnt vmcnt(0)
	;;#ASMEND
	v_and_b32_e32 v20, 0xff, v18
	v_and_b32_e32 v55, 0xff00, v18
	v_or3_b32 v17, v17, 0, 0
	v_and_b32_e32 v56, 0xff000000, v18
	v_and_b32_e32 v18, 0xff0000, v18
	s_delay_alu instid0(VALU_DEP_4) | instskip(SKIP_2) | instid1(VALU_DEP_3)
	v_or3_b32 v20, 0, v20, v55
	v_and_b32_e32 v55, 0xff, v19
	v_or3_b32 v17, v17, 0, 0
	v_or3_b32 v18, v20, v18, v56
	s_delay_alu instid0(VALU_DEP_3)
	v_cmpx_eq_u16_e32 0, v55
	s_cbranch_execz .LBB684_69
; %bb.64:                               ;   in Loop: Header=BB684_62 Depth=1
	s_mov_b32 s13, 1
	s_mov_b32 s12, 0
	.p2align	6
.LBB684_65:                             ;   Parent Loop BB684_62 Depth=1
                                        ; =>  This Loop Header: Depth=2
                                        ;       Child Loop BB684_66 Depth 3
	s_max_u32 s17, s13, 1
.LBB684_66:                             ;   Parent Loop BB684_62 Depth=1
                                        ;     Parent Loop BB684_65 Depth=2
                                        ; =>    This Inner Loop Header: Depth=3
	s_delay_alu instid0(SALU_CYCLE_1)
	s_add_i32 s17, s17, -1
	s_sleep 1
	s_cmp_eq_u32 s17, 0
	s_cbranch_scc0 .LBB684_66
; %bb.67:                               ;   in Loop: Header=BB684_65 Depth=2
	;;#ASMSTART
	global_load_dwordx4 v[17:20], v[27:28] off glc	
s_waitcnt vmcnt(0)
	;;#ASMEND
	v_and_b32_e32 v20, 0xff, v19
	s_cmp_lt_u32 s13, 32
	s_cselect_b32 s17, -1, 0
	s_delay_alu instid0(SALU_CYCLE_1) | instskip(NEXT) | instid1(VALU_DEP_1)
	s_cmp_lg_u32 s17, 0
	v_cmp_ne_u16_e32 vcc_lo, 0, v20
	s_addc_u32 s13, s13, 0
	s_or_b32 s12, vcc_lo, s12
	s_delay_alu instid0(SALU_CYCLE_1)
	s_and_not1_b32 exec_lo, exec_lo, s12
	s_cbranch_execnz .LBB684_65
; %bb.68:                               ;   in Loop: Header=BB684_62 Depth=1
	s_or_b32 exec_lo, exec_lo, s12
.LBB684_69:                             ;   in Loop: Header=BB684_62 Depth=1
	s_delay_alu instid0(SALU_CYCLE_1)
	s_or_b32 exec_lo, exec_lo, s11
	v_dual_mov_b32 v27, v17 :: v_dual_and_b32 v20, 0xff, v19
	ds_bpermute_b32 v55, v45, v17
	ds_bpermute_b32 v28, v45, v18
	s_mov_b32 s11, exec_lo
	v_cmp_eq_u16_e32 vcc_lo, 2, v20
	v_and_or_b32 v20, vcc_lo, v46, 0x80000000
	s_delay_alu instid0(VALU_DEP_1) | instskip(NEXT) | instid1(VALU_DEP_1)
	v_ctz_i32_b32_e32 v20, v20
	v_cmpx_lt_u32_e64 v42, v20
	s_cbranch_execz .LBB684_71
; %bb.70:                               ;   in Loop: Header=BB684_62 Depth=1
	s_waitcnt lgkmcnt(1)
	v_add_co_u32 v27, vcc_lo, v17, v55
	v_add_co_ci_u32_e32 v18, vcc_lo, 0, v18, vcc_lo
	s_delay_alu instid0(VALU_DEP_2) | instskip(SKIP_1) | instid1(VALU_DEP_2)
	v_add_co_u32 v17, vcc_lo, 0, v27
	s_waitcnt lgkmcnt(0)
	v_add_co_ci_u32_e32 v18, vcc_lo, v28, v18, vcc_lo
.LBB684_71:                             ;   in Loop: Header=BB684_62 Depth=1
	s_or_b32 exec_lo, exec_lo, s11
	s_waitcnt lgkmcnt(1)
	ds_bpermute_b32 v55, v47, v27
	s_waitcnt lgkmcnt(1)
	ds_bpermute_b32 v28, v47, v18
	s_mov_b32 s11, exec_lo
	v_cmpx_le_u32_e64 v48, v20
	s_cbranch_execz .LBB684_73
; %bb.72:                               ;   in Loop: Header=BB684_62 Depth=1
	s_waitcnt lgkmcnt(1)
	v_add_co_u32 v27, vcc_lo, v17, v55
	v_add_co_ci_u32_e32 v18, vcc_lo, 0, v18, vcc_lo
	s_delay_alu instid0(VALU_DEP_2) | instskip(SKIP_1) | instid1(VALU_DEP_2)
	v_add_co_u32 v17, vcc_lo, 0, v27
	s_waitcnt lgkmcnt(0)
	v_add_co_ci_u32_e32 v18, vcc_lo, v28, v18, vcc_lo
.LBB684_73:                             ;   in Loop: Header=BB684_62 Depth=1
	s_or_b32 exec_lo, exec_lo, s11
	s_waitcnt lgkmcnt(1)
	ds_bpermute_b32 v55, v49, v27
	s_waitcnt lgkmcnt(1)
	ds_bpermute_b32 v28, v49, v18
	s_mov_b32 s11, exec_lo
	v_cmpx_le_u32_e64 v50, v20
	;; [unrolled: 17-line block ×3, first 2 shown]
	s_cbranch_execz .LBB684_77
; %bb.76:                               ;   in Loop: Header=BB684_62 Depth=1
	s_waitcnt lgkmcnt(1)
	v_add_co_u32 v27, vcc_lo, v17, v55
	v_add_co_ci_u32_e32 v18, vcc_lo, 0, v18, vcc_lo
	s_delay_alu instid0(VALU_DEP_2) | instskip(SKIP_1) | instid1(VALU_DEP_2)
	v_add_co_u32 v17, vcc_lo, 0, v27
	s_waitcnt lgkmcnt(0)
	v_add_co_ci_u32_e32 v18, vcc_lo, v28, v18, vcc_lo
.LBB684_77:                             ;   in Loop: Header=BB684_62 Depth=1
	s_or_b32 exec_lo, exec_lo, s11
	s_waitcnt lgkmcnt(0)
	ds_bpermute_b32 v28, v53, v27
	ds_bpermute_b32 v27, v53, v18
	s_mov_b32 s11, exec_lo
	v_cmpx_le_u32_e64 v54, v20
	s_cbranch_execz .LBB684_61
; %bb.78:                               ;   in Loop: Header=BB684_62 Depth=1
	s_waitcnt lgkmcnt(1)
	v_add_co_u32 v17, vcc_lo, v17, v28
	v_add_co_ci_u32_e32 v18, vcc_lo, 0, v18, vcc_lo
	s_delay_alu instid0(VALU_DEP_2) | instskip(SKIP_1) | instid1(VALU_DEP_2)
	v_add_co_u32 v17, vcc_lo, v17, 0
	s_waitcnt lgkmcnt(0)
	v_add_co_ci_u32_e32 v18, vcc_lo, v18, v27, vcc_lo
	s_branch .LBB684_61
.LBB684_79:                             ;   in Loop: Header=BB684_62 Depth=1
                                        ; implicit-def: $vgpr17_vgpr18
	s_cbranch_execz .LBB684_62
; %bb.80:
	s_and_saveexec_b32 s11, s3
	s_cbranch_execz .LBB684_82
; %bb.81:
	s_add_i32 s12, s15, 32
	s_mov_b32 s13, 0
	v_add_co_u32 v17, vcc_lo, v15, v13
	s_lshl_b64 s[12:13], s[12:13], 4
	v_dual_mov_b32 v19, 2 :: v_dual_mov_b32 v20, 0
	s_add_u32 s12, s8, s12
	s_addc_u32 s13, s9, s13
	v_add_co_ci_u32_e32 v18, vcc_lo, v16, v14, vcc_lo
	v_dual_mov_b32 v26, s13 :: v_dual_mov_b32 v25, s12
	;;#ASMSTART
	global_store_dwordx4 v[25:26], v[17:20] off	
s_waitcnt vmcnt(0)
	;;#ASMEND
	ds_store_b128 v20, v[13:16] offset:6144
.LBB684_82:
	s_or_b32 exec_lo, exec_lo, s11
	v_cmp_eq_u32_e32 vcc_lo, 0, v0
	s_and_b32 exec_lo, exec_lo, vcc_lo
	s_cbranch_execz .LBB684_84
; %bb.83:
	v_mov_b32_e32 v13, 0
	ds_store_b64 v13, v[15:16] offset:24
.LBB684_84:
	s_or_b32 exec_lo, exec_lo, s10
	s_waitcnt lgkmcnt(1)
	v_cndmask_b32_e64 v16, v29, v23, s3
	v_cmp_ne_u32_e32 vcc_lo, 0, v0
	v_mov_b32_e32 v15, 0
	s_waitcnt lgkmcnt(0)
	s_barrier
	buffer_gl0_inv
	v_cndmask_b32_e32 v16, 0, v16, vcc_lo
	ds_load_b64 v[13:14], v15 offset:24
	v_cndmask_b32_e64 v17, v30, v24, s3
	s_waitcnt lgkmcnt(0)
	s_barrier
	buffer_gl0_inv
	v_cndmask_b32_e32 v17, 0, v17, vcc_lo
	v_add_co_u32 v29, vcc_lo, v13, v16
	s_delay_alu instid0(VALU_DEP_2) | instskip(SKIP_3) | instid1(VALU_DEP_2)
	v_add_co_ci_u32_e32 v30, vcc_lo, v14, v17, vcc_lo
	ds_load_b128 v[13:16], v15 offset:6144
	v_add_co_u32 v27, vcc_lo, v29, v41
	v_add_co_ci_u32_e32 v28, vcc_lo, 0, v30, vcc_lo
	v_add_co_u32 v25, vcc_lo, v27, v40
	s_delay_alu instid0(VALU_DEP_2) | instskip(NEXT) | instid1(VALU_DEP_2)
	v_add_co_ci_u32_e32 v26, vcc_lo, 0, v28, vcc_lo
	v_add_co_u32 v23, vcc_lo, v25, v39
	s_delay_alu instid0(VALU_DEP_2) | instskip(NEXT) | instid1(VALU_DEP_2)
	;; [unrolled: 3-line block ×3, first 2 shown]
	v_add_co_ci_u32_e32 v20, vcc_lo, 0, v24, vcc_lo
	v_add_co_u32 v17, vcc_lo, v19, v37
	s_delay_alu instid0(VALU_DEP_2)
	v_add_co_ci_u32_e32 v18, vcc_lo, 0, v20, vcc_lo
	s_load_b64 s[10:11], s[0:1], 0x30
.LBB684_85:
	s_waitcnt lgkmcnt(0)
	v_cmp_gt_u64_e32 vcc_lo, 0x81, v[13:14]
	s_mov_b32 s0, -1
	s_cbranch_vccnz .LBB684_113
.LBB684_86:
	s_and_b32 vcc_lo, exec_lo, s0
	s_cbranch_vccnz .LBB684_132
.LBB684_87:
	v_cmp_eq_u32_e32 vcc_lo, 0, v0
	s_and_b32 s0, vcc_lo, s14
	s_delay_alu instid0(SALU_CYCLE_1)
	s_and_saveexec_b32 s1, s0
	s_cbranch_execnz .LBB684_148
.LBB684_88:
	s_nop 0
	s_sendmsg sendmsg(MSG_DEALLOC_VGPRS)
	s_endpgm
.LBB684_89:
                                        ; kill: def $vgpr13_vgpr14 killed $sgpr0_sgpr1 killed $exec
                                        ; implicit-def: $vgpr17_vgpr18
                                        ; implicit-def: $vgpr19_vgpr20
                                        ; implicit-def: $vgpr23_vgpr24
                                        ; implicit-def: $vgpr25_vgpr26
                                        ; implicit-def: $vgpr27_vgpr28
                                        ; implicit-def: $vgpr29_vgpr30
                                        ; implicit-def: $vgpr15_vgpr16
	s_load_b64 s[10:11], s[0:1], 0x30
	s_and_b32 vcc_lo, exec_lo, s3
	s_cbranch_vccz .LBB684_85
; %bb.90:
	s_waitcnt lgkmcnt(0)
	v_dual_mov_b32 v14, 0 :: v_dual_mov_b32 v15, v21
	v_mov_b32_dpp v16, v21 row_shr:1 row_mask:0xf bank_mask:0xf
	s_delay_alu instid0(VALU_DEP_2)
	v_mov_b32_dpp v13, v14 row_shr:1 row_mask:0xf bank_mask:0xf
	s_and_saveexec_b32 s0, s2
; %bb.91:
	s_delay_alu instid0(VALU_DEP_2) | instskip(SKIP_1) | instid1(VALU_DEP_2)
	v_add_co_u32 v15, vcc_lo, v21, v16
	v_add_co_ci_u32_e32 v14, vcc_lo, 0, v22, vcc_lo
	v_add_co_u32 v21, vcc_lo, 0, v15
	s_delay_alu instid0(VALU_DEP_2) | instskip(NEXT) | instid1(VALU_DEP_1)
	v_add_co_ci_u32_e32 v22, vcc_lo, v13, v14, vcc_lo
	v_mov_b32_e32 v14, v22
; %bb.92:
	s_or_b32 exec_lo, exec_lo, s0
	v_mov_b32_dpp v13, v15 row_shr:2 row_mask:0xf bank_mask:0xf
	s_delay_alu instid0(VALU_DEP_2)
	v_mov_b32_dpp v16, v14 row_shr:2 row_mask:0xf bank_mask:0xf
	s_mov_b32 s0, exec_lo
	v_cmpx_lt_u32_e32 1, v44
; %bb.93:
	s_delay_alu instid0(VALU_DEP_3) | instskip(SKIP_1) | instid1(VALU_DEP_2)
	v_add_co_u32 v15, vcc_lo, v21, v13
	v_add_co_ci_u32_e32 v14, vcc_lo, 0, v22, vcc_lo
	v_add_co_u32 v13, vcc_lo, 0, v15
	s_delay_alu instid0(VALU_DEP_2) | instskip(NEXT) | instid1(VALU_DEP_1)
	v_add_co_ci_u32_e32 v14, vcc_lo, v16, v14, vcc_lo
	v_dual_mov_b32 v22, v14 :: v_dual_mov_b32 v21, v13
; %bb.94:
	s_or_b32 exec_lo, exec_lo, s0
	v_mov_b32_dpp v13, v15 row_shr:4 row_mask:0xf bank_mask:0xf
	v_mov_b32_dpp v16, v14 row_shr:4 row_mask:0xf bank_mask:0xf
	s_mov_b32 s0, exec_lo
	v_cmpx_lt_u32_e32 3, v44
; %bb.95:
	s_delay_alu instid0(VALU_DEP_3) | instskip(SKIP_1) | instid1(VALU_DEP_2)
	v_add_co_u32 v15, vcc_lo, v21, v13
	v_add_co_ci_u32_e32 v14, vcc_lo, 0, v22, vcc_lo
	v_add_co_u32 v13, vcc_lo, 0, v15
	s_delay_alu instid0(VALU_DEP_2) | instskip(NEXT) | instid1(VALU_DEP_1)
	v_add_co_ci_u32_e32 v14, vcc_lo, v16, v14, vcc_lo
	v_dual_mov_b32 v22, v14 :: v_dual_mov_b32 v21, v13
; %bb.96:
	s_or_b32 exec_lo, exec_lo, s0
	v_mov_b32_dpp v16, v15 row_shr:8 row_mask:0xf bank_mask:0xf
	v_mov_b32_dpp v13, v14 row_shr:8 row_mask:0xf bank_mask:0xf
	s_mov_b32 s0, exec_lo
	v_cmpx_lt_u32_e32 7, v44
; %bb.97:
	s_delay_alu instid0(VALU_DEP_3) | instskip(SKIP_1) | instid1(VALU_DEP_2)
	v_add_co_u32 v15, vcc_lo, v21, v16
	v_add_co_ci_u32_e32 v14, vcc_lo, 0, v22, vcc_lo
	v_add_co_u32 v21, vcc_lo, 0, v15
	s_delay_alu instid0(VALU_DEP_2) | instskip(NEXT) | instid1(VALU_DEP_1)
	v_add_co_ci_u32_e32 v22, vcc_lo, v13, v14, vcc_lo
	v_mov_b32_e32 v14, v22
; %bb.98:
	s_or_b32 exec_lo, exec_lo, s0
	ds_swizzle_b32 v15, v15 offset:swizzle(BROADCAST,32,15)
	ds_swizzle_b32 v13, v14 offset:swizzle(BROADCAST,32,15)
	v_and_b32_e32 v14, 16, v42
	s_mov_b32 s0, exec_lo
	s_delay_alu instid0(VALU_DEP_1)
	v_cmpx_ne_u32_e32 0, v14
	s_cbranch_execz .LBB684_100
; %bb.99:
	s_waitcnt lgkmcnt(1)
	v_add_co_u32 v14, vcc_lo, v21, v15
	v_add_co_ci_u32_e32 v15, vcc_lo, 0, v22, vcc_lo
	s_delay_alu instid0(VALU_DEP_2) | instskip(SKIP_1) | instid1(VALU_DEP_2)
	v_add_co_u32 v21, vcc_lo, v14, 0
	s_waitcnt lgkmcnt(0)
	v_add_co_ci_u32_e32 v22, vcc_lo, v15, v13, vcc_lo
.LBB684_100:
	s_or_b32 exec_lo, exec_lo, s0
	s_waitcnt lgkmcnt(0)
	v_or_b32_e32 v13, 31, v0
	v_lshrrev_b32_e32 v15, 5, v0
	s_mov_b32 s0, exec_lo
	s_delay_alu instid0(VALU_DEP_2)
	v_cmpx_eq_u32_e64 v13, v0
	s_cbranch_execz .LBB684_102
; %bb.101:
	s_delay_alu instid0(VALU_DEP_2)
	v_lshlrev_b32_e32 v13, 3, v15
	ds_store_b64 v13, v[21:22]
.LBB684_102:
	s_or_b32 exec_lo, exec_lo, s0
	s_delay_alu instid0(SALU_CYCLE_1)
	s_mov_b32 s0, exec_lo
	s_waitcnt lgkmcnt(0)
	s_barrier
	buffer_gl0_inv
	v_cmpx_gt_u32_e32 4, v0
	s_cbranch_execz .LBB684_108
; %bb.103:
	v_lshlrev_b32_e32 v13, 1, v0
	s_mov_b32 s1, exec_lo
	s_delay_alu instid0(VALU_DEP_1)
	v_add_nc_u32_e32 v16, v43, v13
	ds_load_b64 v[13:14], v16
	s_waitcnt lgkmcnt(0)
	v_dual_mov_b32 v18, v13 :: v_dual_and_b32 v17, 3, v42
	v_mov_b32_dpp v20, v13 row_shr:1 row_mask:0xf bank_mask:0xf
	v_mov_b32_dpp v19, v14 row_shr:1 row_mask:0xf bank_mask:0xf
	s_delay_alu instid0(VALU_DEP_3)
	v_cmpx_ne_u32_e32 0, v17
; %bb.104:
	s_delay_alu instid0(VALU_DEP_3) | instskip(SKIP_1) | instid1(VALU_DEP_2)
	v_add_co_u32 v18, vcc_lo, v13, v20
	v_add_co_ci_u32_e32 v14, vcc_lo, 0, v14, vcc_lo
	v_add_co_u32 v13, vcc_lo, 0, v18
	s_delay_alu instid0(VALU_DEP_2)
	v_add_co_ci_u32_e32 v14, vcc_lo, v19, v14, vcc_lo
; %bb.105:
	s_or_b32 exec_lo, exec_lo, s1
	v_mov_b32_dpp v19, v18 row_shr:2 row_mask:0xf bank_mask:0xf
	s_delay_alu instid0(VALU_DEP_2)
	v_mov_b32_dpp v18, v14 row_shr:2 row_mask:0xf bank_mask:0xf
	s_mov_b32 s1, exec_lo
	v_cmpx_lt_u32_e32 1, v17
; %bb.106:
	s_delay_alu instid0(VALU_DEP_3) | instskip(SKIP_1) | instid1(VALU_DEP_2)
	v_add_co_u32 v13, vcc_lo, v13, v19
	v_add_co_ci_u32_e32 v14, vcc_lo, 0, v14, vcc_lo
	v_add_co_u32 v13, vcc_lo, v13, 0
	s_delay_alu instid0(VALU_DEP_2)
	v_add_co_ci_u32_e32 v14, vcc_lo, v14, v18, vcc_lo
; %bb.107:
	s_or_b32 exec_lo, exec_lo, s1
	ds_store_b64 v16, v[13:14]
.LBB684_108:
	s_or_b32 exec_lo, exec_lo, s0
	v_mov_b32_e32 v17, 0
	v_mov_b32_e32 v18, 0
	s_mov_b32 s0, exec_lo
	s_waitcnt lgkmcnt(0)
	s_barrier
	buffer_gl0_inv
	v_cmpx_lt_u32_e32 31, v0
	s_cbranch_execz .LBB684_110
; %bb.109:
	v_lshl_add_u32 v13, v15, 3, -8
	ds_load_b64 v[17:18], v13
.LBB684_110:
	s_or_b32 exec_lo, exec_lo, s0
	v_dual_mov_b32 v16, 0 :: v_dual_add_nc_u32 v13, -1, v42
	s_delay_alu instid0(VALU_DEP_1) | instskip(SKIP_4) | instid1(VALU_DEP_3)
	v_cmp_gt_i32_e32 vcc_lo, 0, v13
	v_cndmask_b32_e32 v13, v13, v42, vcc_lo
	s_waitcnt lgkmcnt(0)
	v_add_co_u32 v14, vcc_lo, v17, v21
	v_add_co_ci_u32_e32 v15, vcc_lo, v18, v22, vcc_lo
	v_lshlrev_b32_e32 v13, 2, v13
	v_cmp_eq_u32_e32 vcc_lo, 0, v0
	ds_bpermute_b32 v19, v13, v14
	ds_bpermute_b32 v20, v13, v15
	ds_load_b64 v[13:14], v16 offset:24
	s_and_saveexec_b32 s0, vcc_lo
	s_cbranch_execz .LBB684_112
; %bb.111:
	s_add_u32 s2, s8, 0x200
	s_addc_u32 s3, s9, 0
	s_delay_alu instid0(SALU_CYCLE_1)
	v_dual_mov_b32 v15, 2 :: v_dual_mov_b32 v22, s3
	v_mov_b32_e32 v21, s2
	s_waitcnt lgkmcnt(0)
	;;#ASMSTART
	global_store_dwordx4 v[21:22], v[13:16] off	
s_waitcnt vmcnt(0)
	;;#ASMEND
.LBB684_112:
	s_or_b32 exec_lo, exec_lo, s0
	v_cmp_eq_u32_e64 s0, 0, v42
	s_waitcnt lgkmcnt(0)
	s_barrier
	buffer_gl0_inv
	v_cndmask_b32_e64 v15, v19, v17, s0
	v_cndmask_b32_e64 v16, v20, v18, s0
	s_delay_alu instid0(VALU_DEP_2) | instskip(NEXT) | instid1(VALU_DEP_2)
	v_cndmask_b32_e64 v29, v15, 0, vcc_lo
	v_cndmask_b32_e64 v30, v16, 0, vcc_lo
	v_mov_b32_e32 v15, 0
	v_mov_b32_e32 v16, 0
	s_delay_alu instid0(VALU_DEP_4) | instskip(NEXT) | instid1(VALU_DEP_4)
	v_add_co_u32 v27, vcc_lo, v29, v41
	v_add_co_ci_u32_e32 v28, vcc_lo, 0, v30, vcc_lo
	s_delay_alu instid0(VALU_DEP_2) | instskip(NEXT) | instid1(VALU_DEP_2)
	v_add_co_u32 v25, vcc_lo, v27, v40
	v_add_co_ci_u32_e32 v26, vcc_lo, 0, v28, vcc_lo
	s_delay_alu instid0(VALU_DEP_2) | instskip(NEXT) | instid1(VALU_DEP_2)
	;; [unrolled: 3-line block ×4, first 2 shown]
	v_add_co_u32 v17, vcc_lo, v19, v37
	v_add_co_ci_u32_e32 v18, vcc_lo, 0, v20, vcc_lo
	v_cmp_gt_u64_e32 vcc_lo, 0x81, v[13:14]
	s_mov_b32 s0, -1
	s_cbranch_vccz .LBB684_86
.LBB684_113:
	v_add_co_u32 v21, vcc_lo, v15, v13
	v_add_co_ci_u32_e32 v22, vcc_lo, v16, v14, vcc_lo
	s_delay_alu instid0(VALU_DEP_1) | instskip(SKIP_1) | instid1(SALU_CYCLE_1)
	v_cmp_lt_u64_e32 vcc_lo, v[29:30], v[21:22]
	s_or_b32 s1, s16, vcc_lo
	s_and_saveexec_b32 s0, s1
	s_cbranch_execz .LBB684_116
; %bb.114:
	v_and_b32_e32 v37, 1, v36
	s_delay_alu instid0(VALU_DEP_1)
	v_cmp_eq_u32_e32 vcc_lo, 1, v37
	s_and_b32 exec_lo, exec_lo, vcc_lo
	s_cbranch_execz .LBB684_116
; %bb.115:
	v_lshlrev_b64 v[37:38], 3, v[29:30]
	s_lshl_b64 s[2:3], s[6:7], 3
	s_delay_alu instid0(SALU_CYCLE_1) | instskip(SKIP_1) | instid1(VALU_DEP_1)
	s_add_u32 s1, s10, s2
	s_addc_u32 s2, s11, s3
	v_add_co_u32 v37, vcc_lo, s1, v37
	s_delay_alu instid0(VALU_DEP_2)
	v_add_co_ci_u32_e32 v38, vcc_lo, s2, v38, vcc_lo
	global_store_b64 v[37:38], v[9:10], off
.LBB684_116:
	s_or_b32 exec_lo, exec_lo, s0
	v_cmp_lt_u64_e32 vcc_lo, v[27:28], v[21:22]
	s_or_b32 s1, s16, vcc_lo
	s_delay_alu instid0(SALU_CYCLE_1)
	s_and_saveexec_b32 s0, s1
	s_cbranch_execz .LBB684_119
; %bb.117:
	v_and_b32_e32 v30, 1, v34
	s_delay_alu instid0(VALU_DEP_1)
	v_cmp_eq_u32_e32 vcc_lo, 1, v30
	s_and_b32 exec_lo, exec_lo, vcc_lo
	s_cbranch_execz .LBB684_119
; %bb.118:
	v_lshlrev_b64 v[37:38], 3, v[27:28]
	s_lshl_b64 s[2:3], s[6:7], 3
	s_delay_alu instid0(SALU_CYCLE_1) | instskip(SKIP_1) | instid1(VALU_DEP_1)
	s_add_u32 s1, s10, s2
	s_addc_u32 s2, s11, s3
	v_add_co_u32 v37, vcc_lo, s1, v37
	s_delay_alu instid0(VALU_DEP_2)
	v_add_co_ci_u32_e32 v38, vcc_lo, s2, v38, vcc_lo
	global_store_b64 v[37:38], v[11:12], off
.LBB684_119:
	s_or_b32 exec_lo, exec_lo, s0
	v_cmp_lt_u64_e32 vcc_lo, v[25:26], v[21:22]
	s_or_b32 s1, s16, vcc_lo
	s_delay_alu instid0(SALU_CYCLE_1)
	;; [unrolled: 23-line block ×5, first 2 shown]
	s_and_saveexec_b32 s0, s1
	s_cbranch_execz .LBB684_131
; %bb.129:
	v_and_b32_e32 v20, 1, v32
	s_delay_alu instid0(VALU_DEP_1)
	v_cmp_eq_u32_e32 vcc_lo, 1, v20
	s_and_b32 exec_lo, exec_lo, vcc_lo
	s_cbranch_execz .LBB684_131
; %bb.130:
	v_lshlrev_b64 v[20:21], 3, v[17:18]
	s_lshl_b64 s[2:3], s[6:7], 3
	s_delay_alu instid0(SALU_CYCLE_1) | instskip(SKIP_1) | instid1(VALU_DEP_1)
	s_add_u32 s1, s10, s2
	s_addc_u32 s2, s11, s3
	v_add_co_u32 v20, vcc_lo, s1, v20
	s_delay_alu instid0(VALU_DEP_2)
	v_add_co_ci_u32_e32 v21, vcc_lo, s2, v21, vcc_lo
	global_store_b64 v[20:21], v[3:4], off
.LBB684_131:
	s_or_b32 exec_lo, exec_lo, s0
	s_branch .LBB684_87
.LBB684_132:
	v_and_b32_e32 v18, 1, v36
	s_mov_b32 s0, exec_lo
	s_delay_alu instid0(VALU_DEP_1)
	v_cmpx_eq_u32_e32 1, v18
	s_cbranch_execz .LBB684_134
; %bb.133:
	v_sub_nc_u32_e32 v18, v29, v15
	s_delay_alu instid0(VALU_DEP_1)
	v_lshlrev_b32_e32 v18, 3, v18
	ds_store_b64 v18, v[9:10]
.LBB684_134:
	s_or_b32 exec_lo, exec_lo, s0
	v_and_b32_e32 v9, 1, v34
	s_mov_b32 s0, exec_lo
	s_delay_alu instid0(VALU_DEP_1)
	v_cmpx_eq_u32_e32 1, v9
	s_cbranch_execz .LBB684_136
; %bb.135:
	v_sub_nc_u32_e32 v9, v27, v15
	s_delay_alu instid0(VALU_DEP_1)
	v_lshlrev_b32_e32 v9, 3, v9
	ds_store_b64 v9, v[11:12]
.LBB684_136:
	s_or_b32 exec_lo, exec_lo, s0
	;; [unrolled: 12-line block ×6, first 2 shown]
	v_mov_b32_e32 v3, 0
	s_mov_b32 s1, exec_lo
	s_waitcnt lgkmcnt(0)
	s_waitcnt_vscnt null, 0x0
	s_barrier
	buffer_gl0_inv
	v_mov_b32_e32 v1, v3
	s_delay_alu instid0(VALU_DEP_1)
	v_cmpx_gt_u64_e64 v[13:14], v[0:1]
	s_cbranch_execz .LBB684_147
; %bb.145:
	v_lshlrev_b64 v[4:5], 3, v[15:16]
	s_lshl_b64 s[2:3], s[6:7], 3
	v_or_b32_e32 v2, 0x80, v0
	s_delay_alu instid0(VALU_DEP_2) | instskip(NEXT) | instid1(VALU_DEP_3)
	v_add_co_u32 v4, vcc_lo, s10, v4
	v_add_co_ci_u32_e32 v5, vcc_lo, s11, v5, vcc_lo
	s_delay_alu instid0(VALU_DEP_2) | instskip(NEXT) | instid1(VALU_DEP_2)
	v_add_co_u32 v6, vcc_lo, v4, s2
	v_add_co_ci_u32_e32 v7, vcc_lo, s3, v5, vcc_lo
	v_dual_mov_b32 v5, v1 :: v_dual_mov_b32 v4, v0
	s_mov_b32 s2, 0
	.p2align	6
.LBB684_146:                            ; =>This Inner Loop Header: Depth=1
	s_delay_alu instid0(VALU_DEP_1) | instskip(NEXT) | instid1(VALU_DEP_2)
	v_lshlrev_b32_e32 v1, 3, v4
	v_lshlrev_b64 v[10:11], 3, v[4:5]
	v_dual_mov_b32 v5, v3 :: v_dual_mov_b32 v4, v2
	v_cmp_le_u64_e32 vcc_lo, v[13:14], v[2:3]
	v_add_nc_u32_e32 v2, 0x80, v2
	ds_load_b64 v[8:9], v1
	v_add_co_u32 v10, s0, v6, v10
	s_delay_alu instid0(VALU_DEP_1)
	v_add_co_ci_u32_e64 v11, s0, v7, v11, s0
	s_or_b32 s2, vcc_lo, s2
	s_waitcnt lgkmcnt(0)
	global_store_b64 v[10:11], v[8:9], off
	s_and_not1_b32 exec_lo, exec_lo, s2
	s_cbranch_execnz .LBB684_146
.LBB684_147:
	s_or_b32 exec_lo, exec_lo, s1
	v_cmp_eq_u32_e32 vcc_lo, 0, v0
	s_and_b32 s0, vcc_lo, s14
	s_delay_alu instid0(SALU_CYCLE_1)
	s_and_saveexec_b32 s1, s0
	s_cbranch_execz .LBB684_88
.LBB684_148:
	v_add_co_u32 v0, vcc_lo, v15, v13
	v_add_co_ci_u32_e32 v1, vcc_lo, v16, v14, vcc_lo
	v_mov_b32_e32 v2, 0
	s_delay_alu instid0(VALU_DEP_3) | instskip(NEXT) | instid1(VALU_DEP_3)
	v_add_co_u32 v0, vcc_lo, v0, s6
	v_add_co_ci_u32_e32 v1, vcc_lo, s7, v1, vcc_lo
	global_store_b64 v2, v[0:1], s[4:5]
	s_nop 0
	s_sendmsg sendmsg(MSG_DEALLOC_VGPRS)
	s_endpgm
	.section	.rodata,"a",@progbits
	.p2align	6, 0x0
	.amdhsa_kernel _ZN7rocprim17ROCPRIM_400000_NS6detail17trampoline_kernelINS0_14default_configENS1_25partition_config_selectorILNS1_17partition_subalgoE5ElNS0_10empty_typeEbEEZZNS1_14partition_implILS5_5ELb0ES3_mN6hipcub16HIPCUB_304000_NS21CountingInputIteratorIllEEPS6_NSA_22TransformInputIteratorIbN2at6native12_GLOBAL__N_19NonZeroOpIN3c107complexINSJ_4HalfEEEEEPKSM_lEENS0_5tupleIJPlS6_EEENSR_IJSD_SD_EEES6_PiJS6_EEE10hipError_tPvRmT3_T4_T5_T6_T7_T9_mT8_P12ihipStream_tbDpT10_ENKUlT_T0_E_clISt17integral_constantIbLb1EES1E_IbLb0EEEEDaS1A_S1B_EUlS1A_E_NS1_11comp_targetILNS1_3genE9ELNS1_11target_archE1100ELNS1_3gpuE3ELNS1_3repE0EEENS1_30default_config_static_selectorELNS0_4arch9wavefront6targetE0EEEvT1_
		.amdhsa_group_segment_fixed_size 6160
		.amdhsa_private_segment_fixed_size 0
		.amdhsa_kernarg_size 120
		.amdhsa_user_sgpr_count 15
		.amdhsa_user_sgpr_dispatch_ptr 0
		.amdhsa_user_sgpr_queue_ptr 0
		.amdhsa_user_sgpr_kernarg_segment_ptr 1
		.amdhsa_user_sgpr_dispatch_id 0
		.amdhsa_user_sgpr_private_segment_size 0
		.amdhsa_wavefront_size32 1
		.amdhsa_uses_dynamic_stack 0
		.amdhsa_enable_private_segment 0
		.amdhsa_system_sgpr_workgroup_id_x 1
		.amdhsa_system_sgpr_workgroup_id_y 0
		.amdhsa_system_sgpr_workgroup_id_z 0
		.amdhsa_system_sgpr_workgroup_info 0
		.amdhsa_system_vgpr_workitem_id 0
		.amdhsa_next_free_vgpr 57
		.amdhsa_next_free_sgpr 21
		.amdhsa_reserve_vcc 1
		.amdhsa_float_round_mode_32 0
		.amdhsa_float_round_mode_16_64 0
		.amdhsa_float_denorm_mode_32 3
		.amdhsa_float_denorm_mode_16_64 3
		.amdhsa_dx10_clamp 1
		.amdhsa_ieee_mode 1
		.amdhsa_fp16_overflow 0
		.amdhsa_workgroup_processor_mode 1
		.amdhsa_memory_ordered 1
		.amdhsa_forward_progress 0
		.amdhsa_shared_vgpr_count 0
		.amdhsa_exception_fp_ieee_invalid_op 0
		.amdhsa_exception_fp_denorm_src 0
		.amdhsa_exception_fp_ieee_div_zero 0
		.amdhsa_exception_fp_ieee_overflow 0
		.amdhsa_exception_fp_ieee_underflow 0
		.amdhsa_exception_fp_ieee_inexact 0
		.amdhsa_exception_int_div_zero 0
	.end_amdhsa_kernel
	.section	.text._ZN7rocprim17ROCPRIM_400000_NS6detail17trampoline_kernelINS0_14default_configENS1_25partition_config_selectorILNS1_17partition_subalgoE5ElNS0_10empty_typeEbEEZZNS1_14partition_implILS5_5ELb0ES3_mN6hipcub16HIPCUB_304000_NS21CountingInputIteratorIllEEPS6_NSA_22TransformInputIteratorIbN2at6native12_GLOBAL__N_19NonZeroOpIN3c107complexINSJ_4HalfEEEEEPKSM_lEENS0_5tupleIJPlS6_EEENSR_IJSD_SD_EEES6_PiJS6_EEE10hipError_tPvRmT3_T4_T5_T6_T7_T9_mT8_P12ihipStream_tbDpT10_ENKUlT_T0_E_clISt17integral_constantIbLb1EES1E_IbLb0EEEEDaS1A_S1B_EUlS1A_E_NS1_11comp_targetILNS1_3genE9ELNS1_11target_archE1100ELNS1_3gpuE3ELNS1_3repE0EEENS1_30default_config_static_selectorELNS0_4arch9wavefront6targetE0EEEvT1_,"axG",@progbits,_ZN7rocprim17ROCPRIM_400000_NS6detail17trampoline_kernelINS0_14default_configENS1_25partition_config_selectorILNS1_17partition_subalgoE5ElNS0_10empty_typeEbEEZZNS1_14partition_implILS5_5ELb0ES3_mN6hipcub16HIPCUB_304000_NS21CountingInputIteratorIllEEPS6_NSA_22TransformInputIteratorIbN2at6native12_GLOBAL__N_19NonZeroOpIN3c107complexINSJ_4HalfEEEEEPKSM_lEENS0_5tupleIJPlS6_EEENSR_IJSD_SD_EEES6_PiJS6_EEE10hipError_tPvRmT3_T4_T5_T6_T7_T9_mT8_P12ihipStream_tbDpT10_ENKUlT_T0_E_clISt17integral_constantIbLb1EES1E_IbLb0EEEEDaS1A_S1B_EUlS1A_E_NS1_11comp_targetILNS1_3genE9ELNS1_11target_archE1100ELNS1_3gpuE3ELNS1_3repE0EEENS1_30default_config_static_selectorELNS0_4arch9wavefront6targetE0EEEvT1_,comdat
.Lfunc_end684:
	.size	_ZN7rocprim17ROCPRIM_400000_NS6detail17trampoline_kernelINS0_14default_configENS1_25partition_config_selectorILNS1_17partition_subalgoE5ElNS0_10empty_typeEbEEZZNS1_14partition_implILS5_5ELb0ES3_mN6hipcub16HIPCUB_304000_NS21CountingInputIteratorIllEEPS6_NSA_22TransformInputIteratorIbN2at6native12_GLOBAL__N_19NonZeroOpIN3c107complexINSJ_4HalfEEEEEPKSM_lEENS0_5tupleIJPlS6_EEENSR_IJSD_SD_EEES6_PiJS6_EEE10hipError_tPvRmT3_T4_T5_T6_T7_T9_mT8_P12ihipStream_tbDpT10_ENKUlT_T0_E_clISt17integral_constantIbLb1EES1E_IbLb0EEEEDaS1A_S1B_EUlS1A_E_NS1_11comp_targetILNS1_3genE9ELNS1_11target_archE1100ELNS1_3gpuE3ELNS1_3repE0EEENS1_30default_config_static_selectorELNS0_4arch9wavefront6targetE0EEEvT1_, .Lfunc_end684-_ZN7rocprim17ROCPRIM_400000_NS6detail17trampoline_kernelINS0_14default_configENS1_25partition_config_selectorILNS1_17partition_subalgoE5ElNS0_10empty_typeEbEEZZNS1_14partition_implILS5_5ELb0ES3_mN6hipcub16HIPCUB_304000_NS21CountingInputIteratorIllEEPS6_NSA_22TransformInputIteratorIbN2at6native12_GLOBAL__N_19NonZeroOpIN3c107complexINSJ_4HalfEEEEEPKSM_lEENS0_5tupleIJPlS6_EEENSR_IJSD_SD_EEES6_PiJS6_EEE10hipError_tPvRmT3_T4_T5_T6_T7_T9_mT8_P12ihipStream_tbDpT10_ENKUlT_T0_E_clISt17integral_constantIbLb1EES1E_IbLb0EEEEDaS1A_S1B_EUlS1A_E_NS1_11comp_targetILNS1_3genE9ELNS1_11target_archE1100ELNS1_3gpuE3ELNS1_3repE0EEENS1_30default_config_static_selectorELNS0_4arch9wavefront6targetE0EEEvT1_
                                        ; -- End function
	.section	.AMDGPU.csdata,"",@progbits
; Kernel info:
; codeLenInByte = 6720
; NumSgprs: 23
; NumVgprs: 57
; ScratchSize: 0
; MemoryBound: 0
; FloatMode: 240
; IeeeMode: 1
; LDSByteSize: 6160 bytes/workgroup (compile time only)
; SGPRBlocks: 2
; VGPRBlocks: 7
; NumSGPRsForWavesPerEU: 23
; NumVGPRsForWavesPerEU: 57
; Occupancy: 16
; WaveLimiterHint : 1
; COMPUTE_PGM_RSRC2:SCRATCH_EN: 0
; COMPUTE_PGM_RSRC2:USER_SGPR: 15
; COMPUTE_PGM_RSRC2:TRAP_HANDLER: 0
; COMPUTE_PGM_RSRC2:TGID_X_EN: 1
; COMPUTE_PGM_RSRC2:TGID_Y_EN: 0
; COMPUTE_PGM_RSRC2:TGID_Z_EN: 0
; COMPUTE_PGM_RSRC2:TIDIG_COMP_CNT: 0
	.section	.text._ZN7rocprim17ROCPRIM_400000_NS6detail17trampoline_kernelINS0_14default_configENS1_25partition_config_selectorILNS1_17partition_subalgoE5ElNS0_10empty_typeEbEEZZNS1_14partition_implILS5_5ELb0ES3_mN6hipcub16HIPCUB_304000_NS21CountingInputIteratorIllEEPS6_NSA_22TransformInputIteratorIbN2at6native12_GLOBAL__N_19NonZeroOpIN3c107complexINSJ_4HalfEEEEEPKSM_lEENS0_5tupleIJPlS6_EEENSR_IJSD_SD_EEES6_PiJS6_EEE10hipError_tPvRmT3_T4_T5_T6_T7_T9_mT8_P12ihipStream_tbDpT10_ENKUlT_T0_E_clISt17integral_constantIbLb1EES1E_IbLb0EEEEDaS1A_S1B_EUlS1A_E_NS1_11comp_targetILNS1_3genE8ELNS1_11target_archE1030ELNS1_3gpuE2ELNS1_3repE0EEENS1_30default_config_static_selectorELNS0_4arch9wavefront6targetE0EEEvT1_,"axG",@progbits,_ZN7rocprim17ROCPRIM_400000_NS6detail17trampoline_kernelINS0_14default_configENS1_25partition_config_selectorILNS1_17partition_subalgoE5ElNS0_10empty_typeEbEEZZNS1_14partition_implILS5_5ELb0ES3_mN6hipcub16HIPCUB_304000_NS21CountingInputIteratorIllEEPS6_NSA_22TransformInputIteratorIbN2at6native12_GLOBAL__N_19NonZeroOpIN3c107complexINSJ_4HalfEEEEEPKSM_lEENS0_5tupleIJPlS6_EEENSR_IJSD_SD_EEES6_PiJS6_EEE10hipError_tPvRmT3_T4_T5_T6_T7_T9_mT8_P12ihipStream_tbDpT10_ENKUlT_T0_E_clISt17integral_constantIbLb1EES1E_IbLb0EEEEDaS1A_S1B_EUlS1A_E_NS1_11comp_targetILNS1_3genE8ELNS1_11target_archE1030ELNS1_3gpuE2ELNS1_3repE0EEENS1_30default_config_static_selectorELNS0_4arch9wavefront6targetE0EEEvT1_,comdat
	.globl	_ZN7rocprim17ROCPRIM_400000_NS6detail17trampoline_kernelINS0_14default_configENS1_25partition_config_selectorILNS1_17partition_subalgoE5ElNS0_10empty_typeEbEEZZNS1_14partition_implILS5_5ELb0ES3_mN6hipcub16HIPCUB_304000_NS21CountingInputIteratorIllEEPS6_NSA_22TransformInputIteratorIbN2at6native12_GLOBAL__N_19NonZeroOpIN3c107complexINSJ_4HalfEEEEEPKSM_lEENS0_5tupleIJPlS6_EEENSR_IJSD_SD_EEES6_PiJS6_EEE10hipError_tPvRmT3_T4_T5_T6_T7_T9_mT8_P12ihipStream_tbDpT10_ENKUlT_T0_E_clISt17integral_constantIbLb1EES1E_IbLb0EEEEDaS1A_S1B_EUlS1A_E_NS1_11comp_targetILNS1_3genE8ELNS1_11target_archE1030ELNS1_3gpuE2ELNS1_3repE0EEENS1_30default_config_static_selectorELNS0_4arch9wavefront6targetE0EEEvT1_ ; -- Begin function _ZN7rocprim17ROCPRIM_400000_NS6detail17trampoline_kernelINS0_14default_configENS1_25partition_config_selectorILNS1_17partition_subalgoE5ElNS0_10empty_typeEbEEZZNS1_14partition_implILS5_5ELb0ES3_mN6hipcub16HIPCUB_304000_NS21CountingInputIteratorIllEEPS6_NSA_22TransformInputIteratorIbN2at6native12_GLOBAL__N_19NonZeroOpIN3c107complexINSJ_4HalfEEEEEPKSM_lEENS0_5tupleIJPlS6_EEENSR_IJSD_SD_EEES6_PiJS6_EEE10hipError_tPvRmT3_T4_T5_T6_T7_T9_mT8_P12ihipStream_tbDpT10_ENKUlT_T0_E_clISt17integral_constantIbLb1EES1E_IbLb0EEEEDaS1A_S1B_EUlS1A_E_NS1_11comp_targetILNS1_3genE8ELNS1_11target_archE1030ELNS1_3gpuE2ELNS1_3repE0EEENS1_30default_config_static_selectorELNS0_4arch9wavefront6targetE0EEEvT1_
	.p2align	8
	.type	_ZN7rocprim17ROCPRIM_400000_NS6detail17trampoline_kernelINS0_14default_configENS1_25partition_config_selectorILNS1_17partition_subalgoE5ElNS0_10empty_typeEbEEZZNS1_14partition_implILS5_5ELb0ES3_mN6hipcub16HIPCUB_304000_NS21CountingInputIteratorIllEEPS6_NSA_22TransformInputIteratorIbN2at6native12_GLOBAL__N_19NonZeroOpIN3c107complexINSJ_4HalfEEEEEPKSM_lEENS0_5tupleIJPlS6_EEENSR_IJSD_SD_EEES6_PiJS6_EEE10hipError_tPvRmT3_T4_T5_T6_T7_T9_mT8_P12ihipStream_tbDpT10_ENKUlT_T0_E_clISt17integral_constantIbLb1EES1E_IbLb0EEEEDaS1A_S1B_EUlS1A_E_NS1_11comp_targetILNS1_3genE8ELNS1_11target_archE1030ELNS1_3gpuE2ELNS1_3repE0EEENS1_30default_config_static_selectorELNS0_4arch9wavefront6targetE0EEEvT1_,@function
_ZN7rocprim17ROCPRIM_400000_NS6detail17trampoline_kernelINS0_14default_configENS1_25partition_config_selectorILNS1_17partition_subalgoE5ElNS0_10empty_typeEbEEZZNS1_14partition_implILS5_5ELb0ES3_mN6hipcub16HIPCUB_304000_NS21CountingInputIteratorIllEEPS6_NSA_22TransformInputIteratorIbN2at6native12_GLOBAL__N_19NonZeroOpIN3c107complexINSJ_4HalfEEEEEPKSM_lEENS0_5tupleIJPlS6_EEENSR_IJSD_SD_EEES6_PiJS6_EEE10hipError_tPvRmT3_T4_T5_T6_T7_T9_mT8_P12ihipStream_tbDpT10_ENKUlT_T0_E_clISt17integral_constantIbLb1EES1E_IbLb0EEEEDaS1A_S1B_EUlS1A_E_NS1_11comp_targetILNS1_3genE8ELNS1_11target_archE1030ELNS1_3gpuE2ELNS1_3repE0EEENS1_30default_config_static_selectorELNS0_4arch9wavefront6targetE0EEEvT1_: ; @_ZN7rocprim17ROCPRIM_400000_NS6detail17trampoline_kernelINS0_14default_configENS1_25partition_config_selectorILNS1_17partition_subalgoE5ElNS0_10empty_typeEbEEZZNS1_14partition_implILS5_5ELb0ES3_mN6hipcub16HIPCUB_304000_NS21CountingInputIteratorIllEEPS6_NSA_22TransformInputIteratorIbN2at6native12_GLOBAL__N_19NonZeroOpIN3c107complexINSJ_4HalfEEEEEPKSM_lEENS0_5tupleIJPlS6_EEENSR_IJSD_SD_EEES6_PiJS6_EEE10hipError_tPvRmT3_T4_T5_T6_T7_T9_mT8_P12ihipStream_tbDpT10_ENKUlT_T0_E_clISt17integral_constantIbLb1EES1E_IbLb0EEEEDaS1A_S1B_EUlS1A_E_NS1_11comp_targetILNS1_3genE8ELNS1_11target_archE1030ELNS1_3gpuE2ELNS1_3repE0EEENS1_30default_config_static_selectorELNS0_4arch9wavefront6targetE0EEEvT1_
; %bb.0:
	.section	.rodata,"a",@progbits
	.p2align	6, 0x0
	.amdhsa_kernel _ZN7rocprim17ROCPRIM_400000_NS6detail17trampoline_kernelINS0_14default_configENS1_25partition_config_selectorILNS1_17partition_subalgoE5ElNS0_10empty_typeEbEEZZNS1_14partition_implILS5_5ELb0ES3_mN6hipcub16HIPCUB_304000_NS21CountingInputIteratorIllEEPS6_NSA_22TransformInputIteratorIbN2at6native12_GLOBAL__N_19NonZeroOpIN3c107complexINSJ_4HalfEEEEEPKSM_lEENS0_5tupleIJPlS6_EEENSR_IJSD_SD_EEES6_PiJS6_EEE10hipError_tPvRmT3_T4_T5_T6_T7_T9_mT8_P12ihipStream_tbDpT10_ENKUlT_T0_E_clISt17integral_constantIbLb1EES1E_IbLb0EEEEDaS1A_S1B_EUlS1A_E_NS1_11comp_targetILNS1_3genE8ELNS1_11target_archE1030ELNS1_3gpuE2ELNS1_3repE0EEENS1_30default_config_static_selectorELNS0_4arch9wavefront6targetE0EEEvT1_
		.amdhsa_group_segment_fixed_size 0
		.amdhsa_private_segment_fixed_size 0
		.amdhsa_kernarg_size 120
		.amdhsa_user_sgpr_count 15
		.amdhsa_user_sgpr_dispatch_ptr 0
		.amdhsa_user_sgpr_queue_ptr 0
		.amdhsa_user_sgpr_kernarg_segment_ptr 1
		.amdhsa_user_sgpr_dispatch_id 0
		.amdhsa_user_sgpr_private_segment_size 0
		.amdhsa_wavefront_size32 1
		.amdhsa_uses_dynamic_stack 0
		.amdhsa_enable_private_segment 0
		.amdhsa_system_sgpr_workgroup_id_x 1
		.amdhsa_system_sgpr_workgroup_id_y 0
		.amdhsa_system_sgpr_workgroup_id_z 0
		.amdhsa_system_sgpr_workgroup_info 0
		.amdhsa_system_vgpr_workitem_id 0
		.amdhsa_next_free_vgpr 1
		.amdhsa_next_free_sgpr 1
		.amdhsa_reserve_vcc 0
		.amdhsa_float_round_mode_32 0
		.amdhsa_float_round_mode_16_64 0
		.amdhsa_float_denorm_mode_32 3
		.amdhsa_float_denorm_mode_16_64 3
		.amdhsa_dx10_clamp 1
		.amdhsa_ieee_mode 1
		.amdhsa_fp16_overflow 0
		.amdhsa_workgroup_processor_mode 1
		.amdhsa_memory_ordered 1
		.amdhsa_forward_progress 0
		.amdhsa_shared_vgpr_count 0
		.amdhsa_exception_fp_ieee_invalid_op 0
		.amdhsa_exception_fp_denorm_src 0
		.amdhsa_exception_fp_ieee_div_zero 0
		.amdhsa_exception_fp_ieee_overflow 0
		.amdhsa_exception_fp_ieee_underflow 0
		.amdhsa_exception_fp_ieee_inexact 0
		.amdhsa_exception_int_div_zero 0
	.end_amdhsa_kernel
	.section	.text._ZN7rocprim17ROCPRIM_400000_NS6detail17trampoline_kernelINS0_14default_configENS1_25partition_config_selectorILNS1_17partition_subalgoE5ElNS0_10empty_typeEbEEZZNS1_14partition_implILS5_5ELb0ES3_mN6hipcub16HIPCUB_304000_NS21CountingInputIteratorIllEEPS6_NSA_22TransformInputIteratorIbN2at6native12_GLOBAL__N_19NonZeroOpIN3c107complexINSJ_4HalfEEEEEPKSM_lEENS0_5tupleIJPlS6_EEENSR_IJSD_SD_EEES6_PiJS6_EEE10hipError_tPvRmT3_T4_T5_T6_T7_T9_mT8_P12ihipStream_tbDpT10_ENKUlT_T0_E_clISt17integral_constantIbLb1EES1E_IbLb0EEEEDaS1A_S1B_EUlS1A_E_NS1_11comp_targetILNS1_3genE8ELNS1_11target_archE1030ELNS1_3gpuE2ELNS1_3repE0EEENS1_30default_config_static_selectorELNS0_4arch9wavefront6targetE0EEEvT1_,"axG",@progbits,_ZN7rocprim17ROCPRIM_400000_NS6detail17trampoline_kernelINS0_14default_configENS1_25partition_config_selectorILNS1_17partition_subalgoE5ElNS0_10empty_typeEbEEZZNS1_14partition_implILS5_5ELb0ES3_mN6hipcub16HIPCUB_304000_NS21CountingInputIteratorIllEEPS6_NSA_22TransformInputIteratorIbN2at6native12_GLOBAL__N_19NonZeroOpIN3c107complexINSJ_4HalfEEEEEPKSM_lEENS0_5tupleIJPlS6_EEENSR_IJSD_SD_EEES6_PiJS6_EEE10hipError_tPvRmT3_T4_T5_T6_T7_T9_mT8_P12ihipStream_tbDpT10_ENKUlT_T0_E_clISt17integral_constantIbLb1EES1E_IbLb0EEEEDaS1A_S1B_EUlS1A_E_NS1_11comp_targetILNS1_3genE8ELNS1_11target_archE1030ELNS1_3gpuE2ELNS1_3repE0EEENS1_30default_config_static_selectorELNS0_4arch9wavefront6targetE0EEEvT1_,comdat
.Lfunc_end685:
	.size	_ZN7rocprim17ROCPRIM_400000_NS6detail17trampoline_kernelINS0_14default_configENS1_25partition_config_selectorILNS1_17partition_subalgoE5ElNS0_10empty_typeEbEEZZNS1_14partition_implILS5_5ELb0ES3_mN6hipcub16HIPCUB_304000_NS21CountingInputIteratorIllEEPS6_NSA_22TransformInputIteratorIbN2at6native12_GLOBAL__N_19NonZeroOpIN3c107complexINSJ_4HalfEEEEEPKSM_lEENS0_5tupleIJPlS6_EEENSR_IJSD_SD_EEES6_PiJS6_EEE10hipError_tPvRmT3_T4_T5_T6_T7_T9_mT8_P12ihipStream_tbDpT10_ENKUlT_T0_E_clISt17integral_constantIbLb1EES1E_IbLb0EEEEDaS1A_S1B_EUlS1A_E_NS1_11comp_targetILNS1_3genE8ELNS1_11target_archE1030ELNS1_3gpuE2ELNS1_3repE0EEENS1_30default_config_static_selectorELNS0_4arch9wavefront6targetE0EEEvT1_, .Lfunc_end685-_ZN7rocprim17ROCPRIM_400000_NS6detail17trampoline_kernelINS0_14default_configENS1_25partition_config_selectorILNS1_17partition_subalgoE5ElNS0_10empty_typeEbEEZZNS1_14partition_implILS5_5ELb0ES3_mN6hipcub16HIPCUB_304000_NS21CountingInputIteratorIllEEPS6_NSA_22TransformInputIteratorIbN2at6native12_GLOBAL__N_19NonZeroOpIN3c107complexINSJ_4HalfEEEEEPKSM_lEENS0_5tupleIJPlS6_EEENSR_IJSD_SD_EEES6_PiJS6_EEE10hipError_tPvRmT3_T4_T5_T6_T7_T9_mT8_P12ihipStream_tbDpT10_ENKUlT_T0_E_clISt17integral_constantIbLb1EES1E_IbLb0EEEEDaS1A_S1B_EUlS1A_E_NS1_11comp_targetILNS1_3genE8ELNS1_11target_archE1030ELNS1_3gpuE2ELNS1_3repE0EEENS1_30default_config_static_selectorELNS0_4arch9wavefront6targetE0EEEvT1_
                                        ; -- End function
	.section	.AMDGPU.csdata,"",@progbits
; Kernel info:
; codeLenInByte = 0
; NumSgprs: 0
; NumVgprs: 0
; ScratchSize: 0
; MemoryBound: 0
; FloatMode: 240
; IeeeMode: 1
; LDSByteSize: 0 bytes/workgroup (compile time only)
; SGPRBlocks: 0
; VGPRBlocks: 0
; NumSGPRsForWavesPerEU: 1
; NumVGPRsForWavesPerEU: 1
; Occupancy: 16
; WaveLimiterHint : 0
; COMPUTE_PGM_RSRC2:SCRATCH_EN: 0
; COMPUTE_PGM_RSRC2:USER_SGPR: 15
; COMPUTE_PGM_RSRC2:TRAP_HANDLER: 0
; COMPUTE_PGM_RSRC2:TGID_X_EN: 1
; COMPUTE_PGM_RSRC2:TGID_Y_EN: 0
; COMPUTE_PGM_RSRC2:TGID_Z_EN: 0
; COMPUTE_PGM_RSRC2:TIDIG_COMP_CNT: 0
	.section	.text._ZN7rocprim17ROCPRIM_400000_NS6detail17trampoline_kernelINS0_14default_configENS1_25partition_config_selectorILNS1_17partition_subalgoE5ElNS0_10empty_typeEbEEZZNS1_14partition_implILS5_5ELb0ES3_mN6hipcub16HIPCUB_304000_NS21CountingInputIteratorIllEEPS6_NSA_22TransformInputIteratorIbN2at6native12_GLOBAL__N_19NonZeroOpIN3c107complexINSJ_4HalfEEEEEPKSM_lEENS0_5tupleIJPlS6_EEENSR_IJSD_SD_EEES6_PiJS6_EEE10hipError_tPvRmT3_T4_T5_T6_T7_T9_mT8_P12ihipStream_tbDpT10_ENKUlT_T0_E_clISt17integral_constantIbLb0EES1E_IbLb1EEEEDaS1A_S1B_EUlS1A_E_NS1_11comp_targetILNS1_3genE0ELNS1_11target_archE4294967295ELNS1_3gpuE0ELNS1_3repE0EEENS1_30default_config_static_selectorELNS0_4arch9wavefront6targetE0EEEvT1_,"axG",@progbits,_ZN7rocprim17ROCPRIM_400000_NS6detail17trampoline_kernelINS0_14default_configENS1_25partition_config_selectorILNS1_17partition_subalgoE5ElNS0_10empty_typeEbEEZZNS1_14partition_implILS5_5ELb0ES3_mN6hipcub16HIPCUB_304000_NS21CountingInputIteratorIllEEPS6_NSA_22TransformInputIteratorIbN2at6native12_GLOBAL__N_19NonZeroOpIN3c107complexINSJ_4HalfEEEEEPKSM_lEENS0_5tupleIJPlS6_EEENSR_IJSD_SD_EEES6_PiJS6_EEE10hipError_tPvRmT3_T4_T5_T6_T7_T9_mT8_P12ihipStream_tbDpT10_ENKUlT_T0_E_clISt17integral_constantIbLb0EES1E_IbLb1EEEEDaS1A_S1B_EUlS1A_E_NS1_11comp_targetILNS1_3genE0ELNS1_11target_archE4294967295ELNS1_3gpuE0ELNS1_3repE0EEENS1_30default_config_static_selectorELNS0_4arch9wavefront6targetE0EEEvT1_,comdat
	.globl	_ZN7rocprim17ROCPRIM_400000_NS6detail17trampoline_kernelINS0_14default_configENS1_25partition_config_selectorILNS1_17partition_subalgoE5ElNS0_10empty_typeEbEEZZNS1_14partition_implILS5_5ELb0ES3_mN6hipcub16HIPCUB_304000_NS21CountingInputIteratorIllEEPS6_NSA_22TransformInputIteratorIbN2at6native12_GLOBAL__N_19NonZeroOpIN3c107complexINSJ_4HalfEEEEEPKSM_lEENS0_5tupleIJPlS6_EEENSR_IJSD_SD_EEES6_PiJS6_EEE10hipError_tPvRmT3_T4_T5_T6_T7_T9_mT8_P12ihipStream_tbDpT10_ENKUlT_T0_E_clISt17integral_constantIbLb0EES1E_IbLb1EEEEDaS1A_S1B_EUlS1A_E_NS1_11comp_targetILNS1_3genE0ELNS1_11target_archE4294967295ELNS1_3gpuE0ELNS1_3repE0EEENS1_30default_config_static_selectorELNS0_4arch9wavefront6targetE0EEEvT1_ ; -- Begin function _ZN7rocprim17ROCPRIM_400000_NS6detail17trampoline_kernelINS0_14default_configENS1_25partition_config_selectorILNS1_17partition_subalgoE5ElNS0_10empty_typeEbEEZZNS1_14partition_implILS5_5ELb0ES3_mN6hipcub16HIPCUB_304000_NS21CountingInputIteratorIllEEPS6_NSA_22TransformInputIteratorIbN2at6native12_GLOBAL__N_19NonZeroOpIN3c107complexINSJ_4HalfEEEEEPKSM_lEENS0_5tupleIJPlS6_EEENSR_IJSD_SD_EEES6_PiJS6_EEE10hipError_tPvRmT3_T4_T5_T6_T7_T9_mT8_P12ihipStream_tbDpT10_ENKUlT_T0_E_clISt17integral_constantIbLb0EES1E_IbLb1EEEEDaS1A_S1B_EUlS1A_E_NS1_11comp_targetILNS1_3genE0ELNS1_11target_archE4294967295ELNS1_3gpuE0ELNS1_3repE0EEENS1_30default_config_static_selectorELNS0_4arch9wavefront6targetE0EEEvT1_
	.p2align	8
	.type	_ZN7rocprim17ROCPRIM_400000_NS6detail17trampoline_kernelINS0_14default_configENS1_25partition_config_selectorILNS1_17partition_subalgoE5ElNS0_10empty_typeEbEEZZNS1_14partition_implILS5_5ELb0ES3_mN6hipcub16HIPCUB_304000_NS21CountingInputIteratorIllEEPS6_NSA_22TransformInputIteratorIbN2at6native12_GLOBAL__N_19NonZeroOpIN3c107complexINSJ_4HalfEEEEEPKSM_lEENS0_5tupleIJPlS6_EEENSR_IJSD_SD_EEES6_PiJS6_EEE10hipError_tPvRmT3_T4_T5_T6_T7_T9_mT8_P12ihipStream_tbDpT10_ENKUlT_T0_E_clISt17integral_constantIbLb0EES1E_IbLb1EEEEDaS1A_S1B_EUlS1A_E_NS1_11comp_targetILNS1_3genE0ELNS1_11target_archE4294967295ELNS1_3gpuE0ELNS1_3repE0EEENS1_30default_config_static_selectorELNS0_4arch9wavefront6targetE0EEEvT1_,@function
_ZN7rocprim17ROCPRIM_400000_NS6detail17trampoline_kernelINS0_14default_configENS1_25partition_config_selectorILNS1_17partition_subalgoE5ElNS0_10empty_typeEbEEZZNS1_14partition_implILS5_5ELb0ES3_mN6hipcub16HIPCUB_304000_NS21CountingInputIteratorIllEEPS6_NSA_22TransformInputIteratorIbN2at6native12_GLOBAL__N_19NonZeroOpIN3c107complexINSJ_4HalfEEEEEPKSM_lEENS0_5tupleIJPlS6_EEENSR_IJSD_SD_EEES6_PiJS6_EEE10hipError_tPvRmT3_T4_T5_T6_T7_T9_mT8_P12ihipStream_tbDpT10_ENKUlT_T0_E_clISt17integral_constantIbLb0EES1E_IbLb1EEEEDaS1A_S1B_EUlS1A_E_NS1_11comp_targetILNS1_3genE0ELNS1_11target_archE4294967295ELNS1_3gpuE0ELNS1_3repE0EEENS1_30default_config_static_selectorELNS0_4arch9wavefront6targetE0EEEvT1_: ; @_ZN7rocprim17ROCPRIM_400000_NS6detail17trampoline_kernelINS0_14default_configENS1_25partition_config_selectorILNS1_17partition_subalgoE5ElNS0_10empty_typeEbEEZZNS1_14partition_implILS5_5ELb0ES3_mN6hipcub16HIPCUB_304000_NS21CountingInputIteratorIllEEPS6_NSA_22TransformInputIteratorIbN2at6native12_GLOBAL__N_19NonZeroOpIN3c107complexINSJ_4HalfEEEEEPKSM_lEENS0_5tupleIJPlS6_EEENSR_IJSD_SD_EEES6_PiJS6_EEE10hipError_tPvRmT3_T4_T5_T6_T7_T9_mT8_P12ihipStream_tbDpT10_ENKUlT_T0_E_clISt17integral_constantIbLb0EES1E_IbLb1EEEEDaS1A_S1B_EUlS1A_E_NS1_11comp_targetILNS1_3genE0ELNS1_11target_archE4294967295ELNS1_3gpuE0ELNS1_3repE0EEENS1_30default_config_static_selectorELNS0_4arch9wavefront6targetE0EEEvT1_
; %bb.0:
	.section	.rodata,"a",@progbits
	.p2align	6, 0x0
	.amdhsa_kernel _ZN7rocprim17ROCPRIM_400000_NS6detail17trampoline_kernelINS0_14default_configENS1_25partition_config_selectorILNS1_17partition_subalgoE5ElNS0_10empty_typeEbEEZZNS1_14partition_implILS5_5ELb0ES3_mN6hipcub16HIPCUB_304000_NS21CountingInputIteratorIllEEPS6_NSA_22TransformInputIteratorIbN2at6native12_GLOBAL__N_19NonZeroOpIN3c107complexINSJ_4HalfEEEEEPKSM_lEENS0_5tupleIJPlS6_EEENSR_IJSD_SD_EEES6_PiJS6_EEE10hipError_tPvRmT3_T4_T5_T6_T7_T9_mT8_P12ihipStream_tbDpT10_ENKUlT_T0_E_clISt17integral_constantIbLb0EES1E_IbLb1EEEEDaS1A_S1B_EUlS1A_E_NS1_11comp_targetILNS1_3genE0ELNS1_11target_archE4294967295ELNS1_3gpuE0ELNS1_3repE0EEENS1_30default_config_static_selectorELNS0_4arch9wavefront6targetE0EEEvT1_
		.amdhsa_group_segment_fixed_size 0
		.amdhsa_private_segment_fixed_size 0
		.amdhsa_kernarg_size 136
		.amdhsa_user_sgpr_count 15
		.amdhsa_user_sgpr_dispatch_ptr 0
		.amdhsa_user_sgpr_queue_ptr 0
		.amdhsa_user_sgpr_kernarg_segment_ptr 1
		.amdhsa_user_sgpr_dispatch_id 0
		.amdhsa_user_sgpr_private_segment_size 0
		.amdhsa_wavefront_size32 1
		.amdhsa_uses_dynamic_stack 0
		.amdhsa_enable_private_segment 0
		.amdhsa_system_sgpr_workgroup_id_x 1
		.amdhsa_system_sgpr_workgroup_id_y 0
		.amdhsa_system_sgpr_workgroup_id_z 0
		.amdhsa_system_sgpr_workgroup_info 0
		.amdhsa_system_vgpr_workitem_id 0
		.amdhsa_next_free_vgpr 1
		.amdhsa_next_free_sgpr 1
		.amdhsa_reserve_vcc 0
		.amdhsa_float_round_mode_32 0
		.amdhsa_float_round_mode_16_64 0
		.amdhsa_float_denorm_mode_32 3
		.amdhsa_float_denorm_mode_16_64 3
		.amdhsa_dx10_clamp 1
		.amdhsa_ieee_mode 1
		.amdhsa_fp16_overflow 0
		.amdhsa_workgroup_processor_mode 1
		.amdhsa_memory_ordered 1
		.amdhsa_forward_progress 0
		.amdhsa_shared_vgpr_count 0
		.amdhsa_exception_fp_ieee_invalid_op 0
		.amdhsa_exception_fp_denorm_src 0
		.amdhsa_exception_fp_ieee_div_zero 0
		.amdhsa_exception_fp_ieee_overflow 0
		.amdhsa_exception_fp_ieee_underflow 0
		.amdhsa_exception_fp_ieee_inexact 0
		.amdhsa_exception_int_div_zero 0
	.end_amdhsa_kernel
	.section	.text._ZN7rocprim17ROCPRIM_400000_NS6detail17trampoline_kernelINS0_14default_configENS1_25partition_config_selectorILNS1_17partition_subalgoE5ElNS0_10empty_typeEbEEZZNS1_14partition_implILS5_5ELb0ES3_mN6hipcub16HIPCUB_304000_NS21CountingInputIteratorIllEEPS6_NSA_22TransformInputIteratorIbN2at6native12_GLOBAL__N_19NonZeroOpIN3c107complexINSJ_4HalfEEEEEPKSM_lEENS0_5tupleIJPlS6_EEENSR_IJSD_SD_EEES6_PiJS6_EEE10hipError_tPvRmT3_T4_T5_T6_T7_T9_mT8_P12ihipStream_tbDpT10_ENKUlT_T0_E_clISt17integral_constantIbLb0EES1E_IbLb1EEEEDaS1A_S1B_EUlS1A_E_NS1_11comp_targetILNS1_3genE0ELNS1_11target_archE4294967295ELNS1_3gpuE0ELNS1_3repE0EEENS1_30default_config_static_selectorELNS0_4arch9wavefront6targetE0EEEvT1_,"axG",@progbits,_ZN7rocprim17ROCPRIM_400000_NS6detail17trampoline_kernelINS0_14default_configENS1_25partition_config_selectorILNS1_17partition_subalgoE5ElNS0_10empty_typeEbEEZZNS1_14partition_implILS5_5ELb0ES3_mN6hipcub16HIPCUB_304000_NS21CountingInputIteratorIllEEPS6_NSA_22TransformInputIteratorIbN2at6native12_GLOBAL__N_19NonZeroOpIN3c107complexINSJ_4HalfEEEEEPKSM_lEENS0_5tupleIJPlS6_EEENSR_IJSD_SD_EEES6_PiJS6_EEE10hipError_tPvRmT3_T4_T5_T6_T7_T9_mT8_P12ihipStream_tbDpT10_ENKUlT_T0_E_clISt17integral_constantIbLb0EES1E_IbLb1EEEEDaS1A_S1B_EUlS1A_E_NS1_11comp_targetILNS1_3genE0ELNS1_11target_archE4294967295ELNS1_3gpuE0ELNS1_3repE0EEENS1_30default_config_static_selectorELNS0_4arch9wavefront6targetE0EEEvT1_,comdat
.Lfunc_end686:
	.size	_ZN7rocprim17ROCPRIM_400000_NS6detail17trampoline_kernelINS0_14default_configENS1_25partition_config_selectorILNS1_17partition_subalgoE5ElNS0_10empty_typeEbEEZZNS1_14partition_implILS5_5ELb0ES3_mN6hipcub16HIPCUB_304000_NS21CountingInputIteratorIllEEPS6_NSA_22TransformInputIteratorIbN2at6native12_GLOBAL__N_19NonZeroOpIN3c107complexINSJ_4HalfEEEEEPKSM_lEENS0_5tupleIJPlS6_EEENSR_IJSD_SD_EEES6_PiJS6_EEE10hipError_tPvRmT3_T4_T5_T6_T7_T9_mT8_P12ihipStream_tbDpT10_ENKUlT_T0_E_clISt17integral_constantIbLb0EES1E_IbLb1EEEEDaS1A_S1B_EUlS1A_E_NS1_11comp_targetILNS1_3genE0ELNS1_11target_archE4294967295ELNS1_3gpuE0ELNS1_3repE0EEENS1_30default_config_static_selectorELNS0_4arch9wavefront6targetE0EEEvT1_, .Lfunc_end686-_ZN7rocprim17ROCPRIM_400000_NS6detail17trampoline_kernelINS0_14default_configENS1_25partition_config_selectorILNS1_17partition_subalgoE5ElNS0_10empty_typeEbEEZZNS1_14partition_implILS5_5ELb0ES3_mN6hipcub16HIPCUB_304000_NS21CountingInputIteratorIllEEPS6_NSA_22TransformInputIteratorIbN2at6native12_GLOBAL__N_19NonZeroOpIN3c107complexINSJ_4HalfEEEEEPKSM_lEENS0_5tupleIJPlS6_EEENSR_IJSD_SD_EEES6_PiJS6_EEE10hipError_tPvRmT3_T4_T5_T6_T7_T9_mT8_P12ihipStream_tbDpT10_ENKUlT_T0_E_clISt17integral_constantIbLb0EES1E_IbLb1EEEEDaS1A_S1B_EUlS1A_E_NS1_11comp_targetILNS1_3genE0ELNS1_11target_archE4294967295ELNS1_3gpuE0ELNS1_3repE0EEENS1_30default_config_static_selectorELNS0_4arch9wavefront6targetE0EEEvT1_
                                        ; -- End function
	.section	.AMDGPU.csdata,"",@progbits
; Kernel info:
; codeLenInByte = 0
; NumSgprs: 0
; NumVgprs: 0
; ScratchSize: 0
; MemoryBound: 0
; FloatMode: 240
; IeeeMode: 1
; LDSByteSize: 0 bytes/workgroup (compile time only)
; SGPRBlocks: 0
; VGPRBlocks: 0
; NumSGPRsForWavesPerEU: 1
; NumVGPRsForWavesPerEU: 1
; Occupancy: 16
; WaveLimiterHint : 0
; COMPUTE_PGM_RSRC2:SCRATCH_EN: 0
; COMPUTE_PGM_RSRC2:USER_SGPR: 15
; COMPUTE_PGM_RSRC2:TRAP_HANDLER: 0
; COMPUTE_PGM_RSRC2:TGID_X_EN: 1
; COMPUTE_PGM_RSRC2:TGID_Y_EN: 0
; COMPUTE_PGM_RSRC2:TGID_Z_EN: 0
; COMPUTE_PGM_RSRC2:TIDIG_COMP_CNT: 0
	.section	.text._ZN7rocprim17ROCPRIM_400000_NS6detail17trampoline_kernelINS0_14default_configENS1_25partition_config_selectorILNS1_17partition_subalgoE5ElNS0_10empty_typeEbEEZZNS1_14partition_implILS5_5ELb0ES3_mN6hipcub16HIPCUB_304000_NS21CountingInputIteratorIllEEPS6_NSA_22TransformInputIteratorIbN2at6native12_GLOBAL__N_19NonZeroOpIN3c107complexINSJ_4HalfEEEEEPKSM_lEENS0_5tupleIJPlS6_EEENSR_IJSD_SD_EEES6_PiJS6_EEE10hipError_tPvRmT3_T4_T5_T6_T7_T9_mT8_P12ihipStream_tbDpT10_ENKUlT_T0_E_clISt17integral_constantIbLb0EES1E_IbLb1EEEEDaS1A_S1B_EUlS1A_E_NS1_11comp_targetILNS1_3genE5ELNS1_11target_archE942ELNS1_3gpuE9ELNS1_3repE0EEENS1_30default_config_static_selectorELNS0_4arch9wavefront6targetE0EEEvT1_,"axG",@progbits,_ZN7rocprim17ROCPRIM_400000_NS6detail17trampoline_kernelINS0_14default_configENS1_25partition_config_selectorILNS1_17partition_subalgoE5ElNS0_10empty_typeEbEEZZNS1_14partition_implILS5_5ELb0ES3_mN6hipcub16HIPCUB_304000_NS21CountingInputIteratorIllEEPS6_NSA_22TransformInputIteratorIbN2at6native12_GLOBAL__N_19NonZeroOpIN3c107complexINSJ_4HalfEEEEEPKSM_lEENS0_5tupleIJPlS6_EEENSR_IJSD_SD_EEES6_PiJS6_EEE10hipError_tPvRmT3_T4_T5_T6_T7_T9_mT8_P12ihipStream_tbDpT10_ENKUlT_T0_E_clISt17integral_constantIbLb0EES1E_IbLb1EEEEDaS1A_S1B_EUlS1A_E_NS1_11comp_targetILNS1_3genE5ELNS1_11target_archE942ELNS1_3gpuE9ELNS1_3repE0EEENS1_30default_config_static_selectorELNS0_4arch9wavefront6targetE0EEEvT1_,comdat
	.globl	_ZN7rocprim17ROCPRIM_400000_NS6detail17trampoline_kernelINS0_14default_configENS1_25partition_config_selectorILNS1_17partition_subalgoE5ElNS0_10empty_typeEbEEZZNS1_14partition_implILS5_5ELb0ES3_mN6hipcub16HIPCUB_304000_NS21CountingInputIteratorIllEEPS6_NSA_22TransformInputIteratorIbN2at6native12_GLOBAL__N_19NonZeroOpIN3c107complexINSJ_4HalfEEEEEPKSM_lEENS0_5tupleIJPlS6_EEENSR_IJSD_SD_EEES6_PiJS6_EEE10hipError_tPvRmT3_T4_T5_T6_T7_T9_mT8_P12ihipStream_tbDpT10_ENKUlT_T0_E_clISt17integral_constantIbLb0EES1E_IbLb1EEEEDaS1A_S1B_EUlS1A_E_NS1_11comp_targetILNS1_3genE5ELNS1_11target_archE942ELNS1_3gpuE9ELNS1_3repE0EEENS1_30default_config_static_selectorELNS0_4arch9wavefront6targetE0EEEvT1_ ; -- Begin function _ZN7rocprim17ROCPRIM_400000_NS6detail17trampoline_kernelINS0_14default_configENS1_25partition_config_selectorILNS1_17partition_subalgoE5ElNS0_10empty_typeEbEEZZNS1_14partition_implILS5_5ELb0ES3_mN6hipcub16HIPCUB_304000_NS21CountingInputIteratorIllEEPS6_NSA_22TransformInputIteratorIbN2at6native12_GLOBAL__N_19NonZeroOpIN3c107complexINSJ_4HalfEEEEEPKSM_lEENS0_5tupleIJPlS6_EEENSR_IJSD_SD_EEES6_PiJS6_EEE10hipError_tPvRmT3_T4_T5_T6_T7_T9_mT8_P12ihipStream_tbDpT10_ENKUlT_T0_E_clISt17integral_constantIbLb0EES1E_IbLb1EEEEDaS1A_S1B_EUlS1A_E_NS1_11comp_targetILNS1_3genE5ELNS1_11target_archE942ELNS1_3gpuE9ELNS1_3repE0EEENS1_30default_config_static_selectorELNS0_4arch9wavefront6targetE0EEEvT1_
	.p2align	8
	.type	_ZN7rocprim17ROCPRIM_400000_NS6detail17trampoline_kernelINS0_14default_configENS1_25partition_config_selectorILNS1_17partition_subalgoE5ElNS0_10empty_typeEbEEZZNS1_14partition_implILS5_5ELb0ES3_mN6hipcub16HIPCUB_304000_NS21CountingInputIteratorIllEEPS6_NSA_22TransformInputIteratorIbN2at6native12_GLOBAL__N_19NonZeroOpIN3c107complexINSJ_4HalfEEEEEPKSM_lEENS0_5tupleIJPlS6_EEENSR_IJSD_SD_EEES6_PiJS6_EEE10hipError_tPvRmT3_T4_T5_T6_T7_T9_mT8_P12ihipStream_tbDpT10_ENKUlT_T0_E_clISt17integral_constantIbLb0EES1E_IbLb1EEEEDaS1A_S1B_EUlS1A_E_NS1_11comp_targetILNS1_3genE5ELNS1_11target_archE942ELNS1_3gpuE9ELNS1_3repE0EEENS1_30default_config_static_selectorELNS0_4arch9wavefront6targetE0EEEvT1_,@function
_ZN7rocprim17ROCPRIM_400000_NS6detail17trampoline_kernelINS0_14default_configENS1_25partition_config_selectorILNS1_17partition_subalgoE5ElNS0_10empty_typeEbEEZZNS1_14partition_implILS5_5ELb0ES3_mN6hipcub16HIPCUB_304000_NS21CountingInputIteratorIllEEPS6_NSA_22TransformInputIteratorIbN2at6native12_GLOBAL__N_19NonZeroOpIN3c107complexINSJ_4HalfEEEEEPKSM_lEENS0_5tupleIJPlS6_EEENSR_IJSD_SD_EEES6_PiJS6_EEE10hipError_tPvRmT3_T4_T5_T6_T7_T9_mT8_P12ihipStream_tbDpT10_ENKUlT_T0_E_clISt17integral_constantIbLb0EES1E_IbLb1EEEEDaS1A_S1B_EUlS1A_E_NS1_11comp_targetILNS1_3genE5ELNS1_11target_archE942ELNS1_3gpuE9ELNS1_3repE0EEENS1_30default_config_static_selectorELNS0_4arch9wavefront6targetE0EEEvT1_: ; @_ZN7rocprim17ROCPRIM_400000_NS6detail17trampoline_kernelINS0_14default_configENS1_25partition_config_selectorILNS1_17partition_subalgoE5ElNS0_10empty_typeEbEEZZNS1_14partition_implILS5_5ELb0ES3_mN6hipcub16HIPCUB_304000_NS21CountingInputIteratorIllEEPS6_NSA_22TransformInputIteratorIbN2at6native12_GLOBAL__N_19NonZeroOpIN3c107complexINSJ_4HalfEEEEEPKSM_lEENS0_5tupleIJPlS6_EEENSR_IJSD_SD_EEES6_PiJS6_EEE10hipError_tPvRmT3_T4_T5_T6_T7_T9_mT8_P12ihipStream_tbDpT10_ENKUlT_T0_E_clISt17integral_constantIbLb0EES1E_IbLb1EEEEDaS1A_S1B_EUlS1A_E_NS1_11comp_targetILNS1_3genE5ELNS1_11target_archE942ELNS1_3gpuE9ELNS1_3repE0EEENS1_30default_config_static_selectorELNS0_4arch9wavefront6targetE0EEEvT1_
; %bb.0:
	.section	.rodata,"a",@progbits
	.p2align	6, 0x0
	.amdhsa_kernel _ZN7rocprim17ROCPRIM_400000_NS6detail17trampoline_kernelINS0_14default_configENS1_25partition_config_selectorILNS1_17partition_subalgoE5ElNS0_10empty_typeEbEEZZNS1_14partition_implILS5_5ELb0ES3_mN6hipcub16HIPCUB_304000_NS21CountingInputIteratorIllEEPS6_NSA_22TransformInputIteratorIbN2at6native12_GLOBAL__N_19NonZeroOpIN3c107complexINSJ_4HalfEEEEEPKSM_lEENS0_5tupleIJPlS6_EEENSR_IJSD_SD_EEES6_PiJS6_EEE10hipError_tPvRmT3_T4_T5_T6_T7_T9_mT8_P12ihipStream_tbDpT10_ENKUlT_T0_E_clISt17integral_constantIbLb0EES1E_IbLb1EEEEDaS1A_S1B_EUlS1A_E_NS1_11comp_targetILNS1_3genE5ELNS1_11target_archE942ELNS1_3gpuE9ELNS1_3repE0EEENS1_30default_config_static_selectorELNS0_4arch9wavefront6targetE0EEEvT1_
		.amdhsa_group_segment_fixed_size 0
		.amdhsa_private_segment_fixed_size 0
		.amdhsa_kernarg_size 136
		.amdhsa_user_sgpr_count 15
		.amdhsa_user_sgpr_dispatch_ptr 0
		.amdhsa_user_sgpr_queue_ptr 0
		.amdhsa_user_sgpr_kernarg_segment_ptr 1
		.amdhsa_user_sgpr_dispatch_id 0
		.amdhsa_user_sgpr_private_segment_size 0
		.amdhsa_wavefront_size32 1
		.amdhsa_uses_dynamic_stack 0
		.amdhsa_enable_private_segment 0
		.amdhsa_system_sgpr_workgroup_id_x 1
		.amdhsa_system_sgpr_workgroup_id_y 0
		.amdhsa_system_sgpr_workgroup_id_z 0
		.amdhsa_system_sgpr_workgroup_info 0
		.amdhsa_system_vgpr_workitem_id 0
		.amdhsa_next_free_vgpr 1
		.amdhsa_next_free_sgpr 1
		.amdhsa_reserve_vcc 0
		.amdhsa_float_round_mode_32 0
		.amdhsa_float_round_mode_16_64 0
		.amdhsa_float_denorm_mode_32 3
		.amdhsa_float_denorm_mode_16_64 3
		.amdhsa_dx10_clamp 1
		.amdhsa_ieee_mode 1
		.amdhsa_fp16_overflow 0
		.amdhsa_workgroup_processor_mode 1
		.amdhsa_memory_ordered 1
		.amdhsa_forward_progress 0
		.amdhsa_shared_vgpr_count 0
		.amdhsa_exception_fp_ieee_invalid_op 0
		.amdhsa_exception_fp_denorm_src 0
		.amdhsa_exception_fp_ieee_div_zero 0
		.amdhsa_exception_fp_ieee_overflow 0
		.amdhsa_exception_fp_ieee_underflow 0
		.amdhsa_exception_fp_ieee_inexact 0
		.amdhsa_exception_int_div_zero 0
	.end_amdhsa_kernel
	.section	.text._ZN7rocprim17ROCPRIM_400000_NS6detail17trampoline_kernelINS0_14default_configENS1_25partition_config_selectorILNS1_17partition_subalgoE5ElNS0_10empty_typeEbEEZZNS1_14partition_implILS5_5ELb0ES3_mN6hipcub16HIPCUB_304000_NS21CountingInputIteratorIllEEPS6_NSA_22TransformInputIteratorIbN2at6native12_GLOBAL__N_19NonZeroOpIN3c107complexINSJ_4HalfEEEEEPKSM_lEENS0_5tupleIJPlS6_EEENSR_IJSD_SD_EEES6_PiJS6_EEE10hipError_tPvRmT3_T4_T5_T6_T7_T9_mT8_P12ihipStream_tbDpT10_ENKUlT_T0_E_clISt17integral_constantIbLb0EES1E_IbLb1EEEEDaS1A_S1B_EUlS1A_E_NS1_11comp_targetILNS1_3genE5ELNS1_11target_archE942ELNS1_3gpuE9ELNS1_3repE0EEENS1_30default_config_static_selectorELNS0_4arch9wavefront6targetE0EEEvT1_,"axG",@progbits,_ZN7rocprim17ROCPRIM_400000_NS6detail17trampoline_kernelINS0_14default_configENS1_25partition_config_selectorILNS1_17partition_subalgoE5ElNS0_10empty_typeEbEEZZNS1_14partition_implILS5_5ELb0ES3_mN6hipcub16HIPCUB_304000_NS21CountingInputIteratorIllEEPS6_NSA_22TransformInputIteratorIbN2at6native12_GLOBAL__N_19NonZeroOpIN3c107complexINSJ_4HalfEEEEEPKSM_lEENS0_5tupleIJPlS6_EEENSR_IJSD_SD_EEES6_PiJS6_EEE10hipError_tPvRmT3_T4_T5_T6_T7_T9_mT8_P12ihipStream_tbDpT10_ENKUlT_T0_E_clISt17integral_constantIbLb0EES1E_IbLb1EEEEDaS1A_S1B_EUlS1A_E_NS1_11comp_targetILNS1_3genE5ELNS1_11target_archE942ELNS1_3gpuE9ELNS1_3repE0EEENS1_30default_config_static_selectorELNS0_4arch9wavefront6targetE0EEEvT1_,comdat
.Lfunc_end687:
	.size	_ZN7rocprim17ROCPRIM_400000_NS6detail17trampoline_kernelINS0_14default_configENS1_25partition_config_selectorILNS1_17partition_subalgoE5ElNS0_10empty_typeEbEEZZNS1_14partition_implILS5_5ELb0ES3_mN6hipcub16HIPCUB_304000_NS21CountingInputIteratorIllEEPS6_NSA_22TransformInputIteratorIbN2at6native12_GLOBAL__N_19NonZeroOpIN3c107complexINSJ_4HalfEEEEEPKSM_lEENS0_5tupleIJPlS6_EEENSR_IJSD_SD_EEES6_PiJS6_EEE10hipError_tPvRmT3_T4_T5_T6_T7_T9_mT8_P12ihipStream_tbDpT10_ENKUlT_T0_E_clISt17integral_constantIbLb0EES1E_IbLb1EEEEDaS1A_S1B_EUlS1A_E_NS1_11comp_targetILNS1_3genE5ELNS1_11target_archE942ELNS1_3gpuE9ELNS1_3repE0EEENS1_30default_config_static_selectorELNS0_4arch9wavefront6targetE0EEEvT1_, .Lfunc_end687-_ZN7rocprim17ROCPRIM_400000_NS6detail17trampoline_kernelINS0_14default_configENS1_25partition_config_selectorILNS1_17partition_subalgoE5ElNS0_10empty_typeEbEEZZNS1_14partition_implILS5_5ELb0ES3_mN6hipcub16HIPCUB_304000_NS21CountingInputIteratorIllEEPS6_NSA_22TransformInputIteratorIbN2at6native12_GLOBAL__N_19NonZeroOpIN3c107complexINSJ_4HalfEEEEEPKSM_lEENS0_5tupleIJPlS6_EEENSR_IJSD_SD_EEES6_PiJS6_EEE10hipError_tPvRmT3_T4_T5_T6_T7_T9_mT8_P12ihipStream_tbDpT10_ENKUlT_T0_E_clISt17integral_constantIbLb0EES1E_IbLb1EEEEDaS1A_S1B_EUlS1A_E_NS1_11comp_targetILNS1_3genE5ELNS1_11target_archE942ELNS1_3gpuE9ELNS1_3repE0EEENS1_30default_config_static_selectorELNS0_4arch9wavefront6targetE0EEEvT1_
                                        ; -- End function
	.section	.AMDGPU.csdata,"",@progbits
; Kernel info:
; codeLenInByte = 0
; NumSgprs: 0
; NumVgprs: 0
; ScratchSize: 0
; MemoryBound: 0
; FloatMode: 240
; IeeeMode: 1
; LDSByteSize: 0 bytes/workgroup (compile time only)
; SGPRBlocks: 0
; VGPRBlocks: 0
; NumSGPRsForWavesPerEU: 1
; NumVGPRsForWavesPerEU: 1
; Occupancy: 16
; WaveLimiterHint : 0
; COMPUTE_PGM_RSRC2:SCRATCH_EN: 0
; COMPUTE_PGM_RSRC2:USER_SGPR: 15
; COMPUTE_PGM_RSRC2:TRAP_HANDLER: 0
; COMPUTE_PGM_RSRC2:TGID_X_EN: 1
; COMPUTE_PGM_RSRC2:TGID_Y_EN: 0
; COMPUTE_PGM_RSRC2:TGID_Z_EN: 0
; COMPUTE_PGM_RSRC2:TIDIG_COMP_CNT: 0
	.section	.text._ZN7rocprim17ROCPRIM_400000_NS6detail17trampoline_kernelINS0_14default_configENS1_25partition_config_selectorILNS1_17partition_subalgoE5ElNS0_10empty_typeEbEEZZNS1_14partition_implILS5_5ELb0ES3_mN6hipcub16HIPCUB_304000_NS21CountingInputIteratorIllEEPS6_NSA_22TransformInputIteratorIbN2at6native12_GLOBAL__N_19NonZeroOpIN3c107complexINSJ_4HalfEEEEEPKSM_lEENS0_5tupleIJPlS6_EEENSR_IJSD_SD_EEES6_PiJS6_EEE10hipError_tPvRmT3_T4_T5_T6_T7_T9_mT8_P12ihipStream_tbDpT10_ENKUlT_T0_E_clISt17integral_constantIbLb0EES1E_IbLb1EEEEDaS1A_S1B_EUlS1A_E_NS1_11comp_targetILNS1_3genE4ELNS1_11target_archE910ELNS1_3gpuE8ELNS1_3repE0EEENS1_30default_config_static_selectorELNS0_4arch9wavefront6targetE0EEEvT1_,"axG",@progbits,_ZN7rocprim17ROCPRIM_400000_NS6detail17trampoline_kernelINS0_14default_configENS1_25partition_config_selectorILNS1_17partition_subalgoE5ElNS0_10empty_typeEbEEZZNS1_14partition_implILS5_5ELb0ES3_mN6hipcub16HIPCUB_304000_NS21CountingInputIteratorIllEEPS6_NSA_22TransformInputIteratorIbN2at6native12_GLOBAL__N_19NonZeroOpIN3c107complexINSJ_4HalfEEEEEPKSM_lEENS0_5tupleIJPlS6_EEENSR_IJSD_SD_EEES6_PiJS6_EEE10hipError_tPvRmT3_T4_T5_T6_T7_T9_mT8_P12ihipStream_tbDpT10_ENKUlT_T0_E_clISt17integral_constantIbLb0EES1E_IbLb1EEEEDaS1A_S1B_EUlS1A_E_NS1_11comp_targetILNS1_3genE4ELNS1_11target_archE910ELNS1_3gpuE8ELNS1_3repE0EEENS1_30default_config_static_selectorELNS0_4arch9wavefront6targetE0EEEvT1_,comdat
	.globl	_ZN7rocprim17ROCPRIM_400000_NS6detail17trampoline_kernelINS0_14default_configENS1_25partition_config_selectorILNS1_17partition_subalgoE5ElNS0_10empty_typeEbEEZZNS1_14partition_implILS5_5ELb0ES3_mN6hipcub16HIPCUB_304000_NS21CountingInputIteratorIllEEPS6_NSA_22TransformInputIteratorIbN2at6native12_GLOBAL__N_19NonZeroOpIN3c107complexINSJ_4HalfEEEEEPKSM_lEENS0_5tupleIJPlS6_EEENSR_IJSD_SD_EEES6_PiJS6_EEE10hipError_tPvRmT3_T4_T5_T6_T7_T9_mT8_P12ihipStream_tbDpT10_ENKUlT_T0_E_clISt17integral_constantIbLb0EES1E_IbLb1EEEEDaS1A_S1B_EUlS1A_E_NS1_11comp_targetILNS1_3genE4ELNS1_11target_archE910ELNS1_3gpuE8ELNS1_3repE0EEENS1_30default_config_static_selectorELNS0_4arch9wavefront6targetE0EEEvT1_ ; -- Begin function _ZN7rocprim17ROCPRIM_400000_NS6detail17trampoline_kernelINS0_14default_configENS1_25partition_config_selectorILNS1_17partition_subalgoE5ElNS0_10empty_typeEbEEZZNS1_14partition_implILS5_5ELb0ES3_mN6hipcub16HIPCUB_304000_NS21CountingInputIteratorIllEEPS6_NSA_22TransformInputIteratorIbN2at6native12_GLOBAL__N_19NonZeroOpIN3c107complexINSJ_4HalfEEEEEPKSM_lEENS0_5tupleIJPlS6_EEENSR_IJSD_SD_EEES6_PiJS6_EEE10hipError_tPvRmT3_T4_T5_T6_T7_T9_mT8_P12ihipStream_tbDpT10_ENKUlT_T0_E_clISt17integral_constantIbLb0EES1E_IbLb1EEEEDaS1A_S1B_EUlS1A_E_NS1_11comp_targetILNS1_3genE4ELNS1_11target_archE910ELNS1_3gpuE8ELNS1_3repE0EEENS1_30default_config_static_selectorELNS0_4arch9wavefront6targetE0EEEvT1_
	.p2align	8
	.type	_ZN7rocprim17ROCPRIM_400000_NS6detail17trampoline_kernelINS0_14default_configENS1_25partition_config_selectorILNS1_17partition_subalgoE5ElNS0_10empty_typeEbEEZZNS1_14partition_implILS5_5ELb0ES3_mN6hipcub16HIPCUB_304000_NS21CountingInputIteratorIllEEPS6_NSA_22TransformInputIteratorIbN2at6native12_GLOBAL__N_19NonZeroOpIN3c107complexINSJ_4HalfEEEEEPKSM_lEENS0_5tupleIJPlS6_EEENSR_IJSD_SD_EEES6_PiJS6_EEE10hipError_tPvRmT3_T4_T5_T6_T7_T9_mT8_P12ihipStream_tbDpT10_ENKUlT_T0_E_clISt17integral_constantIbLb0EES1E_IbLb1EEEEDaS1A_S1B_EUlS1A_E_NS1_11comp_targetILNS1_3genE4ELNS1_11target_archE910ELNS1_3gpuE8ELNS1_3repE0EEENS1_30default_config_static_selectorELNS0_4arch9wavefront6targetE0EEEvT1_,@function
_ZN7rocprim17ROCPRIM_400000_NS6detail17trampoline_kernelINS0_14default_configENS1_25partition_config_selectorILNS1_17partition_subalgoE5ElNS0_10empty_typeEbEEZZNS1_14partition_implILS5_5ELb0ES3_mN6hipcub16HIPCUB_304000_NS21CountingInputIteratorIllEEPS6_NSA_22TransformInputIteratorIbN2at6native12_GLOBAL__N_19NonZeroOpIN3c107complexINSJ_4HalfEEEEEPKSM_lEENS0_5tupleIJPlS6_EEENSR_IJSD_SD_EEES6_PiJS6_EEE10hipError_tPvRmT3_T4_T5_T6_T7_T9_mT8_P12ihipStream_tbDpT10_ENKUlT_T0_E_clISt17integral_constantIbLb0EES1E_IbLb1EEEEDaS1A_S1B_EUlS1A_E_NS1_11comp_targetILNS1_3genE4ELNS1_11target_archE910ELNS1_3gpuE8ELNS1_3repE0EEENS1_30default_config_static_selectorELNS0_4arch9wavefront6targetE0EEEvT1_: ; @_ZN7rocprim17ROCPRIM_400000_NS6detail17trampoline_kernelINS0_14default_configENS1_25partition_config_selectorILNS1_17partition_subalgoE5ElNS0_10empty_typeEbEEZZNS1_14partition_implILS5_5ELb0ES3_mN6hipcub16HIPCUB_304000_NS21CountingInputIteratorIllEEPS6_NSA_22TransformInputIteratorIbN2at6native12_GLOBAL__N_19NonZeroOpIN3c107complexINSJ_4HalfEEEEEPKSM_lEENS0_5tupleIJPlS6_EEENSR_IJSD_SD_EEES6_PiJS6_EEE10hipError_tPvRmT3_T4_T5_T6_T7_T9_mT8_P12ihipStream_tbDpT10_ENKUlT_T0_E_clISt17integral_constantIbLb0EES1E_IbLb1EEEEDaS1A_S1B_EUlS1A_E_NS1_11comp_targetILNS1_3genE4ELNS1_11target_archE910ELNS1_3gpuE8ELNS1_3repE0EEENS1_30default_config_static_selectorELNS0_4arch9wavefront6targetE0EEEvT1_
; %bb.0:
	.section	.rodata,"a",@progbits
	.p2align	6, 0x0
	.amdhsa_kernel _ZN7rocprim17ROCPRIM_400000_NS6detail17trampoline_kernelINS0_14default_configENS1_25partition_config_selectorILNS1_17partition_subalgoE5ElNS0_10empty_typeEbEEZZNS1_14partition_implILS5_5ELb0ES3_mN6hipcub16HIPCUB_304000_NS21CountingInputIteratorIllEEPS6_NSA_22TransformInputIteratorIbN2at6native12_GLOBAL__N_19NonZeroOpIN3c107complexINSJ_4HalfEEEEEPKSM_lEENS0_5tupleIJPlS6_EEENSR_IJSD_SD_EEES6_PiJS6_EEE10hipError_tPvRmT3_T4_T5_T6_T7_T9_mT8_P12ihipStream_tbDpT10_ENKUlT_T0_E_clISt17integral_constantIbLb0EES1E_IbLb1EEEEDaS1A_S1B_EUlS1A_E_NS1_11comp_targetILNS1_3genE4ELNS1_11target_archE910ELNS1_3gpuE8ELNS1_3repE0EEENS1_30default_config_static_selectorELNS0_4arch9wavefront6targetE0EEEvT1_
		.amdhsa_group_segment_fixed_size 0
		.amdhsa_private_segment_fixed_size 0
		.amdhsa_kernarg_size 136
		.amdhsa_user_sgpr_count 15
		.amdhsa_user_sgpr_dispatch_ptr 0
		.amdhsa_user_sgpr_queue_ptr 0
		.amdhsa_user_sgpr_kernarg_segment_ptr 1
		.amdhsa_user_sgpr_dispatch_id 0
		.amdhsa_user_sgpr_private_segment_size 0
		.amdhsa_wavefront_size32 1
		.amdhsa_uses_dynamic_stack 0
		.amdhsa_enable_private_segment 0
		.amdhsa_system_sgpr_workgroup_id_x 1
		.amdhsa_system_sgpr_workgroup_id_y 0
		.amdhsa_system_sgpr_workgroup_id_z 0
		.amdhsa_system_sgpr_workgroup_info 0
		.amdhsa_system_vgpr_workitem_id 0
		.amdhsa_next_free_vgpr 1
		.amdhsa_next_free_sgpr 1
		.amdhsa_reserve_vcc 0
		.amdhsa_float_round_mode_32 0
		.amdhsa_float_round_mode_16_64 0
		.amdhsa_float_denorm_mode_32 3
		.amdhsa_float_denorm_mode_16_64 3
		.amdhsa_dx10_clamp 1
		.amdhsa_ieee_mode 1
		.amdhsa_fp16_overflow 0
		.amdhsa_workgroup_processor_mode 1
		.amdhsa_memory_ordered 1
		.amdhsa_forward_progress 0
		.amdhsa_shared_vgpr_count 0
		.amdhsa_exception_fp_ieee_invalid_op 0
		.amdhsa_exception_fp_denorm_src 0
		.amdhsa_exception_fp_ieee_div_zero 0
		.amdhsa_exception_fp_ieee_overflow 0
		.amdhsa_exception_fp_ieee_underflow 0
		.amdhsa_exception_fp_ieee_inexact 0
		.amdhsa_exception_int_div_zero 0
	.end_amdhsa_kernel
	.section	.text._ZN7rocprim17ROCPRIM_400000_NS6detail17trampoline_kernelINS0_14default_configENS1_25partition_config_selectorILNS1_17partition_subalgoE5ElNS0_10empty_typeEbEEZZNS1_14partition_implILS5_5ELb0ES3_mN6hipcub16HIPCUB_304000_NS21CountingInputIteratorIllEEPS6_NSA_22TransformInputIteratorIbN2at6native12_GLOBAL__N_19NonZeroOpIN3c107complexINSJ_4HalfEEEEEPKSM_lEENS0_5tupleIJPlS6_EEENSR_IJSD_SD_EEES6_PiJS6_EEE10hipError_tPvRmT3_T4_T5_T6_T7_T9_mT8_P12ihipStream_tbDpT10_ENKUlT_T0_E_clISt17integral_constantIbLb0EES1E_IbLb1EEEEDaS1A_S1B_EUlS1A_E_NS1_11comp_targetILNS1_3genE4ELNS1_11target_archE910ELNS1_3gpuE8ELNS1_3repE0EEENS1_30default_config_static_selectorELNS0_4arch9wavefront6targetE0EEEvT1_,"axG",@progbits,_ZN7rocprim17ROCPRIM_400000_NS6detail17trampoline_kernelINS0_14default_configENS1_25partition_config_selectorILNS1_17partition_subalgoE5ElNS0_10empty_typeEbEEZZNS1_14partition_implILS5_5ELb0ES3_mN6hipcub16HIPCUB_304000_NS21CountingInputIteratorIllEEPS6_NSA_22TransformInputIteratorIbN2at6native12_GLOBAL__N_19NonZeroOpIN3c107complexINSJ_4HalfEEEEEPKSM_lEENS0_5tupleIJPlS6_EEENSR_IJSD_SD_EEES6_PiJS6_EEE10hipError_tPvRmT3_T4_T5_T6_T7_T9_mT8_P12ihipStream_tbDpT10_ENKUlT_T0_E_clISt17integral_constantIbLb0EES1E_IbLb1EEEEDaS1A_S1B_EUlS1A_E_NS1_11comp_targetILNS1_3genE4ELNS1_11target_archE910ELNS1_3gpuE8ELNS1_3repE0EEENS1_30default_config_static_selectorELNS0_4arch9wavefront6targetE0EEEvT1_,comdat
.Lfunc_end688:
	.size	_ZN7rocprim17ROCPRIM_400000_NS6detail17trampoline_kernelINS0_14default_configENS1_25partition_config_selectorILNS1_17partition_subalgoE5ElNS0_10empty_typeEbEEZZNS1_14partition_implILS5_5ELb0ES3_mN6hipcub16HIPCUB_304000_NS21CountingInputIteratorIllEEPS6_NSA_22TransformInputIteratorIbN2at6native12_GLOBAL__N_19NonZeroOpIN3c107complexINSJ_4HalfEEEEEPKSM_lEENS0_5tupleIJPlS6_EEENSR_IJSD_SD_EEES6_PiJS6_EEE10hipError_tPvRmT3_T4_T5_T6_T7_T9_mT8_P12ihipStream_tbDpT10_ENKUlT_T0_E_clISt17integral_constantIbLb0EES1E_IbLb1EEEEDaS1A_S1B_EUlS1A_E_NS1_11comp_targetILNS1_3genE4ELNS1_11target_archE910ELNS1_3gpuE8ELNS1_3repE0EEENS1_30default_config_static_selectorELNS0_4arch9wavefront6targetE0EEEvT1_, .Lfunc_end688-_ZN7rocprim17ROCPRIM_400000_NS6detail17trampoline_kernelINS0_14default_configENS1_25partition_config_selectorILNS1_17partition_subalgoE5ElNS0_10empty_typeEbEEZZNS1_14partition_implILS5_5ELb0ES3_mN6hipcub16HIPCUB_304000_NS21CountingInputIteratorIllEEPS6_NSA_22TransformInputIteratorIbN2at6native12_GLOBAL__N_19NonZeroOpIN3c107complexINSJ_4HalfEEEEEPKSM_lEENS0_5tupleIJPlS6_EEENSR_IJSD_SD_EEES6_PiJS6_EEE10hipError_tPvRmT3_T4_T5_T6_T7_T9_mT8_P12ihipStream_tbDpT10_ENKUlT_T0_E_clISt17integral_constantIbLb0EES1E_IbLb1EEEEDaS1A_S1B_EUlS1A_E_NS1_11comp_targetILNS1_3genE4ELNS1_11target_archE910ELNS1_3gpuE8ELNS1_3repE0EEENS1_30default_config_static_selectorELNS0_4arch9wavefront6targetE0EEEvT1_
                                        ; -- End function
	.section	.AMDGPU.csdata,"",@progbits
; Kernel info:
; codeLenInByte = 0
; NumSgprs: 0
; NumVgprs: 0
; ScratchSize: 0
; MemoryBound: 0
; FloatMode: 240
; IeeeMode: 1
; LDSByteSize: 0 bytes/workgroup (compile time only)
; SGPRBlocks: 0
; VGPRBlocks: 0
; NumSGPRsForWavesPerEU: 1
; NumVGPRsForWavesPerEU: 1
; Occupancy: 15
; WaveLimiterHint : 0
; COMPUTE_PGM_RSRC2:SCRATCH_EN: 0
; COMPUTE_PGM_RSRC2:USER_SGPR: 15
; COMPUTE_PGM_RSRC2:TRAP_HANDLER: 0
; COMPUTE_PGM_RSRC2:TGID_X_EN: 1
; COMPUTE_PGM_RSRC2:TGID_Y_EN: 0
; COMPUTE_PGM_RSRC2:TGID_Z_EN: 0
; COMPUTE_PGM_RSRC2:TIDIG_COMP_CNT: 0
	.section	.text._ZN7rocprim17ROCPRIM_400000_NS6detail17trampoline_kernelINS0_14default_configENS1_25partition_config_selectorILNS1_17partition_subalgoE5ElNS0_10empty_typeEbEEZZNS1_14partition_implILS5_5ELb0ES3_mN6hipcub16HIPCUB_304000_NS21CountingInputIteratorIllEEPS6_NSA_22TransformInputIteratorIbN2at6native12_GLOBAL__N_19NonZeroOpIN3c107complexINSJ_4HalfEEEEEPKSM_lEENS0_5tupleIJPlS6_EEENSR_IJSD_SD_EEES6_PiJS6_EEE10hipError_tPvRmT3_T4_T5_T6_T7_T9_mT8_P12ihipStream_tbDpT10_ENKUlT_T0_E_clISt17integral_constantIbLb0EES1E_IbLb1EEEEDaS1A_S1B_EUlS1A_E_NS1_11comp_targetILNS1_3genE3ELNS1_11target_archE908ELNS1_3gpuE7ELNS1_3repE0EEENS1_30default_config_static_selectorELNS0_4arch9wavefront6targetE0EEEvT1_,"axG",@progbits,_ZN7rocprim17ROCPRIM_400000_NS6detail17trampoline_kernelINS0_14default_configENS1_25partition_config_selectorILNS1_17partition_subalgoE5ElNS0_10empty_typeEbEEZZNS1_14partition_implILS5_5ELb0ES3_mN6hipcub16HIPCUB_304000_NS21CountingInputIteratorIllEEPS6_NSA_22TransformInputIteratorIbN2at6native12_GLOBAL__N_19NonZeroOpIN3c107complexINSJ_4HalfEEEEEPKSM_lEENS0_5tupleIJPlS6_EEENSR_IJSD_SD_EEES6_PiJS6_EEE10hipError_tPvRmT3_T4_T5_T6_T7_T9_mT8_P12ihipStream_tbDpT10_ENKUlT_T0_E_clISt17integral_constantIbLb0EES1E_IbLb1EEEEDaS1A_S1B_EUlS1A_E_NS1_11comp_targetILNS1_3genE3ELNS1_11target_archE908ELNS1_3gpuE7ELNS1_3repE0EEENS1_30default_config_static_selectorELNS0_4arch9wavefront6targetE0EEEvT1_,comdat
	.globl	_ZN7rocprim17ROCPRIM_400000_NS6detail17trampoline_kernelINS0_14default_configENS1_25partition_config_selectorILNS1_17partition_subalgoE5ElNS0_10empty_typeEbEEZZNS1_14partition_implILS5_5ELb0ES3_mN6hipcub16HIPCUB_304000_NS21CountingInputIteratorIllEEPS6_NSA_22TransformInputIteratorIbN2at6native12_GLOBAL__N_19NonZeroOpIN3c107complexINSJ_4HalfEEEEEPKSM_lEENS0_5tupleIJPlS6_EEENSR_IJSD_SD_EEES6_PiJS6_EEE10hipError_tPvRmT3_T4_T5_T6_T7_T9_mT8_P12ihipStream_tbDpT10_ENKUlT_T0_E_clISt17integral_constantIbLb0EES1E_IbLb1EEEEDaS1A_S1B_EUlS1A_E_NS1_11comp_targetILNS1_3genE3ELNS1_11target_archE908ELNS1_3gpuE7ELNS1_3repE0EEENS1_30default_config_static_selectorELNS0_4arch9wavefront6targetE0EEEvT1_ ; -- Begin function _ZN7rocprim17ROCPRIM_400000_NS6detail17trampoline_kernelINS0_14default_configENS1_25partition_config_selectorILNS1_17partition_subalgoE5ElNS0_10empty_typeEbEEZZNS1_14partition_implILS5_5ELb0ES3_mN6hipcub16HIPCUB_304000_NS21CountingInputIteratorIllEEPS6_NSA_22TransformInputIteratorIbN2at6native12_GLOBAL__N_19NonZeroOpIN3c107complexINSJ_4HalfEEEEEPKSM_lEENS0_5tupleIJPlS6_EEENSR_IJSD_SD_EEES6_PiJS6_EEE10hipError_tPvRmT3_T4_T5_T6_T7_T9_mT8_P12ihipStream_tbDpT10_ENKUlT_T0_E_clISt17integral_constantIbLb0EES1E_IbLb1EEEEDaS1A_S1B_EUlS1A_E_NS1_11comp_targetILNS1_3genE3ELNS1_11target_archE908ELNS1_3gpuE7ELNS1_3repE0EEENS1_30default_config_static_selectorELNS0_4arch9wavefront6targetE0EEEvT1_
	.p2align	8
	.type	_ZN7rocprim17ROCPRIM_400000_NS6detail17trampoline_kernelINS0_14default_configENS1_25partition_config_selectorILNS1_17partition_subalgoE5ElNS0_10empty_typeEbEEZZNS1_14partition_implILS5_5ELb0ES3_mN6hipcub16HIPCUB_304000_NS21CountingInputIteratorIllEEPS6_NSA_22TransformInputIteratorIbN2at6native12_GLOBAL__N_19NonZeroOpIN3c107complexINSJ_4HalfEEEEEPKSM_lEENS0_5tupleIJPlS6_EEENSR_IJSD_SD_EEES6_PiJS6_EEE10hipError_tPvRmT3_T4_T5_T6_T7_T9_mT8_P12ihipStream_tbDpT10_ENKUlT_T0_E_clISt17integral_constantIbLb0EES1E_IbLb1EEEEDaS1A_S1B_EUlS1A_E_NS1_11comp_targetILNS1_3genE3ELNS1_11target_archE908ELNS1_3gpuE7ELNS1_3repE0EEENS1_30default_config_static_selectorELNS0_4arch9wavefront6targetE0EEEvT1_,@function
_ZN7rocprim17ROCPRIM_400000_NS6detail17trampoline_kernelINS0_14default_configENS1_25partition_config_selectorILNS1_17partition_subalgoE5ElNS0_10empty_typeEbEEZZNS1_14partition_implILS5_5ELb0ES3_mN6hipcub16HIPCUB_304000_NS21CountingInputIteratorIllEEPS6_NSA_22TransformInputIteratorIbN2at6native12_GLOBAL__N_19NonZeroOpIN3c107complexINSJ_4HalfEEEEEPKSM_lEENS0_5tupleIJPlS6_EEENSR_IJSD_SD_EEES6_PiJS6_EEE10hipError_tPvRmT3_T4_T5_T6_T7_T9_mT8_P12ihipStream_tbDpT10_ENKUlT_T0_E_clISt17integral_constantIbLb0EES1E_IbLb1EEEEDaS1A_S1B_EUlS1A_E_NS1_11comp_targetILNS1_3genE3ELNS1_11target_archE908ELNS1_3gpuE7ELNS1_3repE0EEENS1_30default_config_static_selectorELNS0_4arch9wavefront6targetE0EEEvT1_: ; @_ZN7rocprim17ROCPRIM_400000_NS6detail17trampoline_kernelINS0_14default_configENS1_25partition_config_selectorILNS1_17partition_subalgoE5ElNS0_10empty_typeEbEEZZNS1_14partition_implILS5_5ELb0ES3_mN6hipcub16HIPCUB_304000_NS21CountingInputIteratorIllEEPS6_NSA_22TransformInputIteratorIbN2at6native12_GLOBAL__N_19NonZeroOpIN3c107complexINSJ_4HalfEEEEEPKSM_lEENS0_5tupleIJPlS6_EEENSR_IJSD_SD_EEES6_PiJS6_EEE10hipError_tPvRmT3_T4_T5_T6_T7_T9_mT8_P12ihipStream_tbDpT10_ENKUlT_T0_E_clISt17integral_constantIbLb0EES1E_IbLb1EEEEDaS1A_S1B_EUlS1A_E_NS1_11comp_targetILNS1_3genE3ELNS1_11target_archE908ELNS1_3gpuE7ELNS1_3repE0EEENS1_30default_config_static_selectorELNS0_4arch9wavefront6targetE0EEEvT1_
; %bb.0:
	.section	.rodata,"a",@progbits
	.p2align	6, 0x0
	.amdhsa_kernel _ZN7rocprim17ROCPRIM_400000_NS6detail17trampoline_kernelINS0_14default_configENS1_25partition_config_selectorILNS1_17partition_subalgoE5ElNS0_10empty_typeEbEEZZNS1_14partition_implILS5_5ELb0ES3_mN6hipcub16HIPCUB_304000_NS21CountingInputIteratorIllEEPS6_NSA_22TransformInputIteratorIbN2at6native12_GLOBAL__N_19NonZeroOpIN3c107complexINSJ_4HalfEEEEEPKSM_lEENS0_5tupleIJPlS6_EEENSR_IJSD_SD_EEES6_PiJS6_EEE10hipError_tPvRmT3_T4_T5_T6_T7_T9_mT8_P12ihipStream_tbDpT10_ENKUlT_T0_E_clISt17integral_constantIbLb0EES1E_IbLb1EEEEDaS1A_S1B_EUlS1A_E_NS1_11comp_targetILNS1_3genE3ELNS1_11target_archE908ELNS1_3gpuE7ELNS1_3repE0EEENS1_30default_config_static_selectorELNS0_4arch9wavefront6targetE0EEEvT1_
		.amdhsa_group_segment_fixed_size 0
		.amdhsa_private_segment_fixed_size 0
		.amdhsa_kernarg_size 136
		.amdhsa_user_sgpr_count 15
		.amdhsa_user_sgpr_dispatch_ptr 0
		.amdhsa_user_sgpr_queue_ptr 0
		.amdhsa_user_sgpr_kernarg_segment_ptr 1
		.amdhsa_user_sgpr_dispatch_id 0
		.amdhsa_user_sgpr_private_segment_size 0
		.amdhsa_wavefront_size32 1
		.amdhsa_uses_dynamic_stack 0
		.amdhsa_enable_private_segment 0
		.amdhsa_system_sgpr_workgroup_id_x 1
		.amdhsa_system_sgpr_workgroup_id_y 0
		.amdhsa_system_sgpr_workgroup_id_z 0
		.amdhsa_system_sgpr_workgroup_info 0
		.amdhsa_system_vgpr_workitem_id 0
		.amdhsa_next_free_vgpr 1
		.amdhsa_next_free_sgpr 1
		.amdhsa_reserve_vcc 0
		.amdhsa_float_round_mode_32 0
		.amdhsa_float_round_mode_16_64 0
		.amdhsa_float_denorm_mode_32 3
		.amdhsa_float_denorm_mode_16_64 3
		.amdhsa_dx10_clamp 1
		.amdhsa_ieee_mode 1
		.amdhsa_fp16_overflow 0
		.amdhsa_workgroup_processor_mode 1
		.amdhsa_memory_ordered 1
		.amdhsa_forward_progress 0
		.amdhsa_shared_vgpr_count 0
		.amdhsa_exception_fp_ieee_invalid_op 0
		.amdhsa_exception_fp_denorm_src 0
		.amdhsa_exception_fp_ieee_div_zero 0
		.amdhsa_exception_fp_ieee_overflow 0
		.amdhsa_exception_fp_ieee_underflow 0
		.amdhsa_exception_fp_ieee_inexact 0
		.amdhsa_exception_int_div_zero 0
	.end_amdhsa_kernel
	.section	.text._ZN7rocprim17ROCPRIM_400000_NS6detail17trampoline_kernelINS0_14default_configENS1_25partition_config_selectorILNS1_17partition_subalgoE5ElNS0_10empty_typeEbEEZZNS1_14partition_implILS5_5ELb0ES3_mN6hipcub16HIPCUB_304000_NS21CountingInputIteratorIllEEPS6_NSA_22TransformInputIteratorIbN2at6native12_GLOBAL__N_19NonZeroOpIN3c107complexINSJ_4HalfEEEEEPKSM_lEENS0_5tupleIJPlS6_EEENSR_IJSD_SD_EEES6_PiJS6_EEE10hipError_tPvRmT3_T4_T5_T6_T7_T9_mT8_P12ihipStream_tbDpT10_ENKUlT_T0_E_clISt17integral_constantIbLb0EES1E_IbLb1EEEEDaS1A_S1B_EUlS1A_E_NS1_11comp_targetILNS1_3genE3ELNS1_11target_archE908ELNS1_3gpuE7ELNS1_3repE0EEENS1_30default_config_static_selectorELNS0_4arch9wavefront6targetE0EEEvT1_,"axG",@progbits,_ZN7rocprim17ROCPRIM_400000_NS6detail17trampoline_kernelINS0_14default_configENS1_25partition_config_selectorILNS1_17partition_subalgoE5ElNS0_10empty_typeEbEEZZNS1_14partition_implILS5_5ELb0ES3_mN6hipcub16HIPCUB_304000_NS21CountingInputIteratorIllEEPS6_NSA_22TransformInputIteratorIbN2at6native12_GLOBAL__N_19NonZeroOpIN3c107complexINSJ_4HalfEEEEEPKSM_lEENS0_5tupleIJPlS6_EEENSR_IJSD_SD_EEES6_PiJS6_EEE10hipError_tPvRmT3_T4_T5_T6_T7_T9_mT8_P12ihipStream_tbDpT10_ENKUlT_T0_E_clISt17integral_constantIbLb0EES1E_IbLb1EEEEDaS1A_S1B_EUlS1A_E_NS1_11comp_targetILNS1_3genE3ELNS1_11target_archE908ELNS1_3gpuE7ELNS1_3repE0EEENS1_30default_config_static_selectorELNS0_4arch9wavefront6targetE0EEEvT1_,comdat
.Lfunc_end689:
	.size	_ZN7rocprim17ROCPRIM_400000_NS6detail17trampoline_kernelINS0_14default_configENS1_25partition_config_selectorILNS1_17partition_subalgoE5ElNS0_10empty_typeEbEEZZNS1_14partition_implILS5_5ELb0ES3_mN6hipcub16HIPCUB_304000_NS21CountingInputIteratorIllEEPS6_NSA_22TransformInputIteratorIbN2at6native12_GLOBAL__N_19NonZeroOpIN3c107complexINSJ_4HalfEEEEEPKSM_lEENS0_5tupleIJPlS6_EEENSR_IJSD_SD_EEES6_PiJS6_EEE10hipError_tPvRmT3_T4_T5_T6_T7_T9_mT8_P12ihipStream_tbDpT10_ENKUlT_T0_E_clISt17integral_constantIbLb0EES1E_IbLb1EEEEDaS1A_S1B_EUlS1A_E_NS1_11comp_targetILNS1_3genE3ELNS1_11target_archE908ELNS1_3gpuE7ELNS1_3repE0EEENS1_30default_config_static_selectorELNS0_4arch9wavefront6targetE0EEEvT1_, .Lfunc_end689-_ZN7rocprim17ROCPRIM_400000_NS6detail17trampoline_kernelINS0_14default_configENS1_25partition_config_selectorILNS1_17partition_subalgoE5ElNS0_10empty_typeEbEEZZNS1_14partition_implILS5_5ELb0ES3_mN6hipcub16HIPCUB_304000_NS21CountingInputIteratorIllEEPS6_NSA_22TransformInputIteratorIbN2at6native12_GLOBAL__N_19NonZeroOpIN3c107complexINSJ_4HalfEEEEEPKSM_lEENS0_5tupleIJPlS6_EEENSR_IJSD_SD_EEES6_PiJS6_EEE10hipError_tPvRmT3_T4_T5_T6_T7_T9_mT8_P12ihipStream_tbDpT10_ENKUlT_T0_E_clISt17integral_constantIbLb0EES1E_IbLb1EEEEDaS1A_S1B_EUlS1A_E_NS1_11comp_targetILNS1_3genE3ELNS1_11target_archE908ELNS1_3gpuE7ELNS1_3repE0EEENS1_30default_config_static_selectorELNS0_4arch9wavefront6targetE0EEEvT1_
                                        ; -- End function
	.section	.AMDGPU.csdata,"",@progbits
; Kernel info:
; codeLenInByte = 0
; NumSgprs: 0
; NumVgprs: 0
; ScratchSize: 0
; MemoryBound: 0
; FloatMode: 240
; IeeeMode: 1
; LDSByteSize: 0 bytes/workgroup (compile time only)
; SGPRBlocks: 0
; VGPRBlocks: 0
; NumSGPRsForWavesPerEU: 1
; NumVGPRsForWavesPerEU: 1
; Occupancy: 16
; WaveLimiterHint : 0
; COMPUTE_PGM_RSRC2:SCRATCH_EN: 0
; COMPUTE_PGM_RSRC2:USER_SGPR: 15
; COMPUTE_PGM_RSRC2:TRAP_HANDLER: 0
; COMPUTE_PGM_RSRC2:TGID_X_EN: 1
; COMPUTE_PGM_RSRC2:TGID_Y_EN: 0
; COMPUTE_PGM_RSRC2:TGID_Z_EN: 0
; COMPUTE_PGM_RSRC2:TIDIG_COMP_CNT: 0
	.section	.text._ZN7rocprim17ROCPRIM_400000_NS6detail17trampoline_kernelINS0_14default_configENS1_25partition_config_selectorILNS1_17partition_subalgoE5ElNS0_10empty_typeEbEEZZNS1_14partition_implILS5_5ELb0ES3_mN6hipcub16HIPCUB_304000_NS21CountingInputIteratorIllEEPS6_NSA_22TransformInputIteratorIbN2at6native12_GLOBAL__N_19NonZeroOpIN3c107complexINSJ_4HalfEEEEEPKSM_lEENS0_5tupleIJPlS6_EEENSR_IJSD_SD_EEES6_PiJS6_EEE10hipError_tPvRmT3_T4_T5_T6_T7_T9_mT8_P12ihipStream_tbDpT10_ENKUlT_T0_E_clISt17integral_constantIbLb0EES1E_IbLb1EEEEDaS1A_S1B_EUlS1A_E_NS1_11comp_targetILNS1_3genE2ELNS1_11target_archE906ELNS1_3gpuE6ELNS1_3repE0EEENS1_30default_config_static_selectorELNS0_4arch9wavefront6targetE0EEEvT1_,"axG",@progbits,_ZN7rocprim17ROCPRIM_400000_NS6detail17trampoline_kernelINS0_14default_configENS1_25partition_config_selectorILNS1_17partition_subalgoE5ElNS0_10empty_typeEbEEZZNS1_14partition_implILS5_5ELb0ES3_mN6hipcub16HIPCUB_304000_NS21CountingInputIteratorIllEEPS6_NSA_22TransformInputIteratorIbN2at6native12_GLOBAL__N_19NonZeroOpIN3c107complexINSJ_4HalfEEEEEPKSM_lEENS0_5tupleIJPlS6_EEENSR_IJSD_SD_EEES6_PiJS6_EEE10hipError_tPvRmT3_T4_T5_T6_T7_T9_mT8_P12ihipStream_tbDpT10_ENKUlT_T0_E_clISt17integral_constantIbLb0EES1E_IbLb1EEEEDaS1A_S1B_EUlS1A_E_NS1_11comp_targetILNS1_3genE2ELNS1_11target_archE906ELNS1_3gpuE6ELNS1_3repE0EEENS1_30default_config_static_selectorELNS0_4arch9wavefront6targetE0EEEvT1_,comdat
	.globl	_ZN7rocprim17ROCPRIM_400000_NS6detail17trampoline_kernelINS0_14default_configENS1_25partition_config_selectorILNS1_17partition_subalgoE5ElNS0_10empty_typeEbEEZZNS1_14partition_implILS5_5ELb0ES3_mN6hipcub16HIPCUB_304000_NS21CountingInputIteratorIllEEPS6_NSA_22TransformInputIteratorIbN2at6native12_GLOBAL__N_19NonZeroOpIN3c107complexINSJ_4HalfEEEEEPKSM_lEENS0_5tupleIJPlS6_EEENSR_IJSD_SD_EEES6_PiJS6_EEE10hipError_tPvRmT3_T4_T5_T6_T7_T9_mT8_P12ihipStream_tbDpT10_ENKUlT_T0_E_clISt17integral_constantIbLb0EES1E_IbLb1EEEEDaS1A_S1B_EUlS1A_E_NS1_11comp_targetILNS1_3genE2ELNS1_11target_archE906ELNS1_3gpuE6ELNS1_3repE0EEENS1_30default_config_static_selectorELNS0_4arch9wavefront6targetE0EEEvT1_ ; -- Begin function _ZN7rocprim17ROCPRIM_400000_NS6detail17trampoline_kernelINS0_14default_configENS1_25partition_config_selectorILNS1_17partition_subalgoE5ElNS0_10empty_typeEbEEZZNS1_14partition_implILS5_5ELb0ES3_mN6hipcub16HIPCUB_304000_NS21CountingInputIteratorIllEEPS6_NSA_22TransformInputIteratorIbN2at6native12_GLOBAL__N_19NonZeroOpIN3c107complexINSJ_4HalfEEEEEPKSM_lEENS0_5tupleIJPlS6_EEENSR_IJSD_SD_EEES6_PiJS6_EEE10hipError_tPvRmT3_T4_T5_T6_T7_T9_mT8_P12ihipStream_tbDpT10_ENKUlT_T0_E_clISt17integral_constantIbLb0EES1E_IbLb1EEEEDaS1A_S1B_EUlS1A_E_NS1_11comp_targetILNS1_3genE2ELNS1_11target_archE906ELNS1_3gpuE6ELNS1_3repE0EEENS1_30default_config_static_selectorELNS0_4arch9wavefront6targetE0EEEvT1_
	.p2align	8
	.type	_ZN7rocprim17ROCPRIM_400000_NS6detail17trampoline_kernelINS0_14default_configENS1_25partition_config_selectorILNS1_17partition_subalgoE5ElNS0_10empty_typeEbEEZZNS1_14partition_implILS5_5ELb0ES3_mN6hipcub16HIPCUB_304000_NS21CountingInputIteratorIllEEPS6_NSA_22TransformInputIteratorIbN2at6native12_GLOBAL__N_19NonZeroOpIN3c107complexINSJ_4HalfEEEEEPKSM_lEENS0_5tupleIJPlS6_EEENSR_IJSD_SD_EEES6_PiJS6_EEE10hipError_tPvRmT3_T4_T5_T6_T7_T9_mT8_P12ihipStream_tbDpT10_ENKUlT_T0_E_clISt17integral_constantIbLb0EES1E_IbLb1EEEEDaS1A_S1B_EUlS1A_E_NS1_11comp_targetILNS1_3genE2ELNS1_11target_archE906ELNS1_3gpuE6ELNS1_3repE0EEENS1_30default_config_static_selectorELNS0_4arch9wavefront6targetE0EEEvT1_,@function
_ZN7rocprim17ROCPRIM_400000_NS6detail17trampoline_kernelINS0_14default_configENS1_25partition_config_selectorILNS1_17partition_subalgoE5ElNS0_10empty_typeEbEEZZNS1_14partition_implILS5_5ELb0ES3_mN6hipcub16HIPCUB_304000_NS21CountingInputIteratorIllEEPS6_NSA_22TransformInputIteratorIbN2at6native12_GLOBAL__N_19NonZeroOpIN3c107complexINSJ_4HalfEEEEEPKSM_lEENS0_5tupleIJPlS6_EEENSR_IJSD_SD_EEES6_PiJS6_EEE10hipError_tPvRmT3_T4_T5_T6_T7_T9_mT8_P12ihipStream_tbDpT10_ENKUlT_T0_E_clISt17integral_constantIbLb0EES1E_IbLb1EEEEDaS1A_S1B_EUlS1A_E_NS1_11comp_targetILNS1_3genE2ELNS1_11target_archE906ELNS1_3gpuE6ELNS1_3repE0EEENS1_30default_config_static_selectorELNS0_4arch9wavefront6targetE0EEEvT1_: ; @_ZN7rocprim17ROCPRIM_400000_NS6detail17trampoline_kernelINS0_14default_configENS1_25partition_config_selectorILNS1_17partition_subalgoE5ElNS0_10empty_typeEbEEZZNS1_14partition_implILS5_5ELb0ES3_mN6hipcub16HIPCUB_304000_NS21CountingInputIteratorIllEEPS6_NSA_22TransformInputIteratorIbN2at6native12_GLOBAL__N_19NonZeroOpIN3c107complexINSJ_4HalfEEEEEPKSM_lEENS0_5tupleIJPlS6_EEENSR_IJSD_SD_EEES6_PiJS6_EEE10hipError_tPvRmT3_T4_T5_T6_T7_T9_mT8_P12ihipStream_tbDpT10_ENKUlT_T0_E_clISt17integral_constantIbLb0EES1E_IbLb1EEEEDaS1A_S1B_EUlS1A_E_NS1_11comp_targetILNS1_3genE2ELNS1_11target_archE906ELNS1_3gpuE6ELNS1_3repE0EEENS1_30default_config_static_selectorELNS0_4arch9wavefront6targetE0EEEvT1_
; %bb.0:
	.section	.rodata,"a",@progbits
	.p2align	6, 0x0
	.amdhsa_kernel _ZN7rocprim17ROCPRIM_400000_NS6detail17trampoline_kernelINS0_14default_configENS1_25partition_config_selectorILNS1_17partition_subalgoE5ElNS0_10empty_typeEbEEZZNS1_14partition_implILS5_5ELb0ES3_mN6hipcub16HIPCUB_304000_NS21CountingInputIteratorIllEEPS6_NSA_22TransformInputIteratorIbN2at6native12_GLOBAL__N_19NonZeroOpIN3c107complexINSJ_4HalfEEEEEPKSM_lEENS0_5tupleIJPlS6_EEENSR_IJSD_SD_EEES6_PiJS6_EEE10hipError_tPvRmT3_T4_T5_T6_T7_T9_mT8_P12ihipStream_tbDpT10_ENKUlT_T0_E_clISt17integral_constantIbLb0EES1E_IbLb1EEEEDaS1A_S1B_EUlS1A_E_NS1_11comp_targetILNS1_3genE2ELNS1_11target_archE906ELNS1_3gpuE6ELNS1_3repE0EEENS1_30default_config_static_selectorELNS0_4arch9wavefront6targetE0EEEvT1_
		.amdhsa_group_segment_fixed_size 0
		.amdhsa_private_segment_fixed_size 0
		.amdhsa_kernarg_size 136
		.amdhsa_user_sgpr_count 15
		.amdhsa_user_sgpr_dispatch_ptr 0
		.amdhsa_user_sgpr_queue_ptr 0
		.amdhsa_user_sgpr_kernarg_segment_ptr 1
		.amdhsa_user_sgpr_dispatch_id 0
		.amdhsa_user_sgpr_private_segment_size 0
		.amdhsa_wavefront_size32 1
		.amdhsa_uses_dynamic_stack 0
		.amdhsa_enable_private_segment 0
		.amdhsa_system_sgpr_workgroup_id_x 1
		.amdhsa_system_sgpr_workgroup_id_y 0
		.amdhsa_system_sgpr_workgroup_id_z 0
		.amdhsa_system_sgpr_workgroup_info 0
		.amdhsa_system_vgpr_workitem_id 0
		.amdhsa_next_free_vgpr 1
		.amdhsa_next_free_sgpr 1
		.amdhsa_reserve_vcc 0
		.amdhsa_float_round_mode_32 0
		.amdhsa_float_round_mode_16_64 0
		.amdhsa_float_denorm_mode_32 3
		.amdhsa_float_denorm_mode_16_64 3
		.amdhsa_dx10_clamp 1
		.amdhsa_ieee_mode 1
		.amdhsa_fp16_overflow 0
		.amdhsa_workgroup_processor_mode 1
		.amdhsa_memory_ordered 1
		.amdhsa_forward_progress 0
		.amdhsa_shared_vgpr_count 0
		.amdhsa_exception_fp_ieee_invalid_op 0
		.amdhsa_exception_fp_denorm_src 0
		.amdhsa_exception_fp_ieee_div_zero 0
		.amdhsa_exception_fp_ieee_overflow 0
		.amdhsa_exception_fp_ieee_underflow 0
		.amdhsa_exception_fp_ieee_inexact 0
		.amdhsa_exception_int_div_zero 0
	.end_amdhsa_kernel
	.section	.text._ZN7rocprim17ROCPRIM_400000_NS6detail17trampoline_kernelINS0_14default_configENS1_25partition_config_selectorILNS1_17partition_subalgoE5ElNS0_10empty_typeEbEEZZNS1_14partition_implILS5_5ELb0ES3_mN6hipcub16HIPCUB_304000_NS21CountingInputIteratorIllEEPS6_NSA_22TransformInputIteratorIbN2at6native12_GLOBAL__N_19NonZeroOpIN3c107complexINSJ_4HalfEEEEEPKSM_lEENS0_5tupleIJPlS6_EEENSR_IJSD_SD_EEES6_PiJS6_EEE10hipError_tPvRmT3_T4_T5_T6_T7_T9_mT8_P12ihipStream_tbDpT10_ENKUlT_T0_E_clISt17integral_constantIbLb0EES1E_IbLb1EEEEDaS1A_S1B_EUlS1A_E_NS1_11comp_targetILNS1_3genE2ELNS1_11target_archE906ELNS1_3gpuE6ELNS1_3repE0EEENS1_30default_config_static_selectorELNS0_4arch9wavefront6targetE0EEEvT1_,"axG",@progbits,_ZN7rocprim17ROCPRIM_400000_NS6detail17trampoline_kernelINS0_14default_configENS1_25partition_config_selectorILNS1_17partition_subalgoE5ElNS0_10empty_typeEbEEZZNS1_14partition_implILS5_5ELb0ES3_mN6hipcub16HIPCUB_304000_NS21CountingInputIteratorIllEEPS6_NSA_22TransformInputIteratorIbN2at6native12_GLOBAL__N_19NonZeroOpIN3c107complexINSJ_4HalfEEEEEPKSM_lEENS0_5tupleIJPlS6_EEENSR_IJSD_SD_EEES6_PiJS6_EEE10hipError_tPvRmT3_T4_T5_T6_T7_T9_mT8_P12ihipStream_tbDpT10_ENKUlT_T0_E_clISt17integral_constantIbLb0EES1E_IbLb1EEEEDaS1A_S1B_EUlS1A_E_NS1_11comp_targetILNS1_3genE2ELNS1_11target_archE906ELNS1_3gpuE6ELNS1_3repE0EEENS1_30default_config_static_selectorELNS0_4arch9wavefront6targetE0EEEvT1_,comdat
.Lfunc_end690:
	.size	_ZN7rocprim17ROCPRIM_400000_NS6detail17trampoline_kernelINS0_14default_configENS1_25partition_config_selectorILNS1_17partition_subalgoE5ElNS0_10empty_typeEbEEZZNS1_14partition_implILS5_5ELb0ES3_mN6hipcub16HIPCUB_304000_NS21CountingInputIteratorIllEEPS6_NSA_22TransformInputIteratorIbN2at6native12_GLOBAL__N_19NonZeroOpIN3c107complexINSJ_4HalfEEEEEPKSM_lEENS0_5tupleIJPlS6_EEENSR_IJSD_SD_EEES6_PiJS6_EEE10hipError_tPvRmT3_T4_T5_T6_T7_T9_mT8_P12ihipStream_tbDpT10_ENKUlT_T0_E_clISt17integral_constantIbLb0EES1E_IbLb1EEEEDaS1A_S1B_EUlS1A_E_NS1_11comp_targetILNS1_3genE2ELNS1_11target_archE906ELNS1_3gpuE6ELNS1_3repE0EEENS1_30default_config_static_selectorELNS0_4arch9wavefront6targetE0EEEvT1_, .Lfunc_end690-_ZN7rocprim17ROCPRIM_400000_NS6detail17trampoline_kernelINS0_14default_configENS1_25partition_config_selectorILNS1_17partition_subalgoE5ElNS0_10empty_typeEbEEZZNS1_14partition_implILS5_5ELb0ES3_mN6hipcub16HIPCUB_304000_NS21CountingInputIteratorIllEEPS6_NSA_22TransformInputIteratorIbN2at6native12_GLOBAL__N_19NonZeroOpIN3c107complexINSJ_4HalfEEEEEPKSM_lEENS0_5tupleIJPlS6_EEENSR_IJSD_SD_EEES6_PiJS6_EEE10hipError_tPvRmT3_T4_T5_T6_T7_T9_mT8_P12ihipStream_tbDpT10_ENKUlT_T0_E_clISt17integral_constantIbLb0EES1E_IbLb1EEEEDaS1A_S1B_EUlS1A_E_NS1_11comp_targetILNS1_3genE2ELNS1_11target_archE906ELNS1_3gpuE6ELNS1_3repE0EEENS1_30default_config_static_selectorELNS0_4arch9wavefront6targetE0EEEvT1_
                                        ; -- End function
	.section	.AMDGPU.csdata,"",@progbits
; Kernel info:
; codeLenInByte = 0
; NumSgprs: 0
; NumVgprs: 0
; ScratchSize: 0
; MemoryBound: 0
; FloatMode: 240
; IeeeMode: 1
; LDSByteSize: 0 bytes/workgroup (compile time only)
; SGPRBlocks: 0
; VGPRBlocks: 0
; NumSGPRsForWavesPerEU: 1
; NumVGPRsForWavesPerEU: 1
; Occupancy: 16
; WaveLimiterHint : 0
; COMPUTE_PGM_RSRC2:SCRATCH_EN: 0
; COMPUTE_PGM_RSRC2:USER_SGPR: 15
; COMPUTE_PGM_RSRC2:TRAP_HANDLER: 0
; COMPUTE_PGM_RSRC2:TGID_X_EN: 1
; COMPUTE_PGM_RSRC2:TGID_Y_EN: 0
; COMPUTE_PGM_RSRC2:TGID_Z_EN: 0
; COMPUTE_PGM_RSRC2:TIDIG_COMP_CNT: 0
	.section	.text._ZN7rocprim17ROCPRIM_400000_NS6detail17trampoline_kernelINS0_14default_configENS1_25partition_config_selectorILNS1_17partition_subalgoE5ElNS0_10empty_typeEbEEZZNS1_14partition_implILS5_5ELb0ES3_mN6hipcub16HIPCUB_304000_NS21CountingInputIteratorIllEEPS6_NSA_22TransformInputIteratorIbN2at6native12_GLOBAL__N_19NonZeroOpIN3c107complexINSJ_4HalfEEEEEPKSM_lEENS0_5tupleIJPlS6_EEENSR_IJSD_SD_EEES6_PiJS6_EEE10hipError_tPvRmT3_T4_T5_T6_T7_T9_mT8_P12ihipStream_tbDpT10_ENKUlT_T0_E_clISt17integral_constantIbLb0EES1E_IbLb1EEEEDaS1A_S1B_EUlS1A_E_NS1_11comp_targetILNS1_3genE10ELNS1_11target_archE1200ELNS1_3gpuE4ELNS1_3repE0EEENS1_30default_config_static_selectorELNS0_4arch9wavefront6targetE0EEEvT1_,"axG",@progbits,_ZN7rocprim17ROCPRIM_400000_NS6detail17trampoline_kernelINS0_14default_configENS1_25partition_config_selectorILNS1_17partition_subalgoE5ElNS0_10empty_typeEbEEZZNS1_14partition_implILS5_5ELb0ES3_mN6hipcub16HIPCUB_304000_NS21CountingInputIteratorIllEEPS6_NSA_22TransformInputIteratorIbN2at6native12_GLOBAL__N_19NonZeroOpIN3c107complexINSJ_4HalfEEEEEPKSM_lEENS0_5tupleIJPlS6_EEENSR_IJSD_SD_EEES6_PiJS6_EEE10hipError_tPvRmT3_T4_T5_T6_T7_T9_mT8_P12ihipStream_tbDpT10_ENKUlT_T0_E_clISt17integral_constantIbLb0EES1E_IbLb1EEEEDaS1A_S1B_EUlS1A_E_NS1_11comp_targetILNS1_3genE10ELNS1_11target_archE1200ELNS1_3gpuE4ELNS1_3repE0EEENS1_30default_config_static_selectorELNS0_4arch9wavefront6targetE0EEEvT1_,comdat
	.globl	_ZN7rocprim17ROCPRIM_400000_NS6detail17trampoline_kernelINS0_14default_configENS1_25partition_config_selectorILNS1_17partition_subalgoE5ElNS0_10empty_typeEbEEZZNS1_14partition_implILS5_5ELb0ES3_mN6hipcub16HIPCUB_304000_NS21CountingInputIteratorIllEEPS6_NSA_22TransformInputIteratorIbN2at6native12_GLOBAL__N_19NonZeroOpIN3c107complexINSJ_4HalfEEEEEPKSM_lEENS0_5tupleIJPlS6_EEENSR_IJSD_SD_EEES6_PiJS6_EEE10hipError_tPvRmT3_T4_T5_T6_T7_T9_mT8_P12ihipStream_tbDpT10_ENKUlT_T0_E_clISt17integral_constantIbLb0EES1E_IbLb1EEEEDaS1A_S1B_EUlS1A_E_NS1_11comp_targetILNS1_3genE10ELNS1_11target_archE1200ELNS1_3gpuE4ELNS1_3repE0EEENS1_30default_config_static_selectorELNS0_4arch9wavefront6targetE0EEEvT1_ ; -- Begin function _ZN7rocprim17ROCPRIM_400000_NS6detail17trampoline_kernelINS0_14default_configENS1_25partition_config_selectorILNS1_17partition_subalgoE5ElNS0_10empty_typeEbEEZZNS1_14partition_implILS5_5ELb0ES3_mN6hipcub16HIPCUB_304000_NS21CountingInputIteratorIllEEPS6_NSA_22TransformInputIteratorIbN2at6native12_GLOBAL__N_19NonZeroOpIN3c107complexINSJ_4HalfEEEEEPKSM_lEENS0_5tupleIJPlS6_EEENSR_IJSD_SD_EEES6_PiJS6_EEE10hipError_tPvRmT3_T4_T5_T6_T7_T9_mT8_P12ihipStream_tbDpT10_ENKUlT_T0_E_clISt17integral_constantIbLb0EES1E_IbLb1EEEEDaS1A_S1B_EUlS1A_E_NS1_11comp_targetILNS1_3genE10ELNS1_11target_archE1200ELNS1_3gpuE4ELNS1_3repE0EEENS1_30default_config_static_selectorELNS0_4arch9wavefront6targetE0EEEvT1_
	.p2align	8
	.type	_ZN7rocprim17ROCPRIM_400000_NS6detail17trampoline_kernelINS0_14default_configENS1_25partition_config_selectorILNS1_17partition_subalgoE5ElNS0_10empty_typeEbEEZZNS1_14partition_implILS5_5ELb0ES3_mN6hipcub16HIPCUB_304000_NS21CountingInputIteratorIllEEPS6_NSA_22TransformInputIteratorIbN2at6native12_GLOBAL__N_19NonZeroOpIN3c107complexINSJ_4HalfEEEEEPKSM_lEENS0_5tupleIJPlS6_EEENSR_IJSD_SD_EEES6_PiJS6_EEE10hipError_tPvRmT3_T4_T5_T6_T7_T9_mT8_P12ihipStream_tbDpT10_ENKUlT_T0_E_clISt17integral_constantIbLb0EES1E_IbLb1EEEEDaS1A_S1B_EUlS1A_E_NS1_11comp_targetILNS1_3genE10ELNS1_11target_archE1200ELNS1_3gpuE4ELNS1_3repE0EEENS1_30default_config_static_selectorELNS0_4arch9wavefront6targetE0EEEvT1_,@function
_ZN7rocprim17ROCPRIM_400000_NS6detail17trampoline_kernelINS0_14default_configENS1_25partition_config_selectorILNS1_17partition_subalgoE5ElNS0_10empty_typeEbEEZZNS1_14partition_implILS5_5ELb0ES3_mN6hipcub16HIPCUB_304000_NS21CountingInputIteratorIllEEPS6_NSA_22TransformInputIteratorIbN2at6native12_GLOBAL__N_19NonZeroOpIN3c107complexINSJ_4HalfEEEEEPKSM_lEENS0_5tupleIJPlS6_EEENSR_IJSD_SD_EEES6_PiJS6_EEE10hipError_tPvRmT3_T4_T5_T6_T7_T9_mT8_P12ihipStream_tbDpT10_ENKUlT_T0_E_clISt17integral_constantIbLb0EES1E_IbLb1EEEEDaS1A_S1B_EUlS1A_E_NS1_11comp_targetILNS1_3genE10ELNS1_11target_archE1200ELNS1_3gpuE4ELNS1_3repE0EEENS1_30default_config_static_selectorELNS0_4arch9wavefront6targetE0EEEvT1_: ; @_ZN7rocprim17ROCPRIM_400000_NS6detail17trampoline_kernelINS0_14default_configENS1_25partition_config_selectorILNS1_17partition_subalgoE5ElNS0_10empty_typeEbEEZZNS1_14partition_implILS5_5ELb0ES3_mN6hipcub16HIPCUB_304000_NS21CountingInputIteratorIllEEPS6_NSA_22TransformInputIteratorIbN2at6native12_GLOBAL__N_19NonZeroOpIN3c107complexINSJ_4HalfEEEEEPKSM_lEENS0_5tupleIJPlS6_EEENSR_IJSD_SD_EEES6_PiJS6_EEE10hipError_tPvRmT3_T4_T5_T6_T7_T9_mT8_P12ihipStream_tbDpT10_ENKUlT_T0_E_clISt17integral_constantIbLb0EES1E_IbLb1EEEEDaS1A_S1B_EUlS1A_E_NS1_11comp_targetILNS1_3genE10ELNS1_11target_archE1200ELNS1_3gpuE4ELNS1_3repE0EEENS1_30default_config_static_selectorELNS0_4arch9wavefront6targetE0EEEvT1_
; %bb.0:
	.section	.rodata,"a",@progbits
	.p2align	6, 0x0
	.amdhsa_kernel _ZN7rocprim17ROCPRIM_400000_NS6detail17trampoline_kernelINS0_14default_configENS1_25partition_config_selectorILNS1_17partition_subalgoE5ElNS0_10empty_typeEbEEZZNS1_14partition_implILS5_5ELb0ES3_mN6hipcub16HIPCUB_304000_NS21CountingInputIteratorIllEEPS6_NSA_22TransformInputIteratorIbN2at6native12_GLOBAL__N_19NonZeroOpIN3c107complexINSJ_4HalfEEEEEPKSM_lEENS0_5tupleIJPlS6_EEENSR_IJSD_SD_EEES6_PiJS6_EEE10hipError_tPvRmT3_T4_T5_T6_T7_T9_mT8_P12ihipStream_tbDpT10_ENKUlT_T0_E_clISt17integral_constantIbLb0EES1E_IbLb1EEEEDaS1A_S1B_EUlS1A_E_NS1_11comp_targetILNS1_3genE10ELNS1_11target_archE1200ELNS1_3gpuE4ELNS1_3repE0EEENS1_30default_config_static_selectorELNS0_4arch9wavefront6targetE0EEEvT1_
		.amdhsa_group_segment_fixed_size 0
		.amdhsa_private_segment_fixed_size 0
		.amdhsa_kernarg_size 136
		.amdhsa_user_sgpr_count 15
		.amdhsa_user_sgpr_dispatch_ptr 0
		.amdhsa_user_sgpr_queue_ptr 0
		.amdhsa_user_sgpr_kernarg_segment_ptr 1
		.amdhsa_user_sgpr_dispatch_id 0
		.amdhsa_user_sgpr_private_segment_size 0
		.amdhsa_wavefront_size32 1
		.amdhsa_uses_dynamic_stack 0
		.amdhsa_enable_private_segment 0
		.amdhsa_system_sgpr_workgroup_id_x 1
		.amdhsa_system_sgpr_workgroup_id_y 0
		.amdhsa_system_sgpr_workgroup_id_z 0
		.amdhsa_system_sgpr_workgroup_info 0
		.amdhsa_system_vgpr_workitem_id 0
		.amdhsa_next_free_vgpr 1
		.amdhsa_next_free_sgpr 1
		.amdhsa_reserve_vcc 0
		.amdhsa_float_round_mode_32 0
		.amdhsa_float_round_mode_16_64 0
		.amdhsa_float_denorm_mode_32 3
		.amdhsa_float_denorm_mode_16_64 3
		.amdhsa_dx10_clamp 1
		.amdhsa_ieee_mode 1
		.amdhsa_fp16_overflow 0
		.amdhsa_workgroup_processor_mode 1
		.amdhsa_memory_ordered 1
		.amdhsa_forward_progress 0
		.amdhsa_shared_vgpr_count 0
		.amdhsa_exception_fp_ieee_invalid_op 0
		.amdhsa_exception_fp_denorm_src 0
		.amdhsa_exception_fp_ieee_div_zero 0
		.amdhsa_exception_fp_ieee_overflow 0
		.amdhsa_exception_fp_ieee_underflow 0
		.amdhsa_exception_fp_ieee_inexact 0
		.amdhsa_exception_int_div_zero 0
	.end_amdhsa_kernel
	.section	.text._ZN7rocprim17ROCPRIM_400000_NS6detail17trampoline_kernelINS0_14default_configENS1_25partition_config_selectorILNS1_17partition_subalgoE5ElNS0_10empty_typeEbEEZZNS1_14partition_implILS5_5ELb0ES3_mN6hipcub16HIPCUB_304000_NS21CountingInputIteratorIllEEPS6_NSA_22TransformInputIteratorIbN2at6native12_GLOBAL__N_19NonZeroOpIN3c107complexINSJ_4HalfEEEEEPKSM_lEENS0_5tupleIJPlS6_EEENSR_IJSD_SD_EEES6_PiJS6_EEE10hipError_tPvRmT3_T4_T5_T6_T7_T9_mT8_P12ihipStream_tbDpT10_ENKUlT_T0_E_clISt17integral_constantIbLb0EES1E_IbLb1EEEEDaS1A_S1B_EUlS1A_E_NS1_11comp_targetILNS1_3genE10ELNS1_11target_archE1200ELNS1_3gpuE4ELNS1_3repE0EEENS1_30default_config_static_selectorELNS0_4arch9wavefront6targetE0EEEvT1_,"axG",@progbits,_ZN7rocprim17ROCPRIM_400000_NS6detail17trampoline_kernelINS0_14default_configENS1_25partition_config_selectorILNS1_17partition_subalgoE5ElNS0_10empty_typeEbEEZZNS1_14partition_implILS5_5ELb0ES3_mN6hipcub16HIPCUB_304000_NS21CountingInputIteratorIllEEPS6_NSA_22TransformInputIteratorIbN2at6native12_GLOBAL__N_19NonZeroOpIN3c107complexINSJ_4HalfEEEEEPKSM_lEENS0_5tupleIJPlS6_EEENSR_IJSD_SD_EEES6_PiJS6_EEE10hipError_tPvRmT3_T4_T5_T6_T7_T9_mT8_P12ihipStream_tbDpT10_ENKUlT_T0_E_clISt17integral_constantIbLb0EES1E_IbLb1EEEEDaS1A_S1B_EUlS1A_E_NS1_11comp_targetILNS1_3genE10ELNS1_11target_archE1200ELNS1_3gpuE4ELNS1_3repE0EEENS1_30default_config_static_selectorELNS0_4arch9wavefront6targetE0EEEvT1_,comdat
.Lfunc_end691:
	.size	_ZN7rocprim17ROCPRIM_400000_NS6detail17trampoline_kernelINS0_14default_configENS1_25partition_config_selectorILNS1_17partition_subalgoE5ElNS0_10empty_typeEbEEZZNS1_14partition_implILS5_5ELb0ES3_mN6hipcub16HIPCUB_304000_NS21CountingInputIteratorIllEEPS6_NSA_22TransformInputIteratorIbN2at6native12_GLOBAL__N_19NonZeroOpIN3c107complexINSJ_4HalfEEEEEPKSM_lEENS0_5tupleIJPlS6_EEENSR_IJSD_SD_EEES6_PiJS6_EEE10hipError_tPvRmT3_T4_T5_T6_T7_T9_mT8_P12ihipStream_tbDpT10_ENKUlT_T0_E_clISt17integral_constantIbLb0EES1E_IbLb1EEEEDaS1A_S1B_EUlS1A_E_NS1_11comp_targetILNS1_3genE10ELNS1_11target_archE1200ELNS1_3gpuE4ELNS1_3repE0EEENS1_30default_config_static_selectorELNS0_4arch9wavefront6targetE0EEEvT1_, .Lfunc_end691-_ZN7rocprim17ROCPRIM_400000_NS6detail17trampoline_kernelINS0_14default_configENS1_25partition_config_selectorILNS1_17partition_subalgoE5ElNS0_10empty_typeEbEEZZNS1_14partition_implILS5_5ELb0ES3_mN6hipcub16HIPCUB_304000_NS21CountingInputIteratorIllEEPS6_NSA_22TransformInputIteratorIbN2at6native12_GLOBAL__N_19NonZeroOpIN3c107complexINSJ_4HalfEEEEEPKSM_lEENS0_5tupleIJPlS6_EEENSR_IJSD_SD_EEES6_PiJS6_EEE10hipError_tPvRmT3_T4_T5_T6_T7_T9_mT8_P12ihipStream_tbDpT10_ENKUlT_T0_E_clISt17integral_constantIbLb0EES1E_IbLb1EEEEDaS1A_S1B_EUlS1A_E_NS1_11comp_targetILNS1_3genE10ELNS1_11target_archE1200ELNS1_3gpuE4ELNS1_3repE0EEENS1_30default_config_static_selectorELNS0_4arch9wavefront6targetE0EEEvT1_
                                        ; -- End function
	.section	.AMDGPU.csdata,"",@progbits
; Kernel info:
; codeLenInByte = 0
; NumSgprs: 0
; NumVgprs: 0
; ScratchSize: 0
; MemoryBound: 0
; FloatMode: 240
; IeeeMode: 1
; LDSByteSize: 0 bytes/workgroup (compile time only)
; SGPRBlocks: 0
; VGPRBlocks: 0
; NumSGPRsForWavesPerEU: 1
; NumVGPRsForWavesPerEU: 1
; Occupancy: 16
; WaveLimiterHint : 0
; COMPUTE_PGM_RSRC2:SCRATCH_EN: 0
; COMPUTE_PGM_RSRC2:USER_SGPR: 15
; COMPUTE_PGM_RSRC2:TRAP_HANDLER: 0
; COMPUTE_PGM_RSRC2:TGID_X_EN: 1
; COMPUTE_PGM_RSRC2:TGID_Y_EN: 0
; COMPUTE_PGM_RSRC2:TGID_Z_EN: 0
; COMPUTE_PGM_RSRC2:TIDIG_COMP_CNT: 0
	.section	.text._ZN7rocprim17ROCPRIM_400000_NS6detail17trampoline_kernelINS0_14default_configENS1_25partition_config_selectorILNS1_17partition_subalgoE5ElNS0_10empty_typeEbEEZZNS1_14partition_implILS5_5ELb0ES3_mN6hipcub16HIPCUB_304000_NS21CountingInputIteratorIllEEPS6_NSA_22TransformInputIteratorIbN2at6native12_GLOBAL__N_19NonZeroOpIN3c107complexINSJ_4HalfEEEEEPKSM_lEENS0_5tupleIJPlS6_EEENSR_IJSD_SD_EEES6_PiJS6_EEE10hipError_tPvRmT3_T4_T5_T6_T7_T9_mT8_P12ihipStream_tbDpT10_ENKUlT_T0_E_clISt17integral_constantIbLb0EES1E_IbLb1EEEEDaS1A_S1B_EUlS1A_E_NS1_11comp_targetILNS1_3genE9ELNS1_11target_archE1100ELNS1_3gpuE3ELNS1_3repE0EEENS1_30default_config_static_selectorELNS0_4arch9wavefront6targetE0EEEvT1_,"axG",@progbits,_ZN7rocprim17ROCPRIM_400000_NS6detail17trampoline_kernelINS0_14default_configENS1_25partition_config_selectorILNS1_17partition_subalgoE5ElNS0_10empty_typeEbEEZZNS1_14partition_implILS5_5ELb0ES3_mN6hipcub16HIPCUB_304000_NS21CountingInputIteratorIllEEPS6_NSA_22TransformInputIteratorIbN2at6native12_GLOBAL__N_19NonZeroOpIN3c107complexINSJ_4HalfEEEEEPKSM_lEENS0_5tupleIJPlS6_EEENSR_IJSD_SD_EEES6_PiJS6_EEE10hipError_tPvRmT3_T4_T5_T6_T7_T9_mT8_P12ihipStream_tbDpT10_ENKUlT_T0_E_clISt17integral_constantIbLb0EES1E_IbLb1EEEEDaS1A_S1B_EUlS1A_E_NS1_11comp_targetILNS1_3genE9ELNS1_11target_archE1100ELNS1_3gpuE3ELNS1_3repE0EEENS1_30default_config_static_selectorELNS0_4arch9wavefront6targetE0EEEvT1_,comdat
	.globl	_ZN7rocprim17ROCPRIM_400000_NS6detail17trampoline_kernelINS0_14default_configENS1_25partition_config_selectorILNS1_17partition_subalgoE5ElNS0_10empty_typeEbEEZZNS1_14partition_implILS5_5ELb0ES3_mN6hipcub16HIPCUB_304000_NS21CountingInputIteratorIllEEPS6_NSA_22TransformInputIteratorIbN2at6native12_GLOBAL__N_19NonZeroOpIN3c107complexINSJ_4HalfEEEEEPKSM_lEENS0_5tupleIJPlS6_EEENSR_IJSD_SD_EEES6_PiJS6_EEE10hipError_tPvRmT3_T4_T5_T6_T7_T9_mT8_P12ihipStream_tbDpT10_ENKUlT_T0_E_clISt17integral_constantIbLb0EES1E_IbLb1EEEEDaS1A_S1B_EUlS1A_E_NS1_11comp_targetILNS1_3genE9ELNS1_11target_archE1100ELNS1_3gpuE3ELNS1_3repE0EEENS1_30default_config_static_selectorELNS0_4arch9wavefront6targetE0EEEvT1_ ; -- Begin function _ZN7rocprim17ROCPRIM_400000_NS6detail17trampoline_kernelINS0_14default_configENS1_25partition_config_selectorILNS1_17partition_subalgoE5ElNS0_10empty_typeEbEEZZNS1_14partition_implILS5_5ELb0ES3_mN6hipcub16HIPCUB_304000_NS21CountingInputIteratorIllEEPS6_NSA_22TransformInputIteratorIbN2at6native12_GLOBAL__N_19NonZeroOpIN3c107complexINSJ_4HalfEEEEEPKSM_lEENS0_5tupleIJPlS6_EEENSR_IJSD_SD_EEES6_PiJS6_EEE10hipError_tPvRmT3_T4_T5_T6_T7_T9_mT8_P12ihipStream_tbDpT10_ENKUlT_T0_E_clISt17integral_constantIbLb0EES1E_IbLb1EEEEDaS1A_S1B_EUlS1A_E_NS1_11comp_targetILNS1_3genE9ELNS1_11target_archE1100ELNS1_3gpuE3ELNS1_3repE0EEENS1_30default_config_static_selectorELNS0_4arch9wavefront6targetE0EEEvT1_
	.p2align	8
	.type	_ZN7rocprim17ROCPRIM_400000_NS6detail17trampoline_kernelINS0_14default_configENS1_25partition_config_selectorILNS1_17partition_subalgoE5ElNS0_10empty_typeEbEEZZNS1_14partition_implILS5_5ELb0ES3_mN6hipcub16HIPCUB_304000_NS21CountingInputIteratorIllEEPS6_NSA_22TransformInputIteratorIbN2at6native12_GLOBAL__N_19NonZeroOpIN3c107complexINSJ_4HalfEEEEEPKSM_lEENS0_5tupleIJPlS6_EEENSR_IJSD_SD_EEES6_PiJS6_EEE10hipError_tPvRmT3_T4_T5_T6_T7_T9_mT8_P12ihipStream_tbDpT10_ENKUlT_T0_E_clISt17integral_constantIbLb0EES1E_IbLb1EEEEDaS1A_S1B_EUlS1A_E_NS1_11comp_targetILNS1_3genE9ELNS1_11target_archE1100ELNS1_3gpuE3ELNS1_3repE0EEENS1_30default_config_static_selectorELNS0_4arch9wavefront6targetE0EEEvT1_,@function
_ZN7rocprim17ROCPRIM_400000_NS6detail17trampoline_kernelINS0_14default_configENS1_25partition_config_selectorILNS1_17partition_subalgoE5ElNS0_10empty_typeEbEEZZNS1_14partition_implILS5_5ELb0ES3_mN6hipcub16HIPCUB_304000_NS21CountingInputIteratorIllEEPS6_NSA_22TransformInputIteratorIbN2at6native12_GLOBAL__N_19NonZeroOpIN3c107complexINSJ_4HalfEEEEEPKSM_lEENS0_5tupleIJPlS6_EEENSR_IJSD_SD_EEES6_PiJS6_EEE10hipError_tPvRmT3_T4_T5_T6_T7_T9_mT8_P12ihipStream_tbDpT10_ENKUlT_T0_E_clISt17integral_constantIbLb0EES1E_IbLb1EEEEDaS1A_S1B_EUlS1A_E_NS1_11comp_targetILNS1_3genE9ELNS1_11target_archE1100ELNS1_3gpuE3ELNS1_3repE0EEENS1_30default_config_static_selectorELNS0_4arch9wavefront6targetE0EEEvT1_: ; @_ZN7rocprim17ROCPRIM_400000_NS6detail17trampoline_kernelINS0_14default_configENS1_25partition_config_selectorILNS1_17partition_subalgoE5ElNS0_10empty_typeEbEEZZNS1_14partition_implILS5_5ELb0ES3_mN6hipcub16HIPCUB_304000_NS21CountingInputIteratorIllEEPS6_NSA_22TransformInputIteratorIbN2at6native12_GLOBAL__N_19NonZeroOpIN3c107complexINSJ_4HalfEEEEEPKSM_lEENS0_5tupleIJPlS6_EEENSR_IJSD_SD_EEES6_PiJS6_EEE10hipError_tPvRmT3_T4_T5_T6_T7_T9_mT8_P12ihipStream_tbDpT10_ENKUlT_T0_E_clISt17integral_constantIbLb0EES1E_IbLb1EEEEDaS1A_S1B_EUlS1A_E_NS1_11comp_targetILNS1_3genE9ELNS1_11target_archE1100ELNS1_3gpuE3ELNS1_3repE0EEENS1_30default_config_static_selectorELNS0_4arch9wavefront6targetE0EEEvT1_
; %bb.0:
	s_clause 0x4
	s_load_b64 s[18:19], s[0:1], 0x20
	s_load_b64 s[12:13], s[0:1], 0x30
	;; [unrolled: 1-line block ×3, first 2 shown]
	s_load_b128 s[4:7], s[0:1], 0x48
	s_load_b64 s[14:15], s[0:1], 0x68
	v_cmp_eq_u32_e64 s2, 0, v0
	s_delay_alu instid0(VALU_DEP_1)
	s_and_saveexec_b32 s3, s2
	s_cbranch_execz .LBB692_4
; %bb.1:
	s_mov_b32 s9, exec_lo
	s_mov_b32 s8, exec_lo
	v_mbcnt_lo_u32_b32 v1, s9, 0
                                        ; implicit-def: $vgpr2
	s_delay_alu instid0(VALU_DEP_1)
	v_cmpx_eq_u32_e32 0, v1
	s_cbranch_execz .LBB692_3
; %bb.2:
	s_load_b64 s[10:11], s[0:1], 0x78
	s_bcnt1_i32_b32 s9, s9
	s_delay_alu instid0(SALU_CYCLE_1)
	v_dual_mov_b32 v2, 0 :: v_dual_mov_b32 v3, s9
	s_waitcnt lgkmcnt(0)
	global_atomic_add_u32 v2, v2, v3, s[10:11] glc
.LBB692_3:
	s_or_b32 exec_lo, exec_lo, s8
	s_waitcnt vmcnt(0)
	v_readfirstlane_b32 s8, v2
	s_delay_alu instid0(VALU_DEP_1)
	v_dual_mov_b32 v2, 0 :: v_dual_add_nc_u32 v1, s8, v1
	ds_store_b32 v2, v1
.LBB692_4:
	s_or_b32 exec_lo, exec_lo, s3
	v_mov_b32_e32 v1, 0
	s_clause 0x1
	s_load_b128 s[8:11], s[0:1], 0x8
	s_load_b32 s0, s[0:1], 0x70
	s_waitcnt lgkmcnt(0)
	s_barrier
	buffer_gl0_inv
	ds_load_b32 v3, v1
	s_waitcnt lgkmcnt(0)
	s_barrier
	buffer_gl0_inv
	global_load_b64 v[1:2], v1, s[6:7]
	s_add_u32 s21, s10, s8
	s_mul_i32 s20, s0, 0x300
	s_addc_u32 s22, s11, s9
	s_add_i32 s3, s0, -1
	s_add_u32 s0, s10, s20
	v_readfirstlane_b32 s9, v3
	s_addc_u32 s1, s11, 0
	s_delay_alu instid0(SALU_CYCLE_1) | instskip(SKIP_1) | instid1(VALU_DEP_2)
	v_cmp_ge_u64_e64 s0, s[0:1], s[16:17]
	s_mov_b32 s17, -1
	s_cmp_eq_u32 s9, s3
	s_cselect_b32 s3, -1, 0
	s_delay_alu instid0(VALU_DEP_1) | instid1(SALU_CYCLE_1)
	s_and_b32 s1, s0, s3
	s_mul_i32 s0, s9, 0x300
	s_xor_b32 s8, s1, -1
	s_mov_b32 s1, 0
	s_and_b32 vcc_lo, exec_lo, s8
	s_waitcnt vmcnt(0)
	v_readfirstlane_b32 s6, v1
	v_readfirstlane_b32 s7, v2
	s_cbranch_vccz .LBB692_6
; %bb.5:
	s_add_u32 s17, s0, s21
	s_addc_u32 s23, 0, s22
	v_add_co_u32 v1, s17, s17, v0
	s_delay_alu instid0(VALU_DEP_1) | instskip(SKIP_1) | instid1(VALU_DEP_3)
	v_add_co_ci_u32_e64 v2, null, s23, 0, s17
	v_lshlrev_b32_e32 v13, 3, v0
	v_add_co_u32 v3, vcc_lo, 0x80, v1
	s_delay_alu instid0(VALU_DEP_3)
	v_add_co_ci_u32_e32 v4, vcc_lo, 0, v2, vcc_lo
	v_add_co_u32 v5, vcc_lo, 0x100, v1
	v_add_co_ci_u32_e32 v6, vcc_lo, 0, v2, vcc_lo
	v_add_co_u32 v7, vcc_lo, 0x180, v1
	;; [unrolled: 2-line block ×4, first 2 shown]
	v_add_co_ci_u32_e32 v12, vcc_lo, 0, v2, vcc_lo
	ds_store_2addr_stride64_b64 v13, v[1:2], v[3:4] offset1:2
	ds_store_2addr_stride64_b64 v13, v[5:6], v[7:8] offset0:4 offset1:6
	ds_store_2addr_stride64_b64 v13, v[9:10], v[11:12] offset0:8 offset1:10
	s_waitcnt lgkmcnt(0)
	s_mov_b32 s17, s1
	s_barrier
.LBB692_6:
	v_or_b32_e32 v17, 0x100, v0
	v_or_b32_e32 v16, 0x180, v0
	;; [unrolled: 1-line block ×4, first 2 shown]
	s_and_not1_b32 vcc_lo, exec_lo, s17
	s_cbranch_vccnz .LBB692_8
; %bb.7:
	v_or_b32_e32 v3, 0x80, v0
	s_add_u32 s17, s21, s0
	s_addc_u32 s21, s22, 0
	v_add_co_u32 v1, s22, s17, v0
	s_delay_alu instid0(VALU_DEP_1) | instskip(SKIP_1) | instid1(VALU_DEP_1)
	v_add_co_ci_u32_e64 v2, null, s21, 0, s22
	v_add_co_u32 v3, s22, s17, v3
	v_add_co_ci_u32_e64 v4, null, s21, 0, s22
	v_add_co_u32 v5, s22, s17, v17
	s_delay_alu instid0(VALU_DEP_1) | instskip(SKIP_1) | instid1(VALU_DEP_1)
	v_add_co_ci_u32_e64 v6, null, s21, 0, s22
	v_add_co_u32 v7, s22, s17, v16
	v_add_co_ci_u32_e64 v8, null, s21, 0, s22
	v_add_co_u32 v9, s22, s17, v14
	v_lshlrev_b32_e32 v15, 3, v0
	v_add_co_u32 v11, s17, s17, v13
	v_add_co_ci_u32_e64 v10, null, s21, 0, s22
	v_add_co_ci_u32_e64 v12, null, s21, 0, s17
	ds_store_2addr_stride64_b64 v15, v[1:2], v[3:4] offset1:2
	ds_store_2addr_stride64_b64 v15, v[5:6], v[7:8] offset0:4 offset1:6
	ds_store_2addr_stride64_b64 v15, v[9:10], v[11:12] offset0:8 offset1:10
	s_waitcnt lgkmcnt(0)
	s_barrier
.LBB692_8:
	v_mul_u32_u24_e32 v1, 6, v0
	buffer_gl0_inv
	s_lshl_b64 s[22:23], s[10:11], 2
	v_lshlrev_b32_e32 v18, 2, v0
	s_add_u32 s11, s18, s22
	v_lshlrev_b32_e32 v15, 3, v1
	s_addc_u32 s17, s19, s23
	s_lshl_b64 s[0:1], s[0:1], 2
	ds_load_b128 v[9:12], v15
	ds_load_b128 v[5:8], v15 offset:16
	ds_load_b128 v[1:4], v15 offset:32
	s_add_u32 s0, s11, s0
	s_addc_u32 s1, s17, s1
	s_and_b32 vcc_lo, exec_lo, s8
	s_mov_b32 s11, -1
	s_waitcnt lgkmcnt(0)
	s_barrier
	buffer_gl0_inv
	s_cbranch_vccz .LBB692_10
; %bb.9:
	s_clause 0x5
	global_load_b32 v19, v18, s[0:1]
	global_load_b32 v20, v18, s[0:1] offset:512
	global_load_b32 v21, v18, s[0:1] offset:1024
	;; [unrolled: 1-line block ×5, first 2 shown]
	s_mov_b32 s11, 0
	s_waitcnt vmcnt(5)
	v_lshrrev_b32_e32 v25, 16, v19
	s_waitcnt vmcnt(4)
	v_lshrrev_b32_e32 v26, 16, v20
	;; [unrolled: 2-line block ×5, first 2 shown]
	v_or_b32_e32 v19, v19, v25
	v_or_b32_e32 v20, v20, v26
	;; [unrolled: 1-line block ×4, first 2 shown]
	s_waitcnt vmcnt(0)
	v_lshrrev_b32_e32 v30, 16, v24
	v_and_b32_e32 v19, 0x7fff, v19
	v_and_b32_e32 v20, 0x7fff, v20
	;; [unrolled: 1-line block ×3, first 2 shown]
	v_or_b32_e32 v23, v23, v29
	v_and_b32_e32 v22, 0x7fff, v22
	v_cmp_ne_u16_e32 vcc_lo, 0, v19
	v_or_b32_e32 v24, v24, v30
	s_delay_alu instid0(VALU_DEP_4) | instskip(SKIP_2) | instid1(VALU_DEP_4)
	v_and_b32_e32 v23, 0x7fff, v23
	v_cndmask_b32_e64 v19, 0, 1, vcc_lo
	v_cmp_ne_u16_e32 vcc_lo, 0, v20
	v_and_b32_e32 v24, 0x7fff, v24
	v_cndmask_b32_e64 v20, 0, 1, vcc_lo
	v_cmp_ne_u16_e32 vcc_lo, 0, v21
	v_cndmask_b32_e64 v21, 0, 1, vcc_lo
	v_cmp_ne_u16_e32 vcc_lo, 0, v22
	;; [unrolled: 2-line block ×4, first 2 shown]
	v_cndmask_b32_e64 v24, 0, 1, vcc_lo
	ds_store_b8 v0, v19
	ds_store_b8 v0, v20 offset:128
	ds_store_b8 v0, v21 offset:256
	;; [unrolled: 1-line block ×5, first 2 shown]
	s_waitcnt lgkmcnt(0)
	s_barrier
.LBB692_10:
	s_and_not1_b32 vcc_lo, exec_lo, s11
	s_cbranch_vccnz .LBB692_24
; %bb.11:
	s_add_i32 s20, s20, s10
	v_dual_mov_b32 v19, 0 :: v_dual_mov_b32 v20, 0
	s_sub_i32 s10, s16, s20
	s_mov_b32 s11, exec_lo
	s_addk_i32 s10, 0x300
	s_delay_alu instid0(SALU_CYCLE_1)
	v_cmpx_gt_u32_e64 s10, v0
	s_cbranch_execz .LBB692_13
; %bb.12:
	global_load_b32 v20, v18, s[0:1]
	s_waitcnt vmcnt(0)
	v_lshrrev_b32_e32 v21, 16, v20
	s_delay_alu instid0(VALU_DEP_1) | instskip(NEXT) | instid1(VALU_DEP_1)
	v_or_b32_e32 v20, v20, v21
	v_and_b32_e32 v20, 0x7fff, v20
	s_delay_alu instid0(VALU_DEP_1)
	v_cmp_ne_u16_e32 vcc_lo, 0, v20
	v_cndmask_b32_e64 v20, 0, 1, vcc_lo
.LBB692_13:
	s_or_b32 exec_lo, exec_lo, s11
	v_or_b32_e32 v21, 0x80, v0
	s_mov_b32 s11, exec_lo
	s_delay_alu instid0(VALU_DEP_1)
	v_cmpx_gt_u32_e64 s10, v21
	s_cbranch_execz .LBB692_15
; %bb.14:
	global_load_b32 v19, v18, s[0:1] offset:512
	s_waitcnt vmcnt(0)
	v_lshrrev_b32_e32 v21, 16, v19
	s_delay_alu instid0(VALU_DEP_1) | instskip(NEXT) | instid1(VALU_DEP_1)
	v_or_b32_e32 v19, v19, v21
	v_and_b32_e32 v19, 0x7fff, v19
	s_delay_alu instid0(VALU_DEP_1)
	v_cmp_ne_u16_e32 vcc_lo, 0, v19
	v_cndmask_b32_e64 v19, 0, 1, vcc_lo
.LBB692_15:
	s_or_b32 exec_lo, exec_lo, s11
	v_cmp_gt_u32_e32 vcc_lo, s10, v17
	v_mov_b32_e32 v17, 0
	v_mov_b32_e32 v21, 0
	s_and_saveexec_b32 s11, vcc_lo
	s_cbranch_execz .LBB692_17
; %bb.16:
	global_load_b32 v21, v18, s[0:1] offset:1024
	s_waitcnt vmcnt(0)
	v_lshrrev_b32_e32 v22, 16, v21
	s_delay_alu instid0(VALU_DEP_1) | instskip(NEXT) | instid1(VALU_DEP_1)
	v_or_b32_e32 v21, v21, v22
	v_and_b32_e32 v21, 0x7fff, v21
	s_delay_alu instid0(VALU_DEP_1)
	v_cmp_ne_u16_e32 vcc_lo, 0, v21
	v_cndmask_b32_e64 v21, 0, 1, vcc_lo
.LBB692_17:
	s_or_b32 exec_lo, exec_lo, s11
	s_delay_alu instid0(SALU_CYCLE_1)
	s_mov_b32 s11, exec_lo
	v_cmpx_gt_u32_e64 s10, v16
	s_cbranch_execz .LBB692_19
; %bb.18:
	global_load_b32 v16, v18, s[0:1] offset:1536
	s_waitcnt vmcnt(0)
	v_lshrrev_b32_e32 v17, 16, v16
	s_delay_alu instid0(VALU_DEP_1) | instskip(NEXT) | instid1(VALU_DEP_1)
	v_or_b32_e32 v16, v16, v17
	v_and_b32_e32 v16, 0x7fff, v16
	s_delay_alu instid0(VALU_DEP_1)
	v_cmp_ne_u16_e32 vcc_lo, 0, v16
	v_cndmask_b32_e64 v17, 0, 1, vcc_lo
.LBB692_19:
	s_or_b32 exec_lo, exec_lo, s11
	v_cmp_gt_u32_e32 vcc_lo, s10, v14
	v_mov_b32_e32 v14, 0
	v_mov_b32_e32 v16, 0
	s_and_saveexec_b32 s11, vcc_lo
	s_cbranch_execz .LBB692_21
; %bb.20:
	global_load_b32 v16, v18, s[0:1] offset:2048
	s_waitcnt vmcnt(0)
	v_lshrrev_b32_e32 v22, 16, v16
	s_delay_alu instid0(VALU_DEP_1) | instskip(NEXT) | instid1(VALU_DEP_1)
	v_or_b32_e32 v16, v16, v22
	v_and_b32_e32 v16, 0x7fff, v16
	s_delay_alu instid0(VALU_DEP_1)
	v_cmp_ne_u16_e32 vcc_lo, 0, v16
	v_cndmask_b32_e64 v16, 0, 1, vcc_lo
.LBB692_21:
	s_or_b32 exec_lo, exec_lo, s11
	v_cmp_gt_u32_e32 vcc_lo, s10, v13
	s_and_saveexec_b32 s10, vcc_lo
	s_cbranch_execz .LBB692_23
; %bb.22:
	global_load_b32 v13, v18, s[0:1] offset:2560
	s_waitcnt vmcnt(0)
	v_lshrrev_b32_e32 v14, 16, v13
	s_delay_alu instid0(VALU_DEP_1) | instskip(NEXT) | instid1(VALU_DEP_1)
	v_or_b32_e32 v13, v13, v14
	v_and_b32_e32 v13, 0x7fff, v13
	s_delay_alu instid0(VALU_DEP_1)
	v_cmp_ne_u16_e32 vcc_lo, 0, v13
	v_cndmask_b32_e64 v14, 0, 1, vcc_lo
.LBB692_23:
	s_or_b32 exec_lo, exec_lo, s10
	ds_store_b8 v0, v20
	ds_store_b8 v0, v19 offset:128
	ds_store_b8 v0, v21 offset:256
	;; [unrolled: 1-line block ×5, first 2 shown]
	s_waitcnt lgkmcnt(0)
	s_barrier
.LBB692_24:
	v_mad_i32_i24 v43, 0xffffffd6, v0, v15
	buffer_gl0_inv
	v_mbcnt_lo_u32_b32 v42, -1, 0
	s_cmp_lg_u32 s9, 0
	s_mov_b32 s1, -1
	ds_load_u16 v36, v43
	ds_load_u16 v33, v43 offset:2
	ds_load_u16 v31, v43 offset:4
	v_mov_b32_e32 v14, 0
	v_and_b32_e32 v44, 15, v42
	s_waitcnt lgkmcnt(0)
	s_barrier
	buffer_gl0_inv
	v_and_b32_e32 v41, 0xff, v36
	v_lshrrev_b16 v34, 8, v36
	v_lshrrev_b16 v35, 8, v33
	v_and_b32_e32 v39, 0xff, v33
	v_lshrrev_b16 v32, 8, v31
	v_and_b32_e32 v37, 0xff, v31
	v_and_b32_e32 v40, 0xffff, v34
	;; [unrolled: 1-line block ×3, first 2 shown]
	s_delay_alu instid0(VALU_DEP_4) | instskip(NEXT) | instid1(VALU_DEP_3)
	v_and_b32_e32 v16, 0xffff, v32
	v_add_co_u32 v13, s0, v40, v41
	s_delay_alu instid0(VALU_DEP_1) | instskip(SKIP_1) | instid1(VALU_DEP_3)
	v_add_co_ci_u32_e64 v15, null, 0, 0, s0
	v_cmp_ne_u32_e64 s0, 0, v44
	v_add_co_u32 v13, vcc_lo, v13, v39
	s_delay_alu instid0(VALU_DEP_3) | instskip(NEXT) | instid1(VALU_DEP_2)
	v_add_co_ci_u32_e32 v15, vcc_lo, 0, v15, vcc_lo
	v_add_co_u32 v13, vcc_lo, v13, v38
	s_delay_alu instid0(VALU_DEP_2) | instskip(NEXT) | instid1(VALU_DEP_2)
	v_add_co_ci_u32_e32 v15, vcc_lo, 0, v15, vcc_lo
	v_add_co_u32 v13, vcc_lo, v13, v37
	s_delay_alu instid0(VALU_DEP_2) | instskip(NEXT) | instid1(VALU_DEP_2)
	v_add_co_ci_u32_e32 v15, vcc_lo, 0, v15, vcc_lo
	v_add_co_u32 v21, vcc_lo, v13, v16
	s_delay_alu instid0(VALU_DEP_2)
	v_add_co_ci_u32_e32 v22, vcc_lo, 0, v15, vcc_lo
	s_cbranch_scc0 .LBB692_88
; %bb.25:
	s_delay_alu instid0(VALU_DEP_2)
	v_mov_b32_e32 v15, v21
	v_mov_b32_dpp v13, v21 row_shr:1 row_mask:0xf bank_mask:0xf
	v_mov_b32_dpp v18, v14 row_shr:1 row_mask:0xf bank_mask:0xf
	v_dual_mov_b32 v17, v21 :: v_dual_mov_b32 v16, v22
	s_and_saveexec_b32 s1, s0
; %bb.26:
	s_delay_alu instid0(VALU_DEP_3) | instskip(SKIP_1) | instid1(VALU_DEP_2)
	v_add_co_u32 v17, vcc_lo, v21, v13
	v_add_co_ci_u32_e32 v14, vcc_lo, 0, v22, vcc_lo
	v_add_co_u32 v13, vcc_lo, 0, v17
	s_delay_alu instid0(VALU_DEP_2) | instskip(NEXT) | instid1(VALU_DEP_1)
	v_add_co_ci_u32_e32 v14, vcc_lo, v18, v14, vcc_lo
	v_dual_mov_b32 v16, v14 :: v_dual_mov_b32 v15, v13
; %bb.27:
	s_or_b32 exec_lo, exec_lo, s1
	v_mov_b32_dpp v13, v17 row_shr:2 row_mask:0xf bank_mask:0xf
	v_mov_b32_dpp v18, v14 row_shr:2 row_mask:0xf bank_mask:0xf
	s_mov_b32 s1, exec_lo
	v_cmpx_lt_u32_e32 1, v44
; %bb.28:
	s_delay_alu instid0(VALU_DEP_3) | instskip(SKIP_1) | instid1(VALU_DEP_2)
	v_add_co_u32 v17, vcc_lo, v15, v13
	v_add_co_ci_u32_e32 v14, vcc_lo, 0, v16, vcc_lo
	v_add_co_u32 v13, vcc_lo, 0, v17
	s_delay_alu instid0(VALU_DEP_2) | instskip(NEXT) | instid1(VALU_DEP_1)
	v_add_co_ci_u32_e32 v14, vcc_lo, v18, v14, vcc_lo
	v_dual_mov_b32 v16, v14 :: v_dual_mov_b32 v15, v13
; %bb.29:
	s_or_b32 exec_lo, exec_lo, s1
	v_mov_b32_dpp v13, v17 row_shr:4 row_mask:0xf bank_mask:0xf
	v_mov_b32_dpp v18, v14 row_shr:4 row_mask:0xf bank_mask:0xf
	s_mov_b32 s1, exec_lo
	v_cmpx_lt_u32_e32 3, v44
	;; [unrolled: 14-line block ×3, first 2 shown]
; %bb.32:
	s_delay_alu instid0(VALU_DEP_3) | instskip(SKIP_1) | instid1(VALU_DEP_2)
	v_add_co_u32 v17, vcc_lo, v15, v18
	v_add_co_ci_u32_e32 v14, vcc_lo, 0, v16, vcc_lo
	v_add_co_u32 v15, vcc_lo, 0, v17
	s_delay_alu instid0(VALU_DEP_2) | instskip(NEXT) | instid1(VALU_DEP_1)
	v_add_co_ci_u32_e32 v16, vcc_lo, v13, v14, vcc_lo
	v_mov_b32_e32 v14, v16
; %bb.33:
	s_or_b32 exec_lo, exec_lo, s1
	ds_swizzle_b32 v13, v17 offset:swizzle(BROADCAST,32,15)
	ds_swizzle_b32 v18, v14 offset:swizzle(BROADCAST,32,15)
	v_and_b32_e32 v19, 16, v42
	s_mov_b32 s1, exec_lo
	s_delay_alu instid0(VALU_DEP_1)
	v_cmpx_ne_u32_e32 0, v19
	s_cbranch_execz .LBB692_35
; %bb.34:
	s_waitcnt lgkmcnt(1)
	v_add_co_u32 v17, vcc_lo, v15, v13
	v_add_co_ci_u32_e32 v14, vcc_lo, 0, v16, vcc_lo
	s_delay_alu instid0(VALU_DEP_2) | instskip(SKIP_1) | instid1(VALU_DEP_2)
	v_add_co_u32 v13, vcc_lo, 0, v17
	s_waitcnt lgkmcnt(0)
	v_add_co_ci_u32_e32 v14, vcc_lo, v18, v14, vcc_lo
	s_delay_alu instid0(VALU_DEP_1)
	v_dual_mov_b32 v16, v14 :: v_dual_mov_b32 v15, v13
.LBB692_35:
	s_or_b32 exec_lo, exec_lo, s1
	s_waitcnt lgkmcnt(0)
	v_or_b32_e32 v18, 31, v0
	v_lshrrev_b32_e32 v13, 5, v0
	s_mov_b32 s1, exec_lo
	s_delay_alu instid0(VALU_DEP_2)
	v_cmpx_eq_u32_e64 v18, v0
	s_cbranch_execz .LBB692_37
; %bb.36:
	s_delay_alu instid0(VALU_DEP_2)
	v_lshlrev_b32_e32 v18, 3, v13
	ds_store_b64 v18, v[15:16]
.LBB692_37:
	s_or_b32 exec_lo, exec_lo, s1
	s_delay_alu instid0(SALU_CYCLE_1)
	s_mov_b32 s1, exec_lo
	s_waitcnt lgkmcnt(0)
	s_barrier
	buffer_gl0_inv
	v_cmpx_gt_u32_e32 4, v0
	s_cbranch_execz .LBB692_43
; %bb.38:
	v_lshlrev_b32_e32 v18, 3, v0
	s_mov_b32 s10, exec_lo
	ds_load_b64 v[15:16], v18
	s_waitcnt lgkmcnt(0)
	v_dual_mov_b32 v20, v15 :: v_dual_and_b32 v19, 3, v42
	v_mov_b32_dpp v24, v15 row_shr:1 row_mask:0xf bank_mask:0xf
	v_mov_b32_dpp v23, v16 row_shr:1 row_mask:0xf bank_mask:0xf
	s_delay_alu instid0(VALU_DEP_3)
	v_cmpx_ne_u32_e32 0, v19
; %bb.39:
	s_delay_alu instid0(VALU_DEP_3) | instskip(SKIP_1) | instid1(VALU_DEP_2)
	v_add_co_u32 v20, vcc_lo, v15, v24
	v_add_co_ci_u32_e32 v16, vcc_lo, 0, v16, vcc_lo
	v_add_co_u32 v15, vcc_lo, 0, v20
	s_delay_alu instid0(VALU_DEP_2)
	v_add_co_ci_u32_e32 v16, vcc_lo, v23, v16, vcc_lo
; %bb.40:
	s_or_b32 exec_lo, exec_lo, s10
	v_mov_b32_dpp v23, v20 row_shr:2 row_mask:0xf bank_mask:0xf
	s_delay_alu instid0(VALU_DEP_2)
	v_mov_b32_dpp v20, v16 row_shr:2 row_mask:0xf bank_mask:0xf
	s_mov_b32 s10, exec_lo
	v_cmpx_lt_u32_e32 1, v19
; %bb.41:
	s_delay_alu instid0(VALU_DEP_3) | instskip(SKIP_1) | instid1(VALU_DEP_2)
	v_add_co_u32 v15, vcc_lo, v15, v23
	v_add_co_ci_u32_e32 v16, vcc_lo, 0, v16, vcc_lo
	v_add_co_u32 v15, vcc_lo, v15, 0
	s_delay_alu instid0(VALU_DEP_2)
	v_add_co_ci_u32_e32 v16, vcc_lo, v16, v20, vcc_lo
; %bb.42:
	s_or_b32 exec_lo, exec_lo, s10
	ds_store_b64 v18, v[15:16]
.LBB692_43:
	s_or_b32 exec_lo, exec_lo, s1
	v_cmp_gt_u32_e32 vcc_lo, 32, v0
	s_mov_b32 s10, exec_lo
	s_waitcnt lgkmcnt(0)
	s_barrier
	buffer_gl0_inv
                                        ; implicit-def: $vgpr23_vgpr24
	v_cmpx_lt_u32_e32 31, v0
	s_cbranch_execz .LBB692_45
; %bb.44:
	v_lshl_add_u32 v13, v13, 3, -8
	ds_load_b64 v[23:24], v13
	s_waitcnt lgkmcnt(0)
	v_add_co_u32 v17, s1, v17, v23
	s_delay_alu instid0(VALU_DEP_1)
	v_add_co_ci_u32_e64 v14, s1, v14, v24, s1
.LBB692_45:
	s_or_b32 exec_lo, exec_lo, s10
	v_add_nc_u32_e32 v13, -1, v42
	s_delay_alu instid0(VALU_DEP_1) | instskip(NEXT) | instid1(VALU_DEP_1)
	v_cmp_gt_i32_e64 s1, 0, v13
	v_cndmask_b32_e64 v13, v13, v42, s1
	v_cmp_eq_u32_e64 s1, 0, v42
	s_delay_alu instid0(VALU_DEP_2)
	v_lshlrev_b32_e32 v13, 2, v13
	ds_bpermute_b32 v29, v13, v17
	ds_bpermute_b32 v30, v13, v14
	s_and_saveexec_b32 s10, vcc_lo
	s_cbranch_execz .LBB692_83
; %bb.46:
	v_mov_b32_e32 v16, 0
	ds_load_b64 v[13:14], v16 offset:24
	s_and_saveexec_b32 s11, s1
	s_cbranch_execz .LBB692_48
; %bb.47:
	s_add_i32 s16, s9, 32
	s_mov_b32 s17, 0
	s_delay_alu instid0(SALU_CYCLE_1) | instskip(NEXT) | instid1(SALU_CYCLE_1)
	s_lshl_b64 s[16:17], s[16:17], 4
	s_add_u32 s16, s14, s16
	s_addc_u32 s17, s15, s17
	s_delay_alu instid0(SALU_CYCLE_1)
	v_dual_mov_b32 v15, 1 :: v_dual_mov_b32 v18, s17
	v_mov_b32_e32 v17, s16
	s_waitcnt lgkmcnt(0)
	;;#ASMSTART
	global_store_dwordx4 v[17:18], v[13:16] off	
s_waitcnt vmcnt(0)
	;;#ASMEND
.LBB692_48:
	s_or_b32 exec_lo, exec_lo, s11
	v_xad_u32 v25, v42, -1, s9
	s_mov_b32 s16, 0
	s_mov_b32 s11, exec_lo
	s_delay_alu instid0(VALU_DEP_1) | instskip(NEXT) | instid1(VALU_DEP_1)
	v_add_nc_u32_e32 v15, 32, v25
	v_lshlrev_b64 v[15:16], 4, v[15:16]
	s_delay_alu instid0(VALU_DEP_1) | instskip(NEXT) | instid1(VALU_DEP_2)
	v_add_co_u32 v15, vcc_lo, s14, v15
	v_add_co_ci_u32_e32 v16, vcc_lo, s15, v16, vcc_lo
	;;#ASMSTART
	global_load_dwordx4 v[17:20], v[15:16] off glc	
s_waitcnt vmcnt(0)
	;;#ASMEND
	v_and_b32_e32 v20, 0xff, v18
	v_and_b32_e32 v26, 0xff00, v18
	v_or3_b32 v17, v17, 0, 0
	v_and_b32_e32 v27, 0xff000000, v18
	v_and_b32_e32 v18, 0xff0000, v18
	s_delay_alu instid0(VALU_DEP_4) | instskip(SKIP_2) | instid1(VALU_DEP_3)
	v_or3_b32 v20, 0, v20, v26
	v_and_b32_e32 v26, 0xff, v19
	v_or3_b32 v17, v17, 0, 0
	v_or3_b32 v18, v20, v18, v27
	s_delay_alu instid0(VALU_DEP_3)
	v_cmpx_eq_u16_e32 0, v26
	s_cbranch_execz .LBB692_51
.LBB692_49:                             ; =>This Inner Loop Header: Depth=1
	;;#ASMSTART
	global_load_dwordx4 v[17:20], v[15:16] off glc	
s_waitcnt vmcnt(0)
	;;#ASMEND
	v_and_b32_e32 v20, 0xff, v19
	s_delay_alu instid0(VALU_DEP_1) | instskip(SKIP_1) | instid1(SALU_CYCLE_1)
	v_cmp_ne_u16_e32 vcc_lo, 0, v20
	s_or_b32 s16, vcc_lo, s16
	s_and_not1_b32 exec_lo, exec_lo, s16
	s_cbranch_execnz .LBB692_49
; %bb.50:
	s_or_b32 exec_lo, exec_lo, s16
.LBB692_51:
	s_delay_alu instid0(SALU_CYCLE_1)
	s_or_b32 exec_lo, exec_lo, s11
	v_cmp_ne_u32_e32 vcc_lo, 31, v42
	v_and_b32_e32 v16, 0xff, v19
	v_lshlrev_b32_e64 v46, v42, -1
	s_mov_b32 s11, exec_lo
	v_add_co_ci_u32_e32 v15, vcc_lo, 0, v42, vcc_lo
	s_delay_alu instid0(VALU_DEP_3) | instskip(NEXT) | instid1(VALU_DEP_2)
	v_cmp_eq_u16_e32 vcc_lo, 2, v16
	v_dual_mov_b32 v16, v17 :: v_dual_lshlrev_b32 v45, 2, v15
	v_and_or_b32 v15, vcc_lo, v46, 0x80000000
	ds_bpermute_b32 v26, v45, v17
	ds_bpermute_b32 v20, v45, v18
	v_ctz_i32_b32_e32 v15, v15
	s_delay_alu instid0(VALU_DEP_1)
	v_cmpx_lt_u32_e64 v42, v15
	s_cbranch_execz .LBB692_53
; %bb.52:
	s_waitcnt lgkmcnt(1)
	v_add_co_u32 v16, vcc_lo, v17, v26
	v_add_co_ci_u32_e32 v18, vcc_lo, 0, v18, vcc_lo
	s_delay_alu instid0(VALU_DEP_2) | instskip(SKIP_1) | instid1(VALU_DEP_2)
	v_add_co_u32 v17, vcc_lo, 0, v16
	s_waitcnt lgkmcnt(0)
	v_add_co_ci_u32_e32 v18, vcc_lo, v20, v18, vcc_lo
.LBB692_53:
	s_or_b32 exec_lo, exec_lo, s11
	v_cmp_gt_u32_e32 vcc_lo, 30, v42
	v_add_nc_u32_e32 v48, 2, v42
	s_mov_b32 s11, exec_lo
	s_waitcnt lgkmcnt(0)
	v_cndmask_b32_e64 v20, 0, 1, vcc_lo
	s_delay_alu instid0(VALU_DEP_1) | instskip(NEXT) | instid1(VALU_DEP_1)
	v_lshlrev_b32_e32 v20, 1, v20
	v_add_lshl_u32 v47, v20, v42, 2
	ds_bpermute_b32 v26, v47, v16
	ds_bpermute_b32 v20, v47, v18
	v_cmpx_le_u32_e64 v48, v15
	s_cbranch_execz .LBB692_55
; %bb.54:
	s_waitcnt lgkmcnt(1)
	v_add_co_u32 v16, vcc_lo, v17, v26
	v_add_co_ci_u32_e32 v18, vcc_lo, 0, v18, vcc_lo
	s_delay_alu instid0(VALU_DEP_2) | instskip(SKIP_1) | instid1(VALU_DEP_2)
	v_add_co_u32 v17, vcc_lo, 0, v16
	s_waitcnt lgkmcnt(0)
	v_add_co_ci_u32_e32 v18, vcc_lo, v20, v18, vcc_lo
.LBB692_55:
	s_or_b32 exec_lo, exec_lo, s11
	v_cmp_gt_u32_e32 vcc_lo, 28, v42
	v_add_nc_u32_e32 v50, 4, v42
	s_mov_b32 s11, exec_lo
	s_waitcnt lgkmcnt(0)
	v_cndmask_b32_e64 v20, 0, 1, vcc_lo
	s_delay_alu instid0(VALU_DEP_1) | instskip(NEXT) | instid1(VALU_DEP_1)
	v_lshlrev_b32_e32 v20, 2, v20
	v_add_lshl_u32 v49, v20, v42, 2
	ds_bpermute_b32 v26, v49, v16
	ds_bpermute_b32 v20, v49, v18
	v_cmpx_le_u32_e64 v50, v15
	;; [unrolled: 22-line block ×4, first 2 shown]
	s_cbranch_execz .LBB692_61
; %bb.60:
	s_waitcnt lgkmcnt(1)
	v_add_co_u32 v15, vcc_lo, v17, v20
	v_add_co_ci_u32_e32 v18, vcc_lo, 0, v18, vcc_lo
	s_delay_alu instid0(VALU_DEP_2) | instskip(SKIP_1) | instid1(VALU_DEP_2)
	v_add_co_u32 v17, vcc_lo, v15, 0
	s_waitcnt lgkmcnt(0)
	v_add_co_ci_u32_e32 v18, vcc_lo, v18, v16, vcc_lo
.LBB692_61:
	s_or_b32 exec_lo, exec_lo, s11
	v_mov_b32_e32 v26, 0
	s_branch .LBB692_63
.LBB692_62:                             ;   in Loop: Header=BB692_63 Depth=1
	s_or_b32 exec_lo, exec_lo, s11
	v_add_co_u32 v17, vcc_lo, v17, v15
	v_subrev_nc_u32_e32 v25, 32, v25
	v_add_co_ci_u32_e32 v18, vcc_lo, v18, v16, vcc_lo
.LBB692_63:                             ; =>This Loop Header: Depth=1
                                        ;     Child Loop BB692_66 Depth 2
	v_and_b32_e32 v15, 0xff, v19
	s_delay_alu instid0(VALU_DEP_1) | instskip(SKIP_2) | instid1(VALU_DEP_1)
	v_cmp_ne_u16_e32 vcc_lo, 2, v15
	v_cndmask_b32_e64 v15, 0, 1, vcc_lo
	;;#ASMSTART
	;;#ASMEND
	v_cmp_ne_u32_e32 vcc_lo, 0, v15
	s_waitcnt lgkmcnt(0)
	v_dual_mov_b32 v15, v17 :: v_dual_mov_b32 v16, v18
	s_cmp_lg_u32 vcc_lo, exec_lo
	s_cbranch_scc1 .LBB692_78
; %bb.64:                               ;   in Loop: Header=BB692_63 Depth=1
	v_lshlrev_b64 v[17:18], 4, v[25:26]
	s_mov_b32 s11, exec_lo
	s_delay_alu instid0(VALU_DEP_1) | instskip(NEXT) | instid1(VALU_DEP_2)
	v_add_co_u32 v27, vcc_lo, s14, v17
	v_add_co_ci_u32_e32 v28, vcc_lo, s15, v18, vcc_lo
	;;#ASMSTART
	global_load_dwordx4 v[17:20], v[27:28] off glc	
s_waitcnt vmcnt(0)
	;;#ASMEND
	v_and_b32_e32 v20, 0xff, v18
	v_and_b32_e32 v55, 0xff00, v18
	v_or3_b32 v17, v17, 0, 0
	v_and_b32_e32 v56, 0xff000000, v18
	v_and_b32_e32 v18, 0xff0000, v18
	s_delay_alu instid0(VALU_DEP_4) | instskip(SKIP_2) | instid1(VALU_DEP_3)
	v_or3_b32 v20, 0, v20, v55
	v_and_b32_e32 v55, 0xff, v19
	v_or3_b32 v17, v17, 0, 0
	v_or3_b32 v18, v20, v18, v56
	s_delay_alu instid0(VALU_DEP_3)
	v_cmpx_eq_u16_e32 0, v55
	s_cbranch_execz .LBB692_68
; %bb.65:                               ;   in Loop: Header=BB692_63 Depth=1
	s_mov_b32 s16, 0
.LBB692_66:                             ;   Parent Loop BB692_63 Depth=1
                                        ; =>  This Inner Loop Header: Depth=2
	;;#ASMSTART
	global_load_dwordx4 v[17:20], v[27:28] off glc	
s_waitcnt vmcnt(0)
	;;#ASMEND
	v_and_b32_e32 v20, 0xff, v19
	s_delay_alu instid0(VALU_DEP_1) | instskip(SKIP_1) | instid1(SALU_CYCLE_1)
	v_cmp_ne_u16_e32 vcc_lo, 0, v20
	s_or_b32 s16, vcc_lo, s16
	s_and_not1_b32 exec_lo, exec_lo, s16
	s_cbranch_execnz .LBB692_66
; %bb.67:                               ;   in Loop: Header=BB692_63 Depth=1
	s_or_b32 exec_lo, exec_lo, s16
.LBB692_68:                             ;   in Loop: Header=BB692_63 Depth=1
	s_delay_alu instid0(SALU_CYCLE_1)
	s_or_b32 exec_lo, exec_lo, s11
	v_dual_mov_b32 v27, v17 :: v_dual_and_b32 v20, 0xff, v19
	ds_bpermute_b32 v55, v45, v17
	ds_bpermute_b32 v28, v45, v18
	s_mov_b32 s11, exec_lo
	v_cmp_eq_u16_e32 vcc_lo, 2, v20
	v_and_or_b32 v20, vcc_lo, v46, 0x80000000
	s_delay_alu instid0(VALU_DEP_1) | instskip(NEXT) | instid1(VALU_DEP_1)
	v_ctz_i32_b32_e32 v20, v20
	v_cmpx_lt_u32_e64 v42, v20
	s_cbranch_execz .LBB692_70
; %bb.69:                               ;   in Loop: Header=BB692_63 Depth=1
	s_waitcnt lgkmcnt(1)
	v_add_co_u32 v27, vcc_lo, v17, v55
	v_add_co_ci_u32_e32 v18, vcc_lo, 0, v18, vcc_lo
	s_delay_alu instid0(VALU_DEP_2) | instskip(SKIP_1) | instid1(VALU_DEP_2)
	v_add_co_u32 v17, vcc_lo, 0, v27
	s_waitcnt lgkmcnt(0)
	v_add_co_ci_u32_e32 v18, vcc_lo, v28, v18, vcc_lo
.LBB692_70:                             ;   in Loop: Header=BB692_63 Depth=1
	s_or_b32 exec_lo, exec_lo, s11
	s_waitcnt lgkmcnt(1)
	ds_bpermute_b32 v55, v47, v27
	s_waitcnt lgkmcnt(1)
	ds_bpermute_b32 v28, v47, v18
	s_mov_b32 s11, exec_lo
	v_cmpx_le_u32_e64 v48, v20
	s_cbranch_execz .LBB692_72
; %bb.71:                               ;   in Loop: Header=BB692_63 Depth=1
	s_waitcnt lgkmcnt(1)
	v_add_co_u32 v27, vcc_lo, v17, v55
	v_add_co_ci_u32_e32 v18, vcc_lo, 0, v18, vcc_lo
	s_delay_alu instid0(VALU_DEP_2) | instskip(SKIP_1) | instid1(VALU_DEP_2)
	v_add_co_u32 v17, vcc_lo, 0, v27
	s_waitcnt lgkmcnt(0)
	v_add_co_ci_u32_e32 v18, vcc_lo, v28, v18, vcc_lo
.LBB692_72:                             ;   in Loop: Header=BB692_63 Depth=1
	s_or_b32 exec_lo, exec_lo, s11
	s_waitcnt lgkmcnt(1)
	ds_bpermute_b32 v55, v49, v27
	s_waitcnt lgkmcnt(1)
	ds_bpermute_b32 v28, v49, v18
	s_mov_b32 s11, exec_lo
	v_cmpx_le_u32_e64 v50, v20
	;; [unrolled: 17-line block ×3, first 2 shown]
	s_cbranch_execz .LBB692_76
; %bb.75:                               ;   in Loop: Header=BB692_63 Depth=1
	s_waitcnt lgkmcnt(1)
	v_add_co_u32 v27, vcc_lo, v17, v55
	v_add_co_ci_u32_e32 v18, vcc_lo, 0, v18, vcc_lo
	s_delay_alu instid0(VALU_DEP_2) | instskip(SKIP_1) | instid1(VALU_DEP_2)
	v_add_co_u32 v17, vcc_lo, 0, v27
	s_waitcnt lgkmcnt(0)
	v_add_co_ci_u32_e32 v18, vcc_lo, v28, v18, vcc_lo
.LBB692_76:                             ;   in Loop: Header=BB692_63 Depth=1
	s_or_b32 exec_lo, exec_lo, s11
	s_waitcnt lgkmcnt(0)
	ds_bpermute_b32 v28, v53, v27
	ds_bpermute_b32 v27, v53, v18
	s_mov_b32 s11, exec_lo
	v_cmpx_le_u32_e64 v54, v20
	s_cbranch_execz .LBB692_62
; %bb.77:                               ;   in Loop: Header=BB692_63 Depth=1
	s_waitcnt lgkmcnt(1)
	v_add_co_u32 v17, vcc_lo, v17, v28
	v_add_co_ci_u32_e32 v18, vcc_lo, 0, v18, vcc_lo
	s_delay_alu instid0(VALU_DEP_2) | instskip(SKIP_1) | instid1(VALU_DEP_2)
	v_add_co_u32 v17, vcc_lo, v17, 0
	s_waitcnt lgkmcnt(0)
	v_add_co_ci_u32_e32 v18, vcc_lo, v18, v27, vcc_lo
	s_branch .LBB692_62
.LBB692_78:                             ;   in Loop: Header=BB692_63 Depth=1
                                        ; implicit-def: $vgpr17_vgpr18
	s_cbranch_execz .LBB692_63
; %bb.79:
	s_and_saveexec_b32 s11, s1
	s_cbranch_execz .LBB692_81
; %bb.80:
	s_add_i32 s16, s9, 32
	s_mov_b32 s17, 0
	v_add_co_u32 v17, vcc_lo, v15, v13
	s_lshl_b64 s[16:17], s[16:17], 4
	v_dual_mov_b32 v19, 2 :: v_dual_mov_b32 v20, 0
	s_add_u32 s16, s14, s16
	s_addc_u32 s17, s15, s17
	v_add_co_ci_u32_e32 v18, vcc_lo, v16, v14, vcc_lo
	v_dual_mov_b32 v26, s17 :: v_dual_mov_b32 v25, s16
	;;#ASMSTART
	global_store_dwordx4 v[25:26], v[17:20] off	
s_waitcnt vmcnt(0)
	;;#ASMEND
	ds_store_b128 v20, v[13:16] offset:6144
.LBB692_81:
	s_or_b32 exec_lo, exec_lo, s11
	s_delay_alu instid0(SALU_CYCLE_1)
	s_and_b32 exec_lo, exec_lo, s2
	s_cbranch_execz .LBB692_83
; %bb.82:
	v_mov_b32_e32 v13, 0
	ds_store_b64 v13, v[15:16] offset:24
.LBB692_83:
	s_or_b32 exec_lo, exec_lo, s10
	v_mov_b32_e32 v15, 0
	s_waitcnt lgkmcnt(0)
	s_barrier
	buffer_gl0_inv
	v_cndmask_b32_e64 v16, v29, v23, s1
	ds_load_b64 v[13:14], v15 offset:24
	v_cndmask_b32_e64 v17, v30, v24, s1
	s_waitcnt lgkmcnt(0)
	s_barrier
	v_cndmask_b32_e64 v16, v16, 0, s2
	buffer_gl0_inv
	v_cndmask_b32_e64 v17, v17, 0, s2
	v_add_co_u32 v29, vcc_lo, v13, v16
	s_delay_alu instid0(VALU_DEP_2) | instskip(SKIP_3) | instid1(VALU_DEP_2)
	v_add_co_ci_u32_e32 v30, vcc_lo, v14, v17, vcc_lo
	ds_load_b128 v[13:16], v15 offset:6144
	v_add_co_u32 v27, vcc_lo, v29, v41
	v_add_co_ci_u32_e32 v28, vcc_lo, 0, v30, vcc_lo
	v_add_co_u32 v25, vcc_lo, v27, v40
	s_delay_alu instid0(VALU_DEP_2) | instskip(NEXT) | instid1(VALU_DEP_2)
	v_add_co_ci_u32_e32 v26, vcc_lo, 0, v28, vcc_lo
	v_add_co_u32 v23, vcc_lo, v25, v39
	s_delay_alu instid0(VALU_DEP_2) | instskip(NEXT) | instid1(VALU_DEP_2)
	;; [unrolled: 3-line block ×3, first 2 shown]
	v_add_co_ci_u32_e32 v20, vcc_lo, 0, v24, vcc_lo
	v_add_co_u32 v17, vcc_lo, v19, v37
	s_delay_alu instid0(VALU_DEP_2)
	v_add_co_ci_u32_e32 v18, vcc_lo, 0, v20, vcc_lo
.LBB692_84:
	s_waitcnt lgkmcnt(0)
	v_cmp_gt_u64_e32 vcc_lo, 0x81, v[13:14]
	s_mov_b32 s0, -1
	s_cbranch_vccnz .LBB692_112
.LBB692_85:
	s_and_b32 vcc_lo, exec_lo, s0
	s_cbranch_vccnz .LBB692_131
.LBB692_86:
	s_and_b32 s0, s2, s3
	s_delay_alu instid0(SALU_CYCLE_1)
	s_and_saveexec_b32 s1, s0
	s_cbranch_execnz .LBB692_147
.LBB692_87:
	s_nop 0
	s_sendmsg sendmsg(MSG_DEALLOC_VGPRS)
	s_endpgm
.LBB692_88:
                                        ; kill: def $vgpr13_vgpr14 killed $sgpr0_sgpr1 killed $exec
                                        ; implicit-def: $vgpr17_vgpr18
                                        ; implicit-def: $vgpr19_vgpr20
                                        ; implicit-def: $vgpr23_vgpr24
                                        ; implicit-def: $vgpr25_vgpr26
                                        ; implicit-def: $vgpr27_vgpr28
                                        ; implicit-def: $vgpr29_vgpr30
                                        ; implicit-def: $vgpr15_vgpr16
	s_and_b32 vcc_lo, exec_lo, s1
	s_cbranch_vccz .LBB692_84
; %bb.89:
	s_waitcnt lgkmcnt(0)
	v_dual_mov_b32 v14, 0 :: v_dual_mov_b32 v15, v21
	v_mov_b32_dpp v16, v21 row_shr:1 row_mask:0xf bank_mask:0xf
	s_delay_alu instid0(VALU_DEP_2)
	v_mov_b32_dpp v13, v14 row_shr:1 row_mask:0xf bank_mask:0xf
	s_and_saveexec_b32 s1, s0
; %bb.90:
	s_delay_alu instid0(VALU_DEP_2) | instskip(SKIP_1) | instid1(VALU_DEP_2)
	v_add_co_u32 v15, vcc_lo, v21, v16
	v_add_co_ci_u32_e32 v14, vcc_lo, 0, v22, vcc_lo
	v_add_co_u32 v21, vcc_lo, 0, v15
	s_delay_alu instid0(VALU_DEP_2) | instskip(NEXT) | instid1(VALU_DEP_1)
	v_add_co_ci_u32_e32 v22, vcc_lo, v13, v14, vcc_lo
	v_mov_b32_e32 v14, v22
; %bb.91:
	s_or_b32 exec_lo, exec_lo, s1
	v_mov_b32_dpp v13, v15 row_shr:2 row_mask:0xf bank_mask:0xf
	s_delay_alu instid0(VALU_DEP_2)
	v_mov_b32_dpp v16, v14 row_shr:2 row_mask:0xf bank_mask:0xf
	s_mov_b32 s0, exec_lo
	v_cmpx_lt_u32_e32 1, v44
; %bb.92:
	s_delay_alu instid0(VALU_DEP_3) | instskip(SKIP_1) | instid1(VALU_DEP_2)
	v_add_co_u32 v15, vcc_lo, v21, v13
	v_add_co_ci_u32_e32 v14, vcc_lo, 0, v22, vcc_lo
	v_add_co_u32 v13, vcc_lo, 0, v15
	s_delay_alu instid0(VALU_DEP_2) | instskip(NEXT) | instid1(VALU_DEP_1)
	v_add_co_ci_u32_e32 v14, vcc_lo, v16, v14, vcc_lo
	v_dual_mov_b32 v22, v14 :: v_dual_mov_b32 v21, v13
; %bb.93:
	s_or_b32 exec_lo, exec_lo, s0
	v_mov_b32_dpp v13, v15 row_shr:4 row_mask:0xf bank_mask:0xf
	v_mov_b32_dpp v16, v14 row_shr:4 row_mask:0xf bank_mask:0xf
	s_mov_b32 s0, exec_lo
	v_cmpx_lt_u32_e32 3, v44
; %bb.94:
	s_delay_alu instid0(VALU_DEP_3) | instskip(SKIP_1) | instid1(VALU_DEP_2)
	v_add_co_u32 v15, vcc_lo, v21, v13
	v_add_co_ci_u32_e32 v14, vcc_lo, 0, v22, vcc_lo
	v_add_co_u32 v13, vcc_lo, 0, v15
	s_delay_alu instid0(VALU_DEP_2) | instskip(NEXT) | instid1(VALU_DEP_1)
	v_add_co_ci_u32_e32 v14, vcc_lo, v16, v14, vcc_lo
	v_dual_mov_b32 v22, v14 :: v_dual_mov_b32 v21, v13
; %bb.95:
	s_or_b32 exec_lo, exec_lo, s0
	v_mov_b32_dpp v16, v15 row_shr:8 row_mask:0xf bank_mask:0xf
	v_mov_b32_dpp v13, v14 row_shr:8 row_mask:0xf bank_mask:0xf
	s_mov_b32 s0, exec_lo
	v_cmpx_lt_u32_e32 7, v44
; %bb.96:
	s_delay_alu instid0(VALU_DEP_3) | instskip(SKIP_1) | instid1(VALU_DEP_2)
	v_add_co_u32 v15, vcc_lo, v21, v16
	v_add_co_ci_u32_e32 v14, vcc_lo, 0, v22, vcc_lo
	v_add_co_u32 v21, vcc_lo, 0, v15
	s_delay_alu instid0(VALU_DEP_2) | instskip(NEXT) | instid1(VALU_DEP_1)
	v_add_co_ci_u32_e32 v22, vcc_lo, v13, v14, vcc_lo
	v_mov_b32_e32 v14, v22
; %bb.97:
	s_or_b32 exec_lo, exec_lo, s0
	ds_swizzle_b32 v15, v15 offset:swizzle(BROADCAST,32,15)
	ds_swizzle_b32 v13, v14 offset:swizzle(BROADCAST,32,15)
	v_and_b32_e32 v14, 16, v42
	s_mov_b32 s0, exec_lo
	s_delay_alu instid0(VALU_DEP_1)
	v_cmpx_ne_u32_e32 0, v14
	s_cbranch_execz .LBB692_99
; %bb.98:
	s_waitcnt lgkmcnt(1)
	v_add_co_u32 v14, vcc_lo, v21, v15
	v_add_co_ci_u32_e32 v15, vcc_lo, 0, v22, vcc_lo
	s_delay_alu instid0(VALU_DEP_2) | instskip(SKIP_1) | instid1(VALU_DEP_2)
	v_add_co_u32 v21, vcc_lo, v14, 0
	s_waitcnt lgkmcnt(0)
	v_add_co_ci_u32_e32 v22, vcc_lo, v15, v13, vcc_lo
.LBB692_99:
	s_or_b32 exec_lo, exec_lo, s0
	s_waitcnt lgkmcnt(0)
	v_or_b32_e32 v13, 31, v0
	v_lshrrev_b32_e32 v15, 5, v0
	s_mov_b32 s0, exec_lo
	s_delay_alu instid0(VALU_DEP_2)
	v_cmpx_eq_u32_e64 v13, v0
	s_cbranch_execz .LBB692_101
; %bb.100:
	s_delay_alu instid0(VALU_DEP_2)
	v_lshlrev_b32_e32 v13, 3, v15
	ds_store_b64 v13, v[21:22]
.LBB692_101:
	s_or_b32 exec_lo, exec_lo, s0
	s_delay_alu instid0(SALU_CYCLE_1)
	s_mov_b32 s0, exec_lo
	s_waitcnt lgkmcnt(0)
	s_barrier
	buffer_gl0_inv
	v_cmpx_gt_u32_e32 4, v0
	s_cbranch_execz .LBB692_107
; %bb.102:
	v_lshlrev_b32_e32 v13, 1, v0
	s_mov_b32 s1, exec_lo
	s_delay_alu instid0(VALU_DEP_1)
	v_add_nc_u32_e32 v16, v43, v13
	ds_load_b64 v[13:14], v16
	s_waitcnt lgkmcnt(0)
	v_dual_mov_b32 v18, v13 :: v_dual_and_b32 v17, 3, v42
	v_mov_b32_dpp v20, v13 row_shr:1 row_mask:0xf bank_mask:0xf
	v_mov_b32_dpp v19, v14 row_shr:1 row_mask:0xf bank_mask:0xf
	s_delay_alu instid0(VALU_DEP_3)
	v_cmpx_ne_u32_e32 0, v17
; %bb.103:
	s_delay_alu instid0(VALU_DEP_3) | instskip(SKIP_1) | instid1(VALU_DEP_2)
	v_add_co_u32 v18, vcc_lo, v13, v20
	v_add_co_ci_u32_e32 v14, vcc_lo, 0, v14, vcc_lo
	v_add_co_u32 v13, vcc_lo, 0, v18
	s_delay_alu instid0(VALU_DEP_2)
	v_add_co_ci_u32_e32 v14, vcc_lo, v19, v14, vcc_lo
; %bb.104:
	s_or_b32 exec_lo, exec_lo, s1
	v_mov_b32_dpp v19, v18 row_shr:2 row_mask:0xf bank_mask:0xf
	s_delay_alu instid0(VALU_DEP_2)
	v_mov_b32_dpp v18, v14 row_shr:2 row_mask:0xf bank_mask:0xf
	s_mov_b32 s1, exec_lo
	v_cmpx_lt_u32_e32 1, v17
; %bb.105:
	s_delay_alu instid0(VALU_DEP_3) | instskip(SKIP_1) | instid1(VALU_DEP_2)
	v_add_co_u32 v13, vcc_lo, v13, v19
	v_add_co_ci_u32_e32 v14, vcc_lo, 0, v14, vcc_lo
	v_add_co_u32 v13, vcc_lo, v13, 0
	s_delay_alu instid0(VALU_DEP_2)
	v_add_co_ci_u32_e32 v14, vcc_lo, v14, v18, vcc_lo
; %bb.106:
	s_or_b32 exec_lo, exec_lo, s1
	ds_store_b64 v16, v[13:14]
.LBB692_107:
	s_or_b32 exec_lo, exec_lo, s0
	v_mov_b32_e32 v17, 0
	v_mov_b32_e32 v18, 0
	s_mov_b32 s0, exec_lo
	s_waitcnt lgkmcnt(0)
	s_barrier
	buffer_gl0_inv
	v_cmpx_lt_u32_e32 31, v0
	s_cbranch_execz .LBB692_109
; %bb.108:
	v_lshl_add_u32 v13, v15, 3, -8
	ds_load_b64 v[17:18], v13
.LBB692_109:
	s_or_b32 exec_lo, exec_lo, s0
	v_dual_mov_b32 v16, 0 :: v_dual_add_nc_u32 v13, -1, v42
	s_delay_alu instid0(VALU_DEP_1) | instskip(SKIP_4) | instid1(VALU_DEP_3)
	v_cmp_gt_i32_e32 vcc_lo, 0, v13
	v_cndmask_b32_e32 v13, v13, v42, vcc_lo
	s_waitcnt lgkmcnt(0)
	v_add_co_u32 v14, vcc_lo, v17, v21
	v_add_co_ci_u32_e32 v15, vcc_lo, v18, v22, vcc_lo
	v_lshlrev_b32_e32 v13, 2, v13
	ds_bpermute_b32 v19, v13, v14
	ds_bpermute_b32 v20, v13, v15
	ds_load_b64 v[13:14], v16 offset:24
	s_and_saveexec_b32 s0, s2
	s_cbranch_execz .LBB692_111
; %bb.110:
	s_add_u32 s10, s14, 0x200
	s_addc_u32 s11, s15, 0
	s_delay_alu instid0(SALU_CYCLE_1)
	v_dual_mov_b32 v15, 2 :: v_dual_mov_b32 v22, s11
	v_mov_b32_e32 v21, s10
	s_waitcnt lgkmcnt(0)
	;;#ASMSTART
	global_store_dwordx4 v[21:22], v[13:16] off	
s_waitcnt vmcnt(0)
	;;#ASMEND
.LBB692_111:
	s_or_b32 exec_lo, exec_lo, s0
	v_cmp_eq_u32_e32 vcc_lo, 0, v42
	s_waitcnt lgkmcnt(0)
	s_barrier
	buffer_gl0_inv
	v_dual_cndmask_b32 v15, v19, v17 :: v_dual_cndmask_b32 v16, v20, v18
	s_delay_alu instid0(VALU_DEP_1) | instskip(NEXT) | instid1(VALU_DEP_2)
	v_cndmask_b32_e64 v29, v15, 0, s2
	v_cndmask_b32_e64 v30, v16, 0, s2
	v_mov_b32_e32 v15, 0
	v_mov_b32_e32 v16, 0
	s_delay_alu instid0(VALU_DEP_4) | instskip(NEXT) | instid1(VALU_DEP_4)
	v_add_co_u32 v27, vcc_lo, v29, v41
	v_add_co_ci_u32_e32 v28, vcc_lo, 0, v30, vcc_lo
	s_delay_alu instid0(VALU_DEP_2) | instskip(NEXT) | instid1(VALU_DEP_2)
	v_add_co_u32 v25, vcc_lo, v27, v40
	v_add_co_ci_u32_e32 v26, vcc_lo, 0, v28, vcc_lo
	s_delay_alu instid0(VALU_DEP_2) | instskip(NEXT) | instid1(VALU_DEP_2)
	;; [unrolled: 3-line block ×4, first 2 shown]
	v_add_co_u32 v17, vcc_lo, v19, v37
	v_add_co_ci_u32_e32 v18, vcc_lo, 0, v20, vcc_lo
	v_cmp_gt_u64_e32 vcc_lo, 0x81, v[13:14]
	s_mov_b32 s0, -1
	s_cbranch_vccz .LBB692_85
.LBB692_112:
	v_add_co_u32 v21, vcc_lo, v15, v13
	v_add_co_ci_u32_e32 v22, vcc_lo, v16, v14, vcc_lo
	s_delay_alu instid0(VALU_DEP_1) | instskip(SKIP_1) | instid1(SALU_CYCLE_1)
	v_cmp_lt_u64_e32 vcc_lo, v[29:30], v[21:22]
	s_or_b32 s1, s8, vcc_lo
	s_and_saveexec_b32 s0, s1
	s_cbranch_execz .LBB692_115
; %bb.113:
	v_and_b32_e32 v37, 1, v36
	s_delay_alu instid0(VALU_DEP_1)
	v_cmp_eq_u32_e32 vcc_lo, 1, v37
	s_and_b32 exec_lo, exec_lo, vcc_lo
	s_cbranch_execz .LBB692_115
; %bb.114:
	v_lshlrev_b64 v[37:38], 3, v[29:30]
	s_lshl_b64 s[10:11], s[6:7], 3
	s_delay_alu instid0(SALU_CYCLE_1) | instskip(SKIP_1) | instid1(VALU_DEP_1)
	s_add_u32 s1, s12, s10
	s_addc_u32 s9, s13, s11
	v_add_co_u32 v37, vcc_lo, s1, v37
	s_delay_alu instid0(VALU_DEP_2)
	v_add_co_ci_u32_e32 v38, vcc_lo, s9, v38, vcc_lo
	global_store_b64 v[37:38], v[9:10], off
.LBB692_115:
	s_or_b32 exec_lo, exec_lo, s0
	v_cmp_lt_u64_e32 vcc_lo, v[27:28], v[21:22]
	s_or_b32 s1, s8, vcc_lo
	s_delay_alu instid0(SALU_CYCLE_1)
	s_and_saveexec_b32 s0, s1
	s_cbranch_execz .LBB692_118
; %bb.116:
	v_and_b32_e32 v30, 1, v34
	s_delay_alu instid0(VALU_DEP_1)
	v_cmp_eq_u32_e32 vcc_lo, 1, v30
	s_and_b32 exec_lo, exec_lo, vcc_lo
	s_cbranch_execz .LBB692_118
; %bb.117:
	v_lshlrev_b64 v[37:38], 3, v[27:28]
	s_lshl_b64 s[10:11], s[6:7], 3
	s_delay_alu instid0(SALU_CYCLE_1) | instskip(SKIP_1) | instid1(VALU_DEP_1)
	s_add_u32 s1, s12, s10
	s_addc_u32 s9, s13, s11
	v_add_co_u32 v37, vcc_lo, s1, v37
	s_delay_alu instid0(VALU_DEP_2)
	v_add_co_ci_u32_e32 v38, vcc_lo, s9, v38, vcc_lo
	global_store_b64 v[37:38], v[11:12], off
.LBB692_118:
	s_or_b32 exec_lo, exec_lo, s0
	v_cmp_lt_u64_e32 vcc_lo, v[25:26], v[21:22]
	s_or_b32 s1, s8, vcc_lo
	s_delay_alu instid0(SALU_CYCLE_1)
	;; [unrolled: 23-line block ×5, first 2 shown]
	s_and_saveexec_b32 s0, s1
	s_cbranch_execz .LBB692_130
; %bb.128:
	v_and_b32_e32 v20, 1, v32
	s_delay_alu instid0(VALU_DEP_1)
	v_cmp_eq_u32_e32 vcc_lo, 1, v20
	s_and_b32 exec_lo, exec_lo, vcc_lo
	s_cbranch_execz .LBB692_130
; %bb.129:
	v_lshlrev_b64 v[20:21], 3, v[17:18]
	s_lshl_b64 s[8:9], s[6:7], 3
	s_delay_alu instid0(SALU_CYCLE_1) | instskip(SKIP_1) | instid1(VALU_DEP_1)
	s_add_u32 s1, s12, s8
	s_addc_u32 s8, s13, s9
	v_add_co_u32 v20, vcc_lo, s1, v20
	s_delay_alu instid0(VALU_DEP_2)
	v_add_co_ci_u32_e32 v21, vcc_lo, s8, v21, vcc_lo
	global_store_b64 v[20:21], v[3:4], off
.LBB692_130:
	s_or_b32 exec_lo, exec_lo, s0
	s_branch .LBB692_86
.LBB692_131:
	v_and_b32_e32 v18, 1, v36
	s_mov_b32 s0, exec_lo
	s_delay_alu instid0(VALU_DEP_1)
	v_cmpx_eq_u32_e32 1, v18
	s_cbranch_execz .LBB692_133
; %bb.132:
	v_sub_nc_u32_e32 v18, v29, v15
	s_delay_alu instid0(VALU_DEP_1)
	v_lshlrev_b32_e32 v18, 3, v18
	ds_store_b64 v18, v[9:10]
.LBB692_133:
	s_or_b32 exec_lo, exec_lo, s0
	v_and_b32_e32 v9, 1, v34
	s_mov_b32 s0, exec_lo
	s_delay_alu instid0(VALU_DEP_1)
	v_cmpx_eq_u32_e32 1, v9
	s_cbranch_execz .LBB692_135
; %bb.134:
	v_sub_nc_u32_e32 v9, v27, v15
	s_delay_alu instid0(VALU_DEP_1)
	v_lshlrev_b32_e32 v9, 3, v9
	ds_store_b64 v9, v[11:12]
.LBB692_135:
	s_or_b32 exec_lo, exec_lo, s0
	;; [unrolled: 12-line block ×6, first 2 shown]
	v_mov_b32_e32 v1, 0
	s_mov_b32 s1, exec_lo
	s_waitcnt lgkmcnt(0)
	s_waitcnt_vscnt null, 0x0
	s_barrier
	buffer_gl0_inv
	v_cmpx_gt_u64_e64 v[13:14], v[0:1]
	s_cbranch_execz .LBB692_146
; %bb.144:
	v_lshlrev_b64 v[4:5], 3, v[15:16]
	s_lshl_b64 s[8:9], s[6:7], 3
	v_dual_mov_b32 v3, v1 :: v_dual_mov_b32 v2, v0
	v_or_b32_e32 v0, 0x80, v0
	s_delay_alu instid0(VALU_DEP_3) | instskip(NEXT) | instid1(VALU_DEP_4)
	v_add_co_u32 v4, vcc_lo, s12, v4
	v_add_co_ci_u32_e32 v5, vcc_lo, s13, v5, vcc_lo
	s_delay_alu instid0(VALU_DEP_2) | instskip(NEXT) | instid1(VALU_DEP_2)
	v_add_co_u32 v4, vcc_lo, v4, s8
	v_add_co_ci_u32_e32 v5, vcc_lo, s9, v5, vcc_lo
	s_mov_b32 s8, 0
	.p2align	6
.LBB692_145:                            ; =>This Inner Loop Header: Depth=1
	v_lshlrev_b32_e32 v6, 3, v2
	v_lshlrev_b64 v[8:9], 3, v[2:3]
	v_mov_b32_e32 v3, v1
	v_cmp_le_u64_e32 vcc_lo, v[13:14], v[0:1]
	v_mov_b32_e32 v2, v0
	ds_load_b64 v[6:7], v6
	v_add_nc_u32_e32 v0, 0x80, v0
	v_add_co_u32 v8, s0, v4, v8
	s_delay_alu instid0(VALU_DEP_1)
	v_add_co_ci_u32_e64 v9, s0, v5, v9, s0
	s_or_b32 s8, vcc_lo, s8
	s_waitcnt lgkmcnt(0)
	global_store_b64 v[8:9], v[6:7], off
	s_and_not1_b32 exec_lo, exec_lo, s8
	s_cbranch_execnz .LBB692_145
.LBB692_146:
	s_or_b32 exec_lo, exec_lo, s1
	s_and_b32 s0, s2, s3
	s_delay_alu instid0(SALU_CYCLE_1)
	s_and_saveexec_b32 s1, s0
	s_cbranch_execz .LBB692_87
.LBB692_147:
	v_add_co_u32 v0, vcc_lo, v15, v13
	v_add_co_ci_u32_e32 v1, vcc_lo, v16, v14, vcc_lo
	v_mov_b32_e32 v2, 0
	s_delay_alu instid0(VALU_DEP_3) | instskip(NEXT) | instid1(VALU_DEP_3)
	v_add_co_u32 v0, vcc_lo, v0, s6
	v_add_co_ci_u32_e32 v1, vcc_lo, s7, v1, vcc_lo
	global_store_b64 v2, v[0:1], s[4:5]
	s_nop 0
	s_sendmsg sendmsg(MSG_DEALLOC_VGPRS)
	s_endpgm
	.section	.rodata,"a",@progbits
	.p2align	6, 0x0
	.amdhsa_kernel _ZN7rocprim17ROCPRIM_400000_NS6detail17trampoline_kernelINS0_14default_configENS1_25partition_config_selectorILNS1_17partition_subalgoE5ElNS0_10empty_typeEbEEZZNS1_14partition_implILS5_5ELb0ES3_mN6hipcub16HIPCUB_304000_NS21CountingInputIteratorIllEEPS6_NSA_22TransformInputIteratorIbN2at6native12_GLOBAL__N_19NonZeroOpIN3c107complexINSJ_4HalfEEEEEPKSM_lEENS0_5tupleIJPlS6_EEENSR_IJSD_SD_EEES6_PiJS6_EEE10hipError_tPvRmT3_T4_T5_T6_T7_T9_mT8_P12ihipStream_tbDpT10_ENKUlT_T0_E_clISt17integral_constantIbLb0EES1E_IbLb1EEEEDaS1A_S1B_EUlS1A_E_NS1_11comp_targetILNS1_3genE9ELNS1_11target_archE1100ELNS1_3gpuE3ELNS1_3repE0EEENS1_30default_config_static_selectorELNS0_4arch9wavefront6targetE0EEEvT1_
		.amdhsa_group_segment_fixed_size 6160
		.amdhsa_private_segment_fixed_size 0
		.amdhsa_kernarg_size 136
		.amdhsa_user_sgpr_count 15
		.amdhsa_user_sgpr_dispatch_ptr 0
		.amdhsa_user_sgpr_queue_ptr 0
		.amdhsa_user_sgpr_kernarg_segment_ptr 1
		.amdhsa_user_sgpr_dispatch_id 0
		.amdhsa_user_sgpr_private_segment_size 0
		.amdhsa_wavefront_size32 1
		.amdhsa_uses_dynamic_stack 0
		.amdhsa_enable_private_segment 0
		.amdhsa_system_sgpr_workgroup_id_x 1
		.amdhsa_system_sgpr_workgroup_id_y 0
		.amdhsa_system_sgpr_workgroup_id_z 0
		.amdhsa_system_sgpr_workgroup_info 0
		.amdhsa_system_vgpr_workitem_id 0
		.amdhsa_next_free_vgpr 57
		.amdhsa_next_free_sgpr 24
		.amdhsa_reserve_vcc 1
		.amdhsa_float_round_mode_32 0
		.amdhsa_float_round_mode_16_64 0
		.amdhsa_float_denorm_mode_32 3
		.amdhsa_float_denorm_mode_16_64 3
		.amdhsa_dx10_clamp 1
		.amdhsa_ieee_mode 1
		.amdhsa_fp16_overflow 0
		.amdhsa_workgroup_processor_mode 1
		.amdhsa_memory_ordered 1
		.amdhsa_forward_progress 0
		.amdhsa_shared_vgpr_count 0
		.amdhsa_exception_fp_ieee_invalid_op 0
		.amdhsa_exception_fp_denorm_src 0
		.amdhsa_exception_fp_ieee_div_zero 0
		.amdhsa_exception_fp_ieee_overflow 0
		.amdhsa_exception_fp_ieee_underflow 0
		.amdhsa_exception_fp_ieee_inexact 0
		.amdhsa_exception_int_div_zero 0
	.end_amdhsa_kernel
	.section	.text._ZN7rocprim17ROCPRIM_400000_NS6detail17trampoline_kernelINS0_14default_configENS1_25partition_config_selectorILNS1_17partition_subalgoE5ElNS0_10empty_typeEbEEZZNS1_14partition_implILS5_5ELb0ES3_mN6hipcub16HIPCUB_304000_NS21CountingInputIteratorIllEEPS6_NSA_22TransformInputIteratorIbN2at6native12_GLOBAL__N_19NonZeroOpIN3c107complexINSJ_4HalfEEEEEPKSM_lEENS0_5tupleIJPlS6_EEENSR_IJSD_SD_EEES6_PiJS6_EEE10hipError_tPvRmT3_T4_T5_T6_T7_T9_mT8_P12ihipStream_tbDpT10_ENKUlT_T0_E_clISt17integral_constantIbLb0EES1E_IbLb1EEEEDaS1A_S1B_EUlS1A_E_NS1_11comp_targetILNS1_3genE9ELNS1_11target_archE1100ELNS1_3gpuE3ELNS1_3repE0EEENS1_30default_config_static_selectorELNS0_4arch9wavefront6targetE0EEEvT1_,"axG",@progbits,_ZN7rocprim17ROCPRIM_400000_NS6detail17trampoline_kernelINS0_14default_configENS1_25partition_config_selectorILNS1_17partition_subalgoE5ElNS0_10empty_typeEbEEZZNS1_14partition_implILS5_5ELb0ES3_mN6hipcub16HIPCUB_304000_NS21CountingInputIteratorIllEEPS6_NSA_22TransformInputIteratorIbN2at6native12_GLOBAL__N_19NonZeroOpIN3c107complexINSJ_4HalfEEEEEPKSM_lEENS0_5tupleIJPlS6_EEENSR_IJSD_SD_EEES6_PiJS6_EEE10hipError_tPvRmT3_T4_T5_T6_T7_T9_mT8_P12ihipStream_tbDpT10_ENKUlT_T0_E_clISt17integral_constantIbLb0EES1E_IbLb1EEEEDaS1A_S1B_EUlS1A_E_NS1_11comp_targetILNS1_3genE9ELNS1_11target_archE1100ELNS1_3gpuE3ELNS1_3repE0EEENS1_30default_config_static_selectorELNS0_4arch9wavefront6targetE0EEEvT1_,comdat
.Lfunc_end692:
	.size	_ZN7rocprim17ROCPRIM_400000_NS6detail17trampoline_kernelINS0_14default_configENS1_25partition_config_selectorILNS1_17partition_subalgoE5ElNS0_10empty_typeEbEEZZNS1_14partition_implILS5_5ELb0ES3_mN6hipcub16HIPCUB_304000_NS21CountingInputIteratorIllEEPS6_NSA_22TransformInputIteratorIbN2at6native12_GLOBAL__N_19NonZeroOpIN3c107complexINSJ_4HalfEEEEEPKSM_lEENS0_5tupleIJPlS6_EEENSR_IJSD_SD_EEES6_PiJS6_EEE10hipError_tPvRmT3_T4_T5_T6_T7_T9_mT8_P12ihipStream_tbDpT10_ENKUlT_T0_E_clISt17integral_constantIbLb0EES1E_IbLb1EEEEDaS1A_S1B_EUlS1A_E_NS1_11comp_targetILNS1_3genE9ELNS1_11target_archE1100ELNS1_3gpuE3ELNS1_3repE0EEENS1_30default_config_static_selectorELNS0_4arch9wavefront6targetE0EEEvT1_, .Lfunc_end692-_ZN7rocprim17ROCPRIM_400000_NS6detail17trampoline_kernelINS0_14default_configENS1_25partition_config_selectorILNS1_17partition_subalgoE5ElNS0_10empty_typeEbEEZZNS1_14partition_implILS5_5ELb0ES3_mN6hipcub16HIPCUB_304000_NS21CountingInputIteratorIllEEPS6_NSA_22TransformInputIteratorIbN2at6native12_GLOBAL__N_19NonZeroOpIN3c107complexINSJ_4HalfEEEEEPKSM_lEENS0_5tupleIJPlS6_EEENSR_IJSD_SD_EEES6_PiJS6_EEE10hipError_tPvRmT3_T4_T5_T6_T7_T9_mT8_P12ihipStream_tbDpT10_ENKUlT_T0_E_clISt17integral_constantIbLb0EES1E_IbLb1EEEEDaS1A_S1B_EUlS1A_E_NS1_11comp_targetILNS1_3genE9ELNS1_11target_archE1100ELNS1_3gpuE3ELNS1_3repE0EEENS1_30default_config_static_selectorELNS0_4arch9wavefront6targetE0EEEvT1_
                                        ; -- End function
	.section	.AMDGPU.csdata,"",@progbits
; Kernel info:
; codeLenInByte = 6724
; NumSgprs: 26
; NumVgprs: 57
; ScratchSize: 0
; MemoryBound: 0
; FloatMode: 240
; IeeeMode: 1
; LDSByteSize: 6160 bytes/workgroup (compile time only)
; SGPRBlocks: 3
; VGPRBlocks: 7
; NumSGPRsForWavesPerEU: 26
; NumVGPRsForWavesPerEU: 57
; Occupancy: 16
; WaveLimiterHint : 1
; COMPUTE_PGM_RSRC2:SCRATCH_EN: 0
; COMPUTE_PGM_RSRC2:USER_SGPR: 15
; COMPUTE_PGM_RSRC2:TRAP_HANDLER: 0
; COMPUTE_PGM_RSRC2:TGID_X_EN: 1
; COMPUTE_PGM_RSRC2:TGID_Y_EN: 0
; COMPUTE_PGM_RSRC2:TGID_Z_EN: 0
; COMPUTE_PGM_RSRC2:TIDIG_COMP_CNT: 0
	.section	.text._ZN7rocprim17ROCPRIM_400000_NS6detail17trampoline_kernelINS0_14default_configENS1_25partition_config_selectorILNS1_17partition_subalgoE5ElNS0_10empty_typeEbEEZZNS1_14partition_implILS5_5ELb0ES3_mN6hipcub16HIPCUB_304000_NS21CountingInputIteratorIllEEPS6_NSA_22TransformInputIteratorIbN2at6native12_GLOBAL__N_19NonZeroOpIN3c107complexINSJ_4HalfEEEEEPKSM_lEENS0_5tupleIJPlS6_EEENSR_IJSD_SD_EEES6_PiJS6_EEE10hipError_tPvRmT3_T4_T5_T6_T7_T9_mT8_P12ihipStream_tbDpT10_ENKUlT_T0_E_clISt17integral_constantIbLb0EES1E_IbLb1EEEEDaS1A_S1B_EUlS1A_E_NS1_11comp_targetILNS1_3genE8ELNS1_11target_archE1030ELNS1_3gpuE2ELNS1_3repE0EEENS1_30default_config_static_selectorELNS0_4arch9wavefront6targetE0EEEvT1_,"axG",@progbits,_ZN7rocprim17ROCPRIM_400000_NS6detail17trampoline_kernelINS0_14default_configENS1_25partition_config_selectorILNS1_17partition_subalgoE5ElNS0_10empty_typeEbEEZZNS1_14partition_implILS5_5ELb0ES3_mN6hipcub16HIPCUB_304000_NS21CountingInputIteratorIllEEPS6_NSA_22TransformInputIteratorIbN2at6native12_GLOBAL__N_19NonZeroOpIN3c107complexINSJ_4HalfEEEEEPKSM_lEENS0_5tupleIJPlS6_EEENSR_IJSD_SD_EEES6_PiJS6_EEE10hipError_tPvRmT3_T4_T5_T6_T7_T9_mT8_P12ihipStream_tbDpT10_ENKUlT_T0_E_clISt17integral_constantIbLb0EES1E_IbLb1EEEEDaS1A_S1B_EUlS1A_E_NS1_11comp_targetILNS1_3genE8ELNS1_11target_archE1030ELNS1_3gpuE2ELNS1_3repE0EEENS1_30default_config_static_selectorELNS0_4arch9wavefront6targetE0EEEvT1_,comdat
	.globl	_ZN7rocprim17ROCPRIM_400000_NS6detail17trampoline_kernelINS0_14default_configENS1_25partition_config_selectorILNS1_17partition_subalgoE5ElNS0_10empty_typeEbEEZZNS1_14partition_implILS5_5ELb0ES3_mN6hipcub16HIPCUB_304000_NS21CountingInputIteratorIllEEPS6_NSA_22TransformInputIteratorIbN2at6native12_GLOBAL__N_19NonZeroOpIN3c107complexINSJ_4HalfEEEEEPKSM_lEENS0_5tupleIJPlS6_EEENSR_IJSD_SD_EEES6_PiJS6_EEE10hipError_tPvRmT3_T4_T5_T6_T7_T9_mT8_P12ihipStream_tbDpT10_ENKUlT_T0_E_clISt17integral_constantIbLb0EES1E_IbLb1EEEEDaS1A_S1B_EUlS1A_E_NS1_11comp_targetILNS1_3genE8ELNS1_11target_archE1030ELNS1_3gpuE2ELNS1_3repE0EEENS1_30default_config_static_selectorELNS0_4arch9wavefront6targetE0EEEvT1_ ; -- Begin function _ZN7rocprim17ROCPRIM_400000_NS6detail17trampoline_kernelINS0_14default_configENS1_25partition_config_selectorILNS1_17partition_subalgoE5ElNS0_10empty_typeEbEEZZNS1_14partition_implILS5_5ELb0ES3_mN6hipcub16HIPCUB_304000_NS21CountingInputIteratorIllEEPS6_NSA_22TransformInputIteratorIbN2at6native12_GLOBAL__N_19NonZeroOpIN3c107complexINSJ_4HalfEEEEEPKSM_lEENS0_5tupleIJPlS6_EEENSR_IJSD_SD_EEES6_PiJS6_EEE10hipError_tPvRmT3_T4_T5_T6_T7_T9_mT8_P12ihipStream_tbDpT10_ENKUlT_T0_E_clISt17integral_constantIbLb0EES1E_IbLb1EEEEDaS1A_S1B_EUlS1A_E_NS1_11comp_targetILNS1_3genE8ELNS1_11target_archE1030ELNS1_3gpuE2ELNS1_3repE0EEENS1_30default_config_static_selectorELNS0_4arch9wavefront6targetE0EEEvT1_
	.p2align	8
	.type	_ZN7rocprim17ROCPRIM_400000_NS6detail17trampoline_kernelINS0_14default_configENS1_25partition_config_selectorILNS1_17partition_subalgoE5ElNS0_10empty_typeEbEEZZNS1_14partition_implILS5_5ELb0ES3_mN6hipcub16HIPCUB_304000_NS21CountingInputIteratorIllEEPS6_NSA_22TransformInputIteratorIbN2at6native12_GLOBAL__N_19NonZeroOpIN3c107complexINSJ_4HalfEEEEEPKSM_lEENS0_5tupleIJPlS6_EEENSR_IJSD_SD_EEES6_PiJS6_EEE10hipError_tPvRmT3_T4_T5_T6_T7_T9_mT8_P12ihipStream_tbDpT10_ENKUlT_T0_E_clISt17integral_constantIbLb0EES1E_IbLb1EEEEDaS1A_S1B_EUlS1A_E_NS1_11comp_targetILNS1_3genE8ELNS1_11target_archE1030ELNS1_3gpuE2ELNS1_3repE0EEENS1_30default_config_static_selectorELNS0_4arch9wavefront6targetE0EEEvT1_,@function
_ZN7rocprim17ROCPRIM_400000_NS6detail17trampoline_kernelINS0_14default_configENS1_25partition_config_selectorILNS1_17partition_subalgoE5ElNS0_10empty_typeEbEEZZNS1_14partition_implILS5_5ELb0ES3_mN6hipcub16HIPCUB_304000_NS21CountingInputIteratorIllEEPS6_NSA_22TransformInputIteratorIbN2at6native12_GLOBAL__N_19NonZeroOpIN3c107complexINSJ_4HalfEEEEEPKSM_lEENS0_5tupleIJPlS6_EEENSR_IJSD_SD_EEES6_PiJS6_EEE10hipError_tPvRmT3_T4_T5_T6_T7_T9_mT8_P12ihipStream_tbDpT10_ENKUlT_T0_E_clISt17integral_constantIbLb0EES1E_IbLb1EEEEDaS1A_S1B_EUlS1A_E_NS1_11comp_targetILNS1_3genE8ELNS1_11target_archE1030ELNS1_3gpuE2ELNS1_3repE0EEENS1_30default_config_static_selectorELNS0_4arch9wavefront6targetE0EEEvT1_: ; @_ZN7rocprim17ROCPRIM_400000_NS6detail17trampoline_kernelINS0_14default_configENS1_25partition_config_selectorILNS1_17partition_subalgoE5ElNS0_10empty_typeEbEEZZNS1_14partition_implILS5_5ELb0ES3_mN6hipcub16HIPCUB_304000_NS21CountingInputIteratorIllEEPS6_NSA_22TransformInputIteratorIbN2at6native12_GLOBAL__N_19NonZeroOpIN3c107complexINSJ_4HalfEEEEEPKSM_lEENS0_5tupleIJPlS6_EEENSR_IJSD_SD_EEES6_PiJS6_EEE10hipError_tPvRmT3_T4_T5_T6_T7_T9_mT8_P12ihipStream_tbDpT10_ENKUlT_T0_E_clISt17integral_constantIbLb0EES1E_IbLb1EEEEDaS1A_S1B_EUlS1A_E_NS1_11comp_targetILNS1_3genE8ELNS1_11target_archE1030ELNS1_3gpuE2ELNS1_3repE0EEENS1_30default_config_static_selectorELNS0_4arch9wavefront6targetE0EEEvT1_
; %bb.0:
	.section	.rodata,"a",@progbits
	.p2align	6, 0x0
	.amdhsa_kernel _ZN7rocprim17ROCPRIM_400000_NS6detail17trampoline_kernelINS0_14default_configENS1_25partition_config_selectorILNS1_17partition_subalgoE5ElNS0_10empty_typeEbEEZZNS1_14partition_implILS5_5ELb0ES3_mN6hipcub16HIPCUB_304000_NS21CountingInputIteratorIllEEPS6_NSA_22TransformInputIteratorIbN2at6native12_GLOBAL__N_19NonZeroOpIN3c107complexINSJ_4HalfEEEEEPKSM_lEENS0_5tupleIJPlS6_EEENSR_IJSD_SD_EEES6_PiJS6_EEE10hipError_tPvRmT3_T4_T5_T6_T7_T9_mT8_P12ihipStream_tbDpT10_ENKUlT_T0_E_clISt17integral_constantIbLb0EES1E_IbLb1EEEEDaS1A_S1B_EUlS1A_E_NS1_11comp_targetILNS1_3genE8ELNS1_11target_archE1030ELNS1_3gpuE2ELNS1_3repE0EEENS1_30default_config_static_selectorELNS0_4arch9wavefront6targetE0EEEvT1_
		.amdhsa_group_segment_fixed_size 0
		.amdhsa_private_segment_fixed_size 0
		.amdhsa_kernarg_size 136
		.amdhsa_user_sgpr_count 15
		.amdhsa_user_sgpr_dispatch_ptr 0
		.amdhsa_user_sgpr_queue_ptr 0
		.amdhsa_user_sgpr_kernarg_segment_ptr 1
		.amdhsa_user_sgpr_dispatch_id 0
		.amdhsa_user_sgpr_private_segment_size 0
		.amdhsa_wavefront_size32 1
		.amdhsa_uses_dynamic_stack 0
		.amdhsa_enable_private_segment 0
		.amdhsa_system_sgpr_workgroup_id_x 1
		.amdhsa_system_sgpr_workgroup_id_y 0
		.amdhsa_system_sgpr_workgroup_id_z 0
		.amdhsa_system_sgpr_workgroup_info 0
		.amdhsa_system_vgpr_workitem_id 0
		.amdhsa_next_free_vgpr 1
		.amdhsa_next_free_sgpr 1
		.amdhsa_reserve_vcc 0
		.amdhsa_float_round_mode_32 0
		.amdhsa_float_round_mode_16_64 0
		.amdhsa_float_denorm_mode_32 3
		.amdhsa_float_denorm_mode_16_64 3
		.amdhsa_dx10_clamp 1
		.amdhsa_ieee_mode 1
		.amdhsa_fp16_overflow 0
		.amdhsa_workgroup_processor_mode 1
		.amdhsa_memory_ordered 1
		.amdhsa_forward_progress 0
		.amdhsa_shared_vgpr_count 0
		.amdhsa_exception_fp_ieee_invalid_op 0
		.amdhsa_exception_fp_denorm_src 0
		.amdhsa_exception_fp_ieee_div_zero 0
		.amdhsa_exception_fp_ieee_overflow 0
		.amdhsa_exception_fp_ieee_underflow 0
		.amdhsa_exception_fp_ieee_inexact 0
		.amdhsa_exception_int_div_zero 0
	.end_amdhsa_kernel
	.section	.text._ZN7rocprim17ROCPRIM_400000_NS6detail17trampoline_kernelINS0_14default_configENS1_25partition_config_selectorILNS1_17partition_subalgoE5ElNS0_10empty_typeEbEEZZNS1_14partition_implILS5_5ELb0ES3_mN6hipcub16HIPCUB_304000_NS21CountingInputIteratorIllEEPS6_NSA_22TransformInputIteratorIbN2at6native12_GLOBAL__N_19NonZeroOpIN3c107complexINSJ_4HalfEEEEEPKSM_lEENS0_5tupleIJPlS6_EEENSR_IJSD_SD_EEES6_PiJS6_EEE10hipError_tPvRmT3_T4_T5_T6_T7_T9_mT8_P12ihipStream_tbDpT10_ENKUlT_T0_E_clISt17integral_constantIbLb0EES1E_IbLb1EEEEDaS1A_S1B_EUlS1A_E_NS1_11comp_targetILNS1_3genE8ELNS1_11target_archE1030ELNS1_3gpuE2ELNS1_3repE0EEENS1_30default_config_static_selectorELNS0_4arch9wavefront6targetE0EEEvT1_,"axG",@progbits,_ZN7rocprim17ROCPRIM_400000_NS6detail17trampoline_kernelINS0_14default_configENS1_25partition_config_selectorILNS1_17partition_subalgoE5ElNS0_10empty_typeEbEEZZNS1_14partition_implILS5_5ELb0ES3_mN6hipcub16HIPCUB_304000_NS21CountingInputIteratorIllEEPS6_NSA_22TransformInputIteratorIbN2at6native12_GLOBAL__N_19NonZeroOpIN3c107complexINSJ_4HalfEEEEEPKSM_lEENS0_5tupleIJPlS6_EEENSR_IJSD_SD_EEES6_PiJS6_EEE10hipError_tPvRmT3_T4_T5_T6_T7_T9_mT8_P12ihipStream_tbDpT10_ENKUlT_T0_E_clISt17integral_constantIbLb0EES1E_IbLb1EEEEDaS1A_S1B_EUlS1A_E_NS1_11comp_targetILNS1_3genE8ELNS1_11target_archE1030ELNS1_3gpuE2ELNS1_3repE0EEENS1_30default_config_static_selectorELNS0_4arch9wavefront6targetE0EEEvT1_,comdat
.Lfunc_end693:
	.size	_ZN7rocprim17ROCPRIM_400000_NS6detail17trampoline_kernelINS0_14default_configENS1_25partition_config_selectorILNS1_17partition_subalgoE5ElNS0_10empty_typeEbEEZZNS1_14partition_implILS5_5ELb0ES3_mN6hipcub16HIPCUB_304000_NS21CountingInputIteratorIllEEPS6_NSA_22TransformInputIteratorIbN2at6native12_GLOBAL__N_19NonZeroOpIN3c107complexINSJ_4HalfEEEEEPKSM_lEENS0_5tupleIJPlS6_EEENSR_IJSD_SD_EEES6_PiJS6_EEE10hipError_tPvRmT3_T4_T5_T6_T7_T9_mT8_P12ihipStream_tbDpT10_ENKUlT_T0_E_clISt17integral_constantIbLb0EES1E_IbLb1EEEEDaS1A_S1B_EUlS1A_E_NS1_11comp_targetILNS1_3genE8ELNS1_11target_archE1030ELNS1_3gpuE2ELNS1_3repE0EEENS1_30default_config_static_selectorELNS0_4arch9wavefront6targetE0EEEvT1_, .Lfunc_end693-_ZN7rocprim17ROCPRIM_400000_NS6detail17trampoline_kernelINS0_14default_configENS1_25partition_config_selectorILNS1_17partition_subalgoE5ElNS0_10empty_typeEbEEZZNS1_14partition_implILS5_5ELb0ES3_mN6hipcub16HIPCUB_304000_NS21CountingInputIteratorIllEEPS6_NSA_22TransformInputIteratorIbN2at6native12_GLOBAL__N_19NonZeroOpIN3c107complexINSJ_4HalfEEEEEPKSM_lEENS0_5tupleIJPlS6_EEENSR_IJSD_SD_EEES6_PiJS6_EEE10hipError_tPvRmT3_T4_T5_T6_T7_T9_mT8_P12ihipStream_tbDpT10_ENKUlT_T0_E_clISt17integral_constantIbLb0EES1E_IbLb1EEEEDaS1A_S1B_EUlS1A_E_NS1_11comp_targetILNS1_3genE8ELNS1_11target_archE1030ELNS1_3gpuE2ELNS1_3repE0EEENS1_30default_config_static_selectorELNS0_4arch9wavefront6targetE0EEEvT1_
                                        ; -- End function
	.section	.AMDGPU.csdata,"",@progbits
; Kernel info:
; codeLenInByte = 0
; NumSgprs: 0
; NumVgprs: 0
; ScratchSize: 0
; MemoryBound: 0
; FloatMode: 240
; IeeeMode: 1
; LDSByteSize: 0 bytes/workgroup (compile time only)
; SGPRBlocks: 0
; VGPRBlocks: 0
; NumSGPRsForWavesPerEU: 1
; NumVGPRsForWavesPerEU: 1
; Occupancy: 16
; WaveLimiterHint : 0
; COMPUTE_PGM_RSRC2:SCRATCH_EN: 0
; COMPUTE_PGM_RSRC2:USER_SGPR: 15
; COMPUTE_PGM_RSRC2:TRAP_HANDLER: 0
; COMPUTE_PGM_RSRC2:TGID_X_EN: 1
; COMPUTE_PGM_RSRC2:TGID_Y_EN: 0
; COMPUTE_PGM_RSRC2:TGID_Z_EN: 0
; COMPUTE_PGM_RSRC2:TIDIG_COMP_CNT: 0
	.section	.text._ZN7rocprim17ROCPRIM_400000_NS6detail17trampoline_kernelINS0_14default_configENS1_22reduce_config_selectorIiEEZNS1_11reduce_implILb1ES3_PiS7_iN6hipcub16HIPCUB_304000_NS6detail34convert_binary_result_type_wrapperINS9_3SumENS9_22TransformInputIteratorIbN2at6native12_GLOBAL__N_19NonZeroOpIbEEPKblEEiEEEE10hipError_tPvRmT1_T2_T3_mT4_P12ihipStream_tbEUlT_E0_NS1_11comp_targetILNS1_3genE0ELNS1_11target_archE4294967295ELNS1_3gpuE0ELNS1_3repE0EEENS1_30default_config_static_selectorELNS0_4arch9wavefront6targetE0EEEvSQ_,"axG",@progbits,_ZN7rocprim17ROCPRIM_400000_NS6detail17trampoline_kernelINS0_14default_configENS1_22reduce_config_selectorIiEEZNS1_11reduce_implILb1ES3_PiS7_iN6hipcub16HIPCUB_304000_NS6detail34convert_binary_result_type_wrapperINS9_3SumENS9_22TransformInputIteratorIbN2at6native12_GLOBAL__N_19NonZeroOpIbEEPKblEEiEEEE10hipError_tPvRmT1_T2_T3_mT4_P12ihipStream_tbEUlT_E0_NS1_11comp_targetILNS1_3genE0ELNS1_11target_archE4294967295ELNS1_3gpuE0ELNS1_3repE0EEENS1_30default_config_static_selectorELNS0_4arch9wavefront6targetE0EEEvSQ_,comdat
	.globl	_ZN7rocprim17ROCPRIM_400000_NS6detail17trampoline_kernelINS0_14default_configENS1_22reduce_config_selectorIiEEZNS1_11reduce_implILb1ES3_PiS7_iN6hipcub16HIPCUB_304000_NS6detail34convert_binary_result_type_wrapperINS9_3SumENS9_22TransformInputIteratorIbN2at6native12_GLOBAL__N_19NonZeroOpIbEEPKblEEiEEEE10hipError_tPvRmT1_T2_T3_mT4_P12ihipStream_tbEUlT_E0_NS1_11comp_targetILNS1_3genE0ELNS1_11target_archE4294967295ELNS1_3gpuE0ELNS1_3repE0EEENS1_30default_config_static_selectorELNS0_4arch9wavefront6targetE0EEEvSQ_ ; -- Begin function _ZN7rocprim17ROCPRIM_400000_NS6detail17trampoline_kernelINS0_14default_configENS1_22reduce_config_selectorIiEEZNS1_11reduce_implILb1ES3_PiS7_iN6hipcub16HIPCUB_304000_NS6detail34convert_binary_result_type_wrapperINS9_3SumENS9_22TransformInputIteratorIbN2at6native12_GLOBAL__N_19NonZeroOpIbEEPKblEEiEEEE10hipError_tPvRmT1_T2_T3_mT4_P12ihipStream_tbEUlT_E0_NS1_11comp_targetILNS1_3genE0ELNS1_11target_archE4294967295ELNS1_3gpuE0ELNS1_3repE0EEENS1_30default_config_static_selectorELNS0_4arch9wavefront6targetE0EEEvSQ_
	.p2align	8
	.type	_ZN7rocprim17ROCPRIM_400000_NS6detail17trampoline_kernelINS0_14default_configENS1_22reduce_config_selectorIiEEZNS1_11reduce_implILb1ES3_PiS7_iN6hipcub16HIPCUB_304000_NS6detail34convert_binary_result_type_wrapperINS9_3SumENS9_22TransformInputIteratorIbN2at6native12_GLOBAL__N_19NonZeroOpIbEEPKblEEiEEEE10hipError_tPvRmT1_T2_T3_mT4_P12ihipStream_tbEUlT_E0_NS1_11comp_targetILNS1_3genE0ELNS1_11target_archE4294967295ELNS1_3gpuE0ELNS1_3repE0EEENS1_30default_config_static_selectorELNS0_4arch9wavefront6targetE0EEEvSQ_,@function
_ZN7rocprim17ROCPRIM_400000_NS6detail17trampoline_kernelINS0_14default_configENS1_22reduce_config_selectorIiEEZNS1_11reduce_implILb1ES3_PiS7_iN6hipcub16HIPCUB_304000_NS6detail34convert_binary_result_type_wrapperINS9_3SumENS9_22TransformInputIteratorIbN2at6native12_GLOBAL__N_19NonZeroOpIbEEPKblEEiEEEE10hipError_tPvRmT1_T2_T3_mT4_P12ihipStream_tbEUlT_E0_NS1_11comp_targetILNS1_3genE0ELNS1_11target_archE4294967295ELNS1_3gpuE0ELNS1_3repE0EEENS1_30default_config_static_selectorELNS0_4arch9wavefront6targetE0EEEvSQ_: ; @_ZN7rocprim17ROCPRIM_400000_NS6detail17trampoline_kernelINS0_14default_configENS1_22reduce_config_selectorIiEEZNS1_11reduce_implILb1ES3_PiS7_iN6hipcub16HIPCUB_304000_NS6detail34convert_binary_result_type_wrapperINS9_3SumENS9_22TransformInputIteratorIbN2at6native12_GLOBAL__N_19NonZeroOpIbEEPKblEEiEEEE10hipError_tPvRmT1_T2_T3_mT4_P12ihipStream_tbEUlT_E0_NS1_11comp_targetILNS1_3genE0ELNS1_11target_archE4294967295ELNS1_3gpuE0ELNS1_3repE0EEENS1_30default_config_static_selectorELNS0_4arch9wavefront6targetE0EEEvSQ_
; %bb.0:
	.section	.rodata,"a",@progbits
	.p2align	6, 0x0
	.amdhsa_kernel _ZN7rocprim17ROCPRIM_400000_NS6detail17trampoline_kernelINS0_14default_configENS1_22reduce_config_selectorIiEEZNS1_11reduce_implILb1ES3_PiS7_iN6hipcub16HIPCUB_304000_NS6detail34convert_binary_result_type_wrapperINS9_3SumENS9_22TransformInputIteratorIbN2at6native12_GLOBAL__N_19NonZeroOpIbEEPKblEEiEEEE10hipError_tPvRmT1_T2_T3_mT4_P12ihipStream_tbEUlT_E0_NS1_11comp_targetILNS1_3genE0ELNS1_11target_archE4294967295ELNS1_3gpuE0ELNS1_3repE0EEENS1_30default_config_static_selectorELNS0_4arch9wavefront6targetE0EEEvSQ_
		.amdhsa_group_segment_fixed_size 0
		.amdhsa_private_segment_fixed_size 0
		.amdhsa_kernarg_size 56
		.amdhsa_user_sgpr_count 15
		.amdhsa_user_sgpr_dispatch_ptr 0
		.amdhsa_user_sgpr_queue_ptr 0
		.amdhsa_user_sgpr_kernarg_segment_ptr 1
		.amdhsa_user_sgpr_dispatch_id 0
		.amdhsa_user_sgpr_private_segment_size 0
		.amdhsa_wavefront_size32 1
		.amdhsa_uses_dynamic_stack 0
		.amdhsa_enable_private_segment 0
		.amdhsa_system_sgpr_workgroup_id_x 1
		.amdhsa_system_sgpr_workgroup_id_y 0
		.amdhsa_system_sgpr_workgroup_id_z 0
		.amdhsa_system_sgpr_workgroup_info 0
		.amdhsa_system_vgpr_workitem_id 0
		.amdhsa_next_free_vgpr 1
		.amdhsa_next_free_sgpr 1
		.amdhsa_reserve_vcc 0
		.amdhsa_float_round_mode_32 0
		.amdhsa_float_round_mode_16_64 0
		.amdhsa_float_denorm_mode_32 3
		.amdhsa_float_denorm_mode_16_64 3
		.amdhsa_dx10_clamp 1
		.amdhsa_ieee_mode 1
		.amdhsa_fp16_overflow 0
		.amdhsa_workgroup_processor_mode 1
		.amdhsa_memory_ordered 1
		.amdhsa_forward_progress 0
		.amdhsa_shared_vgpr_count 0
		.amdhsa_exception_fp_ieee_invalid_op 0
		.amdhsa_exception_fp_denorm_src 0
		.amdhsa_exception_fp_ieee_div_zero 0
		.amdhsa_exception_fp_ieee_overflow 0
		.amdhsa_exception_fp_ieee_underflow 0
		.amdhsa_exception_fp_ieee_inexact 0
		.amdhsa_exception_int_div_zero 0
	.end_amdhsa_kernel
	.section	.text._ZN7rocprim17ROCPRIM_400000_NS6detail17trampoline_kernelINS0_14default_configENS1_22reduce_config_selectorIiEEZNS1_11reduce_implILb1ES3_PiS7_iN6hipcub16HIPCUB_304000_NS6detail34convert_binary_result_type_wrapperINS9_3SumENS9_22TransformInputIteratorIbN2at6native12_GLOBAL__N_19NonZeroOpIbEEPKblEEiEEEE10hipError_tPvRmT1_T2_T3_mT4_P12ihipStream_tbEUlT_E0_NS1_11comp_targetILNS1_3genE0ELNS1_11target_archE4294967295ELNS1_3gpuE0ELNS1_3repE0EEENS1_30default_config_static_selectorELNS0_4arch9wavefront6targetE0EEEvSQ_,"axG",@progbits,_ZN7rocprim17ROCPRIM_400000_NS6detail17trampoline_kernelINS0_14default_configENS1_22reduce_config_selectorIiEEZNS1_11reduce_implILb1ES3_PiS7_iN6hipcub16HIPCUB_304000_NS6detail34convert_binary_result_type_wrapperINS9_3SumENS9_22TransformInputIteratorIbN2at6native12_GLOBAL__N_19NonZeroOpIbEEPKblEEiEEEE10hipError_tPvRmT1_T2_T3_mT4_P12ihipStream_tbEUlT_E0_NS1_11comp_targetILNS1_3genE0ELNS1_11target_archE4294967295ELNS1_3gpuE0ELNS1_3repE0EEENS1_30default_config_static_selectorELNS0_4arch9wavefront6targetE0EEEvSQ_,comdat
.Lfunc_end694:
	.size	_ZN7rocprim17ROCPRIM_400000_NS6detail17trampoline_kernelINS0_14default_configENS1_22reduce_config_selectorIiEEZNS1_11reduce_implILb1ES3_PiS7_iN6hipcub16HIPCUB_304000_NS6detail34convert_binary_result_type_wrapperINS9_3SumENS9_22TransformInputIteratorIbN2at6native12_GLOBAL__N_19NonZeroOpIbEEPKblEEiEEEE10hipError_tPvRmT1_T2_T3_mT4_P12ihipStream_tbEUlT_E0_NS1_11comp_targetILNS1_3genE0ELNS1_11target_archE4294967295ELNS1_3gpuE0ELNS1_3repE0EEENS1_30default_config_static_selectorELNS0_4arch9wavefront6targetE0EEEvSQ_, .Lfunc_end694-_ZN7rocprim17ROCPRIM_400000_NS6detail17trampoline_kernelINS0_14default_configENS1_22reduce_config_selectorIiEEZNS1_11reduce_implILb1ES3_PiS7_iN6hipcub16HIPCUB_304000_NS6detail34convert_binary_result_type_wrapperINS9_3SumENS9_22TransformInputIteratorIbN2at6native12_GLOBAL__N_19NonZeroOpIbEEPKblEEiEEEE10hipError_tPvRmT1_T2_T3_mT4_P12ihipStream_tbEUlT_E0_NS1_11comp_targetILNS1_3genE0ELNS1_11target_archE4294967295ELNS1_3gpuE0ELNS1_3repE0EEENS1_30default_config_static_selectorELNS0_4arch9wavefront6targetE0EEEvSQ_
                                        ; -- End function
	.section	.AMDGPU.csdata,"",@progbits
; Kernel info:
; codeLenInByte = 0
; NumSgprs: 0
; NumVgprs: 0
; ScratchSize: 0
; MemoryBound: 0
; FloatMode: 240
; IeeeMode: 1
; LDSByteSize: 0 bytes/workgroup (compile time only)
; SGPRBlocks: 0
; VGPRBlocks: 0
; NumSGPRsForWavesPerEU: 1
; NumVGPRsForWavesPerEU: 1
; Occupancy: 16
; WaveLimiterHint : 0
; COMPUTE_PGM_RSRC2:SCRATCH_EN: 0
; COMPUTE_PGM_RSRC2:USER_SGPR: 15
; COMPUTE_PGM_RSRC2:TRAP_HANDLER: 0
; COMPUTE_PGM_RSRC2:TGID_X_EN: 1
; COMPUTE_PGM_RSRC2:TGID_Y_EN: 0
; COMPUTE_PGM_RSRC2:TGID_Z_EN: 0
; COMPUTE_PGM_RSRC2:TIDIG_COMP_CNT: 0
	.section	.text._ZN7rocprim17ROCPRIM_400000_NS6detail17trampoline_kernelINS0_14default_configENS1_22reduce_config_selectorIiEEZNS1_11reduce_implILb1ES3_PiS7_iN6hipcub16HIPCUB_304000_NS6detail34convert_binary_result_type_wrapperINS9_3SumENS9_22TransformInputIteratorIbN2at6native12_GLOBAL__N_19NonZeroOpIbEEPKblEEiEEEE10hipError_tPvRmT1_T2_T3_mT4_P12ihipStream_tbEUlT_E0_NS1_11comp_targetILNS1_3genE5ELNS1_11target_archE942ELNS1_3gpuE9ELNS1_3repE0EEENS1_30default_config_static_selectorELNS0_4arch9wavefront6targetE0EEEvSQ_,"axG",@progbits,_ZN7rocprim17ROCPRIM_400000_NS6detail17trampoline_kernelINS0_14default_configENS1_22reduce_config_selectorIiEEZNS1_11reduce_implILb1ES3_PiS7_iN6hipcub16HIPCUB_304000_NS6detail34convert_binary_result_type_wrapperINS9_3SumENS9_22TransformInputIteratorIbN2at6native12_GLOBAL__N_19NonZeroOpIbEEPKblEEiEEEE10hipError_tPvRmT1_T2_T3_mT4_P12ihipStream_tbEUlT_E0_NS1_11comp_targetILNS1_3genE5ELNS1_11target_archE942ELNS1_3gpuE9ELNS1_3repE0EEENS1_30default_config_static_selectorELNS0_4arch9wavefront6targetE0EEEvSQ_,comdat
	.globl	_ZN7rocprim17ROCPRIM_400000_NS6detail17trampoline_kernelINS0_14default_configENS1_22reduce_config_selectorIiEEZNS1_11reduce_implILb1ES3_PiS7_iN6hipcub16HIPCUB_304000_NS6detail34convert_binary_result_type_wrapperINS9_3SumENS9_22TransformInputIteratorIbN2at6native12_GLOBAL__N_19NonZeroOpIbEEPKblEEiEEEE10hipError_tPvRmT1_T2_T3_mT4_P12ihipStream_tbEUlT_E0_NS1_11comp_targetILNS1_3genE5ELNS1_11target_archE942ELNS1_3gpuE9ELNS1_3repE0EEENS1_30default_config_static_selectorELNS0_4arch9wavefront6targetE0EEEvSQ_ ; -- Begin function _ZN7rocprim17ROCPRIM_400000_NS6detail17trampoline_kernelINS0_14default_configENS1_22reduce_config_selectorIiEEZNS1_11reduce_implILb1ES3_PiS7_iN6hipcub16HIPCUB_304000_NS6detail34convert_binary_result_type_wrapperINS9_3SumENS9_22TransformInputIteratorIbN2at6native12_GLOBAL__N_19NonZeroOpIbEEPKblEEiEEEE10hipError_tPvRmT1_T2_T3_mT4_P12ihipStream_tbEUlT_E0_NS1_11comp_targetILNS1_3genE5ELNS1_11target_archE942ELNS1_3gpuE9ELNS1_3repE0EEENS1_30default_config_static_selectorELNS0_4arch9wavefront6targetE0EEEvSQ_
	.p2align	8
	.type	_ZN7rocprim17ROCPRIM_400000_NS6detail17trampoline_kernelINS0_14default_configENS1_22reduce_config_selectorIiEEZNS1_11reduce_implILb1ES3_PiS7_iN6hipcub16HIPCUB_304000_NS6detail34convert_binary_result_type_wrapperINS9_3SumENS9_22TransformInputIteratorIbN2at6native12_GLOBAL__N_19NonZeroOpIbEEPKblEEiEEEE10hipError_tPvRmT1_T2_T3_mT4_P12ihipStream_tbEUlT_E0_NS1_11comp_targetILNS1_3genE5ELNS1_11target_archE942ELNS1_3gpuE9ELNS1_3repE0EEENS1_30default_config_static_selectorELNS0_4arch9wavefront6targetE0EEEvSQ_,@function
_ZN7rocprim17ROCPRIM_400000_NS6detail17trampoline_kernelINS0_14default_configENS1_22reduce_config_selectorIiEEZNS1_11reduce_implILb1ES3_PiS7_iN6hipcub16HIPCUB_304000_NS6detail34convert_binary_result_type_wrapperINS9_3SumENS9_22TransformInputIteratorIbN2at6native12_GLOBAL__N_19NonZeroOpIbEEPKblEEiEEEE10hipError_tPvRmT1_T2_T3_mT4_P12ihipStream_tbEUlT_E0_NS1_11comp_targetILNS1_3genE5ELNS1_11target_archE942ELNS1_3gpuE9ELNS1_3repE0EEENS1_30default_config_static_selectorELNS0_4arch9wavefront6targetE0EEEvSQ_: ; @_ZN7rocprim17ROCPRIM_400000_NS6detail17trampoline_kernelINS0_14default_configENS1_22reduce_config_selectorIiEEZNS1_11reduce_implILb1ES3_PiS7_iN6hipcub16HIPCUB_304000_NS6detail34convert_binary_result_type_wrapperINS9_3SumENS9_22TransformInputIteratorIbN2at6native12_GLOBAL__N_19NonZeroOpIbEEPKblEEiEEEE10hipError_tPvRmT1_T2_T3_mT4_P12ihipStream_tbEUlT_E0_NS1_11comp_targetILNS1_3genE5ELNS1_11target_archE942ELNS1_3gpuE9ELNS1_3repE0EEENS1_30default_config_static_selectorELNS0_4arch9wavefront6targetE0EEEvSQ_
; %bb.0:
	.section	.rodata,"a",@progbits
	.p2align	6, 0x0
	.amdhsa_kernel _ZN7rocprim17ROCPRIM_400000_NS6detail17trampoline_kernelINS0_14default_configENS1_22reduce_config_selectorIiEEZNS1_11reduce_implILb1ES3_PiS7_iN6hipcub16HIPCUB_304000_NS6detail34convert_binary_result_type_wrapperINS9_3SumENS9_22TransformInputIteratorIbN2at6native12_GLOBAL__N_19NonZeroOpIbEEPKblEEiEEEE10hipError_tPvRmT1_T2_T3_mT4_P12ihipStream_tbEUlT_E0_NS1_11comp_targetILNS1_3genE5ELNS1_11target_archE942ELNS1_3gpuE9ELNS1_3repE0EEENS1_30default_config_static_selectorELNS0_4arch9wavefront6targetE0EEEvSQ_
		.amdhsa_group_segment_fixed_size 0
		.amdhsa_private_segment_fixed_size 0
		.amdhsa_kernarg_size 56
		.amdhsa_user_sgpr_count 15
		.amdhsa_user_sgpr_dispatch_ptr 0
		.amdhsa_user_sgpr_queue_ptr 0
		.amdhsa_user_sgpr_kernarg_segment_ptr 1
		.amdhsa_user_sgpr_dispatch_id 0
		.amdhsa_user_sgpr_private_segment_size 0
		.amdhsa_wavefront_size32 1
		.amdhsa_uses_dynamic_stack 0
		.amdhsa_enable_private_segment 0
		.amdhsa_system_sgpr_workgroup_id_x 1
		.amdhsa_system_sgpr_workgroup_id_y 0
		.amdhsa_system_sgpr_workgroup_id_z 0
		.amdhsa_system_sgpr_workgroup_info 0
		.amdhsa_system_vgpr_workitem_id 0
		.amdhsa_next_free_vgpr 1
		.amdhsa_next_free_sgpr 1
		.amdhsa_reserve_vcc 0
		.amdhsa_float_round_mode_32 0
		.amdhsa_float_round_mode_16_64 0
		.amdhsa_float_denorm_mode_32 3
		.amdhsa_float_denorm_mode_16_64 3
		.amdhsa_dx10_clamp 1
		.amdhsa_ieee_mode 1
		.amdhsa_fp16_overflow 0
		.amdhsa_workgroup_processor_mode 1
		.amdhsa_memory_ordered 1
		.amdhsa_forward_progress 0
		.amdhsa_shared_vgpr_count 0
		.amdhsa_exception_fp_ieee_invalid_op 0
		.amdhsa_exception_fp_denorm_src 0
		.amdhsa_exception_fp_ieee_div_zero 0
		.amdhsa_exception_fp_ieee_overflow 0
		.amdhsa_exception_fp_ieee_underflow 0
		.amdhsa_exception_fp_ieee_inexact 0
		.amdhsa_exception_int_div_zero 0
	.end_amdhsa_kernel
	.section	.text._ZN7rocprim17ROCPRIM_400000_NS6detail17trampoline_kernelINS0_14default_configENS1_22reduce_config_selectorIiEEZNS1_11reduce_implILb1ES3_PiS7_iN6hipcub16HIPCUB_304000_NS6detail34convert_binary_result_type_wrapperINS9_3SumENS9_22TransformInputIteratorIbN2at6native12_GLOBAL__N_19NonZeroOpIbEEPKblEEiEEEE10hipError_tPvRmT1_T2_T3_mT4_P12ihipStream_tbEUlT_E0_NS1_11comp_targetILNS1_3genE5ELNS1_11target_archE942ELNS1_3gpuE9ELNS1_3repE0EEENS1_30default_config_static_selectorELNS0_4arch9wavefront6targetE0EEEvSQ_,"axG",@progbits,_ZN7rocprim17ROCPRIM_400000_NS6detail17trampoline_kernelINS0_14default_configENS1_22reduce_config_selectorIiEEZNS1_11reduce_implILb1ES3_PiS7_iN6hipcub16HIPCUB_304000_NS6detail34convert_binary_result_type_wrapperINS9_3SumENS9_22TransformInputIteratorIbN2at6native12_GLOBAL__N_19NonZeroOpIbEEPKblEEiEEEE10hipError_tPvRmT1_T2_T3_mT4_P12ihipStream_tbEUlT_E0_NS1_11comp_targetILNS1_3genE5ELNS1_11target_archE942ELNS1_3gpuE9ELNS1_3repE0EEENS1_30default_config_static_selectorELNS0_4arch9wavefront6targetE0EEEvSQ_,comdat
.Lfunc_end695:
	.size	_ZN7rocprim17ROCPRIM_400000_NS6detail17trampoline_kernelINS0_14default_configENS1_22reduce_config_selectorIiEEZNS1_11reduce_implILb1ES3_PiS7_iN6hipcub16HIPCUB_304000_NS6detail34convert_binary_result_type_wrapperINS9_3SumENS9_22TransformInputIteratorIbN2at6native12_GLOBAL__N_19NonZeroOpIbEEPKblEEiEEEE10hipError_tPvRmT1_T2_T3_mT4_P12ihipStream_tbEUlT_E0_NS1_11comp_targetILNS1_3genE5ELNS1_11target_archE942ELNS1_3gpuE9ELNS1_3repE0EEENS1_30default_config_static_selectorELNS0_4arch9wavefront6targetE0EEEvSQ_, .Lfunc_end695-_ZN7rocprim17ROCPRIM_400000_NS6detail17trampoline_kernelINS0_14default_configENS1_22reduce_config_selectorIiEEZNS1_11reduce_implILb1ES3_PiS7_iN6hipcub16HIPCUB_304000_NS6detail34convert_binary_result_type_wrapperINS9_3SumENS9_22TransformInputIteratorIbN2at6native12_GLOBAL__N_19NonZeroOpIbEEPKblEEiEEEE10hipError_tPvRmT1_T2_T3_mT4_P12ihipStream_tbEUlT_E0_NS1_11comp_targetILNS1_3genE5ELNS1_11target_archE942ELNS1_3gpuE9ELNS1_3repE0EEENS1_30default_config_static_selectorELNS0_4arch9wavefront6targetE0EEEvSQ_
                                        ; -- End function
	.section	.AMDGPU.csdata,"",@progbits
; Kernel info:
; codeLenInByte = 0
; NumSgprs: 0
; NumVgprs: 0
; ScratchSize: 0
; MemoryBound: 0
; FloatMode: 240
; IeeeMode: 1
; LDSByteSize: 0 bytes/workgroup (compile time only)
; SGPRBlocks: 0
; VGPRBlocks: 0
; NumSGPRsForWavesPerEU: 1
; NumVGPRsForWavesPerEU: 1
; Occupancy: 16
; WaveLimiterHint : 0
; COMPUTE_PGM_RSRC2:SCRATCH_EN: 0
; COMPUTE_PGM_RSRC2:USER_SGPR: 15
; COMPUTE_PGM_RSRC2:TRAP_HANDLER: 0
; COMPUTE_PGM_RSRC2:TGID_X_EN: 1
; COMPUTE_PGM_RSRC2:TGID_Y_EN: 0
; COMPUTE_PGM_RSRC2:TGID_Z_EN: 0
; COMPUTE_PGM_RSRC2:TIDIG_COMP_CNT: 0
	.section	.text._ZN7rocprim17ROCPRIM_400000_NS6detail17trampoline_kernelINS0_14default_configENS1_22reduce_config_selectorIiEEZNS1_11reduce_implILb1ES3_PiS7_iN6hipcub16HIPCUB_304000_NS6detail34convert_binary_result_type_wrapperINS9_3SumENS9_22TransformInputIteratorIbN2at6native12_GLOBAL__N_19NonZeroOpIbEEPKblEEiEEEE10hipError_tPvRmT1_T2_T3_mT4_P12ihipStream_tbEUlT_E0_NS1_11comp_targetILNS1_3genE4ELNS1_11target_archE910ELNS1_3gpuE8ELNS1_3repE0EEENS1_30default_config_static_selectorELNS0_4arch9wavefront6targetE0EEEvSQ_,"axG",@progbits,_ZN7rocprim17ROCPRIM_400000_NS6detail17trampoline_kernelINS0_14default_configENS1_22reduce_config_selectorIiEEZNS1_11reduce_implILb1ES3_PiS7_iN6hipcub16HIPCUB_304000_NS6detail34convert_binary_result_type_wrapperINS9_3SumENS9_22TransformInputIteratorIbN2at6native12_GLOBAL__N_19NonZeroOpIbEEPKblEEiEEEE10hipError_tPvRmT1_T2_T3_mT4_P12ihipStream_tbEUlT_E0_NS1_11comp_targetILNS1_3genE4ELNS1_11target_archE910ELNS1_3gpuE8ELNS1_3repE0EEENS1_30default_config_static_selectorELNS0_4arch9wavefront6targetE0EEEvSQ_,comdat
	.globl	_ZN7rocprim17ROCPRIM_400000_NS6detail17trampoline_kernelINS0_14default_configENS1_22reduce_config_selectorIiEEZNS1_11reduce_implILb1ES3_PiS7_iN6hipcub16HIPCUB_304000_NS6detail34convert_binary_result_type_wrapperINS9_3SumENS9_22TransformInputIteratorIbN2at6native12_GLOBAL__N_19NonZeroOpIbEEPKblEEiEEEE10hipError_tPvRmT1_T2_T3_mT4_P12ihipStream_tbEUlT_E0_NS1_11comp_targetILNS1_3genE4ELNS1_11target_archE910ELNS1_3gpuE8ELNS1_3repE0EEENS1_30default_config_static_selectorELNS0_4arch9wavefront6targetE0EEEvSQ_ ; -- Begin function _ZN7rocprim17ROCPRIM_400000_NS6detail17trampoline_kernelINS0_14default_configENS1_22reduce_config_selectorIiEEZNS1_11reduce_implILb1ES3_PiS7_iN6hipcub16HIPCUB_304000_NS6detail34convert_binary_result_type_wrapperINS9_3SumENS9_22TransformInputIteratorIbN2at6native12_GLOBAL__N_19NonZeroOpIbEEPKblEEiEEEE10hipError_tPvRmT1_T2_T3_mT4_P12ihipStream_tbEUlT_E0_NS1_11comp_targetILNS1_3genE4ELNS1_11target_archE910ELNS1_3gpuE8ELNS1_3repE0EEENS1_30default_config_static_selectorELNS0_4arch9wavefront6targetE0EEEvSQ_
	.p2align	8
	.type	_ZN7rocprim17ROCPRIM_400000_NS6detail17trampoline_kernelINS0_14default_configENS1_22reduce_config_selectorIiEEZNS1_11reduce_implILb1ES3_PiS7_iN6hipcub16HIPCUB_304000_NS6detail34convert_binary_result_type_wrapperINS9_3SumENS9_22TransformInputIteratorIbN2at6native12_GLOBAL__N_19NonZeroOpIbEEPKblEEiEEEE10hipError_tPvRmT1_T2_T3_mT4_P12ihipStream_tbEUlT_E0_NS1_11comp_targetILNS1_3genE4ELNS1_11target_archE910ELNS1_3gpuE8ELNS1_3repE0EEENS1_30default_config_static_selectorELNS0_4arch9wavefront6targetE0EEEvSQ_,@function
_ZN7rocprim17ROCPRIM_400000_NS6detail17trampoline_kernelINS0_14default_configENS1_22reduce_config_selectorIiEEZNS1_11reduce_implILb1ES3_PiS7_iN6hipcub16HIPCUB_304000_NS6detail34convert_binary_result_type_wrapperINS9_3SumENS9_22TransformInputIteratorIbN2at6native12_GLOBAL__N_19NonZeroOpIbEEPKblEEiEEEE10hipError_tPvRmT1_T2_T3_mT4_P12ihipStream_tbEUlT_E0_NS1_11comp_targetILNS1_3genE4ELNS1_11target_archE910ELNS1_3gpuE8ELNS1_3repE0EEENS1_30default_config_static_selectorELNS0_4arch9wavefront6targetE0EEEvSQ_: ; @_ZN7rocprim17ROCPRIM_400000_NS6detail17trampoline_kernelINS0_14default_configENS1_22reduce_config_selectorIiEEZNS1_11reduce_implILb1ES3_PiS7_iN6hipcub16HIPCUB_304000_NS6detail34convert_binary_result_type_wrapperINS9_3SumENS9_22TransformInputIteratorIbN2at6native12_GLOBAL__N_19NonZeroOpIbEEPKblEEiEEEE10hipError_tPvRmT1_T2_T3_mT4_P12ihipStream_tbEUlT_E0_NS1_11comp_targetILNS1_3genE4ELNS1_11target_archE910ELNS1_3gpuE8ELNS1_3repE0EEENS1_30default_config_static_selectorELNS0_4arch9wavefront6targetE0EEEvSQ_
; %bb.0:
	.section	.rodata,"a",@progbits
	.p2align	6, 0x0
	.amdhsa_kernel _ZN7rocprim17ROCPRIM_400000_NS6detail17trampoline_kernelINS0_14default_configENS1_22reduce_config_selectorIiEEZNS1_11reduce_implILb1ES3_PiS7_iN6hipcub16HIPCUB_304000_NS6detail34convert_binary_result_type_wrapperINS9_3SumENS9_22TransformInputIteratorIbN2at6native12_GLOBAL__N_19NonZeroOpIbEEPKblEEiEEEE10hipError_tPvRmT1_T2_T3_mT4_P12ihipStream_tbEUlT_E0_NS1_11comp_targetILNS1_3genE4ELNS1_11target_archE910ELNS1_3gpuE8ELNS1_3repE0EEENS1_30default_config_static_selectorELNS0_4arch9wavefront6targetE0EEEvSQ_
		.amdhsa_group_segment_fixed_size 0
		.amdhsa_private_segment_fixed_size 0
		.amdhsa_kernarg_size 56
		.amdhsa_user_sgpr_count 15
		.amdhsa_user_sgpr_dispatch_ptr 0
		.amdhsa_user_sgpr_queue_ptr 0
		.amdhsa_user_sgpr_kernarg_segment_ptr 1
		.amdhsa_user_sgpr_dispatch_id 0
		.amdhsa_user_sgpr_private_segment_size 0
		.amdhsa_wavefront_size32 1
		.amdhsa_uses_dynamic_stack 0
		.amdhsa_enable_private_segment 0
		.amdhsa_system_sgpr_workgroup_id_x 1
		.amdhsa_system_sgpr_workgroup_id_y 0
		.amdhsa_system_sgpr_workgroup_id_z 0
		.amdhsa_system_sgpr_workgroup_info 0
		.amdhsa_system_vgpr_workitem_id 0
		.amdhsa_next_free_vgpr 1
		.amdhsa_next_free_sgpr 1
		.amdhsa_reserve_vcc 0
		.amdhsa_float_round_mode_32 0
		.amdhsa_float_round_mode_16_64 0
		.amdhsa_float_denorm_mode_32 3
		.amdhsa_float_denorm_mode_16_64 3
		.amdhsa_dx10_clamp 1
		.amdhsa_ieee_mode 1
		.amdhsa_fp16_overflow 0
		.amdhsa_workgroup_processor_mode 1
		.amdhsa_memory_ordered 1
		.amdhsa_forward_progress 0
		.amdhsa_shared_vgpr_count 0
		.amdhsa_exception_fp_ieee_invalid_op 0
		.amdhsa_exception_fp_denorm_src 0
		.amdhsa_exception_fp_ieee_div_zero 0
		.amdhsa_exception_fp_ieee_overflow 0
		.amdhsa_exception_fp_ieee_underflow 0
		.amdhsa_exception_fp_ieee_inexact 0
		.amdhsa_exception_int_div_zero 0
	.end_amdhsa_kernel
	.section	.text._ZN7rocprim17ROCPRIM_400000_NS6detail17trampoline_kernelINS0_14default_configENS1_22reduce_config_selectorIiEEZNS1_11reduce_implILb1ES3_PiS7_iN6hipcub16HIPCUB_304000_NS6detail34convert_binary_result_type_wrapperINS9_3SumENS9_22TransformInputIteratorIbN2at6native12_GLOBAL__N_19NonZeroOpIbEEPKblEEiEEEE10hipError_tPvRmT1_T2_T3_mT4_P12ihipStream_tbEUlT_E0_NS1_11comp_targetILNS1_3genE4ELNS1_11target_archE910ELNS1_3gpuE8ELNS1_3repE0EEENS1_30default_config_static_selectorELNS0_4arch9wavefront6targetE0EEEvSQ_,"axG",@progbits,_ZN7rocprim17ROCPRIM_400000_NS6detail17trampoline_kernelINS0_14default_configENS1_22reduce_config_selectorIiEEZNS1_11reduce_implILb1ES3_PiS7_iN6hipcub16HIPCUB_304000_NS6detail34convert_binary_result_type_wrapperINS9_3SumENS9_22TransformInputIteratorIbN2at6native12_GLOBAL__N_19NonZeroOpIbEEPKblEEiEEEE10hipError_tPvRmT1_T2_T3_mT4_P12ihipStream_tbEUlT_E0_NS1_11comp_targetILNS1_3genE4ELNS1_11target_archE910ELNS1_3gpuE8ELNS1_3repE0EEENS1_30default_config_static_selectorELNS0_4arch9wavefront6targetE0EEEvSQ_,comdat
.Lfunc_end696:
	.size	_ZN7rocprim17ROCPRIM_400000_NS6detail17trampoline_kernelINS0_14default_configENS1_22reduce_config_selectorIiEEZNS1_11reduce_implILb1ES3_PiS7_iN6hipcub16HIPCUB_304000_NS6detail34convert_binary_result_type_wrapperINS9_3SumENS9_22TransformInputIteratorIbN2at6native12_GLOBAL__N_19NonZeroOpIbEEPKblEEiEEEE10hipError_tPvRmT1_T2_T3_mT4_P12ihipStream_tbEUlT_E0_NS1_11comp_targetILNS1_3genE4ELNS1_11target_archE910ELNS1_3gpuE8ELNS1_3repE0EEENS1_30default_config_static_selectorELNS0_4arch9wavefront6targetE0EEEvSQ_, .Lfunc_end696-_ZN7rocprim17ROCPRIM_400000_NS6detail17trampoline_kernelINS0_14default_configENS1_22reduce_config_selectorIiEEZNS1_11reduce_implILb1ES3_PiS7_iN6hipcub16HIPCUB_304000_NS6detail34convert_binary_result_type_wrapperINS9_3SumENS9_22TransformInputIteratorIbN2at6native12_GLOBAL__N_19NonZeroOpIbEEPKblEEiEEEE10hipError_tPvRmT1_T2_T3_mT4_P12ihipStream_tbEUlT_E0_NS1_11comp_targetILNS1_3genE4ELNS1_11target_archE910ELNS1_3gpuE8ELNS1_3repE0EEENS1_30default_config_static_selectorELNS0_4arch9wavefront6targetE0EEEvSQ_
                                        ; -- End function
	.section	.AMDGPU.csdata,"",@progbits
; Kernel info:
; codeLenInByte = 0
; NumSgprs: 0
; NumVgprs: 0
; ScratchSize: 0
; MemoryBound: 0
; FloatMode: 240
; IeeeMode: 1
; LDSByteSize: 0 bytes/workgroup (compile time only)
; SGPRBlocks: 0
; VGPRBlocks: 0
; NumSGPRsForWavesPerEU: 1
; NumVGPRsForWavesPerEU: 1
; Occupancy: 16
; WaveLimiterHint : 0
; COMPUTE_PGM_RSRC2:SCRATCH_EN: 0
; COMPUTE_PGM_RSRC2:USER_SGPR: 15
; COMPUTE_PGM_RSRC2:TRAP_HANDLER: 0
; COMPUTE_PGM_RSRC2:TGID_X_EN: 1
; COMPUTE_PGM_RSRC2:TGID_Y_EN: 0
; COMPUTE_PGM_RSRC2:TGID_Z_EN: 0
; COMPUTE_PGM_RSRC2:TIDIG_COMP_CNT: 0
	.section	.text._ZN7rocprim17ROCPRIM_400000_NS6detail17trampoline_kernelINS0_14default_configENS1_22reduce_config_selectorIiEEZNS1_11reduce_implILb1ES3_PiS7_iN6hipcub16HIPCUB_304000_NS6detail34convert_binary_result_type_wrapperINS9_3SumENS9_22TransformInputIteratorIbN2at6native12_GLOBAL__N_19NonZeroOpIbEEPKblEEiEEEE10hipError_tPvRmT1_T2_T3_mT4_P12ihipStream_tbEUlT_E0_NS1_11comp_targetILNS1_3genE3ELNS1_11target_archE908ELNS1_3gpuE7ELNS1_3repE0EEENS1_30default_config_static_selectorELNS0_4arch9wavefront6targetE0EEEvSQ_,"axG",@progbits,_ZN7rocprim17ROCPRIM_400000_NS6detail17trampoline_kernelINS0_14default_configENS1_22reduce_config_selectorIiEEZNS1_11reduce_implILb1ES3_PiS7_iN6hipcub16HIPCUB_304000_NS6detail34convert_binary_result_type_wrapperINS9_3SumENS9_22TransformInputIteratorIbN2at6native12_GLOBAL__N_19NonZeroOpIbEEPKblEEiEEEE10hipError_tPvRmT1_T2_T3_mT4_P12ihipStream_tbEUlT_E0_NS1_11comp_targetILNS1_3genE3ELNS1_11target_archE908ELNS1_3gpuE7ELNS1_3repE0EEENS1_30default_config_static_selectorELNS0_4arch9wavefront6targetE0EEEvSQ_,comdat
	.globl	_ZN7rocprim17ROCPRIM_400000_NS6detail17trampoline_kernelINS0_14default_configENS1_22reduce_config_selectorIiEEZNS1_11reduce_implILb1ES3_PiS7_iN6hipcub16HIPCUB_304000_NS6detail34convert_binary_result_type_wrapperINS9_3SumENS9_22TransformInputIteratorIbN2at6native12_GLOBAL__N_19NonZeroOpIbEEPKblEEiEEEE10hipError_tPvRmT1_T2_T3_mT4_P12ihipStream_tbEUlT_E0_NS1_11comp_targetILNS1_3genE3ELNS1_11target_archE908ELNS1_3gpuE7ELNS1_3repE0EEENS1_30default_config_static_selectorELNS0_4arch9wavefront6targetE0EEEvSQ_ ; -- Begin function _ZN7rocprim17ROCPRIM_400000_NS6detail17trampoline_kernelINS0_14default_configENS1_22reduce_config_selectorIiEEZNS1_11reduce_implILb1ES3_PiS7_iN6hipcub16HIPCUB_304000_NS6detail34convert_binary_result_type_wrapperINS9_3SumENS9_22TransformInputIteratorIbN2at6native12_GLOBAL__N_19NonZeroOpIbEEPKblEEiEEEE10hipError_tPvRmT1_T2_T3_mT4_P12ihipStream_tbEUlT_E0_NS1_11comp_targetILNS1_3genE3ELNS1_11target_archE908ELNS1_3gpuE7ELNS1_3repE0EEENS1_30default_config_static_selectorELNS0_4arch9wavefront6targetE0EEEvSQ_
	.p2align	8
	.type	_ZN7rocprim17ROCPRIM_400000_NS6detail17trampoline_kernelINS0_14default_configENS1_22reduce_config_selectorIiEEZNS1_11reduce_implILb1ES3_PiS7_iN6hipcub16HIPCUB_304000_NS6detail34convert_binary_result_type_wrapperINS9_3SumENS9_22TransformInputIteratorIbN2at6native12_GLOBAL__N_19NonZeroOpIbEEPKblEEiEEEE10hipError_tPvRmT1_T2_T3_mT4_P12ihipStream_tbEUlT_E0_NS1_11comp_targetILNS1_3genE3ELNS1_11target_archE908ELNS1_3gpuE7ELNS1_3repE0EEENS1_30default_config_static_selectorELNS0_4arch9wavefront6targetE0EEEvSQ_,@function
_ZN7rocprim17ROCPRIM_400000_NS6detail17trampoline_kernelINS0_14default_configENS1_22reduce_config_selectorIiEEZNS1_11reduce_implILb1ES3_PiS7_iN6hipcub16HIPCUB_304000_NS6detail34convert_binary_result_type_wrapperINS9_3SumENS9_22TransformInputIteratorIbN2at6native12_GLOBAL__N_19NonZeroOpIbEEPKblEEiEEEE10hipError_tPvRmT1_T2_T3_mT4_P12ihipStream_tbEUlT_E0_NS1_11comp_targetILNS1_3genE3ELNS1_11target_archE908ELNS1_3gpuE7ELNS1_3repE0EEENS1_30default_config_static_selectorELNS0_4arch9wavefront6targetE0EEEvSQ_: ; @_ZN7rocprim17ROCPRIM_400000_NS6detail17trampoline_kernelINS0_14default_configENS1_22reduce_config_selectorIiEEZNS1_11reduce_implILb1ES3_PiS7_iN6hipcub16HIPCUB_304000_NS6detail34convert_binary_result_type_wrapperINS9_3SumENS9_22TransformInputIteratorIbN2at6native12_GLOBAL__N_19NonZeroOpIbEEPKblEEiEEEE10hipError_tPvRmT1_T2_T3_mT4_P12ihipStream_tbEUlT_E0_NS1_11comp_targetILNS1_3genE3ELNS1_11target_archE908ELNS1_3gpuE7ELNS1_3repE0EEENS1_30default_config_static_selectorELNS0_4arch9wavefront6targetE0EEEvSQ_
; %bb.0:
	.section	.rodata,"a",@progbits
	.p2align	6, 0x0
	.amdhsa_kernel _ZN7rocprim17ROCPRIM_400000_NS6detail17trampoline_kernelINS0_14default_configENS1_22reduce_config_selectorIiEEZNS1_11reduce_implILb1ES3_PiS7_iN6hipcub16HIPCUB_304000_NS6detail34convert_binary_result_type_wrapperINS9_3SumENS9_22TransformInputIteratorIbN2at6native12_GLOBAL__N_19NonZeroOpIbEEPKblEEiEEEE10hipError_tPvRmT1_T2_T3_mT4_P12ihipStream_tbEUlT_E0_NS1_11comp_targetILNS1_3genE3ELNS1_11target_archE908ELNS1_3gpuE7ELNS1_3repE0EEENS1_30default_config_static_selectorELNS0_4arch9wavefront6targetE0EEEvSQ_
		.amdhsa_group_segment_fixed_size 0
		.amdhsa_private_segment_fixed_size 0
		.amdhsa_kernarg_size 56
		.amdhsa_user_sgpr_count 15
		.amdhsa_user_sgpr_dispatch_ptr 0
		.amdhsa_user_sgpr_queue_ptr 0
		.amdhsa_user_sgpr_kernarg_segment_ptr 1
		.amdhsa_user_sgpr_dispatch_id 0
		.amdhsa_user_sgpr_private_segment_size 0
		.amdhsa_wavefront_size32 1
		.amdhsa_uses_dynamic_stack 0
		.amdhsa_enable_private_segment 0
		.amdhsa_system_sgpr_workgroup_id_x 1
		.amdhsa_system_sgpr_workgroup_id_y 0
		.amdhsa_system_sgpr_workgroup_id_z 0
		.amdhsa_system_sgpr_workgroup_info 0
		.amdhsa_system_vgpr_workitem_id 0
		.amdhsa_next_free_vgpr 1
		.amdhsa_next_free_sgpr 1
		.amdhsa_reserve_vcc 0
		.amdhsa_float_round_mode_32 0
		.amdhsa_float_round_mode_16_64 0
		.amdhsa_float_denorm_mode_32 3
		.amdhsa_float_denorm_mode_16_64 3
		.amdhsa_dx10_clamp 1
		.amdhsa_ieee_mode 1
		.amdhsa_fp16_overflow 0
		.amdhsa_workgroup_processor_mode 1
		.amdhsa_memory_ordered 1
		.amdhsa_forward_progress 0
		.amdhsa_shared_vgpr_count 0
		.amdhsa_exception_fp_ieee_invalid_op 0
		.amdhsa_exception_fp_denorm_src 0
		.amdhsa_exception_fp_ieee_div_zero 0
		.amdhsa_exception_fp_ieee_overflow 0
		.amdhsa_exception_fp_ieee_underflow 0
		.amdhsa_exception_fp_ieee_inexact 0
		.amdhsa_exception_int_div_zero 0
	.end_amdhsa_kernel
	.section	.text._ZN7rocprim17ROCPRIM_400000_NS6detail17trampoline_kernelINS0_14default_configENS1_22reduce_config_selectorIiEEZNS1_11reduce_implILb1ES3_PiS7_iN6hipcub16HIPCUB_304000_NS6detail34convert_binary_result_type_wrapperINS9_3SumENS9_22TransformInputIteratorIbN2at6native12_GLOBAL__N_19NonZeroOpIbEEPKblEEiEEEE10hipError_tPvRmT1_T2_T3_mT4_P12ihipStream_tbEUlT_E0_NS1_11comp_targetILNS1_3genE3ELNS1_11target_archE908ELNS1_3gpuE7ELNS1_3repE0EEENS1_30default_config_static_selectorELNS0_4arch9wavefront6targetE0EEEvSQ_,"axG",@progbits,_ZN7rocprim17ROCPRIM_400000_NS6detail17trampoline_kernelINS0_14default_configENS1_22reduce_config_selectorIiEEZNS1_11reduce_implILb1ES3_PiS7_iN6hipcub16HIPCUB_304000_NS6detail34convert_binary_result_type_wrapperINS9_3SumENS9_22TransformInputIteratorIbN2at6native12_GLOBAL__N_19NonZeroOpIbEEPKblEEiEEEE10hipError_tPvRmT1_T2_T3_mT4_P12ihipStream_tbEUlT_E0_NS1_11comp_targetILNS1_3genE3ELNS1_11target_archE908ELNS1_3gpuE7ELNS1_3repE0EEENS1_30default_config_static_selectorELNS0_4arch9wavefront6targetE0EEEvSQ_,comdat
.Lfunc_end697:
	.size	_ZN7rocprim17ROCPRIM_400000_NS6detail17trampoline_kernelINS0_14default_configENS1_22reduce_config_selectorIiEEZNS1_11reduce_implILb1ES3_PiS7_iN6hipcub16HIPCUB_304000_NS6detail34convert_binary_result_type_wrapperINS9_3SumENS9_22TransformInputIteratorIbN2at6native12_GLOBAL__N_19NonZeroOpIbEEPKblEEiEEEE10hipError_tPvRmT1_T2_T3_mT4_P12ihipStream_tbEUlT_E0_NS1_11comp_targetILNS1_3genE3ELNS1_11target_archE908ELNS1_3gpuE7ELNS1_3repE0EEENS1_30default_config_static_selectorELNS0_4arch9wavefront6targetE0EEEvSQ_, .Lfunc_end697-_ZN7rocprim17ROCPRIM_400000_NS6detail17trampoline_kernelINS0_14default_configENS1_22reduce_config_selectorIiEEZNS1_11reduce_implILb1ES3_PiS7_iN6hipcub16HIPCUB_304000_NS6detail34convert_binary_result_type_wrapperINS9_3SumENS9_22TransformInputIteratorIbN2at6native12_GLOBAL__N_19NonZeroOpIbEEPKblEEiEEEE10hipError_tPvRmT1_T2_T3_mT4_P12ihipStream_tbEUlT_E0_NS1_11comp_targetILNS1_3genE3ELNS1_11target_archE908ELNS1_3gpuE7ELNS1_3repE0EEENS1_30default_config_static_selectorELNS0_4arch9wavefront6targetE0EEEvSQ_
                                        ; -- End function
	.section	.AMDGPU.csdata,"",@progbits
; Kernel info:
; codeLenInByte = 0
; NumSgprs: 0
; NumVgprs: 0
; ScratchSize: 0
; MemoryBound: 0
; FloatMode: 240
; IeeeMode: 1
; LDSByteSize: 0 bytes/workgroup (compile time only)
; SGPRBlocks: 0
; VGPRBlocks: 0
; NumSGPRsForWavesPerEU: 1
; NumVGPRsForWavesPerEU: 1
; Occupancy: 16
; WaveLimiterHint : 0
; COMPUTE_PGM_RSRC2:SCRATCH_EN: 0
; COMPUTE_PGM_RSRC2:USER_SGPR: 15
; COMPUTE_PGM_RSRC2:TRAP_HANDLER: 0
; COMPUTE_PGM_RSRC2:TGID_X_EN: 1
; COMPUTE_PGM_RSRC2:TGID_Y_EN: 0
; COMPUTE_PGM_RSRC2:TGID_Z_EN: 0
; COMPUTE_PGM_RSRC2:TIDIG_COMP_CNT: 0
	.section	.text._ZN7rocprim17ROCPRIM_400000_NS6detail17trampoline_kernelINS0_14default_configENS1_22reduce_config_selectorIiEEZNS1_11reduce_implILb1ES3_PiS7_iN6hipcub16HIPCUB_304000_NS6detail34convert_binary_result_type_wrapperINS9_3SumENS9_22TransformInputIteratorIbN2at6native12_GLOBAL__N_19NonZeroOpIbEEPKblEEiEEEE10hipError_tPvRmT1_T2_T3_mT4_P12ihipStream_tbEUlT_E0_NS1_11comp_targetILNS1_3genE2ELNS1_11target_archE906ELNS1_3gpuE6ELNS1_3repE0EEENS1_30default_config_static_selectorELNS0_4arch9wavefront6targetE0EEEvSQ_,"axG",@progbits,_ZN7rocprim17ROCPRIM_400000_NS6detail17trampoline_kernelINS0_14default_configENS1_22reduce_config_selectorIiEEZNS1_11reduce_implILb1ES3_PiS7_iN6hipcub16HIPCUB_304000_NS6detail34convert_binary_result_type_wrapperINS9_3SumENS9_22TransformInputIteratorIbN2at6native12_GLOBAL__N_19NonZeroOpIbEEPKblEEiEEEE10hipError_tPvRmT1_T2_T3_mT4_P12ihipStream_tbEUlT_E0_NS1_11comp_targetILNS1_3genE2ELNS1_11target_archE906ELNS1_3gpuE6ELNS1_3repE0EEENS1_30default_config_static_selectorELNS0_4arch9wavefront6targetE0EEEvSQ_,comdat
	.globl	_ZN7rocprim17ROCPRIM_400000_NS6detail17trampoline_kernelINS0_14default_configENS1_22reduce_config_selectorIiEEZNS1_11reduce_implILb1ES3_PiS7_iN6hipcub16HIPCUB_304000_NS6detail34convert_binary_result_type_wrapperINS9_3SumENS9_22TransformInputIteratorIbN2at6native12_GLOBAL__N_19NonZeroOpIbEEPKblEEiEEEE10hipError_tPvRmT1_T2_T3_mT4_P12ihipStream_tbEUlT_E0_NS1_11comp_targetILNS1_3genE2ELNS1_11target_archE906ELNS1_3gpuE6ELNS1_3repE0EEENS1_30default_config_static_selectorELNS0_4arch9wavefront6targetE0EEEvSQ_ ; -- Begin function _ZN7rocprim17ROCPRIM_400000_NS6detail17trampoline_kernelINS0_14default_configENS1_22reduce_config_selectorIiEEZNS1_11reduce_implILb1ES3_PiS7_iN6hipcub16HIPCUB_304000_NS6detail34convert_binary_result_type_wrapperINS9_3SumENS9_22TransformInputIteratorIbN2at6native12_GLOBAL__N_19NonZeroOpIbEEPKblEEiEEEE10hipError_tPvRmT1_T2_T3_mT4_P12ihipStream_tbEUlT_E0_NS1_11comp_targetILNS1_3genE2ELNS1_11target_archE906ELNS1_3gpuE6ELNS1_3repE0EEENS1_30default_config_static_selectorELNS0_4arch9wavefront6targetE0EEEvSQ_
	.p2align	8
	.type	_ZN7rocprim17ROCPRIM_400000_NS6detail17trampoline_kernelINS0_14default_configENS1_22reduce_config_selectorIiEEZNS1_11reduce_implILb1ES3_PiS7_iN6hipcub16HIPCUB_304000_NS6detail34convert_binary_result_type_wrapperINS9_3SumENS9_22TransformInputIteratorIbN2at6native12_GLOBAL__N_19NonZeroOpIbEEPKblEEiEEEE10hipError_tPvRmT1_T2_T3_mT4_P12ihipStream_tbEUlT_E0_NS1_11comp_targetILNS1_3genE2ELNS1_11target_archE906ELNS1_3gpuE6ELNS1_3repE0EEENS1_30default_config_static_selectorELNS0_4arch9wavefront6targetE0EEEvSQ_,@function
_ZN7rocprim17ROCPRIM_400000_NS6detail17trampoline_kernelINS0_14default_configENS1_22reduce_config_selectorIiEEZNS1_11reduce_implILb1ES3_PiS7_iN6hipcub16HIPCUB_304000_NS6detail34convert_binary_result_type_wrapperINS9_3SumENS9_22TransformInputIteratorIbN2at6native12_GLOBAL__N_19NonZeroOpIbEEPKblEEiEEEE10hipError_tPvRmT1_T2_T3_mT4_P12ihipStream_tbEUlT_E0_NS1_11comp_targetILNS1_3genE2ELNS1_11target_archE906ELNS1_3gpuE6ELNS1_3repE0EEENS1_30default_config_static_selectorELNS0_4arch9wavefront6targetE0EEEvSQ_: ; @_ZN7rocprim17ROCPRIM_400000_NS6detail17trampoline_kernelINS0_14default_configENS1_22reduce_config_selectorIiEEZNS1_11reduce_implILb1ES3_PiS7_iN6hipcub16HIPCUB_304000_NS6detail34convert_binary_result_type_wrapperINS9_3SumENS9_22TransformInputIteratorIbN2at6native12_GLOBAL__N_19NonZeroOpIbEEPKblEEiEEEE10hipError_tPvRmT1_T2_T3_mT4_P12ihipStream_tbEUlT_E0_NS1_11comp_targetILNS1_3genE2ELNS1_11target_archE906ELNS1_3gpuE6ELNS1_3repE0EEENS1_30default_config_static_selectorELNS0_4arch9wavefront6targetE0EEEvSQ_
; %bb.0:
	.section	.rodata,"a",@progbits
	.p2align	6, 0x0
	.amdhsa_kernel _ZN7rocprim17ROCPRIM_400000_NS6detail17trampoline_kernelINS0_14default_configENS1_22reduce_config_selectorIiEEZNS1_11reduce_implILb1ES3_PiS7_iN6hipcub16HIPCUB_304000_NS6detail34convert_binary_result_type_wrapperINS9_3SumENS9_22TransformInputIteratorIbN2at6native12_GLOBAL__N_19NonZeroOpIbEEPKblEEiEEEE10hipError_tPvRmT1_T2_T3_mT4_P12ihipStream_tbEUlT_E0_NS1_11comp_targetILNS1_3genE2ELNS1_11target_archE906ELNS1_3gpuE6ELNS1_3repE0EEENS1_30default_config_static_selectorELNS0_4arch9wavefront6targetE0EEEvSQ_
		.amdhsa_group_segment_fixed_size 0
		.amdhsa_private_segment_fixed_size 0
		.amdhsa_kernarg_size 56
		.amdhsa_user_sgpr_count 15
		.amdhsa_user_sgpr_dispatch_ptr 0
		.amdhsa_user_sgpr_queue_ptr 0
		.amdhsa_user_sgpr_kernarg_segment_ptr 1
		.amdhsa_user_sgpr_dispatch_id 0
		.amdhsa_user_sgpr_private_segment_size 0
		.amdhsa_wavefront_size32 1
		.amdhsa_uses_dynamic_stack 0
		.amdhsa_enable_private_segment 0
		.amdhsa_system_sgpr_workgroup_id_x 1
		.amdhsa_system_sgpr_workgroup_id_y 0
		.amdhsa_system_sgpr_workgroup_id_z 0
		.amdhsa_system_sgpr_workgroup_info 0
		.amdhsa_system_vgpr_workitem_id 0
		.amdhsa_next_free_vgpr 1
		.amdhsa_next_free_sgpr 1
		.amdhsa_reserve_vcc 0
		.amdhsa_float_round_mode_32 0
		.amdhsa_float_round_mode_16_64 0
		.amdhsa_float_denorm_mode_32 3
		.amdhsa_float_denorm_mode_16_64 3
		.amdhsa_dx10_clamp 1
		.amdhsa_ieee_mode 1
		.amdhsa_fp16_overflow 0
		.amdhsa_workgroup_processor_mode 1
		.amdhsa_memory_ordered 1
		.amdhsa_forward_progress 0
		.amdhsa_shared_vgpr_count 0
		.amdhsa_exception_fp_ieee_invalid_op 0
		.amdhsa_exception_fp_denorm_src 0
		.amdhsa_exception_fp_ieee_div_zero 0
		.amdhsa_exception_fp_ieee_overflow 0
		.amdhsa_exception_fp_ieee_underflow 0
		.amdhsa_exception_fp_ieee_inexact 0
		.amdhsa_exception_int_div_zero 0
	.end_amdhsa_kernel
	.section	.text._ZN7rocprim17ROCPRIM_400000_NS6detail17trampoline_kernelINS0_14default_configENS1_22reduce_config_selectorIiEEZNS1_11reduce_implILb1ES3_PiS7_iN6hipcub16HIPCUB_304000_NS6detail34convert_binary_result_type_wrapperINS9_3SumENS9_22TransformInputIteratorIbN2at6native12_GLOBAL__N_19NonZeroOpIbEEPKblEEiEEEE10hipError_tPvRmT1_T2_T3_mT4_P12ihipStream_tbEUlT_E0_NS1_11comp_targetILNS1_3genE2ELNS1_11target_archE906ELNS1_3gpuE6ELNS1_3repE0EEENS1_30default_config_static_selectorELNS0_4arch9wavefront6targetE0EEEvSQ_,"axG",@progbits,_ZN7rocprim17ROCPRIM_400000_NS6detail17trampoline_kernelINS0_14default_configENS1_22reduce_config_selectorIiEEZNS1_11reduce_implILb1ES3_PiS7_iN6hipcub16HIPCUB_304000_NS6detail34convert_binary_result_type_wrapperINS9_3SumENS9_22TransformInputIteratorIbN2at6native12_GLOBAL__N_19NonZeroOpIbEEPKblEEiEEEE10hipError_tPvRmT1_T2_T3_mT4_P12ihipStream_tbEUlT_E0_NS1_11comp_targetILNS1_3genE2ELNS1_11target_archE906ELNS1_3gpuE6ELNS1_3repE0EEENS1_30default_config_static_selectorELNS0_4arch9wavefront6targetE0EEEvSQ_,comdat
.Lfunc_end698:
	.size	_ZN7rocprim17ROCPRIM_400000_NS6detail17trampoline_kernelINS0_14default_configENS1_22reduce_config_selectorIiEEZNS1_11reduce_implILb1ES3_PiS7_iN6hipcub16HIPCUB_304000_NS6detail34convert_binary_result_type_wrapperINS9_3SumENS9_22TransformInputIteratorIbN2at6native12_GLOBAL__N_19NonZeroOpIbEEPKblEEiEEEE10hipError_tPvRmT1_T2_T3_mT4_P12ihipStream_tbEUlT_E0_NS1_11comp_targetILNS1_3genE2ELNS1_11target_archE906ELNS1_3gpuE6ELNS1_3repE0EEENS1_30default_config_static_selectorELNS0_4arch9wavefront6targetE0EEEvSQ_, .Lfunc_end698-_ZN7rocprim17ROCPRIM_400000_NS6detail17trampoline_kernelINS0_14default_configENS1_22reduce_config_selectorIiEEZNS1_11reduce_implILb1ES3_PiS7_iN6hipcub16HIPCUB_304000_NS6detail34convert_binary_result_type_wrapperINS9_3SumENS9_22TransformInputIteratorIbN2at6native12_GLOBAL__N_19NonZeroOpIbEEPKblEEiEEEE10hipError_tPvRmT1_T2_T3_mT4_P12ihipStream_tbEUlT_E0_NS1_11comp_targetILNS1_3genE2ELNS1_11target_archE906ELNS1_3gpuE6ELNS1_3repE0EEENS1_30default_config_static_selectorELNS0_4arch9wavefront6targetE0EEEvSQ_
                                        ; -- End function
	.section	.AMDGPU.csdata,"",@progbits
; Kernel info:
; codeLenInByte = 0
; NumSgprs: 0
; NumVgprs: 0
; ScratchSize: 0
; MemoryBound: 0
; FloatMode: 240
; IeeeMode: 1
; LDSByteSize: 0 bytes/workgroup (compile time only)
; SGPRBlocks: 0
; VGPRBlocks: 0
; NumSGPRsForWavesPerEU: 1
; NumVGPRsForWavesPerEU: 1
; Occupancy: 16
; WaveLimiterHint : 0
; COMPUTE_PGM_RSRC2:SCRATCH_EN: 0
; COMPUTE_PGM_RSRC2:USER_SGPR: 15
; COMPUTE_PGM_RSRC2:TRAP_HANDLER: 0
; COMPUTE_PGM_RSRC2:TGID_X_EN: 1
; COMPUTE_PGM_RSRC2:TGID_Y_EN: 0
; COMPUTE_PGM_RSRC2:TGID_Z_EN: 0
; COMPUTE_PGM_RSRC2:TIDIG_COMP_CNT: 0
	.section	.text._ZN7rocprim17ROCPRIM_400000_NS6detail17trampoline_kernelINS0_14default_configENS1_22reduce_config_selectorIiEEZNS1_11reduce_implILb1ES3_PiS7_iN6hipcub16HIPCUB_304000_NS6detail34convert_binary_result_type_wrapperINS9_3SumENS9_22TransformInputIteratorIbN2at6native12_GLOBAL__N_19NonZeroOpIbEEPKblEEiEEEE10hipError_tPvRmT1_T2_T3_mT4_P12ihipStream_tbEUlT_E0_NS1_11comp_targetILNS1_3genE10ELNS1_11target_archE1201ELNS1_3gpuE5ELNS1_3repE0EEENS1_30default_config_static_selectorELNS0_4arch9wavefront6targetE0EEEvSQ_,"axG",@progbits,_ZN7rocprim17ROCPRIM_400000_NS6detail17trampoline_kernelINS0_14default_configENS1_22reduce_config_selectorIiEEZNS1_11reduce_implILb1ES3_PiS7_iN6hipcub16HIPCUB_304000_NS6detail34convert_binary_result_type_wrapperINS9_3SumENS9_22TransformInputIteratorIbN2at6native12_GLOBAL__N_19NonZeroOpIbEEPKblEEiEEEE10hipError_tPvRmT1_T2_T3_mT4_P12ihipStream_tbEUlT_E0_NS1_11comp_targetILNS1_3genE10ELNS1_11target_archE1201ELNS1_3gpuE5ELNS1_3repE0EEENS1_30default_config_static_selectorELNS0_4arch9wavefront6targetE0EEEvSQ_,comdat
	.globl	_ZN7rocprim17ROCPRIM_400000_NS6detail17trampoline_kernelINS0_14default_configENS1_22reduce_config_selectorIiEEZNS1_11reduce_implILb1ES3_PiS7_iN6hipcub16HIPCUB_304000_NS6detail34convert_binary_result_type_wrapperINS9_3SumENS9_22TransformInputIteratorIbN2at6native12_GLOBAL__N_19NonZeroOpIbEEPKblEEiEEEE10hipError_tPvRmT1_T2_T3_mT4_P12ihipStream_tbEUlT_E0_NS1_11comp_targetILNS1_3genE10ELNS1_11target_archE1201ELNS1_3gpuE5ELNS1_3repE0EEENS1_30default_config_static_selectorELNS0_4arch9wavefront6targetE0EEEvSQ_ ; -- Begin function _ZN7rocprim17ROCPRIM_400000_NS6detail17trampoline_kernelINS0_14default_configENS1_22reduce_config_selectorIiEEZNS1_11reduce_implILb1ES3_PiS7_iN6hipcub16HIPCUB_304000_NS6detail34convert_binary_result_type_wrapperINS9_3SumENS9_22TransformInputIteratorIbN2at6native12_GLOBAL__N_19NonZeroOpIbEEPKblEEiEEEE10hipError_tPvRmT1_T2_T3_mT4_P12ihipStream_tbEUlT_E0_NS1_11comp_targetILNS1_3genE10ELNS1_11target_archE1201ELNS1_3gpuE5ELNS1_3repE0EEENS1_30default_config_static_selectorELNS0_4arch9wavefront6targetE0EEEvSQ_
	.p2align	8
	.type	_ZN7rocprim17ROCPRIM_400000_NS6detail17trampoline_kernelINS0_14default_configENS1_22reduce_config_selectorIiEEZNS1_11reduce_implILb1ES3_PiS7_iN6hipcub16HIPCUB_304000_NS6detail34convert_binary_result_type_wrapperINS9_3SumENS9_22TransformInputIteratorIbN2at6native12_GLOBAL__N_19NonZeroOpIbEEPKblEEiEEEE10hipError_tPvRmT1_T2_T3_mT4_P12ihipStream_tbEUlT_E0_NS1_11comp_targetILNS1_3genE10ELNS1_11target_archE1201ELNS1_3gpuE5ELNS1_3repE0EEENS1_30default_config_static_selectorELNS0_4arch9wavefront6targetE0EEEvSQ_,@function
_ZN7rocprim17ROCPRIM_400000_NS6detail17trampoline_kernelINS0_14default_configENS1_22reduce_config_selectorIiEEZNS1_11reduce_implILb1ES3_PiS7_iN6hipcub16HIPCUB_304000_NS6detail34convert_binary_result_type_wrapperINS9_3SumENS9_22TransformInputIteratorIbN2at6native12_GLOBAL__N_19NonZeroOpIbEEPKblEEiEEEE10hipError_tPvRmT1_T2_T3_mT4_P12ihipStream_tbEUlT_E0_NS1_11comp_targetILNS1_3genE10ELNS1_11target_archE1201ELNS1_3gpuE5ELNS1_3repE0EEENS1_30default_config_static_selectorELNS0_4arch9wavefront6targetE0EEEvSQ_: ; @_ZN7rocprim17ROCPRIM_400000_NS6detail17trampoline_kernelINS0_14default_configENS1_22reduce_config_selectorIiEEZNS1_11reduce_implILb1ES3_PiS7_iN6hipcub16HIPCUB_304000_NS6detail34convert_binary_result_type_wrapperINS9_3SumENS9_22TransformInputIteratorIbN2at6native12_GLOBAL__N_19NonZeroOpIbEEPKblEEiEEEE10hipError_tPvRmT1_T2_T3_mT4_P12ihipStream_tbEUlT_E0_NS1_11comp_targetILNS1_3genE10ELNS1_11target_archE1201ELNS1_3gpuE5ELNS1_3repE0EEENS1_30default_config_static_selectorELNS0_4arch9wavefront6targetE0EEEvSQ_
; %bb.0:
	.section	.rodata,"a",@progbits
	.p2align	6, 0x0
	.amdhsa_kernel _ZN7rocprim17ROCPRIM_400000_NS6detail17trampoline_kernelINS0_14default_configENS1_22reduce_config_selectorIiEEZNS1_11reduce_implILb1ES3_PiS7_iN6hipcub16HIPCUB_304000_NS6detail34convert_binary_result_type_wrapperINS9_3SumENS9_22TransformInputIteratorIbN2at6native12_GLOBAL__N_19NonZeroOpIbEEPKblEEiEEEE10hipError_tPvRmT1_T2_T3_mT4_P12ihipStream_tbEUlT_E0_NS1_11comp_targetILNS1_3genE10ELNS1_11target_archE1201ELNS1_3gpuE5ELNS1_3repE0EEENS1_30default_config_static_selectorELNS0_4arch9wavefront6targetE0EEEvSQ_
		.amdhsa_group_segment_fixed_size 0
		.amdhsa_private_segment_fixed_size 0
		.amdhsa_kernarg_size 56
		.amdhsa_user_sgpr_count 15
		.amdhsa_user_sgpr_dispatch_ptr 0
		.amdhsa_user_sgpr_queue_ptr 0
		.amdhsa_user_sgpr_kernarg_segment_ptr 1
		.amdhsa_user_sgpr_dispatch_id 0
		.amdhsa_user_sgpr_private_segment_size 0
		.amdhsa_wavefront_size32 1
		.amdhsa_uses_dynamic_stack 0
		.amdhsa_enable_private_segment 0
		.amdhsa_system_sgpr_workgroup_id_x 1
		.amdhsa_system_sgpr_workgroup_id_y 0
		.amdhsa_system_sgpr_workgroup_id_z 0
		.amdhsa_system_sgpr_workgroup_info 0
		.amdhsa_system_vgpr_workitem_id 0
		.amdhsa_next_free_vgpr 1
		.amdhsa_next_free_sgpr 1
		.amdhsa_reserve_vcc 0
		.amdhsa_float_round_mode_32 0
		.amdhsa_float_round_mode_16_64 0
		.amdhsa_float_denorm_mode_32 3
		.amdhsa_float_denorm_mode_16_64 3
		.amdhsa_dx10_clamp 1
		.amdhsa_ieee_mode 1
		.amdhsa_fp16_overflow 0
		.amdhsa_workgroup_processor_mode 1
		.amdhsa_memory_ordered 1
		.amdhsa_forward_progress 0
		.amdhsa_shared_vgpr_count 0
		.amdhsa_exception_fp_ieee_invalid_op 0
		.amdhsa_exception_fp_denorm_src 0
		.amdhsa_exception_fp_ieee_div_zero 0
		.amdhsa_exception_fp_ieee_overflow 0
		.amdhsa_exception_fp_ieee_underflow 0
		.amdhsa_exception_fp_ieee_inexact 0
		.amdhsa_exception_int_div_zero 0
	.end_amdhsa_kernel
	.section	.text._ZN7rocprim17ROCPRIM_400000_NS6detail17trampoline_kernelINS0_14default_configENS1_22reduce_config_selectorIiEEZNS1_11reduce_implILb1ES3_PiS7_iN6hipcub16HIPCUB_304000_NS6detail34convert_binary_result_type_wrapperINS9_3SumENS9_22TransformInputIteratorIbN2at6native12_GLOBAL__N_19NonZeroOpIbEEPKblEEiEEEE10hipError_tPvRmT1_T2_T3_mT4_P12ihipStream_tbEUlT_E0_NS1_11comp_targetILNS1_3genE10ELNS1_11target_archE1201ELNS1_3gpuE5ELNS1_3repE0EEENS1_30default_config_static_selectorELNS0_4arch9wavefront6targetE0EEEvSQ_,"axG",@progbits,_ZN7rocprim17ROCPRIM_400000_NS6detail17trampoline_kernelINS0_14default_configENS1_22reduce_config_selectorIiEEZNS1_11reduce_implILb1ES3_PiS7_iN6hipcub16HIPCUB_304000_NS6detail34convert_binary_result_type_wrapperINS9_3SumENS9_22TransformInputIteratorIbN2at6native12_GLOBAL__N_19NonZeroOpIbEEPKblEEiEEEE10hipError_tPvRmT1_T2_T3_mT4_P12ihipStream_tbEUlT_E0_NS1_11comp_targetILNS1_3genE10ELNS1_11target_archE1201ELNS1_3gpuE5ELNS1_3repE0EEENS1_30default_config_static_selectorELNS0_4arch9wavefront6targetE0EEEvSQ_,comdat
.Lfunc_end699:
	.size	_ZN7rocprim17ROCPRIM_400000_NS6detail17trampoline_kernelINS0_14default_configENS1_22reduce_config_selectorIiEEZNS1_11reduce_implILb1ES3_PiS7_iN6hipcub16HIPCUB_304000_NS6detail34convert_binary_result_type_wrapperINS9_3SumENS9_22TransformInputIteratorIbN2at6native12_GLOBAL__N_19NonZeroOpIbEEPKblEEiEEEE10hipError_tPvRmT1_T2_T3_mT4_P12ihipStream_tbEUlT_E0_NS1_11comp_targetILNS1_3genE10ELNS1_11target_archE1201ELNS1_3gpuE5ELNS1_3repE0EEENS1_30default_config_static_selectorELNS0_4arch9wavefront6targetE0EEEvSQ_, .Lfunc_end699-_ZN7rocprim17ROCPRIM_400000_NS6detail17trampoline_kernelINS0_14default_configENS1_22reduce_config_selectorIiEEZNS1_11reduce_implILb1ES3_PiS7_iN6hipcub16HIPCUB_304000_NS6detail34convert_binary_result_type_wrapperINS9_3SumENS9_22TransformInputIteratorIbN2at6native12_GLOBAL__N_19NonZeroOpIbEEPKblEEiEEEE10hipError_tPvRmT1_T2_T3_mT4_P12ihipStream_tbEUlT_E0_NS1_11comp_targetILNS1_3genE10ELNS1_11target_archE1201ELNS1_3gpuE5ELNS1_3repE0EEENS1_30default_config_static_selectorELNS0_4arch9wavefront6targetE0EEEvSQ_
                                        ; -- End function
	.section	.AMDGPU.csdata,"",@progbits
; Kernel info:
; codeLenInByte = 0
; NumSgprs: 0
; NumVgprs: 0
; ScratchSize: 0
; MemoryBound: 0
; FloatMode: 240
; IeeeMode: 1
; LDSByteSize: 0 bytes/workgroup (compile time only)
; SGPRBlocks: 0
; VGPRBlocks: 0
; NumSGPRsForWavesPerEU: 1
; NumVGPRsForWavesPerEU: 1
; Occupancy: 16
; WaveLimiterHint : 0
; COMPUTE_PGM_RSRC2:SCRATCH_EN: 0
; COMPUTE_PGM_RSRC2:USER_SGPR: 15
; COMPUTE_PGM_RSRC2:TRAP_HANDLER: 0
; COMPUTE_PGM_RSRC2:TGID_X_EN: 1
; COMPUTE_PGM_RSRC2:TGID_Y_EN: 0
; COMPUTE_PGM_RSRC2:TGID_Z_EN: 0
; COMPUTE_PGM_RSRC2:TIDIG_COMP_CNT: 0
	.section	.text._ZN7rocprim17ROCPRIM_400000_NS6detail17trampoline_kernelINS0_14default_configENS1_22reduce_config_selectorIiEEZNS1_11reduce_implILb1ES3_PiS7_iN6hipcub16HIPCUB_304000_NS6detail34convert_binary_result_type_wrapperINS9_3SumENS9_22TransformInputIteratorIbN2at6native12_GLOBAL__N_19NonZeroOpIbEEPKblEEiEEEE10hipError_tPvRmT1_T2_T3_mT4_P12ihipStream_tbEUlT_E0_NS1_11comp_targetILNS1_3genE10ELNS1_11target_archE1200ELNS1_3gpuE4ELNS1_3repE0EEENS1_30default_config_static_selectorELNS0_4arch9wavefront6targetE0EEEvSQ_,"axG",@progbits,_ZN7rocprim17ROCPRIM_400000_NS6detail17trampoline_kernelINS0_14default_configENS1_22reduce_config_selectorIiEEZNS1_11reduce_implILb1ES3_PiS7_iN6hipcub16HIPCUB_304000_NS6detail34convert_binary_result_type_wrapperINS9_3SumENS9_22TransformInputIteratorIbN2at6native12_GLOBAL__N_19NonZeroOpIbEEPKblEEiEEEE10hipError_tPvRmT1_T2_T3_mT4_P12ihipStream_tbEUlT_E0_NS1_11comp_targetILNS1_3genE10ELNS1_11target_archE1200ELNS1_3gpuE4ELNS1_3repE0EEENS1_30default_config_static_selectorELNS0_4arch9wavefront6targetE0EEEvSQ_,comdat
	.globl	_ZN7rocprim17ROCPRIM_400000_NS6detail17trampoline_kernelINS0_14default_configENS1_22reduce_config_selectorIiEEZNS1_11reduce_implILb1ES3_PiS7_iN6hipcub16HIPCUB_304000_NS6detail34convert_binary_result_type_wrapperINS9_3SumENS9_22TransformInputIteratorIbN2at6native12_GLOBAL__N_19NonZeroOpIbEEPKblEEiEEEE10hipError_tPvRmT1_T2_T3_mT4_P12ihipStream_tbEUlT_E0_NS1_11comp_targetILNS1_3genE10ELNS1_11target_archE1200ELNS1_3gpuE4ELNS1_3repE0EEENS1_30default_config_static_selectorELNS0_4arch9wavefront6targetE0EEEvSQ_ ; -- Begin function _ZN7rocprim17ROCPRIM_400000_NS6detail17trampoline_kernelINS0_14default_configENS1_22reduce_config_selectorIiEEZNS1_11reduce_implILb1ES3_PiS7_iN6hipcub16HIPCUB_304000_NS6detail34convert_binary_result_type_wrapperINS9_3SumENS9_22TransformInputIteratorIbN2at6native12_GLOBAL__N_19NonZeroOpIbEEPKblEEiEEEE10hipError_tPvRmT1_T2_T3_mT4_P12ihipStream_tbEUlT_E0_NS1_11comp_targetILNS1_3genE10ELNS1_11target_archE1200ELNS1_3gpuE4ELNS1_3repE0EEENS1_30default_config_static_selectorELNS0_4arch9wavefront6targetE0EEEvSQ_
	.p2align	8
	.type	_ZN7rocprim17ROCPRIM_400000_NS6detail17trampoline_kernelINS0_14default_configENS1_22reduce_config_selectorIiEEZNS1_11reduce_implILb1ES3_PiS7_iN6hipcub16HIPCUB_304000_NS6detail34convert_binary_result_type_wrapperINS9_3SumENS9_22TransformInputIteratorIbN2at6native12_GLOBAL__N_19NonZeroOpIbEEPKblEEiEEEE10hipError_tPvRmT1_T2_T3_mT4_P12ihipStream_tbEUlT_E0_NS1_11comp_targetILNS1_3genE10ELNS1_11target_archE1200ELNS1_3gpuE4ELNS1_3repE0EEENS1_30default_config_static_selectorELNS0_4arch9wavefront6targetE0EEEvSQ_,@function
_ZN7rocprim17ROCPRIM_400000_NS6detail17trampoline_kernelINS0_14default_configENS1_22reduce_config_selectorIiEEZNS1_11reduce_implILb1ES3_PiS7_iN6hipcub16HIPCUB_304000_NS6detail34convert_binary_result_type_wrapperINS9_3SumENS9_22TransformInputIteratorIbN2at6native12_GLOBAL__N_19NonZeroOpIbEEPKblEEiEEEE10hipError_tPvRmT1_T2_T3_mT4_P12ihipStream_tbEUlT_E0_NS1_11comp_targetILNS1_3genE10ELNS1_11target_archE1200ELNS1_3gpuE4ELNS1_3repE0EEENS1_30default_config_static_selectorELNS0_4arch9wavefront6targetE0EEEvSQ_: ; @_ZN7rocprim17ROCPRIM_400000_NS6detail17trampoline_kernelINS0_14default_configENS1_22reduce_config_selectorIiEEZNS1_11reduce_implILb1ES3_PiS7_iN6hipcub16HIPCUB_304000_NS6detail34convert_binary_result_type_wrapperINS9_3SumENS9_22TransformInputIteratorIbN2at6native12_GLOBAL__N_19NonZeroOpIbEEPKblEEiEEEE10hipError_tPvRmT1_T2_T3_mT4_P12ihipStream_tbEUlT_E0_NS1_11comp_targetILNS1_3genE10ELNS1_11target_archE1200ELNS1_3gpuE4ELNS1_3repE0EEENS1_30default_config_static_selectorELNS0_4arch9wavefront6targetE0EEEvSQ_
; %bb.0:
	.section	.rodata,"a",@progbits
	.p2align	6, 0x0
	.amdhsa_kernel _ZN7rocprim17ROCPRIM_400000_NS6detail17trampoline_kernelINS0_14default_configENS1_22reduce_config_selectorIiEEZNS1_11reduce_implILb1ES3_PiS7_iN6hipcub16HIPCUB_304000_NS6detail34convert_binary_result_type_wrapperINS9_3SumENS9_22TransformInputIteratorIbN2at6native12_GLOBAL__N_19NonZeroOpIbEEPKblEEiEEEE10hipError_tPvRmT1_T2_T3_mT4_P12ihipStream_tbEUlT_E0_NS1_11comp_targetILNS1_3genE10ELNS1_11target_archE1200ELNS1_3gpuE4ELNS1_3repE0EEENS1_30default_config_static_selectorELNS0_4arch9wavefront6targetE0EEEvSQ_
		.amdhsa_group_segment_fixed_size 0
		.amdhsa_private_segment_fixed_size 0
		.amdhsa_kernarg_size 56
		.amdhsa_user_sgpr_count 15
		.amdhsa_user_sgpr_dispatch_ptr 0
		.amdhsa_user_sgpr_queue_ptr 0
		.amdhsa_user_sgpr_kernarg_segment_ptr 1
		.amdhsa_user_sgpr_dispatch_id 0
		.amdhsa_user_sgpr_private_segment_size 0
		.amdhsa_wavefront_size32 1
		.amdhsa_uses_dynamic_stack 0
		.amdhsa_enable_private_segment 0
		.amdhsa_system_sgpr_workgroup_id_x 1
		.amdhsa_system_sgpr_workgroup_id_y 0
		.amdhsa_system_sgpr_workgroup_id_z 0
		.amdhsa_system_sgpr_workgroup_info 0
		.amdhsa_system_vgpr_workitem_id 0
		.amdhsa_next_free_vgpr 1
		.amdhsa_next_free_sgpr 1
		.amdhsa_reserve_vcc 0
		.amdhsa_float_round_mode_32 0
		.amdhsa_float_round_mode_16_64 0
		.amdhsa_float_denorm_mode_32 3
		.amdhsa_float_denorm_mode_16_64 3
		.amdhsa_dx10_clamp 1
		.amdhsa_ieee_mode 1
		.amdhsa_fp16_overflow 0
		.amdhsa_workgroup_processor_mode 1
		.amdhsa_memory_ordered 1
		.amdhsa_forward_progress 0
		.amdhsa_shared_vgpr_count 0
		.amdhsa_exception_fp_ieee_invalid_op 0
		.amdhsa_exception_fp_denorm_src 0
		.amdhsa_exception_fp_ieee_div_zero 0
		.amdhsa_exception_fp_ieee_overflow 0
		.amdhsa_exception_fp_ieee_underflow 0
		.amdhsa_exception_fp_ieee_inexact 0
		.amdhsa_exception_int_div_zero 0
	.end_amdhsa_kernel
	.section	.text._ZN7rocprim17ROCPRIM_400000_NS6detail17trampoline_kernelINS0_14default_configENS1_22reduce_config_selectorIiEEZNS1_11reduce_implILb1ES3_PiS7_iN6hipcub16HIPCUB_304000_NS6detail34convert_binary_result_type_wrapperINS9_3SumENS9_22TransformInputIteratorIbN2at6native12_GLOBAL__N_19NonZeroOpIbEEPKblEEiEEEE10hipError_tPvRmT1_T2_T3_mT4_P12ihipStream_tbEUlT_E0_NS1_11comp_targetILNS1_3genE10ELNS1_11target_archE1200ELNS1_3gpuE4ELNS1_3repE0EEENS1_30default_config_static_selectorELNS0_4arch9wavefront6targetE0EEEvSQ_,"axG",@progbits,_ZN7rocprim17ROCPRIM_400000_NS6detail17trampoline_kernelINS0_14default_configENS1_22reduce_config_selectorIiEEZNS1_11reduce_implILb1ES3_PiS7_iN6hipcub16HIPCUB_304000_NS6detail34convert_binary_result_type_wrapperINS9_3SumENS9_22TransformInputIteratorIbN2at6native12_GLOBAL__N_19NonZeroOpIbEEPKblEEiEEEE10hipError_tPvRmT1_T2_T3_mT4_P12ihipStream_tbEUlT_E0_NS1_11comp_targetILNS1_3genE10ELNS1_11target_archE1200ELNS1_3gpuE4ELNS1_3repE0EEENS1_30default_config_static_selectorELNS0_4arch9wavefront6targetE0EEEvSQ_,comdat
.Lfunc_end700:
	.size	_ZN7rocprim17ROCPRIM_400000_NS6detail17trampoline_kernelINS0_14default_configENS1_22reduce_config_selectorIiEEZNS1_11reduce_implILb1ES3_PiS7_iN6hipcub16HIPCUB_304000_NS6detail34convert_binary_result_type_wrapperINS9_3SumENS9_22TransformInputIteratorIbN2at6native12_GLOBAL__N_19NonZeroOpIbEEPKblEEiEEEE10hipError_tPvRmT1_T2_T3_mT4_P12ihipStream_tbEUlT_E0_NS1_11comp_targetILNS1_3genE10ELNS1_11target_archE1200ELNS1_3gpuE4ELNS1_3repE0EEENS1_30default_config_static_selectorELNS0_4arch9wavefront6targetE0EEEvSQ_, .Lfunc_end700-_ZN7rocprim17ROCPRIM_400000_NS6detail17trampoline_kernelINS0_14default_configENS1_22reduce_config_selectorIiEEZNS1_11reduce_implILb1ES3_PiS7_iN6hipcub16HIPCUB_304000_NS6detail34convert_binary_result_type_wrapperINS9_3SumENS9_22TransformInputIteratorIbN2at6native12_GLOBAL__N_19NonZeroOpIbEEPKblEEiEEEE10hipError_tPvRmT1_T2_T3_mT4_P12ihipStream_tbEUlT_E0_NS1_11comp_targetILNS1_3genE10ELNS1_11target_archE1200ELNS1_3gpuE4ELNS1_3repE0EEENS1_30default_config_static_selectorELNS0_4arch9wavefront6targetE0EEEvSQ_
                                        ; -- End function
	.section	.AMDGPU.csdata,"",@progbits
; Kernel info:
; codeLenInByte = 0
; NumSgprs: 0
; NumVgprs: 0
; ScratchSize: 0
; MemoryBound: 0
; FloatMode: 240
; IeeeMode: 1
; LDSByteSize: 0 bytes/workgroup (compile time only)
; SGPRBlocks: 0
; VGPRBlocks: 0
; NumSGPRsForWavesPerEU: 1
; NumVGPRsForWavesPerEU: 1
; Occupancy: 16
; WaveLimiterHint : 0
; COMPUTE_PGM_RSRC2:SCRATCH_EN: 0
; COMPUTE_PGM_RSRC2:USER_SGPR: 15
; COMPUTE_PGM_RSRC2:TRAP_HANDLER: 0
; COMPUTE_PGM_RSRC2:TGID_X_EN: 1
; COMPUTE_PGM_RSRC2:TGID_Y_EN: 0
; COMPUTE_PGM_RSRC2:TGID_Z_EN: 0
; COMPUTE_PGM_RSRC2:TIDIG_COMP_CNT: 0
	.section	.text._ZN7rocprim17ROCPRIM_400000_NS6detail17trampoline_kernelINS0_14default_configENS1_22reduce_config_selectorIiEEZNS1_11reduce_implILb1ES3_PiS7_iN6hipcub16HIPCUB_304000_NS6detail34convert_binary_result_type_wrapperINS9_3SumENS9_22TransformInputIteratorIbN2at6native12_GLOBAL__N_19NonZeroOpIbEEPKblEEiEEEE10hipError_tPvRmT1_T2_T3_mT4_P12ihipStream_tbEUlT_E0_NS1_11comp_targetILNS1_3genE9ELNS1_11target_archE1100ELNS1_3gpuE3ELNS1_3repE0EEENS1_30default_config_static_selectorELNS0_4arch9wavefront6targetE0EEEvSQ_,"axG",@progbits,_ZN7rocprim17ROCPRIM_400000_NS6detail17trampoline_kernelINS0_14default_configENS1_22reduce_config_selectorIiEEZNS1_11reduce_implILb1ES3_PiS7_iN6hipcub16HIPCUB_304000_NS6detail34convert_binary_result_type_wrapperINS9_3SumENS9_22TransformInputIteratorIbN2at6native12_GLOBAL__N_19NonZeroOpIbEEPKblEEiEEEE10hipError_tPvRmT1_T2_T3_mT4_P12ihipStream_tbEUlT_E0_NS1_11comp_targetILNS1_3genE9ELNS1_11target_archE1100ELNS1_3gpuE3ELNS1_3repE0EEENS1_30default_config_static_selectorELNS0_4arch9wavefront6targetE0EEEvSQ_,comdat
	.globl	_ZN7rocprim17ROCPRIM_400000_NS6detail17trampoline_kernelINS0_14default_configENS1_22reduce_config_selectorIiEEZNS1_11reduce_implILb1ES3_PiS7_iN6hipcub16HIPCUB_304000_NS6detail34convert_binary_result_type_wrapperINS9_3SumENS9_22TransformInputIteratorIbN2at6native12_GLOBAL__N_19NonZeroOpIbEEPKblEEiEEEE10hipError_tPvRmT1_T2_T3_mT4_P12ihipStream_tbEUlT_E0_NS1_11comp_targetILNS1_3genE9ELNS1_11target_archE1100ELNS1_3gpuE3ELNS1_3repE0EEENS1_30default_config_static_selectorELNS0_4arch9wavefront6targetE0EEEvSQ_ ; -- Begin function _ZN7rocprim17ROCPRIM_400000_NS6detail17trampoline_kernelINS0_14default_configENS1_22reduce_config_selectorIiEEZNS1_11reduce_implILb1ES3_PiS7_iN6hipcub16HIPCUB_304000_NS6detail34convert_binary_result_type_wrapperINS9_3SumENS9_22TransformInputIteratorIbN2at6native12_GLOBAL__N_19NonZeroOpIbEEPKblEEiEEEE10hipError_tPvRmT1_T2_T3_mT4_P12ihipStream_tbEUlT_E0_NS1_11comp_targetILNS1_3genE9ELNS1_11target_archE1100ELNS1_3gpuE3ELNS1_3repE0EEENS1_30default_config_static_selectorELNS0_4arch9wavefront6targetE0EEEvSQ_
	.p2align	8
	.type	_ZN7rocprim17ROCPRIM_400000_NS6detail17trampoline_kernelINS0_14default_configENS1_22reduce_config_selectorIiEEZNS1_11reduce_implILb1ES3_PiS7_iN6hipcub16HIPCUB_304000_NS6detail34convert_binary_result_type_wrapperINS9_3SumENS9_22TransformInputIteratorIbN2at6native12_GLOBAL__N_19NonZeroOpIbEEPKblEEiEEEE10hipError_tPvRmT1_T2_T3_mT4_P12ihipStream_tbEUlT_E0_NS1_11comp_targetILNS1_3genE9ELNS1_11target_archE1100ELNS1_3gpuE3ELNS1_3repE0EEENS1_30default_config_static_selectorELNS0_4arch9wavefront6targetE0EEEvSQ_,@function
_ZN7rocprim17ROCPRIM_400000_NS6detail17trampoline_kernelINS0_14default_configENS1_22reduce_config_selectorIiEEZNS1_11reduce_implILb1ES3_PiS7_iN6hipcub16HIPCUB_304000_NS6detail34convert_binary_result_type_wrapperINS9_3SumENS9_22TransformInputIteratorIbN2at6native12_GLOBAL__N_19NonZeroOpIbEEPKblEEiEEEE10hipError_tPvRmT1_T2_T3_mT4_P12ihipStream_tbEUlT_E0_NS1_11comp_targetILNS1_3genE9ELNS1_11target_archE1100ELNS1_3gpuE3ELNS1_3repE0EEENS1_30default_config_static_selectorELNS0_4arch9wavefront6targetE0EEEvSQ_: ; @_ZN7rocprim17ROCPRIM_400000_NS6detail17trampoline_kernelINS0_14default_configENS1_22reduce_config_selectorIiEEZNS1_11reduce_implILb1ES3_PiS7_iN6hipcub16HIPCUB_304000_NS6detail34convert_binary_result_type_wrapperINS9_3SumENS9_22TransformInputIteratorIbN2at6native12_GLOBAL__N_19NonZeroOpIbEEPKblEEiEEEE10hipError_tPvRmT1_T2_T3_mT4_P12ihipStream_tbEUlT_E0_NS1_11comp_targetILNS1_3genE9ELNS1_11target_archE1100ELNS1_3gpuE3ELNS1_3repE0EEENS1_30default_config_static_selectorELNS0_4arch9wavefront6targetE0EEEvSQ_
; %bb.0:
	s_mov_b32 s16, s15
	s_clause 0x1
	s_load_b256 s[4:11], s[0:1], 0x0
	s_load_b128 s[12:15], s[0:1], 0x20
	s_mov_b32 s3, 0
	v_lshlrev_b32_e32 v10, 2, v0
	v_mbcnt_lo_u32_b32 v9, -1, 0
	s_mov_b32 s17, s3
	s_waitcnt lgkmcnt(0)
	s_lshl_b64 s[6:7], s[6:7], 2
	s_delay_alu instid0(SALU_CYCLE_1) | instskip(SKIP_4) | instid1(SALU_CYCLE_1)
	s_add_u32 s18, s4, s6
	s_addc_u32 s19, s5, s7
	s_lshl_b32 s2, s16, 11
	s_lshr_b64 s[6:7], s[8:9], 11
	s_lshl_b64 s[4:5], s[2:3], 2
	s_add_u32 s18, s18, s4
	s_addc_u32 s19, s19, s5
	s_cmp_lg_u64 s[6:7], s[16:17]
	s_cbranch_scc0 .LBB701_6
; %bb.1:
	v_add_co_u32 v1, s3, s18, v10
	s_clause 0x1
	global_load_b32 v3, v10, s[18:19]
	global_load_b32 v4, v10, s[18:19] offset:1024
	v_add_co_ci_u32_e64 v2, null, s19, 0, s3
	v_add_co_u32 v1, vcc_lo, 0x1000, v1
	s_mov_b32 s3, exec_lo
	s_delay_alu instid0(VALU_DEP_2)
	v_add_co_ci_u32_e32 v2, vcc_lo, 0, v2, vcc_lo
	s_clause 0x5
	global_load_b32 v5, v10, s[18:19] offset:2048
	global_load_b32 v6, v10, s[18:19] offset:3072
	global_load_b32 v7, v[1:2], off
	global_load_b32 v8, v[1:2], off offset:1024
	global_load_b32 v11, v[1:2], off offset:2048
	;; [unrolled: 1-line block ×3, first 2 shown]
	s_waitcnt vmcnt(6)
	v_dual_mov_b32 v3, 0 :: v_dual_add_nc_u32 v2, v4, v3
	s_waitcnt vmcnt(4)
	s_delay_alu instid0(VALU_DEP_1) | instskip(SKIP_1) | instid1(VALU_DEP_1)
	v_add3_u32 v2, v2, v5, v6
	s_waitcnt vmcnt(2)
	v_add3_u32 v2, v2, v7, v8
	s_waitcnt vmcnt(0)
	s_delay_alu instid0(VALU_DEP_1) | instskip(NEXT) | instid1(VALU_DEP_1)
	v_add3_u32 v1, v2, v11, v1
	v_mov_b32_dpp v2, v1 quad_perm:[1,0,3,2] row_mask:0xf bank_mask:0xf
	s_delay_alu instid0(VALU_DEP_1) | instskip(NEXT) | instid1(VALU_DEP_1)
	v_add_nc_u32_e32 v1, v2, v1
	v_mov_b32_dpp v2, v1 quad_perm:[2,3,0,1] row_mask:0xf bank_mask:0xf
	s_delay_alu instid0(VALU_DEP_1) | instskip(NEXT) | instid1(VALU_DEP_1)
	v_add_nc_u32_e32 v1, v1, v2
	v_mov_b32_dpp v2, v1 row_ror:4 row_mask:0xf bank_mask:0xf
	s_delay_alu instid0(VALU_DEP_1) | instskip(NEXT) | instid1(VALU_DEP_1)
	v_add_nc_u32_e32 v1, v1, v2
	v_mov_b32_dpp v2, v1 row_ror:8 row_mask:0xf bank_mask:0xf
	s_delay_alu instid0(VALU_DEP_1)
	v_add_nc_u32_e32 v1, v1, v2
	ds_swizzle_b32 v2, v1 offset:swizzle(BROADCAST,32,15)
	s_waitcnt lgkmcnt(0)
	v_add_nc_u32_e32 v1, v1, v2
	ds_bpermute_b32 v1, v3, v1 offset:124
	v_cmpx_eq_u32_e32 0, v9
	s_cbranch_execz .LBB701_3
; %bb.2:
	v_lshrrev_b32_e32 v2, 3, v0
	s_delay_alu instid0(VALU_DEP_1)
	v_and_b32_e32 v2, 28, v2
	s_waitcnt lgkmcnt(0)
	ds_store_b32 v2, v1
.LBB701_3:
	s_or_b32 exec_lo, exec_lo, s3
	s_delay_alu instid0(SALU_CYCLE_1)
	s_mov_b32 s3, exec_lo
	s_waitcnt lgkmcnt(0)
	s_barrier
	buffer_gl0_inv
	v_cmpx_gt_u32_e32 32, v0
	s_cbranch_execz .LBB701_5
; %bb.4:
	v_and_b32_e32 v1, 7, v9
	s_delay_alu instid0(VALU_DEP_1) | instskip(SKIP_4) | instid1(VALU_DEP_2)
	v_lshlrev_b32_e32 v2, 2, v1
	v_cmp_ne_u32_e32 vcc_lo, 7, v1
	ds_load_b32 v2, v2
	v_add_co_ci_u32_e32 v3, vcc_lo, 0, v9, vcc_lo
	v_cmp_gt_u32_e32 vcc_lo, 6, v1
	v_lshlrev_b32_e32 v3, 2, v3
	v_cndmask_b32_e64 v4, 0, 1, vcc_lo
	v_cmp_gt_u32_e32 vcc_lo, 4, v1
	s_delay_alu instid0(VALU_DEP_2) | instskip(SKIP_1) | instid1(VALU_DEP_2)
	v_lshlrev_b32_e32 v4, 1, v4
	v_cndmask_b32_e64 v1, 0, 1, vcc_lo
	v_add_lshl_u32 v4, v4, v9, 2
	s_delay_alu instid0(VALU_DEP_2)
	v_lshlrev_b32_e32 v1, 2, v1
	s_waitcnt lgkmcnt(0)
	ds_bpermute_b32 v3, v3, v2
	v_add_lshl_u32 v1, v1, v9, 2
	s_waitcnt lgkmcnt(0)
	v_add_nc_u32_e32 v2, v3, v2
	ds_bpermute_b32 v3, v4, v2
	s_waitcnt lgkmcnt(0)
	v_add_nc_u32_e32 v2, v3, v2
	ds_bpermute_b32 v1, v1, v2
	s_waitcnt lgkmcnt(0)
	v_add_nc_u32_e32 v1, v1, v2
.LBB701_5:
	s_or_b32 exec_lo, exec_lo, s3
	s_branch .LBB701_28
.LBB701_6:
                                        ; implicit-def: $vgpr1
	s_cbranch_execz .LBB701_28
; %bb.7:
	s_sub_i32 s20, s8, s2
	s_mov_b32 s2, exec_lo
                                        ; implicit-def: $vgpr1_vgpr2_vgpr3_vgpr4_vgpr5_vgpr6_vgpr7_vgpr8
	v_cmpx_gt_u32_e64 s20, v0
	s_cbranch_execz .LBB701_9
; %bb.8:
	global_load_b32 v1, v10, s[18:19]
.LBB701_9:
	s_or_b32 exec_lo, exec_lo, s2
	v_or_b32_e32 v11, 0x100, v0
	s_delay_alu instid0(VALU_DEP_1)
	v_cmp_gt_u32_e32 vcc_lo, s20, v11
	s_and_saveexec_b32 s2, vcc_lo
	s_cbranch_execz .LBB701_11
; %bb.10:
	global_load_b32 v2, v10, s[18:19] offset:1024
.LBB701_11:
	s_or_b32 exec_lo, exec_lo, s2
	v_or_b32_e32 v11, 0x200, v0
	s_delay_alu instid0(VALU_DEP_1) | instskip(NEXT) | instid1(VALU_DEP_1)
	v_cmp_gt_u32_e64 s2, s20, v11
	s_and_saveexec_b32 s3, s2
	s_cbranch_execz .LBB701_13
; %bb.12:
	global_load_b32 v3, v10, s[18:19] offset:2048
.LBB701_13:
	s_or_b32 exec_lo, exec_lo, s3
	v_or_b32_e32 v11, 0x300, v0
	s_delay_alu instid0(VALU_DEP_1) | instskip(NEXT) | instid1(VALU_DEP_1)
	v_cmp_gt_u32_e64 s3, s20, v11
	s_and_saveexec_b32 s4, s3
	;; [unrolled: 9-line block ×3, first 2 shown]
	s_cbranch_execz .LBB701_17
; %bb.16:
	v_lshlrev_b32_e32 v5, 2, v10
	global_load_b32 v5, v5, s[18:19]
.LBB701_17:
	s_or_b32 exec_lo, exec_lo, s5
	v_or_b32_e32 v10, 0x500, v0
	s_delay_alu instid0(VALU_DEP_1) | instskip(NEXT) | instid1(VALU_DEP_1)
	v_cmp_gt_u32_e64 s5, s20, v10
	s_and_saveexec_b32 s6, s5
	s_cbranch_execz .LBB701_19
; %bb.18:
	v_lshlrev_b32_e32 v6, 2, v10
	global_load_b32 v6, v6, s[18:19]
.LBB701_19:
	s_or_b32 exec_lo, exec_lo, s6
	v_or_b32_e32 v10, 0x600, v0
	s_delay_alu instid0(VALU_DEP_1) | instskip(NEXT) | instid1(VALU_DEP_1)
	v_cmp_gt_u32_e64 s6, s20, v10
	s_and_saveexec_b32 s7, s6
	;; [unrolled: 10-line block ×3, first 2 shown]
	s_cbranch_execz .LBB701_23
; %bb.22:
	v_lshlrev_b32_e32 v8, 2, v10
	global_load_b32 v8, v8, s[18:19]
.LBB701_23:
	s_or_b32 exec_lo, exec_lo, s21
	s_waitcnt vmcnt(0)
	v_cndmask_b32_e32 v2, 0, v2, vcc_lo
	v_cndmask_b32_e64 v3, 0, v3, s2
	v_cndmask_b32_e64 v4, 0, v4, s3
	v_cmp_ne_u32_e32 vcc_lo, 31, v9
	s_min_u32 s2, s20, 0x100
	v_add_nc_u32_e32 v1, v2, v1
	v_cndmask_b32_e64 v2, 0, v5, s4
	v_cndmask_b32_e64 v5, 0, v6, s5
	;; [unrolled: 1-line block ×3, first 2 shown]
	s_mov_b32 s3, exec_lo
	v_add3_u32 v1, v1, v3, v4
	v_cndmask_b32_e64 v3, 0, v8, s7
	v_add_co_ci_u32_e32 v4, vcc_lo, 0, v9, vcc_lo
	v_cmp_gt_u32_e32 vcc_lo, 30, v9
	s_delay_alu instid0(VALU_DEP_4) | instskip(NEXT) | instid1(VALU_DEP_3)
	v_add3_u32 v1, v1, v2, v5
	v_lshlrev_b32_e32 v2, 2, v4
	v_add_nc_u32_e32 v4, 1, v9
	v_cndmask_b32_e64 v5, 0, 1, vcc_lo
	s_delay_alu instid0(VALU_DEP_4) | instskip(SKIP_1) | instid1(VALU_DEP_3)
	v_add3_u32 v1, v1, v6, v3
	v_and_b32_e32 v3, 0xe0, v0
	v_lshlrev_b32_e32 v5, 1, v5
	ds_bpermute_b32 v2, v2, v1
	v_sub_nc_u32_e64 v3, s2, v3 clamp
	s_delay_alu instid0(VALU_DEP_1) | instskip(SKIP_4) | instid1(VALU_DEP_2)
	v_cmp_lt_u32_e32 vcc_lo, v4, v3
	v_add_lshl_u32 v4, v5, v9, 2
	s_waitcnt lgkmcnt(0)
	v_dual_cndmask_b32 v2, 0, v2 :: v_dual_add_nc_u32 v5, 2, v9
	v_cmp_gt_u32_e32 vcc_lo, 28, v9
	v_add_nc_u32_e32 v1, v1, v2
	ds_bpermute_b32 v2, v4, v1
	v_cndmask_b32_e64 v4, 0, 1, vcc_lo
	v_cmp_lt_u32_e32 vcc_lo, v5, v3
	v_add_nc_u32_e32 v5, 4, v9
	s_delay_alu instid0(VALU_DEP_3) | instskip(NEXT) | instid1(VALU_DEP_1)
	v_lshlrev_b32_e32 v4, 2, v4
	v_add_lshl_u32 v4, v4, v9, 2
	s_waitcnt lgkmcnt(0)
	v_cndmask_b32_e32 v2, 0, v2, vcc_lo
	v_cmp_gt_u32_e32 vcc_lo, 24, v9
	s_delay_alu instid0(VALU_DEP_2) | instskip(SKIP_4) | instid1(VALU_DEP_3)
	v_add_nc_u32_e32 v1, v1, v2
	ds_bpermute_b32 v2, v4, v1
	v_cndmask_b32_e64 v4, 0, 1, vcc_lo
	v_cmp_lt_u32_e32 vcc_lo, v5, v3
	v_add_nc_u32_e32 v5, 8, v9
	v_lshlrev_b32_e32 v4, 3, v4
	s_delay_alu instid0(VALU_DEP_1) | instskip(SKIP_3) | instid1(VALU_DEP_2)
	v_add_lshl_u32 v4, v4, v9, 2
	s_waitcnt lgkmcnt(0)
	v_cndmask_b32_e32 v2, 0, v2, vcc_lo
	v_cmp_gt_u32_e32 vcc_lo, 16, v9
	v_add_nc_u32_e32 v1, v1, v2
	ds_bpermute_b32 v2, v4, v1
	v_cndmask_b32_e64 v4, 0, 1, vcc_lo
	v_cmp_lt_u32_e32 vcc_lo, v5, v3
	s_delay_alu instid0(VALU_DEP_2) | instskip(NEXT) | instid1(VALU_DEP_1)
	v_lshlrev_b32_e32 v4, 4, v4
	v_add_lshl_u32 v4, v4, v9, 2
	s_waitcnt lgkmcnt(0)
	v_cndmask_b32_e32 v2, 0, v2, vcc_lo
	s_delay_alu instid0(VALU_DEP_1) | instskip(SKIP_2) | instid1(VALU_DEP_1)
	v_add_nc_u32_e32 v1, v1, v2
	ds_bpermute_b32 v2, v4, v1
	v_add_nc_u32_e32 v4, 16, v9
	v_cmp_lt_u32_e32 vcc_lo, v4, v3
	s_waitcnt lgkmcnt(0)
	v_cndmask_b32_e32 v2, 0, v2, vcc_lo
	s_delay_alu instid0(VALU_DEP_1)
	v_add_nc_u32_e32 v1, v1, v2
	v_cmpx_eq_u32_e32 0, v9
	s_cbranch_execz .LBB701_25
; %bb.24:
	v_lshrrev_b32_e32 v2, 3, v0
	s_delay_alu instid0(VALU_DEP_1)
	v_and_b32_e32 v2, 28, v2
	ds_store_b32 v2, v1 offset:32
.LBB701_25:
	s_or_b32 exec_lo, exec_lo, s3
	s_delay_alu instid0(SALU_CYCLE_1)
	s_mov_b32 s3, exec_lo
	s_waitcnt lgkmcnt(0)
	s_barrier
	buffer_gl0_inv
	v_cmpx_gt_u32_e32 8, v0
	s_cbranch_execz .LBB701_27
; %bb.26:
	v_lshlrev_b32_e32 v1, 2, v9
	v_and_b32_e32 v2, 7, v9
	s_add_i32 s2, s2, 31
	s_delay_alu instid0(SALU_CYCLE_1)
	s_lshr_b32 s2, s2, 5
	ds_load_b32 v1, v1 offset:32
	v_cmp_ne_u32_e32 vcc_lo, 7, v2
	v_add_nc_u32_e32 v5, 1, v2
	v_add_co_ci_u32_e32 v3, vcc_lo, 0, v9, vcc_lo
	v_cmp_gt_u32_e32 vcc_lo, 6, v2
	s_delay_alu instid0(VALU_DEP_2) | instskip(SKIP_2) | instid1(VALU_DEP_2)
	v_lshlrev_b32_e32 v3, 2, v3
	v_cndmask_b32_e64 v4, 0, 1, vcc_lo
	v_cmp_gt_u32_e32 vcc_lo, s2, v5
	v_lshlrev_b32_e32 v4, 1, v4
	s_waitcnt lgkmcnt(0)
	ds_bpermute_b32 v3, v3, v1
	v_add_lshl_u32 v4, v4, v9, 2
	s_waitcnt lgkmcnt(0)
	v_cndmask_b32_e32 v3, 0, v3, vcc_lo
	v_cmp_gt_u32_e32 vcc_lo, 4, v2
	s_delay_alu instid0(VALU_DEP_2) | instskip(SKIP_4) | instid1(VALU_DEP_2)
	v_add_nc_u32_e32 v1, v3, v1
	v_cndmask_b32_e64 v5, 0, 1, vcc_lo
	ds_bpermute_b32 v3, v4, v1
	v_add_nc_u32_e32 v4, 2, v2
	v_add_nc_u32_e32 v2, 4, v2
	v_cmp_gt_u32_e32 vcc_lo, s2, v4
	s_waitcnt lgkmcnt(0)
	v_dual_cndmask_b32 v3, 0, v3 :: v_dual_lshlrev_b32 v4, 2, v5
	s_delay_alu instid0(VALU_DEP_3) | instskip(NEXT) | instid1(VALU_DEP_2)
	v_cmp_gt_u32_e32 vcc_lo, s2, v2
	v_add_nc_u32_e32 v1, v1, v3
	s_delay_alu instid0(VALU_DEP_3) | instskip(SKIP_3) | instid1(VALU_DEP_1)
	v_add_lshl_u32 v3, v4, v9, 2
	ds_bpermute_b32 v3, v3, v1
	s_waitcnt lgkmcnt(0)
	v_cndmask_b32_e32 v2, 0, v3, vcc_lo
	v_add_nc_u32_e32 v1, v1, v2
.LBB701_27:
	s_or_b32 exec_lo, exec_lo, s3
.LBB701_28:
	s_load_b32 s0, s[0:1], 0x30
	s_mov_b32 s1, exec_lo
	v_cmpx_eq_u32_e32 0, v0
	s_cbranch_execz .LBB701_30
; %bb.29:
	s_mul_i32 s1, s14, s13
	s_mul_hi_u32 s2, s14, s12
	s_mul_i32 s3, s15, s12
	s_add_i32 s1, s2, s1
	s_mul_i32 s2, s14, s12
	s_add_i32 s3, s1, s3
	s_delay_alu instid0(SALU_CYCLE_1) | instskip(NEXT) | instid1(SALU_CYCLE_1)
	s_lshl_b64 s[2:3], s[2:3], 2
	s_add_u32 s2, s10, s2
	s_addc_u32 s3, s11, s3
	s_cmp_eq_u64 s[8:9], 0
	s_cselect_b32 s1, -1, 0
	s_waitcnt lgkmcnt(0)
	v_cndmask_b32_e64 v0, v1, s0, s1
	s_lshl_b64 s[0:1], s[16:17], 2
	v_mov_b32_e32 v1, 0
	s_add_u32 s0, s2, s0
	s_addc_u32 s1, s3, s1
	global_store_b32 v1, v0, s[0:1]
.LBB701_30:
	s_nop 0
	s_sendmsg sendmsg(MSG_DEALLOC_VGPRS)
	s_endpgm
	.section	.rodata,"a",@progbits
	.p2align	6, 0x0
	.amdhsa_kernel _ZN7rocprim17ROCPRIM_400000_NS6detail17trampoline_kernelINS0_14default_configENS1_22reduce_config_selectorIiEEZNS1_11reduce_implILb1ES3_PiS7_iN6hipcub16HIPCUB_304000_NS6detail34convert_binary_result_type_wrapperINS9_3SumENS9_22TransformInputIteratorIbN2at6native12_GLOBAL__N_19NonZeroOpIbEEPKblEEiEEEE10hipError_tPvRmT1_T2_T3_mT4_P12ihipStream_tbEUlT_E0_NS1_11comp_targetILNS1_3genE9ELNS1_11target_archE1100ELNS1_3gpuE3ELNS1_3repE0EEENS1_30default_config_static_selectorELNS0_4arch9wavefront6targetE0EEEvSQ_
		.amdhsa_group_segment_fixed_size 64
		.amdhsa_private_segment_fixed_size 0
		.amdhsa_kernarg_size 56
		.amdhsa_user_sgpr_count 15
		.amdhsa_user_sgpr_dispatch_ptr 0
		.amdhsa_user_sgpr_queue_ptr 0
		.amdhsa_user_sgpr_kernarg_segment_ptr 1
		.amdhsa_user_sgpr_dispatch_id 0
		.amdhsa_user_sgpr_private_segment_size 0
		.amdhsa_wavefront_size32 1
		.amdhsa_uses_dynamic_stack 0
		.amdhsa_enable_private_segment 0
		.amdhsa_system_sgpr_workgroup_id_x 1
		.amdhsa_system_sgpr_workgroup_id_y 0
		.amdhsa_system_sgpr_workgroup_id_z 0
		.amdhsa_system_sgpr_workgroup_info 0
		.amdhsa_system_vgpr_workitem_id 0
		.amdhsa_next_free_vgpr 12
		.amdhsa_next_free_sgpr 22
		.amdhsa_reserve_vcc 1
		.amdhsa_float_round_mode_32 0
		.amdhsa_float_round_mode_16_64 0
		.amdhsa_float_denorm_mode_32 3
		.amdhsa_float_denorm_mode_16_64 3
		.amdhsa_dx10_clamp 1
		.amdhsa_ieee_mode 1
		.amdhsa_fp16_overflow 0
		.amdhsa_workgroup_processor_mode 1
		.amdhsa_memory_ordered 1
		.amdhsa_forward_progress 0
		.amdhsa_shared_vgpr_count 0
		.amdhsa_exception_fp_ieee_invalid_op 0
		.amdhsa_exception_fp_denorm_src 0
		.amdhsa_exception_fp_ieee_div_zero 0
		.amdhsa_exception_fp_ieee_overflow 0
		.amdhsa_exception_fp_ieee_underflow 0
		.amdhsa_exception_fp_ieee_inexact 0
		.amdhsa_exception_int_div_zero 0
	.end_amdhsa_kernel
	.section	.text._ZN7rocprim17ROCPRIM_400000_NS6detail17trampoline_kernelINS0_14default_configENS1_22reduce_config_selectorIiEEZNS1_11reduce_implILb1ES3_PiS7_iN6hipcub16HIPCUB_304000_NS6detail34convert_binary_result_type_wrapperINS9_3SumENS9_22TransformInputIteratorIbN2at6native12_GLOBAL__N_19NonZeroOpIbEEPKblEEiEEEE10hipError_tPvRmT1_T2_T3_mT4_P12ihipStream_tbEUlT_E0_NS1_11comp_targetILNS1_3genE9ELNS1_11target_archE1100ELNS1_3gpuE3ELNS1_3repE0EEENS1_30default_config_static_selectorELNS0_4arch9wavefront6targetE0EEEvSQ_,"axG",@progbits,_ZN7rocprim17ROCPRIM_400000_NS6detail17trampoline_kernelINS0_14default_configENS1_22reduce_config_selectorIiEEZNS1_11reduce_implILb1ES3_PiS7_iN6hipcub16HIPCUB_304000_NS6detail34convert_binary_result_type_wrapperINS9_3SumENS9_22TransformInputIteratorIbN2at6native12_GLOBAL__N_19NonZeroOpIbEEPKblEEiEEEE10hipError_tPvRmT1_T2_T3_mT4_P12ihipStream_tbEUlT_E0_NS1_11comp_targetILNS1_3genE9ELNS1_11target_archE1100ELNS1_3gpuE3ELNS1_3repE0EEENS1_30default_config_static_selectorELNS0_4arch9wavefront6targetE0EEEvSQ_,comdat
.Lfunc_end701:
	.size	_ZN7rocprim17ROCPRIM_400000_NS6detail17trampoline_kernelINS0_14default_configENS1_22reduce_config_selectorIiEEZNS1_11reduce_implILb1ES3_PiS7_iN6hipcub16HIPCUB_304000_NS6detail34convert_binary_result_type_wrapperINS9_3SumENS9_22TransformInputIteratorIbN2at6native12_GLOBAL__N_19NonZeroOpIbEEPKblEEiEEEE10hipError_tPvRmT1_T2_T3_mT4_P12ihipStream_tbEUlT_E0_NS1_11comp_targetILNS1_3genE9ELNS1_11target_archE1100ELNS1_3gpuE3ELNS1_3repE0EEENS1_30default_config_static_selectorELNS0_4arch9wavefront6targetE0EEEvSQ_, .Lfunc_end701-_ZN7rocprim17ROCPRIM_400000_NS6detail17trampoline_kernelINS0_14default_configENS1_22reduce_config_selectorIiEEZNS1_11reduce_implILb1ES3_PiS7_iN6hipcub16HIPCUB_304000_NS6detail34convert_binary_result_type_wrapperINS9_3SumENS9_22TransformInputIteratorIbN2at6native12_GLOBAL__N_19NonZeroOpIbEEPKblEEiEEEE10hipError_tPvRmT1_T2_T3_mT4_P12ihipStream_tbEUlT_E0_NS1_11comp_targetILNS1_3genE9ELNS1_11target_archE1100ELNS1_3gpuE3ELNS1_3repE0EEENS1_30default_config_static_selectorELNS0_4arch9wavefront6targetE0EEEvSQ_
                                        ; -- End function
	.section	.AMDGPU.csdata,"",@progbits
; Kernel info:
; codeLenInByte = 1664
; NumSgprs: 24
; NumVgprs: 12
; ScratchSize: 0
; MemoryBound: 0
; FloatMode: 240
; IeeeMode: 1
; LDSByteSize: 64 bytes/workgroup (compile time only)
; SGPRBlocks: 2
; VGPRBlocks: 1
; NumSGPRsForWavesPerEU: 24
; NumVGPRsForWavesPerEU: 12
; Occupancy: 16
; WaveLimiterHint : 1
; COMPUTE_PGM_RSRC2:SCRATCH_EN: 0
; COMPUTE_PGM_RSRC2:USER_SGPR: 15
; COMPUTE_PGM_RSRC2:TRAP_HANDLER: 0
; COMPUTE_PGM_RSRC2:TGID_X_EN: 1
; COMPUTE_PGM_RSRC2:TGID_Y_EN: 0
; COMPUTE_PGM_RSRC2:TGID_Z_EN: 0
; COMPUTE_PGM_RSRC2:TIDIG_COMP_CNT: 0
	.section	.text._ZN7rocprim17ROCPRIM_400000_NS6detail17trampoline_kernelINS0_14default_configENS1_22reduce_config_selectorIiEEZNS1_11reduce_implILb1ES3_PiS7_iN6hipcub16HIPCUB_304000_NS6detail34convert_binary_result_type_wrapperINS9_3SumENS9_22TransformInputIteratorIbN2at6native12_GLOBAL__N_19NonZeroOpIbEEPKblEEiEEEE10hipError_tPvRmT1_T2_T3_mT4_P12ihipStream_tbEUlT_E0_NS1_11comp_targetILNS1_3genE8ELNS1_11target_archE1030ELNS1_3gpuE2ELNS1_3repE0EEENS1_30default_config_static_selectorELNS0_4arch9wavefront6targetE0EEEvSQ_,"axG",@progbits,_ZN7rocprim17ROCPRIM_400000_NS6detail17trampoline_kernelINS0_14default_configENS1_22reduce_config_selectorIiEEZNS1_11reduce_implILb1ES3_PiS7_iN6hipcub16HIPCUB_304000_NS6detail34convert_binary_result_type_wrapperINS9_3SumENS9_22TransformInputIteratorIbN2at6native12_GLOBAL__N_19NonZeroOpIbEEPKblEEiEEEE10hipError_tPvRmT1_T2_T3_mT4_P12ihipStream_tbEUlT_E0_NS1_11comp_targetILNS1_3genE8ELNS1_11target_archE1030ELNS1_3gpuE2ELNS1_3repE0EEENS1_30default_config_static_selectorELNS0_4arch9wavefront6targetE0EEEvSQ_,comdat
	.globl	_ZN7rocprim17ROCPRIM_400000_NS6detail17trampoline_kernelINS0_14default_configENS1_22reduce_config_selectorIiEEZNS1_11reduce_implILb1ES3_PiS7_iN6hipcub16HIPCUB_304000_NS6detail34convert_binary_result_type_wrapperINS9_3SumENS9_22TransformInputIteratorIbN2at6native12_GLOBAL__N_19NonZeroOpIbEEPKblEEiEEEE10hipError_tPvRmT1_T2_T3_mT4_P12ihipStream_tbEUlT_E0_NS1_11comp_targetILNS1_3genE8ELNS1_11target_archE1030ELNS1_3gpuE2ELNS1_3repE0EEENS1_30default_config_static_selectorELNS0_4arch9wavefront6targetE0EEEvSQ_ ; -- Begin function _ZN7rocprim17ROCPRIM_400000_NS6detail17trampoline_kernelINS0_14default_configENS1_22reduce_config_selectorIiEEZNS1_11reduce_implILb1ES3_PiS7_iN6hipcub16HIPCUB_304000_NS6detail34convert_binary_result_type_wrapperINS9_3SumENS9_22TransformInputIteratorIbN2at6native12_GLOBAL__N_19NonZeroOpIbEEPKblEEiEEEE10hipError_tPvRmT1_T2_T3_mT4_P12ihipStream_tbEUlT_E0_NS1_11comp_targetILNS1_3genE8ELNS1_11target_archE1030ELNS1_3gpuE2ELNS1_3repE0EEENS1_30default_config_static_selectorELNS0_4arch9wavefront6targetE0EEEvSQ_
	.p2align	8
	.type	_ZN7rocprim17ROCPRIM_400000_NS6detail17trampoline_kernelINS0_14default_configENS1_22reduce_config_selectorIiEEZNS1_11reduce_implILb1ES3_PiS7_iN6hipcub16HIPCUB_304000_NS6detail34convert_binary_result_type_wrapperINS9_3SumENS9_22TransformInputIteratorIbN2at6native12_GLOBAL__N_19NonZeroOpIbEEPKblEEiEEEE10hipError_tPvRmT1_T2_T3_mT4_P12ihipStream_tbEUlT_E0_NS1_11comp_targetILNS1_3genE8ELNS1_11target_archE1030ELNS1_3gpuE2ELNS1_3repE0EEENS1_30default_config_static_selectorELNS0_4arch9wavefront6targetE0EEEvSQ_,@function
_ZN7rocprim17ROCPRIM_400000_NS6detail17trampoline_kernelINS0_14default_configENS1_22reduce_config_selectorIiEEZNS1_11reduce_implILb1ES3_PiS7_iN6hipcub16HIPCUB_304000_NS6detail34convert_binary_result_type_wrapperINS9_3SumENS9_22TransformInputIteratorIbN2at6native12_GLOBAL__N_19NonZeroOpIbEEPKblEEiEEEE10hipError_tPvRmT1_T2_T3_mT4_P12ihipStream_tbEUlT_E0_NS1_11comp_targetILNS1_3genE8ELNS1_11target_archE1030ELNS1_3gpuE2ELNS1_3repE0EEENS1_30default_config_static_selectorELNS0_4arch9wavefront6targetE0EEEvSQ_: ; @_ZN7rocprim17ROCPRIM_400000_NS6detail17trampoline_kernelINS0_14default_configENS1_22reduce_config_selectorIiEEZNS1_11reduce_implILb1ES3_PiS7_iN6hipcub16HIPCUB_304000_NS6detail34convert_binary_result_type_wrapperINS9_3SumENS9_22TransformInputIteratorIbN2at6native12_GLOBAL__N_19NonZeroOpIbEEPKblEEiEEEE10hipError_tPvRmT1_T2_T3_mT4_P12ihipStream_tbEUlT_E0_NS1_11comp_targetILNS1_3genE8ELNS1_11target_archE1030ELNS1_3gpuE2ELNS1_3repE0EEENS1_30default_config_static_selectorELNS0_4arch9wavefront6targetE0EEEvSQ_
; %bb.0:
	.section	.rodata,"a",@progbits
	.p2align	6, 0x0
	.amdhsa_kernel _ZN7rocprim17ROCPRIM_400000_NS6detail17trampoline_kernelINS0_14default_configENS1_22reduce_config_selectorIiEEZNS1_11reduce_implILb1ES3_PiS7_iN6hipcub16HIPCUB_304000_NS6detail34convert_binary_result_type_wrapperINS9_3SumENS9_22TransformInputIteratorIbN2at6native12_GLOBAL__N_19NonZeroOpIbEEPKblEEiEEEE10hipError_tPvRmT1_T2_T3_mT4_P12ihipStream_tbEUlT_E0_NS1_11comp_targetILNS1_3genE8ELNS1_11target_archE1030ELNS1_3gpuE2ELNS1_3repE0EEENS1_30default_config_static_selectorELNS0_4arch9wavefront6targetE0EEEvSQ_
		.amdhsa_group_segment_fixed_size 0
		.amdhsa_private_segment_fixed_size 0
		.amdhsa_kernarg_size 56
		.amdhsa_user_sgpr_count 15
		.amdhsa_user_sgpr_dispatch_ptr 0
		.amdhsa_user_sgpr_queue_ptr 0
		.amdhsa_user_sgpr_kernarg_segment_ptr 1
		.amdhsa_user_sgpr_dispatch_id 0
		.amdhsa_user_sgpr_private_segment_size 0
		.amdhsa_wavefront_size32 1
		.amdhsa_uses_dynamic_stack 0
		.amdhsa_enable_private_segment 0
		.amdhsa_system_sgpr_workgroup_id_x 1
		.amdhsa_system_sgpr_workgroup_id_y 0
		.amdhsa_system_sgpr_workgroup_id_z 0
		.amdhsa_system_sgpr_workgroup_info 0
		.amdhsa_system_vgpr_workitem_id 0
		.amdhsa_next_free_vgpr 1
		.amdhsa_next_free_sgpr 1
		.amdhsa_reserve_vcc 0
		.amdhsa_float_round_mode_32 0
		.amdhsa_float_round_mode_16_64 0
		.amdhsa_float_denorm_mode_32 3
		.amdhsa_float_denorm_mode_16_64 3
		.amdhsa_dx10_clamp 1
		.amdhsa_ieee_mode 1
		.amdhsa_fp16_overflow 0
		.amdhsa_workgroup_processor_mode 1
		.amdhsa_memory_ordered 1
		.amdhsa_forward_progress 0
		.amdhsa_shared_vgpr_count 0
		.amdhsa_exception_fp_ieee_invalid_op 0
		.amdhsa_exception_fp_denorm_src 0
		.amdhsa_exception_fp_ieee_div_zero 0
		.amdhsa_exception_fp_ieee_overflow 0
		.amdhsa_exception_fp_ieee_underflow 0
		.amdhsa_exception_fp_ieee_inexact 0
		.amdhsa_exception_int_div_zero 0
	.end_amdhsa_kernel
	.section	.text._ZN7rocprim17ROCPRIM_400000_NS6detail17trampoline_kernelINS0_14default_configENS1_22reduce_config_selectorIiEEZNS1_11reduce_implILb1ES3_PiS7_iN6hipcub16HIPCUB_304000_NS6detail34convert_binary_result_type_wrapperINS9_3SumENS9_22TransformInputIteratorIbN2at6native12_GLOBAL__N_19NonZeroOpIbEEPKblEEiEEEE10hipError_tPvRmT1_T2_T3_mT4_P12ihipStream_tbEUlT_E0_NS1_11comp_targetILNS1_3genE8ELNS1_11target_archE1030ELNS1_3gpuE2ELNS1_3repE0EEENS1_30default_config_static_selectorELNS0_4arch9wavefront6targetE0EEEvSQ_,"axG",@progbits,_ZN7rocprim17ROCPRIM_400000_NS6detail17trampoline_kernelINS0_14default_configENS1_22reduce_config_selectorIiEEZNS1_11reduce_implILb1ES3_PiS7_iN6hipcub16HIPCUB_304000_NS6detail34convert_binary_result_type_wrapperINS9_3SumENS9_22TransformInputIteratorIbN2at6native12_GLOBAL__N_19NonZeroOpIbEEPKblEEiEEEE10hipError_tPvRmT1_T2_T3_mT4_P12ihipStream_tbEUlT_E0_NS1_11comp_targetILNS1_3genE8ELNS1_11target_archE1030ELNS1_3gpuE2ELNS1_3repE0EEENS1_30default_config_static_selectorELNS0_4arch9wavefront6targetE0EEEvSQ_,comdat
.Lfunc_end702:
	.size	_ZN7rocprim17ROCPRIM_400000_NS6detail17trampoline_kernelINS0_14default_configENS1_22reduce_config_selectorIiEEZNS1_11reduce_implILb1ES3_PiS7_iN6hipcub16HIPCUB_304000_NS6detail34convert_binary_result_type_wrapperINS9_3SumENS9_22TransformInputIteratorIbN2at6native12_GLOBAL__N_19NonZeroOpIbEEPKblEEiEEEE10hipError_tPvRmT1_T2_T3_mT4_P12ihipStream_tbEUlT_E0_NS1_11comp_targetILNS1_3genE8ELNS1_11target_archE1030ELNS1_3gpuE2ELNS1_3repE0EEENS1_30default_config_static_selectorELNS0_4arch9wavefront6targetE0EEEvSQ_, .Lfunc_end702-_ZN7rocprim17ROCPRIM_400000_NS6detail17trampoline_kernelINS0_14default_configENS1_22reduce_config_selectorIiEEZNS1_11reduce_implILb1ES3_PiS7_iN6hipcub16HIPCUB_304000_NS6detail34convert_binary_result_type_wrapperINS9_3SumENS9_22TransformInputIteratorIbN2at6native12_GLOBAL__N_19NonZeroOpIbEEPKblEEiEEEE10hipError_tPvRmT1_T2_T3_mT4_P12ihipStream_tbEUlT_E0_NS1_11comp_targetILNS1_3genE8ELNS1_11target_archE1030ELNS1_3gpuE2ELNS1_3repE0EEENS1_30default_config_static_selectorELNS0_4arch9wavefront6targetE0EEEvSQ_
                                        ; -- End function
	.section	.AMDGPU.csdata,"",@progbits
; Kernel info:
; codeLenInByte = 0
; NumSgprs: 0
; NumVgprs: 0
; ScratchSize: 0
; MemoryBound: 0
; FloatMode: 240
; IeeeMode: 1
; LDSByteSize: 0 bytes/workgroup (compile time only)
; SGPRBlocks: 0
; VGPRBlocks: 0
; NumSGPRsForWavesPerEU: 1
; NumVGPRsForWavesPerEU: 1
; Occupancy: 16
; WaveLimiterHint : 0
; COMPUTE_PGM_RSRC2:SCRATCH_EN: 0
; COMPUTE_PGM_RSRC2:USER_SGPR: 15
; COMPUTE_PGM_RSRC2:TRAP_HANDLER: 0
; COMPUTE_PGM_RSRC2:TGID_X_EN: 1
; COMPUTE_PGM_RSRC2:TGID_Y_EN: 0
; COMPUTE_PGM_RSRC2:TGID_Z_EN: 0
; COMPUTE_PGM_RSRC2:TIDIG_COMP_CNT: 0
	.section	.text._ZN7rocprim17ROCPRIM_400000_NS6detail17trampoline_kernelINS0_14default_configENS1_22reduce_config_selectorIiEEZNS1_11reduce_implILb1ES3_PiS7_iN6hipcub16HIPCUB_304000_NS6detail34convert_binary_result_type_wrapperINS9_3SumENS9_22TransformInputIteratorIbN2at6native12_GLOBAL__N_19NonZeroOpIbEEPKblEEiEEEE10hipError_tPvRmT1_T2_T3_mT4_P12ihipStream_tbEUlT_E1_NS1_11comp_targetILNS1_3genE0ELNS1_11target_archE4294967295ELNS1_3gpuE0ELNS1_3repE0EEENS1_30default_config_static_selectorELNS0_4arch9wavefront6targetE0EEEvSQ_,"axG",@progbits,_ZN7rocprim17ROCPRIM_400000_NS6detail17trampoline_kernelINS0_14default_configENS1_22reduce_config_selectorIiEEZNS1_11reduce_implILb1ES3_PiS7_iN6hipcub16HIPCUB_304000_NS6detail34convert_binary_result_type_wrapperINS9_3SumENS9_22TransformInputIteratorIbN2at6native12_GLOBAL__N_19NonZeroOpIbEEPKblEEiEEEE10hipError_tPvRmT1_T2_T3_mT4_P12ihipStream_tbEUlT_E1_NS1_11comp_targetILNS1_3genE0ELNS1_11target_archE4294967295ELNS1_3gpuE0ELNS1_3repE0EEENS1_30default_config_static_selectorELNS0_4arch9wavefront6targetE0EEEvSQ_,comdat
	.globl	_ZN7rocprim17ROCPRIM_400000_NS6detail17trampoline_kernelINS0_14default_configENS1_22reduce_config_selectorIiEEZNS1_11reduce_implILb1ES3_PiS7_iN6hipcub16HIPCUB_304000_NS6detail34convert_binary_result_type_wrapperINS9_3SumENS9_22TransformInputIteratorIbN2at6native12_GLOBAL__N_19NonZeroOpIbEEPKblEEiEEEE10hipError_tPvRmT1_T2_T3_mT4_P12ihipStream_tbEUlT_E1_NS1_11comp_targetILNS1_3genE0ELNS1_11target_archE4294967295ELNS1_3gpuE0ELNS1_3repE0EEENS1_30default_config_static_selectorELNS0_4arch9wavefront6targetE0EEEvSQ_ ; -- Begin function _ZN7rocprim17ROCPRIM_400000_NS6detail17trampoline_kernelINS0_14default_configENS1_22reduce_config_selectorIiEEZNS1_11reduce_implILb1ES3_PiS7_iN6hipcub16HIPCUB_304000_NS6detail34convert_binary_result_type_wrapperINS9_3SumENS9_22TransformInputIteratorIbN2at6native12_GLOBAL__N_19NonZeroOpIbEEPKblEEiEEEE10hipError_tPvRmT1_T2_T3_mT4_P12ihipStream_tbEUlT_E1_NS1_11comp_targetILNS1_3genE0ELNS1_11target_archE4294967295ELNS1_3gpuE0ELNS1_3repE0EEENS1_30default_config_static_selectorELNS0_4arch9wavefront6targetE0EEEvSQ_
	.p2align	8
	.type	_ZN7rocprim17ROCPRIM_400000_NS6detail17trampoline_kernelINS0_14default_configENS1_22reduce_config_selectorIiEEZNS1_11reduce_implILb1ES3_PiS7_iN6hipcub16HIPCUB_304000_NS6detail34convert_binary_result_type_wrapperINS9_3SumENS9_22TransformInputIteratorIbN2at6native12_GLOBAL__N_19NonZeroOpIbEEPKblEEiEEEE10hipError_tPvRmT1_T2_T3_mT4_P12ihipStream_tbEUlT_E1_NS1_11comp_targetILNS1_3genE0ELNS1_11target_archE4294967295ELNS1_3gpuE0ELNS1_3repE0EEENS1_30default_config_static_selectorELNS0_4arch9wavefront6targetE0EEEvSQ_,@function
_ZN7rocprim17ROCPRIM_400000_NS6detail17trampoline_kernelINS0_14default_configENS1_22reduce_config_selectorIiEEZNS1_11reduce_implILb1ES3_PiS7_iN6hipcub16HIPCUB_304000_NS6detail34convert_binary_result_type_wrapperINS9_3SumENS9_22TransformInputIteratorIbN2at6native12_GLOBAL__N_19NonZeroOpIbEEPKblEEiEEEE10hipError_tPvRmT1_T2_T3_mT4_P12ihipStream_tbEUlT_E1_NS1_11comp_targetILNS1_3genE0ELNS1_11target_archE4294967295ELNS1_3gpuE0ELNS1_3repE0EEENS1_30default_config_static_selectorELNS0_4arch9wavefront6targetE0EEEvSQ_: ; @_ZN7rocprim17ROCPRIM_400000_NS6detail17trampoline_kernelINS0_14default_configENS1_22reduce_config_selectorIiEEZNS1_11reduce_implILb1ES3_PiS7_iN6hipcub16HIPCUB_304000_NS6detail34convert_binary_result_type_wrapperINS9_3SumENS9_22TransformInputIteratorIbN2at6native12_GLOBAL__N_19NonZeroOpIbEEPKblEEiEEEE10hipError_tPvRmT1_T2_T3_mT4_P12ihipStream_tbEUlT_E1_NS1_11comp_targetILNS1_3genE0ELNS1_11target_archE4294967295ELNS1_3gpuE0ELNS1_3repE0EEENS1_30default_config_static_selectorELNS0_4arch9wavefront6targetE0EEEvSQ_
; %bb.0:
	.section	.rodata,"a",@progbits
	.p2align	6, 0x0
	.amdhsa_kernel _ZN7rocprim17ROCPRIM_400000_NS6detail17trampoline_kernelINS0_14default_configENS1_22reduce_config_selectorIiEEZNS1_11reduce_implILb1ES3_PiS7_iN6hipcub16HIPCUB_304000_NS6detail34convert_binary_result_type_wrapperINS9_3SumENS9_22TransformInputIteratorIbN2at6native12_GLOBAL__N_19NonZeroOpIbEEPKblEEiEEEE10hipError_tPvRmT1_T2_T3_mT4_P12ihipStream_tbEUlT_E1_NS1_11comp_targetILNS1_3genE0ELNS1_11target_archE4294967295ELNS1_3gpuE0ELNS1_3repE0EEENS1_30default_config_static_selectorELNS0_4arch9wavefront6targetE0EEEvSQ_
		.amdhsa_group_segment_fixed_size 0
		.amdhsa_private_segment_fixed_size 0
		.amdhsa_kernarg_size 40
		.amdhsa_user_sgpr_count 15
		.amdhsa_user_sgpr_dispatch_ptr 0
		.amdhsa_user_sgpr_queue_ptr 0
		.amdhsa_user_sgpr_kernarg_segment_ptr 1
		.amdhsa_user_sgpr_dispatch_id 0
		.amdhsa_user_sgpr_private_segment_size 0
		.amdhsa_wavefront_size32 1
		.amdhsa_uses_dynamic_stack 0
		.amdhsa_enable_private_segment 0
		.amdhsa_system_sgpr_workgroup_id_x 1
		.amdhsa_system_sgpr_workgroup_id_y 0
		.amdhsa_system_sgpr_workgroup_id_z 0
		.amdhsa_system_sgpr_workgroup_info 0
		.amdhsa_system_vgpr_workitem_id 0
		.amdhsa_next_free_vgpr 1
		.amdhsa_next_free_sgpr 1
		.amdhsa_reserve_vcc 0
		.amdhsa_float_round_mode_32 0
		.amdhsa_float_round_mode_16_64 0
		.amdhsa_float_denorm_mode_32 3
		.amdhsa_float_denorm_mode_16_64 3
		.amdhsa_dx10_clamp 1
		.amdhsa_ieee_mode 1
		.amdhsa_fp16_overflow 0
		.amdhsa_workgroup_processor_mode 1
		.amdhsa_memory_ordered 1
		.amdhsa_forward_progress 0
		.amdhsa_shared_vgpr_count 0
		.amdhsa_exception_fp_ieee_invalid_op 0
		.amdhsa_exception_fp_denorm_src 0
		.amdhsa_exception_fp_ieee_div_zero 0
		.amdhsa_exception_fp_ieee_overflow 0
		.amdhsa_exception_fp_ieee_underflow 0
		.amdhsa_exception_fp_ieee_inexact 0
		.amdhsa_exception_int_div_zero 0
	.end_amdhsa_kernel
	.section	.text._ZN7rocprim17ROCPRIM_400000_NS6detail17trampoline_kernelINS0_14default_configENS1_22reduce_config_selectorIiEEZNS1_11reduce_implILb1ES3_PiS7_iN6hipcub16HIPCUB_304000_NS6detail34convert_binary_result_type_wrapperINS9_3SumENS9_22TransformInputIteratorIbN2at6native12_GLOBAL__N_19NonZeroOpIbEEPKblEEiEEEE10hipError_tPvRmT1_T2_T3_mT4_P12ihipStream_tbEUlT_E1_NS1_11comp_targetILNS1_3genE0ELNS1_11target_archE4294967295ELNS1_3gpuE0ELNS1_3repE0EEENS1_30default_config_static_selectorELNS0_4arch9wavefront6targetE0EEEvSQ_,"axG",@progbits,_ZN7rocprim17ROCPRIM_400000_NS6detail17trampoline_kernelINS0_14default_configENS1_22reduce_config_selectorIiEEZNS1_11reduce_implILb1ES3_PiS7_iN6hipcub16HIPCUB_304000_NS6detail34convert_binary_result_type_wrapperINS9_3SumENS9_22TransformInputIteratorIbN2at6native12_GLOBAL__N_19NonZeroOpIbEEPKblEEiEEEE10hipError_tPvRmT1_T2_T3_mT4_P12ihipStream_tbEUlT_E1_NS1_11comp_targetILNS1_3genE0ELNS1_11target_archE4294967295ELNS1_3gpuE0ELNS1_3repE0EEENS1_30default_config_static_selectorELNS0_4arch9wavefront6targetE0EEEvSQ_,comdat
.Lfunc_end703:
	.size	_ZN7rocprim17ROCPRIM_400000_NS6detail17trampoline_kernelINS0_14default_configENS1_22reduce_config_selectorIiEEZNS1_11reduce_implILb1ES3_PiS7_iN6hipcub16HIPCUB_304000_NS6detail34convert_binary_result_type_wrapperINS9_3SumENS9_22TransformInputIteratorIbN2at6native12_GLOBAL__N_19NonZeroOpIbEEPKblEEiEEEE10hipError_tPvRmT1_T2_T3_mT4_P12ihipStream_tbEUlT_E1_NS1_11comp_targetILNS1_3genE0ELNS1_11target_archE4294967295ELNS1_3gpuE0ELNS1_3repE0EEENS1_30default_config_static_selectorELNS0_4arch9wavefront6targetE0EEEvSQ_, .Lfunc_end703-_ZN7rocprim17ROCPRIM_400000_NS6detail17trampoline_kernelINS0_14default_configENS1_22reduce_config_selectorIiEEZNS1_11reduce_implILb1ES3_PiS7_iN6hipcub16HIPCUB_304000_NS6detail34convert_binary_result_type_wrapperINS9_3SumENS9_22TransformInputIteratorIbN2at6native12_GLOBAL__N_19NonZeroOpIbEEPKblEEiEEEE10hipError_tPvRmT1_T2_T3_mT4_P12ihipStream_tbEUlT_E1_NS1_11comp_targetILNS1_3genE0ELNS1_11target_archE4294967295ELNS1_3gpuE0ELNS1_3repE0EEENS1_30default_config_static_selectorELNS0_4arch9wavefront6targetE0EEEvSQ_
                                        ; -- End function
	.section	.AMDGPU.csdata,"",@progbits
; Kernel info:
; codeLenInByte = 0
; NumSgprs: 0
; NumVgprs: 0
; ScratchSize: 0
; MemoryBound: 0
; FloatMode: 240
; IeeeMode: 1
; LDSByteSize: 0 bytes/workgroup (compile time only)
; SGPRBlocks: 0
; VGPRBlocks: 0
; NumSGPRsForWavesPerEU: 1
; NumVGPRsForWavesPerEU: 1
; Occupancy: 16
; WaveLimiterHint : 0
; COMPUTE_PGM_RSRC2:SCRATCH_EN: 0
; COMPUTE_PGM_RSRC2:USER_SGPR: 15
; COMPUTE_PGM_RSRC2:TRAP_HANDLER: 0
; COMPUTE_PGM_RSRC2:TGID_X_EN: 1
; COMPUTE_PGM_RSRC2:TGID_Y_EN: 0
; COMPUTE_PGM_RSRC2:TGID_Z_EN: 0
; COMPUTE_PGM_RSRC2:TIDIG_COMP_CNT: 0
	.section	.text._ZN7rocprim17ROCPRIM_400000_NS6detail17trampoline_kernelINS0_14default_configENS1_22reduce_config_selectorIiEEZNS1_11reduce_implILb1ES3_PiS7_iN6hipcub16HIPCUB_304000_NS6detail34convert_binary_result_type_wrapperINS9_3SumENS9_22TransformInputIteratorIbN2at6native12_GLOBAL__N_19NonZeroOpIbEEPKblEEiEEEE10hipError_tPvRmT1_T2_T3_mT4_P12ihipStream_tbEUlT_E1_NS1_11comp_targetILNS1_3genE5ELNS1_11target_archE942ELNS1_3gpuE9ELNS1_3repE0EEENS1_30default_config_static_selectorELNS0_4arch9wavefront6targetE0EEEvSQ_,"axG",@progbits,_ZN7rocprim17ROCPRIM_400000_NS6detail17trampoline_kernelINS0_14default_configENS1_22reduce_config_selectorIiEEZNS1_11reduce_implILb1ES3_PiS7_iN6hipcub16HIPCUB_304000_NS6detail34convert_binary_result_type_wrapperINS9_3SumENS9_22TransformInputIteratorIbN2at6native12_GLOBAL__N_19NonZeroOpIbEEPKblEEiEEEE10hipError_tPvRmT1_T2_T3_mT4_P12ihipStream_tbEUlT_E1_NS1_11comp_targetILNS1_3genE5ELNS1_11target_archE942ELNS1_3gpuE9ELNS1_3repE0EEENS1_30default_config_static_selectorELNS0_4arch9wavefront6targetE0EEEvSQ_,comdat
	.globl	_ZN7rocprim17ROCPRIM_400000_NS6detail17trampoline_kernelINS0_14default_configENS1_22reduce_config_selectorIiEEZNS1_11reduce_implILb1ES3_PiS7_iN6hipcub16HIPCUB_304000_NS6detail34convert_binary_result_type_wrapperINS9_3SumENS9_22TransformInputIteratorIbN2at6native12_GLOBAL__N_19NonZeroOpIbEEPKblEEiEEEE10hipError_tPvRmT1_T2_T3_mT4_P12ihipStream_tbEUlT_E1_NS1_11comp_targetILNS1_3genE5ELNS1_11target_archE942ELNS1_3gpuE9ELNS1_3repE0EEENS1_30default_config_static_selectorELNS0_4arch9wavefront6targetE0EEEvSQ_ ; -- Begin function _ZN7rocprim17ROCPRIM_400000_NS6detail17trampoline_kernelINS0_14default_configENS1_22reduce_config_selectorIiEEZNS1_11reduce_implILb1ES3_PiS7_iN6hipcub16HIPCUB_304000_NS6detail34convert_binary_result_type_wrapperINS9_3SumENS9_22TransformInputIteratorIbN2at6native12_GLOBAL__N_19NonZeroOpIbEEPKblEEiEEEE10hipError_tPvRmT1_T2_T3_mT4_P12ihipStream_tbEUlT_E1_NS1_11comp_targetILNS1_3genE5ELNS1_11target_archE942ELNS1_3gpuE9ELNS1_3repE0EEENS1_30default_config_static_selectorELNS0_4arch9wavefront6targetE0EEEvSQ_
	.p2align	8
	.type	_ZN7rocprim17ROCPRIM_400000_NS6detail17trampoline_kernelINS0_14default_configENS1_22reduce_config_selectorIiEEZNS1_11reduce_implILb1ES3_PiS7_iN6hipcub16HIPCUB_304000_NS6detail34convert_binary_result_type_wrapperINS9_3SumENS9_22TransformInputIteratorIbN2at6native12_GLOBAL__N_19NonZeroOpIbEEPKblEEiEEEE10hipError_tPvRmT1_T2_T3_mT4_P12ihipStream_tbEUlT_E1_NS1_11comp_targetILNS1_3genE5ELNS1_11target_archE942ELNS1_3gpuE9ELNS1_3repE0EEENS1_30default_config_static_selectorELNS0_4arch9wavefront6targetE0EEEvSQ_,@function
_ZN7rocprim17ROCPRIM_400000_NS6detail17trampoline_kernelINS0_14default_configENS1_22reduce_config_selectorIiEEZNS1_11reduce_implILb1ES3_PiS7_iN6hipcub16HIPCUB_304000_NS6detail34convert_binary_result_type_wrapperINS9_3SumENS9_22TransformInputIteratorIbN2at6native12_GLOBAL__N_19NonZeroOpIbEEPKblEEiEEEE10hipError_tPvRmT1_T2_T3_mT4_P12ihipStream_tbEUlT_E1_NS1_11comp_targetILNS1_3genE5ELNS1_11target_archE942ELNS1_3gpuE9ELNS1_3repE0EEENS1_30default_config_static_selectorELNS0_4arch9wavefront6targetE0EEEvSQ_: ; @_ZN7rocprim17ROCPRIM_400000_NS6detail17trampoline_kernelINS0_14default_configENS1_22reduce_config_selectorIiEEZNS1_11reduce_implILb1ES3_PiS7_iN6hipcub16HIPCUB_304000_NS6detail34convert_binary_result_type_wrapperINS9_3SumENS9_22TransformInputIteratorIbN2at6native12_GLOBAL__N_19NonZeroOpIbEEPKblEEiEEEE10hipError_tPvRmT1_T2_T3_mT4_P12ihipStream_tbEUlT_E1_NS1_11comp_targetILNS1_3genE5ELNS1_11target_archE942ELNS1_3gpuE9ELNS1_3repE0EEENS1_30default_config_static_selectorELNS0_4arch9wavefront6targetE0EEEvSQ_
; %bb.0:
	.section	.rodata,"a",@progbits
	.p2align	6, 0x0
	.amdhsa_kernel _ZN7rocprim17ROCPRIM_400000_NS6detail17trampoline_kernelINS0_14default_configENS1_22reduce_config_selectorIiEEZNS1_11reduce_implILb1ES3_PiS7_iN6hipcub16HIPCUB_304000_NS6detail34convert_binary_result_type_wrapperINS9_3SumENS9_22TransformInputIteratorIbN2at6native12_GLOBAL__N_19NonZeroOpIbEEPKblEEiEEEE10hipError_tPvRmT1_T2_T3_mT4_P12ihipStream_tbEUlT_E1_NS1_11comp_targetILNS1_3genE5ELNS1_11target_archE942ELNS1_3gpuE9ELNS1_3repE0EEENS1_30default_config_static_selectorELNS0_4arch9wavefront6targetE0EEEvSQ_
		.amdhsa_group_segment_fixed_size 0
		.amdhsa_private_segment_fixed_size 0
		.amdhsa_kernarg_size 40
		.amdhsa_user_sgpr_count 15
		.amdhsa_user_sgpr_dispatch_ptr 0
		.amdhsa_user_sgpr_queue_ptr 0
		.amdhsa_user_sgpr_kernarg_segment_ptr 1
		.amdhsa_user_sgpr_dispatch_id 0
		.amdhsa_user_sgpr_private_segment_size 0
		.amdhsa_wavefront_size32 1
		.amdhsa_uses_dynamic_stack 0
		.amdhsa_enable_private_segment 0
		.amdhsa_system_sgpr_workgroup_id_x 1
		.amdhsa_system_sgpr_workgroup_id_y 0
		.amdhsa_system_sgpr_workgroup_id_z 0
		.amdhsa_system_sgpr_workgroup_info 0
		.amdhsa_system_vgpr_workitem_id 0
		.amdhsa_next_free_vgpr 1
		.amdhsa_next_free_sgpr 1
		.amdhsa_reserve_vcc 0
		.amdhsa_float_round_mode_32 0
		.amdhsa_float_round_mode_16_64 0
		.amdhsa_float_denorm_mode_32 3
		.amdhsa_float_denorm_mode_16_64 3
		.amdhsa_dx10_clamp 1
		.amdhsa_ieee_mode 1
		.amdhsa_fp16_overflow 0
		.amdhsa_workgroup_processor_mode 1
		.amdhsa_memory_ordered 1
		.amdhsa_forward_progress 0
		.amdhsa_shared_vgpr_count 0
		.amdhsa_exception_fp_ieee_invalid_op 0
		.amdhsa_exception_fp_denorm_src 0
		.amdhsa_exception_fp_ieee_div_zero 0
		.amdhsa_exception_fp_ieee_overflow 0
		.amdhsa_exception_fp_ieee_underflow 0
		.amdhsa_exception_fp_ieee_inexact 0
		.amdhsa_exception_int_div_zero 0
	.end_amdhsa_kernel
	.section	.text._ZN7rocprim17ROCPRIM_400000_NS6detail17trampoline_kernelINS0_14default_configENS1_22reduce_config_selectorIiEEZNS1_11reduce_implILb1ES3_PiS7_iN6hipcub16HIPCUB_304000_NS6detail34convert_binary_result_type_wrapperINS9_3SumENS9_22TransformInputIteratorIbN2at6native12_GLOBAL__N_19NonZeroOpIbEEPKblEEiEEEE10hipError_tPvRmT1_T2_T3_mT4_P12ihipStream_tbEUlT_E1_NS1_11comp_targetILNS1_3genE5ELNS1_11target_archE942ELNS1_3gpuE9ELNS1_3repE0EEENS1_30default_config_static_selectorELNS0_4arch9wavefront6targetE0EEEvSQ_,"axG",@progbits,_ZN7rocprim17ROCPRIM_400000_NS6detail17trampoline_kernelINS0_14default_configENS1_22reduce_config_selectorIiEEZNS1_11reduce_implILb1ES3_PiS7_iN6hipcub16HIPCUB_304000_NS6detail34convert_binary_result_type_wrapperINS9_3SumENS9_22TransformInputIteratorIbN2at6native12_GLOBAL__N_19NonZeroOpIbEEPKblEEiEEEE10hipError_tPvRmT1_T2_T3_mT4_P12ihipStream_tbEUlT_E1_NS1_11comp_targetILNS1_3genE5ELNS1_11target_archE942ELNS1_3gpuE9ELNS1_3repE0EEENS1_30default_config_static_selectorELNS0_4arch9wavefront6targetE0EEEvSQ_,comdat
.Lfunc_end704:
	.size	_ZN7rocprim17ROCPRIM_400000_NS6detail17trampoline_kernelINS0_14default_configENS1_22reduce_config_selectorIiEEZNS1_11reduce_implILb1ES3_PiS7_iN6hipcub16HIPCUB_304000_NS6detail34convert_binary_result_type_wrapperINS9_3SumENS9_22TransformInputIteratorIbN2at6native12_GLOBAL__N_19NonZeroOpIbEEPKblEEiEEEE10hipError_tPvRmT1_T2_T3_mT4_P12ihipStream_tbEUlT_E1_NS1_11comp_targetILNS1_3genE5ELNS1_11target_archE942ELNS1_3gpuE9ELNS1_3repE0EEENS1_30default_config_static_selectorELNS0_4arch9wavefront6targetE0EEEvSQ_, .Lfunc_end704-_ZN7rocprim17ROCPRIM_400000_NS6detail17trampoline_kernelINS0_14default_configENS1_22reduce_config_selectorIiEEZNS1_11reduce_implILb1ES3_PiS7_iN6hipcub16HIPCUB_304000_NS6detail34convert_binary_result_type_wrapperINS9_3SumENS9_22TransformInputIteratorIbN2at6native12_GLOBAL__N_19NonZeroOpIbEEPKblEEiEEEE10hipError_tPvRmT1_T2_T3_mT4_P12ihipStream_tbEUlT_E1_NS1_11comp_targetILNS1_3genE5ELNS1_11target_archE942ELNS1_3gpuE9ELNS1_3repE0EEENS1_30default_config_static_selectorELNS0_4arch9wavefront6targetE0EEEvSQ_
                                        ; -- End function
	.section	.AMDGPU.csdata,"",@progbits
; Kernel info:
; codeLenInByte = 0
; NumSgprs: 0
; NumVgprs: 0
; ScratchSize: 0
; MemoryBound: 0
; FloatMode: 240
; IeeeMode: 1
; LDSByteSize: 0 bytes/workgroup (compile time only)
; SGPRBlocks: 0
; VGPRBlocks: 0
; NumSGPRsForWavesPerEU: 1
; NumVGPRsForWavesPerEU: 1
; Occupancy: 16
; WaveLimiterHint : 0
; COMPUTE_PGM_RSRC2:SCRATCH_EN: 0
; COMPUTE_PGM_RSRC2:USER_SGPR: 15
; COMPUTE_PGM_RSRC2:TRAP_HANDLER: 0
; COMPUTE_PGM_RSRC2:TGID_X_EN: 1
; COMPUTE_PGM_RSRC2:TGID_Y_EN: 0
; COMPUTE_PGM_RSRC2:TGID_Z_EN: 0
; COMPUTE_PGM_RSRC2:TIDIG_COMP_CNT: 0
	.section	.text._ZN7rocprim17ROCPRIM_400000_NS6detail17trampoline_kernelINS0_14default_configENS1_22reduce_config_selectorIiEEZNS1_11reduce_implILb1ES3_PiS7_iN6hipcub16HIPCUB_304000_NS6detail34convert_binary_result_type_wrapperINS9_3SumENS9_22TransformInputIteratorIbN2at6native12_GLOBAL__N_19NonZeroOpIbEEPKblEEiEEEE10hipError_tPvRmT1_T2_T3_mT4_P12ihipStream_tbEUlT_E1_NS1_11comp_targetILNS1_3genE4ELNS1_11target_archE910ELNS1_3gpuE8ELNS1_3repE0EEENS1_30default_config_static_selectorELNS0_4arch9wavefront6targetE0EEEvSQ_,"axG",@progbits,_ZN7rocprim17ROCPRIM_400000_NS6detail17trampoline_kernelINS0_14default_configENS1_22reduce_config_selectorIiEEZNS1_11reduce_implILb1ES3_PiS7_iN6hipcub16HIPCUB_304000_NS6detail34convert_binary_result_type_wrapperINS9_3SumENS9_22TransformInputIteratorIbN2at6native12_GLOBAL__N_19NonZeroOpIbEEPKblEEiEEEE10hipError_tPvRmT1_T2_T3_mT4_P12ihipStream_tbEUlT_E1_NS1_11comp_targetILNS1_3genE4ELNS1_11target_archE910ELNS1_3gpuE8ELNS1_3repE0EEENS1_30default_config_static_selectorELNS0_4arch9wavefront6targetE0EEEvSQ_,comdat
	.globl	_ZN7rocprim17ROCPRIM_400000_NS6detail17trampoline_kernelINS0_14default_configENS1_22reduce_config_selectorIiEEZNS1_11reduce_implILb1ES3_PiS7_iN6hipcub16HIPCUB_304000_NS6detail34convert_binary_result_type_wrapperINS9_3SumENS9_22TransformInputIteratorIbN2at6native12_GLOBAL__N_19NonZeroOpIbEEPKblEEiEEEE10hipError_tPvRmT1_T2_T3_mT4_P12ihipStream_tbEUlT_E1_NS1_11comp_targetILNS1_3genE4ELNS1_11target_archE910ELNS1_3gpuE8ELNS1_3repE0EEENS1_30default_config_static_selectorELNS0_4arch9wavefront6targetE0EEEvSQ_ ; -- Begin function _ZN7rocprim17ROCPRIM_400000_NS6detail17trampoline_kernelINS0_14default_configENS1_22reduce_config_selectorIiEEZNS1_11reduce_implILb1ES3_PiS7_iN6hipcub16HIPCUB_304000_NS6detail34convert_binary_result_type_wrapperINS9_3SumENS9_22TransformInputIteratorIbN2at6native12_GLOBAL__N_19NonZeroOpIbEEPKblEEiEEEE10hipError_tPvRmT1_T2_T3_mT4_P12ihipStream_tbEUlT_E1_NS1_11comp_targetILNS1_3genE4ELNS1_11target_archE910ELNS1_3gpuE8ELNS1_3repE0EEENS1_30default_config_static_selectorELNS0_4arch9wavefront6targetE0EEEvSQ_
	.p2align	8
	.type	_ZN7rocprim17ROCPRIM_400000_NS6detail17trampoline_kernelINS0_14default_configENS1_22reduce_config_selectorIiEEZNS1_11reduce_implILb1ES3_PiS7_iN6hipcub16HIPCUB_304000_NS6detail34convert_binary_result_type_wrapperINS9_3SumENS9_22TransformInputIteratorIbN2at6native12_GLOBAL__N_19NonZeroOpIbEEPKblEEiEEEE10hipError_tPvRmT1_T2_T3_mT4_P12ihipStream_tbEUlT_E1_NS1_11comp_targetILNS1_3genE4ELNS1_11target_archE910ELNS1_3gpuE8ELNS1_3repE0EEENS1_30default_config_static_selectorELNS0_4arch9wavefront6targetE0EEEvSQ_,@function
_ZN7rocprim17ROCPRIM_400000_NS6detail17trampoline_kernelINS0_14default_configENS1_22reduce_config_selectorIiEEZNS1_11reduce_implILb1ES3_PiS7_iN6hipcub16HIPCUB_304000_NS6detail34convert_binary_result_type_wrapperINS9_3SumENS9_22TransformInputIteratorIbN2at6native12_GLOBAL__N_19NonZeroOpIbEEPKblEEiEEEE10hipError_tPvRmT1_T2_T3_mT4_P12ihipStream_tbEUlT_E1_NS1_11comp_targetILNS1_3genE4ELNS1_11target_archE910ELNS1_3gpuE8ELNS1_3repE0EEENS1_30default_config_static_selectorELNS0_4arch9wavefront6targetE0EEEvSQ_: ; @_ZN7rocprim17ROCPRIM_400000_NS6detail17trampoline_kernelINS0_14default_configENS1_22reduce_config_selectorIiEEZNS1_11reduce_implILb1ES3_PiS7_iN6hipcub16HIPCUB_304000_NS6detail34convert_binary_result_type_wrapperINS9_3SumENS9_22TransformInputIteratorIbN2at6native12_GLOBAL__N_19NonZeroOpIbEEPKblEEiEEEE10hipError_tPvRmT1_T2_T3_mT4_P12ihipStream_tbEUlT_E1_NS1_11comp_targetILNS1_3genE4ELNS1_11target_archE910ELNS1_3gpuE8ELNS1_3repE0EEENS1_30default_config_static_selectorELNS0_4arch9wavefront6targetE0EEEvSQ_
; %bb.0:
	.section	.rodata,"a",@progbits
	.p2align	6, 0x0
	.amdhsa_kernel _ZN7rocprim17ROCPRIM_400000_NS6detail17trampoline_kernelINS0_14default_configENS1_22reduce_config_selectorIiEEZNS1_11reduce_implILb1ES3_PiS7_iN6hipcub16HIPCUB_304000_NS6detail34convert_binary_result_type_wrapperINS9_3SumENS9_22TransformInputIteratorIbN2at6native12_GLOBAL__N_19NonZeroOpIbEEPKblEEiEEEE10hipError_tPvRmT1_T2_T3_mT4_P12ihipStream_tbEUlT_E1_NS1_11comp_targetILNS1_3genE4ELNS1_11target_archE910ELNS1_3gpuE8ELNS1_3repE0EEENS1_30default_config_static_selectorELNS0_4arch9wavefront6targetE0EEEvSQ_
		.amdhsa_group_segment_fixed_size 0
		.amdhsa_private_segment_fixed_size 0
		.amdhsa_kernarg_size 40
		.amdhsa_user_sgpr_count 15
		.amdhsa_user_sgpr_dispatch_ptr 0
		.amdhsa_user_sgpr_queue_ptr 0
		.amdhsa_user_sgpr_kernarg_segment_ptr 1
		.amdhsa_user_sgpr_dispatch_id 0
		.amdhsa_user_sgpr_private_segment_size 0
		.amdhsa_wavefront_size32 1
		.amdhsa_uses_dynamic_stack 0
		.amdhsa_enable_private_segment 0
		.amdhsa_system_sgpr_workgroup_id_x 1
		.amdhsa_system_sgpr_workgroup_id_y 0
		.amdhsa_system_sgpr_workgroup_id_z 0
		.amdhsa_system_sgpr_workgroup_info 0
		.amdhsa_system_vgpr_workitem_id 0
		.amdhsa_next_free_vgpr 1
		.amdhsa_next_free_sgpr 1
		.amdhsa_reserve_vcc 0
		.amdhsa_float_round_mode_32 0
		.amdhsa_float_round_mode_16_64 0
		.amdhsa_float_denorm_mode_32 3
		.amdhsa_float_denorm_mode_16_64 3
		.amdhsa_dx10_clamp 1
		.amdhsa_ieee_mode 1
		.amdhsa_fp16_overflow 0
		.amdhsa_workgroup_processor_mode 1
		.amdhsa_memory_ordered 1
		.amdhsa_forward_progress 0
		.amdhsa_shared_vgpr_count 0
		.amdhsa_exception_fp_ieee_invalid_op 0
		.amdhsa_exception_fp_denorm_src 0
		.amdhsa_exception_fp_ieee_div_zero 0
		.amdhsa_exception_fp_ieee_overflow 0
		.amdhsa_exception_fp_ieee_underflow 0
		.amdhsa_exception_fp_ieee_inexact 0
		.amdhsa_exception_int_div_zero 0
	.end_amdhsa_kernel
	.section	.text._ZN7rocprim17ROCPRIM_400000_NS6detail17trampoline_kernelINS0_14default_configENS1_22reduce_config_selectorIiEEZNS1_11reduce_implILb1ES3_PiS7_iN6hipcub16HIPCUB_304000_NS6detail34convert_binary_result_type_wrapperINS9_3SumENS9_22TransformInputIteratorIbN2at6native12_GLOBAL__N_19NonZeroOpIbEEPKblEEiEEEE10hipError_tPvRmT1_T2_T3_mT4_P12ihipStream_tbEUlT_E1_NS1_11comp_targetILNS1_3genE4ELNS1_11target_archE910ELNS1_3gpuE8ELNS1_3repE0EEENS1_30default_config_static_selectorELNS0_4arch9wavefront6targetE0EEEvSQ_,"axG",@progbits,_ZN7rocprim17ROCPRIM_400000_NS6detail17trampoline_kernelINS0_14default_configENS1_22reduce_config_selectorIiEEZNS1_11reduce_implILb1ES3_PiS7_iN6hipcub16HIPCUB_304000_NS6detail34convert_binary_result_type_wrapperINS9_3SumENS9_22TransformInputIteratorIbN2at6native12_GLOBAL__N_19NonZeroOpIbEEPKblEEiEEEE10hipError_tPvRmT1_T2_T3_mT4_P12ihipStream_tbEUlT_E1_NS1_11comp_targetILNS1_3genE4ELNS1_11target_archE910ELNS1_3gpuE8ELNS1_3repE0EEENS1_30default_config_static_selectorELNS0_4arch9wavefront6targetE0EEEvSQ_,comdat
.Lfunc_end705:
	.size	_ZN7rocprim17ROCPRIM_400000_NS6detail17trampoline_kernelINS0_14default_configENS1_22reduce_config_selectorIiEEZNS1_11reduce_implILb1ES3_PiS7_iN6hipcub16HIPCUB_304000_NS6detail34convert_binary_result_type_wrapperINS9_3SumENS9_22TransformInputIteratorIbN2at6native12_GLOBAL__N_19NonZeroOpIbEEPKblEEiEEEE10hipError_tPvRmT1_T2_T3_mT4_P12ihipStream_tbEUlT_E1_NS1_11comp_targetILNS1_3genE4ELNS1_11target_archE910ELNS1_3gpuE8ELNS1_3repE0EEENS1_30default_config_static_selectorELNS0_4arch9wavefront6targetE0EEEvSQ_, .Lfunc_end705-_ZN7rocprim17ROCPRIM_400000_NS6detail17trampoline_kernelINS0_14default_configENS1_22reduce_config_selectorIiEEZNS1_11reduce_implILb1ES3_PiS7_iN6hipcub16HIPCUB_304000_NS6detail34convert_binary_result_type_wrapperINS9_3SumENS9_22TransformInputIteratorIbN2at6native12_GLOBAL__N_19NonZeroOpIbEEPKblEEiEEEE10hipError_tPvRmT1_T2_T3_mT4_P12ihipStream_tbEUlT_E1_NS1_11comp_targetILNS1_3genE4ELNS1_11target_archE910ELNS1_3gpuE8ELNS1_3repE0EEENS1_30default_config_static_selectorELNS0_4arch9wavefront6targetE0EEEvSQ_
                                        ; -- End function
	.section	.AMDGPU.csdata,"",@progbits
; Kernel info:
; codeLenInByte = 0
; NumSgprs: 0
; NumVgprs: 0
; ScratchSize: 0
; MemoryBound: 0
; FloatMode: 240
; IeeeMode: 1
; LDSByteSize: 0 bytes/workgroup (compile time only)
; SGPRBlocks: 0
; VGPRBlocks: 0
; NumSGPRsForWavesPerEU: 1
; NumVGPRsForWavesPerEU: 1
; Occupancy: 16
; WaveLimiterHint : 0
; COMPUTE_PGM_RSRC2:SCRATCH_EN: 0
; COMPUTE_PGM_RSRC2:USER_SGPR: 15
; COMPUTE_PGM_RSRC2:TRAP_HANDLER: 0
; COMPUTE_PGM_RSRC2:TGID_X_EN: 1
; COMPUTE_PGM_RSRC2:TGID_Y_EN: 0
; COMPUTE_PGM_RSRC2:TGID_Z_EN: 0
; COMPUTE_PGM_RSRC2:TIDIG_COMP_CNT: 0
	.section	.text._ZN7rocprim17ROCPRIM_400000_NS6detail17trampoline_kernelINS0_14default_configENS1_22reduce_config_selectorIiEEZNS1_11reduce_implILb1ES3_PiS7_iN6hipcub16HIPCUB_304000_NS6detail34convert_binary_result_type_wrapperINS9_3SumENS9_22TransformInputIteratorIbN2at6native12_GLOBAL__N_19NonZeroOpIbEEPKblEEiEEEE10hipError_tPvRmT1_T2_T3_mT4_P12ihipStream_tbEUlT_E1_NS1_11comp_targetILNS1_3genE3ELNS1_11target_archE908ELNS1_3gpuE7ELNS1_3repE0EEENS1_30default_config_static_selectorELNS0_4arch9wavefront6targetE0EEEvSQ_,"axG",@progbits,_ZN7rocprim17ROCPRIM_400000_NS6detail17trampoline_kernelINS0_14default_configENS1_22reduce_config_selectorIiEEZNS1_11reduce_implILb1ES3_PiS7_iN6hipcub16HIPCUB_304000_NS6detail34convert_binary_result_type_wrapperINS9_3SumENS9_22TransformInputIteratorIbN2at6native12_GLOBAL__N_19NonZeroOpIbEEPKblEEiEEEE10hipError_tPvRmT1_T2_T3_mT4_P12ihipStream_tbEUlT_E1_NS1_11comp_targetILNS1_3genE3ELNS1_11target_archE908ELNS1_3gpuE7ELNS1_3repE0EEENS1_30default_config_static_selectorELNS0_4arch9wavefront6targetE0EEEvSQ_,comdat
	.globl	_ZN7rocprim17ROCPRIM_400000_NS6detail17trampoline_kernelINS0_14default_configENS1_22reduce_config_selectorIiEEZNS1_11reduce_implILb1ES3_PiS7_iN6hipcub16HIPCUB_304000_NS6detail34convert_binary_result_type_wrapperINS9_3SumENS9_22TransformInputIteratorIbN2at6native12_GLOBAL__N_19NonZeroOpIbEEPKblEEiEEEE10hipError_tPvRmT1_T2_T3_mT4_P12ihipStream_tbEUlT_E1_NS1_11comp_targetILNS1_3genE3ELNS1_11target_archE908ELNS1_3gpuE7ELNS1_3repE0EEENS1_30default_config_static_selectorELNS0_4arch9wavefront6targetE0EEEvSQ_ ; -- Begin function _ZN7rocprim17ROCPRIM_400000_NS6detail17trampoline_kernelINS0_14default_configENS1_22reduce_config_selectorIiEEZNS1_11reduce_implILb1ES3_PiS7_iN6hipcub16HIPCUB_304000_NS6detail34convert_binary_result_type_wrapperINS9_3SumENS9_22TransformInputIteratorIbN2at6native12_GLOBAL__N_19NonZeroOpIbEEPKblEEiEEEE10hipError_tPvRmT1_T2_T3_mT4_P12ihipStream_tbEUlT_E1_NS1_11comp_targetILNS1_3genE3ELNS1_11target_archE908ELNS1_3gpuE7ELNS1_3repE0EEENS1_30default_config_static_selectorELNS0_4arch9wavefront6targetE0EEEvSQ_
	.p2align	8
	.type	_ZN7rocprim17ROCPRIM_400000_NS6detail17trampoline_kernelINS0_14default_configENS1_22reduce_config_selectorIiEEZNS1_11reduce_implILb1ES3_PiS7_iN6hipcub16HIPCUB_304000_NS6detail34convert_binary_result_type_wrapperINS9_3SumENS9_22TransformInputIteratorIbN2at6native12_GLOBAL__N_19NonZeroOpIbEEPKblEEiEEEE10hipError_tPvRmT1_T2_T3_mT4_P12ihipStream_tbEUlT_E1_NS1_11comp_targetILNS1_3genE3ELNS1_11target_archE908ELNS1_3gpuE7ELNS1_3repE0EEENS1_30default_config_static_selectorELNS0_4arch9wavefront6targetE0EEEvSQ_,@function
_ZN7rocprim17ROCPRIM_400000_NS6detail17trampoline_kernelINS0_14default_configENS1_22reduce_config_selectorIiEEZNS1_11reduce_implILb1ES3_PiS7_iN6hipcub16HIPCUB_304000_NS6detail34convert_binary_result_type_wrapperINS9_3SumENS9_22TransformInputIteratorIbN2at6native12_GLOBAL__N_19NonZeroOpIbEEPKblEEiEEEE10hipError_tPvRmT1_T2_T3_mT4_P12ihipStream_tbEUlT_E1_NS1_11comp_targetILNS1_3genE3ELNS1_11target_archE908ELNS1_3gpuE7ELNS1_3repE0EEENS1_30default_config_static_selectorELNS0_4arch9wavefront6targetE0EEEvSQ_: ; @_ZN7rocprim17ROCPRIM_400000_NS6detail17trampoline_kernelINS0_14default_configENS1_22reduce_config_selectorIiEEZNS1_11reduce_implILb1ES3_PiS7_iN6hipcub16HIPCUB_304000_NS6detail34convert_binary_result_type_wrapperINS9_3SumENS9_22TransformInputIteratorIbN2at6native12_GLOBAL__N_19NonZeroOpIbEEPKblEEiEEEE10hipError_tPvRmT1_T2_T3_mT4_P12ihipStream_tbEUlT_E1_NS1_11comp_targetILNS1_3genE3ELNS1_11target_archE908ELNS1_3gpuE7ELNS1_3repE0EEENS1_30default_config_static_selectorELNS0_4arch9wavefront6targetE0EEEvSQ_
; %bb.0:
	.section	.rodata,"a",@progbits
	.p2align	6, 0x0
	.amdhsa_kernel _ZN7rocprim17ROCPRIM_400000_NS6detail17trampoline_kernelINS0_14default_configENS1_22reduce_config_selectorIiEEZNS1_11reduce_implILb1ES3_PiS7_iN6hipcub16HIPCUB_304000_NS6detail34convert_binary_result_type_wrapperINS9_3SumENS9_22TransformInputIteratorIbN2at6native12_GLOBAL__N_19NonZeroOpIbEEPKblEEiEEEE10hipError_tPvRmT1_T2_T3_mT4_P12ihipStream_tbEUlT_E1_NS1_11comp_targetILNS1_3genE3ELNS1_11target_archE908ELNS1_3gpuE7ELNS1_3repE0EEENS1_30default_config_static_selectorELNS0_4arch9wavefront6targetE0EEEvSQ_
		.amdhsa_group_segment_fixed_size 0
		.amdhsa_private_segment_fixed_size 0
		.amdhsa_kernarg_size 40
		.amdhsa_user_sgpr_count 15
		.amdhsa_user_sgpr_dispatch_ptr 0
		.amdhsa_user_sgpr_queue_ptr 0
		.amdhsa_user_sgpr_kernarg_segment_ptr 1
		.amdhsa_user_sgpr_dispatch_id 0
		.amdhsa_user_sgpr_private_segment_size 0
		.amdhsa_wavefront_size32 1
		.amdhsa_uses_dynamic_stack 0
		.amdhsa_enable_private_segment 0
		.amdhsa_system_sgpr_workgroup_id_x 1
		.amdhsa_system_sgpr_workgroup_id_y 0
		.amdhsa_system_sgpr_workgroup_id_z 0
		.amdhsa_system_sgpr_workgroup_info 0
		.amdhsa_system_vgpr_workitem_id 0
		.amdhsa_next_free_vgpr 1
		.amdhsa_next_free_sgpr 1
		.amdhsa_reserve_vcc 0
		.amdhsa_float_round_mode_32 0
		.amdhsa_float_round_mode_16_64 0
		.amdhsa_float_denorm_mode_32 3
		.amdhsa_float_denorm_mode_16_64 3
		.amdhsa_dx10_clamp 1
		.amdhsa_ieee_mode 1
		.amdhsa_fp16_overflow 0
		.amdhsa_workgroup_processor_mode 1
		.amdhsa_memory_ordered 1
		.amdhsa_forward_progress 0
		.amdhsa_shared_vgpr_count 0
		.amdhsa_exception_fp_ieee_invalid_op 0
		.amdhsa_exception_fp_denorm_src 0
		.amdhsa_exception_fp_ieee_div_zero 0
		.amdhsa_exception_fp_ieee_overflow 0
		.amdhsa_exception_fp_ieee_underflow 0
		.amdhsa_exception_fp_ieee_inexact 0
		.amdhsa_exception_int_div_zero 0
	.end_amdhsa_kernel
	.section	.text._ZN7rocprim17ROCPRIM_400000_NS6detail17trampoline_kernelINS0_14default_configENS1_22reduce_config_selectorIiEEZNS1_11reduce_implILb1ES3_PiS7_iN6hipcub16HIPCUB_304000_NS6detail34convert_binary_result_type_wrapperINS9_3SumENS9_22TransformInputIteratorIbN2at6native12_GLOBAL__N_19NonZeroOpIbEEPKblEEiEEEE10hipError_tPvRmT1_T2_T3_mT4_P12ihipStream_tbEUlT_E1_NS1_11comp_targetILNS1_3genE3ELNS1_11target_archE908ELNS1_3gpuE7ELNS1_3repE0EEENS1_30default_config_static_selectorELNS0_4arch9wavefront6targetE0EEEvSQ_,"axG",@progbits,_ZN7rocprim17ROCPRIM_400000_NS6detail17trampoline_kernelINS0_14default_configENS1_22reduce_config_selectorIiEEZNS1_11reduce_implILb1ES3_PiS7_iN6hipcub16HIPCUB_304000_NS6detail34convert_binary_result_type_wrapperINS9_3SumENS9_22TransformInputIteratorIbN2at6native12_GLOBAL__N_19NonZeroOpIbEEPKblEEiEEEE10hipError_tPvRmT1_T2_T3_mT4_P12ihipStream_tbEUlT_E1_NS1_11comp_targetILNS1_3genE3ELNS1_11target_archE908ELNS1_3gpuE7ELNS1_3repE0EEENS1_30default_config_static_selectorELNS0_4arch9wavefront6targetE0EEEvSQ_,comdat
.Lfunc_end706:
	.size	_ZN7rocprim17ROCPRIM_400000_NS6detail17trampoline_kernelINS0_14default_configENS1_22reduce_config_selectorIiEEZNS1_11reduce_implILb1ES3_PiS7_iN6hipcub16HIPCUB_304000_NS6detail34convert_binary_result_type_wrapperINS9_3SumENS9_22TransformInputIteratorIbN2at6native12_GLOBAL__N_19NonZeroOpIbEEPKblEEiEEEE10hipError_tPvRmT1_T2_T3_mT4_P12ihipStream_tbEUlT_E1_NS1_11comp_targetILNS1_3genE3ELNS1_11target_archE908ELNS1_3gpuE7ELNS1_3repE0EEENS1_30default_config_static_selectorELNS0_4arch9wavefront6targetE0EEEvSQ_, .Lfunc_end706-_ZN7rocprim17ROCPRIM_400000_NS6detail17trampoline_kernelINS0_14default_configENS1_22reduce_config_selectorIiEEZNS1_11reduce_implILb1ES3_PiS7_iN6hipcub16HIPCUB_304000_NS6detail34convert_binary_result_type_wrapperINS9_3SumENS9_22TransformInputIteratorIbN2at6native12_GLOBAL__N_19NonZeroOpIbEEPKblEEiEEEE10hipError_tPvRmT1_T2_T3_mT4_P12ihipStream_tbEUlT_E1_NS1_11comp_targetILNS1_3genE3ELNS1_11target_archE908ELNS1_3gpuE7ELNS1_3repE0EEENS1_30default_config_static_selectorELNS0_4arch9wavefront6targetE0EEEvSQ_
                                        ; -- End function
	.section	.AMDGPU.csdata,"",@progbits
; Kernel info:
; codeLenInByte = 0
; NumSgprs: 0
; NumVgprs: 0
; ScratchSize: 0
; MemoryBound: 0
; FloatMode: 240
; IeeeMode: 1
; LDSByteSize: 0 bytes/workgroup (compile time only)
; SGPRBlocks: 0
; VGPRBlocks: 0
; NumSGPRsForWavesPerEU: 1
; NumVGPRsForWavesPerEU: 1
; Occupancy: 16
; WaveLimiterHint : 0
; COMPUTE_PGM_RSRC2:SCRATCH_EN: 0
; COMPUTE_PGM_RSRC2:USER_SGPR: 15
; COMPUTE_PGM_RSRC2:TRAP_HANDLER: 0
; COMPUTE_PGM_RSRC2:TGID_X_EN: 1
; COMPUTE_PGM_RSRC2:TGID_Y_EN: 0
; COMPUTE_PGM_RSRC2:TGID_Z_EN: 0
; COMPUTE_PGM_RSRC2:TIDIG_COMP_CNT: 0
	.section	.text._ZN7rocprim17ROCPRIM_400000_NS6detail17trampoline_kernelINS0_14default_configENS1_22reduce_config_selectorIiEEZNS1_11reduce_implILb1ES3_PiS7_iN6hipcub16HIPCUB_304000_NS6detail34convert_binary_result_type_wrapperINS9_3SumENS9_22TransformInputIteratorIbN2at6native12_GLOBAL__N_19NonZeroOpIbEEPKblEEiEEEE10hipError_tPvRmT1_T2_T3_mT4_P12ihipStream_tbEUlT_E1_NS1_11comp_targetILNS1_3genE2ELNS1_11target_archE906ELNS1_3gpuE6ELNS1_3repE0EEENS1_30default_config_static_selectorELNS0_4arch9wavefront6targetE0EEEvSQ_,"axG",@progbits,_ZN7rocprim17ROCPRIM_400000_NS6detail17trampoline_kernelINS0_14default_configENS1_22reduce_config_selectorIiEEZNS1_11reduce_implILb1ES3_PiS7_iN6hipcub16HIPCUB_304000_NS6detail34convert_binary_result_type_wrapperINS9_3SumENS9_22TransformInputIteratorIbN2at6native12_GLOBAL__N_19NonZeroOpIbEEPKblEEiEEEE10hipError_tPvRmT1_T2_T3_mT4_P12ihipStream_tbEUlT_E1_NS1_11comp_targetILNS1_3genE2ELNS1_11target_archE906ELNS1_3gpuE6ELNS1_3repE0EEENS1_30default_config_static_selectorELNS0_4arch9wavefront6targetE0EEEvSQ_,comdat
	.globl	_ZN7rocprim17ROCPRIM_400000_NS6detail17trampoline_kernelINS0_14default_configENS1_22reduce_config_selectorIiEEZNS1_11reduce_implILb1ES3_PiS7_iN6hipcub16HIPCUB_304000_NS6detail34convert_binary_result_type_wrapperINS9_3SumENS9_22TransformInputIteratorIbN2at6native12_GLOBAL__N_19NonZeroOpIbEEPKblEEiEEEE10hipError_tPvRmT1_T2_T3_mT4_P12ihipStream_tbEUlT_E1_NS1_11comp_targetILNS1_3genE2ELNS1_11target_archE906ELNS1_3gpuE6ELNS1_3repE0EEENS1_30default_config_static_selectorELNS0_4arch9wavefront6targetE0EEEvSQ_ ; -- Begin function _ZN7rocprim17ROCPRIM_400000_NS6detail17trampoline_kernelINS0_14default_configENS1_22reduce_config_selectorIiEEZNS1_11reduce_implILb1ES3_PiS7_iN6hipcub16HIPCUB_304000_NS6detail34convert_binary_result_type_wrapperINS9_3SumENS9_22TransformInputIteratorIbN2at6native12_GLOBAL__N_19NonZeroOpIbEEPKblEEiEEEE10hipError_tPvRmT1_T2_T3_mT4_P12ihipStream_tbEUlT_E1_NS1_11comp_targetILNS1_3genE2ELNS1_11target_archE906ELNS1_3gpuE6ELNS1_3repE0EEENS1_30default_config_static_selectorELNS0_4arch9wavefront6targetE0EEEvSQ_
	.p2align	8
	.type	_ZN7rocprim17ROCPRIM_400000_NS6detail17trampoline_kernelINS0_14default_configENS1_22reduce_config_selectorIiEEZNS1_11reduce_implILb1ES3_PiS7_iN6hipcub16HIPCUB_304000_NS6detail34convert_binary_result_type_wrapperINS9_3SumENS9_22TransformInputIteratorIbN2at6native12_GLOBAL__N_19NonZeroOpIbEEPKblEEiEEEE10hipError_tPvRmT1_T2_T3_mT4_P12ihipStream_tbEUlT_E1_NS1_11comp_targetILNS1_3genE2ELNS1_11target_archE906ELNS1_3gpuE6ELNS1_3repE0EEENS1_30default_config_static_selectorELNS0_4arch9wavefront6targetE0EEEvSQ_,@function
_ZN7rocprim17ROCPRIM_400000_NS6detail17trampoline_kernelINS0_14default_configENS1_22reduce_config_selectorIiEEZNS1_11reduce_implILb1ES3_PiS7_iN6hipcub16HIPCUB_304000_NS6detail34convert_binary_result_type_wrapperINS9_3SumENS9_22TransformInputIteratorIbN2at6native12_GLOBAL__N_19NonZeroOpIbEEPKblEEiEEEE10hipError_tPvRmT1_T2_T3_mT4_P12ihipStream_tbEUlT_E1_NS1_11comp_targetILNS1_3genE2ELNS1_11target_archE906ELNS1_3gpuE6ELNS1_3repE0EEENS1_30default_config_static_selectorELNS0_4arch9wavefront6targetE0EEEvSQ_: ; @_ZN7rocprim17ROCPRIM_400000_NS6detail17trampoline_kernelINS0_14default_configENS1_22reduce_config_selectorIiEEZNS1_11reduce_implILb1ES3_PiS7_iN6hipcub16HIPCUB_304000_NS6detail34convert_binary_result_type_wrapperINS9_3SumENS9_22TransformInputIteratorIbN2at6native12_GLOBAL__N_19NonZeroOpIbEEPKblEEiEEEE10hipError_tPvRmT1_T2_T3_mT4_P12ihipStream_tbEUlT_E1_NS1_11comp_targetILNS1_3genE2ELNS1_11target_archE906ELNS1_3gpuE6ELNS1_3repE0EEENS1_30default_config_static_selectorELNS0_4arch9wavefront6targetE0EEEvSQ_
; %bb.0:
	.section	.rodata,"a",@progbits
	.p2align	6, 0x0
	.amdhsa_kernel _ZN7rocprim17ROCPRIM_400000_NS6detail17trampoline_kernelINS0_14default_configENS1_22reduce_config_selectorIiEEZNS1_11reduce_implILb1ES3_PiS7_iN6hipcub16HIPCUB_304000_NS6detail34convert_binary_result_type_wrapperINS9_3SumENS9_22TransformInputIteratorIbN2at6native12_GLOBAL__N_19NonZeroOpIbEEPKblEEiEEEE10hipError_tPvRmT1_T2_T3_mT4_P12ihipStream_tbEUlT_E1_NS1_11comp_targetILNS1_3genE2ELNS1_11target_archE906ELNS1_3gpuE6ELNS1_3repE0EEENS1_30default_config_static_selectorELNS0_4arch9wavefront6targetE0EEEvSQ_
		.amdhsa_group_segment_fixed_size 0
		.amdhsa_private_segment_fixed_size 0
		.amdhsa_kernarg_size 40
		.amdhsa_user_sgpr_count 15
		.amdhsa_user_sgpr_dispatch_ptr 0
		.amdhsa_user_sgpr_queue_ptr 0
		.amdhsa_user_sgpr_kernarg_segment_ptr 1
		.amdhsa_user_sgpr_dispatch_id 0
		.amdhsa_user_sgpr_private_segment_size 0
		.amdhsa_wavefront_size32 1
		.amdhsa_uses_dynamic_stack 0
		.amdhsa_enable_private_segment 0
		.amdhsa_system_sgpr_workgroup_id_x 1
		.amdhsa_system_sgpr_workgroup_id_y 0
		.amdhsa_system_sgpr_workgroup_id_z 0
		.amdhsa_system_sgpr_workgroup_info 0
		.amdhsa_system_vgpr_workitem_id 0
		.amdhsa_next_free_vgpr 1
		.amdhsa_next_free_sgpr 1
		.amdhsa_reserve_vcc 0
		.amdhsa_float_round_mode_32 0
		.amdhsa_float_round_mode_16_64 0
		.amdhsa_float_denorm_mode_32 3
		.amdhsa_float_denorm_mode_16_64 3
		.amdhsa_dx10_clamp 1
		.amdhsa_ieee_mode 1
		.amdhsa_fp16_overflow 0
		.amdhsa_workgroup_processor_mode 1
		.amdhsa_memory_ordered 1
		.amdhsa_forward_progress 0
		.amdhsa_shared_vgpr_count 0
		.amdhsa_exception_fp_ieee_invalid_op 0
		.amdhsa_exception_fp_denorm_src 0
		.amdhsa_exception_fp_ieee_div_zero 0
		.amdhsa_exception_fp_ieee_overflow 0
		.amdhsa_exception_fp_ieee_underflow 0
		.amdhsa_exception_fp_ieee_inexact 0
		.amdhsa_exception_int_div_zero 0
	.end_amdhsa_kernel
	.section	.text._ZN7rocprim17ROCPRIM_400000_NS6detail17trampoline_kernelINS0_14default_configENS1_22reduce_config_selectorIiEEZNS1_11reduce_implILb1ES3_PiS7_iN6hipcub16HIPCUB_304000_NS6detail34convert_binary_result_type_wrapperINS9_3SumENS9_22TransformInputIteratorIbN2at6native12_GLOBAL__N_19NonZeroOpIbEEPKblEEiEEEE10hipError_tPvRmT1_T2_T3_mT4_P12ihipStream_tbEUlT_E1_NS1_11comp_targetILNS1_3genE2ELNS1_11target_archE906ELNS1_3gpuE6ELNS1_3repE0EEENS1_30default_config_static_selectorELNS0_4arch9wavefront6targetE0EEEvSQ_,"axG",@progbits,_ZN7rocprim17ROCPRIM_400000_NS6detail17trampoline_kernelINS0_14default_configENS1_22reduce_config_selectorIiEEZNS1_11reduce_implILb1ES3_PiS7_iN6hipcub16HIPCUB_304000_NS6detail34convert_binary_result_type_wrapperINS9_3SumENS9_22TransformInputIteratorIbN2at6native12_GLOBAL__N_19NonZeroOpIbEEPKblEEiEEEE10hipError_tPvRmT1_T2_T3_mT4_P12ihipStream_tbEUlT_E1_NS1_11comp_targetILNS1_3genE2ELNS1_11target_archE906ELNS1_3gpuE6ELNS1_3repE0EEENS1_30default_config_static_selectorELNS0_4arch9wavefront6targetE0EEEvSQ_,comdat
.Lfunc_end707:
	.size	_ZN7rocprim17ROCPRIM_400000_NS6detail17trampoline_kernelINS0_14default_configENS1_22reduce_config_selectorIiEEZNS1_11reduce_implILb1ES3_PiS7_iN6hipcub16HIPCUB_304000_NS6detail34convert_binary_result_type_wrapperINS9_3SumENS9_22TransformInputIteratorIbN2at6native12_GLOBAL__N_19NonZeroOpIbEEPKblEEiEEEE10hipError_tPvRmT1_T2_T3_mT4_P12ihipStream_tbEUlT_E1_NS1_11comp_targetILNS1_3genE2ELNS1_11target_archE906ELNS1_3gpuE6ELNS1_3repE0EEENS1_30default_config_static_selectorELNS0_4arch9wavefront6targetE0EEEvSQ_, .Lfunc_end707-_ZN7rocprim17ROCPRIM_400000_NS6detail17trampoline_kernelINS0_14default_configENS1_22reduce_config_selectorIiEEZNS1_11reduce_implILb1ES3_PiS7_iN6hipcub16HIPCUB_304000_NS6detail34convert_binary_result_type_wrapperINS9_3SumENS9_22TransformInputIteratorIbN2at6native12_GLOBAL__N_19NonZeroOpIbEEPKblEEiEEEE10hipError_tPvRmT1_T2_T3_mT4_P12ihipStream_tbEUlT_E1_NS1_11comp_targetILNS1_3genE2ELNS1_11target_archE906ELNS1_3gpuE6ELNS1_3repE0EEENS1_30default_config_static_selectorELNS0_4arch9wavefront6targetE0EEEvSQ_
                                        ; -- End function
	.section	.AMDGPU.csdata,"",@progbits
; Kernel info:
; codeLenInByte = 0
; NumSgprs: 0
; NumVgprs: 0
; ScratchSize: 0
; MemoryBound: 0
; FloatMode: 240
; IeeeMode: 1
; LDSByteSize: 0 bytes/workgroup (compile time only)
; SGPRBlocks: 0
; VGPRBlocks: 0
; NumSGPRsForWavesPerEU: 1
; NumVGPRsForWavesPerEU: 1
; Occupancy: 16
; WaveLimiterHint : 0
; COMPUTE_PGM_RSRC2:SCRATCH_EN: 0
; COMPUTE_PGM_RSRC2:USER_SGPR: 15
; COMPUTE_PGM_RSRC2:TRAP_HANDLER: 0
; COMPUTE_PGM_RSRC2:TGID_X_EN: 1
; COMPUTE_PGM_RSRC2:TGID_Y_EN: 0
; COMPUTE_PGM_RSRC2:TGID_Z_EN: 0
; COMPUTE_PGM_RSRC2:TIDIG_COMP_CNT: 0
	.section	.text._ZN7rocprim17ROCPRIM_400000_NS6detail17trampoline_kernelINS0_14default_configENS1_22reduce_config_selectorIiEEZNS1_11reduce_implILb1ES3_PiS7_iN6hipcub16HIPCUB_304000_NS6detail34convert_binary_result_type_wrapperINS9_3SumENS9_22TransformInputIteratorIbN2at6native12_GLOBAL__N_19NonZeroOpIbEEPKblEEiEEEE10hipError_tPvRmT1_T2_T3_mT4_P12ihipStream_tbEUlT_E1_NS1_11comp_targetILNS1_3genE10ELNS1_11target_archE1201ELNS1_3gpuE5ELNS1_3repE0EEENS1_30default_config_static_selectorELNS0_4arch9wavefront6targetE0EEEvSQ_,"axG",@progbits,_ZN7rocprim17ROCPRIM_400000_NS6detail17trampoline_kernelINS0_14default_configENS1_22reduce_config_selectorIiEEZNS1_11reduce_implILb1ES3_PiS7_iN6hipcub16HIPCUB_304000_NS6detail34convert_binary_result_type_wrapperINS9_3SumENS9_22TransformInputIteratorIbN2at6native12_GLOBAL__N_19NonZeroOpIbEEPKblEEiEEEE10hipError_tPvRmT1_T2_T3_mT4_P12ihipStream_tbEUlT_E1_NS1_11comp_targetILNS1_3genE10ELNS1_11target_archE1201ELNS1_3gpuE5ELNS1_3repE0EEENS1_30default_config_static_selectorELNS0_4arch9wavefront6targetE0EEEvSQ_,comdat
	.globl	_ZN7rocprim17ROCPRIM_400000_NS6detail17trampoline_kernelINS0_14default_configENS1_22reduce_config_selectorIiEEZNS1_11reduce_implILb1ES3_PiS7_iN6hipcub16HIPCUB_304000_NS6detail34convert_binary_result_type_wrapperINS9_3SumENS9_22TransformInputIteratorIbN2at6native12_GLOBAL__N_19NonZeroOpIbEEPKblEEiEEEE10hipError_tPvRmT1_T2_T3_mT4_P12ihipStream_tbEUlT_E1_NS1_11comp_targetILNS1_3genE10ELNS1_11target_archE1201ELNS1_3gpuE5ELNS1_3repE0EEENS1_30default_config_static_selectorELNS0_4arch9wavefront6targetE0EEEvSQ_ ; -- Begin function _ZN7rocprim17ROCPRIM_400000_NS6detail17trampoline_kernelINS0_14default_configENS1_22reduce_config_selectorIiEEZNS1_11reduce_implILb1ES3_PiS7_iN6hipcub16HIPCUB_304000_NS6detail34convert_binary_result_type_wrapperINS9_3SumENS9_22TransformInputIteratorIbN2at6native12_GLOBAL__N_19NonZeroOpIbEEPKblEEiEEEE10hipError_tPvRmT1_T2_T3_mT4_P12ihipStream_tbEUlT_E1_NS1_11comp_targetILNS1_3genE10ELNS1_11target_archE1201ELNS1_3gpuE5ELNS1_3repE0EEENS1_30default_config_static_selectorELNS0_4arch9wavefront6targetE0EEEvSQ_
	.p2align	8
	.type	_ZN7rocprim17ROCPRIM_400000_NS6detail17trampoline_kernelINS0_14default_configENS1_22reduce_config_selectorIiEEZNS1_11reduce_implILb1ES3_PiS7_iN6hipcub16HIPCUB_304000_NS6detail34convert_binary_result_type_wrapperINS9_3SumENS9_22TransformInputIteratorIbN2at6native12_GLOBAL__N_19NonZeroOpIbEEPKblEEiEEEE10hipError_tPvRmT1_T2_T3_mT4_P12ihipStream_tbEUlT_E1_NS1_11comp_targetILNS1_3genE10ELNS1_11target_archE1201ELNS1_3gpuE5ELNS1_3repE0EEENS1_30default_config_static_selectorELNS0_4arch9wavefront6targetE0EEEvSQ_,@function
_ZN7rocprim17ROCPRIM_400000_NS6detail17trampoline_kernelINS0_14default_configENS1_22reduce_config_selectorIiEEZNS1_11reduce_implILb1ES3_PiS7_iN6hipcub16HIPCUB_304000_NS6detail34convert_binary_result_type_wrapperINS9_3SumENS9_22TransformInputIteratorIbN2at6native12_GLOBAL__N_19NonZeroOpIbEEPKblEEiEEEE10hipError_tPvRmT1_T2_T3_mT4_P12ihipStream_tbEUlT_E1_NS1_11comp_targetILNS1_3genE10ELNS1_11target_archE1201ELNS1_3gpuE5ELNS1_3repE0EEENS1_30default_config_static_selectorELNS0_4arch9wavefront6targetE0EEEvSQ_: ; @_ZN7rocprim17ROCPRIM_400000_NS6detail17trampoline_kernelINS0_14default_configENS1_22reduce_config_selectorIiEEZNS1_11reduce_implILb1ES3_PiS7_iN6hipcub16HIPCUB_304000_NS6detail34convert_binary_result_type_wrapperINS9_3SumENS9_22TransformInputIteratorIbN2at6native12_GLOBAL__N_19NonZeroOpIbEEPKblEEiEEEE10hipError_tPvRmT1_T2_T3_mT4_P12ihipStream_tbEUlT_E1_NS1_11comp_targetILNS1_3genE10ELNS1_11target_archE1201ELNS1_3gpuE5ELNS1_3repE0EEENS1_30default_config_static_selectorELNS0_4arch9wavefront6targetE0EEEvSQ_
; %bb.0:
	.section	.rodata,"a",@progbits
	.p2align	6, 0x0
	.amdhsa_kernel _ZN7rocprim17ROCPRIM_400000_NS6detail17trampoline_kernelINS0_14default_configENS1_22reduce_config_selectorIiEEZNS1_11reduce_implILb1ES3_PiS7_iN6hipcub16HIPCUB_304000_NS6detail34convert_binary_result_type_wrapperINS9_3SumENS9_22TransformInputIteratorIbN2at6native12_GLOBAL__N_19NonZeroOpIbEEPKblEEiEEEE10hipError_tPvRmT1_T2_T3_mT4_P12ihipStream_tbEUlT_E1_NS1_11comp_targetILNS1_3genE10ELNS1_11target_archE1201ELNS1_3gpuE5ELNS1_3repE0EEENS1_30default_config_static_selectorELNS0_4arch9wavefront6targetE0EEEvSQ_
		.amdhsa_group_segment_fixed_size 0
		.amdhsa_private_segment_fixed_size 0
		.amdhsa_kernarg_size 40
		.amdhsa_user_sgpr_count 15
		.amdhsa_user_sgpr_dispatch_ptr 0
		.amdhsa_user_sgpr_queue_ptr 0
		.amdhsa_user_sgpr_kernarg_segment_ptr 1
		.amdhsa_user_sgpr_dispatch_id 0
		.amdhsa_user_sgpr_private_segment_size 0
		.amdhsa_wavefront_size32 1
		.amdhsa_uses_dynamic_stack 0
		.amdhsa_enable_private_segment 0
		.amdhsa_system_sgpr_workgroup_id_x 1
		.amdhsa_system_sgpr_workgroup_id_y 0
		.amdhsa_system_sgpr_workgroup_id_z 0
		.amdhsa_system_sgpr_workgroup_info 0
		.amdhsa_system_vgpr_workitem_id 0
		.amdhsa_next_free_vgpr 1
		.amdhsa_next_free_sgpr 1
		.amdhsa_reserve_vcc 0
		.amdhsa_float_round_mode_32 0
		.amdhsa_float_round_mode_16_64 0
		.amdhsa_float_denorm_mode_32 3
		.amdhsa_float_denorm_mode_16_64 3
		.amdhsa_dx10_clamp 1
		.amdhsa_ieee_mode 1
		.amdhsa_fp16_overflow 0
		.amdhsa_workgroup_processor_mode 1
		.amdhsa_memory_ordered 1
		.amdhsa_forward_progress 0
		.amdhsa_shared_vgpr_count 0
		.amdhsa_exception_fp_ieee_invalid_op 0
		.amdhsa_exception_fp_denorm_src 0
		.amdhsa_exception_fp_ieee_div_zero 0
		.amdhsa_exception_fp_ieee_overflow 0
		.amdhsa_exception_fp_ieee_underflow 0
		.amdhsa_exception_fp_ieee_inexact 0
		.amdhsa_exception_int_div_zero 0
	.end_amdhsa_kernel
	.section	.text._ZN7rocprim17ROCPRIM_400000_NS6detail17trampoline_kernelINS0_14default_configENS1_22reduce_config_selectorIiEEZNS1_11reduce_implILb1ES3_PiS7_iN6hipcub16HIPCUB_304000_NS6detail34convert_binary_result_type_wrapperINS9_3SumENS9_22TransformInputIteratorIbN2at6native12_GLOBAL__N_19NonZeroOpIbEEPKblEEiEEEE10hipError_tPvRmT1_T2_T3_mT4_P12ihipStream_tbEUlT_E1_NS1_11comp_targetILNS1_3genE10ELNS1_11target_archE1201ELNS1_3gpuE5ELNS1_3repE0EEENS1_30default_config_static_selectorELNS0_4arch9wavefront6targetE0EEEvSQ_,"axG",@progbits,_ZN7rocprim17ROCPRIM_400000_NS6detail17trampoline_kernelINS0_14default_configENS1_22reduce_config_selectorIiEEZNS1_11reduce_implILb1ES3_PiS7_iN6hipcub16HIPCUB_304000_NS6detail34convert_binary_result_type_wrapperINS9_3SumENS9_22TransformInputIteratorIbN2at6native12_GLOBAL__N_19NonZeroOpIbEEPKblEEiEEEE10hipError_tPvRmT1_T2_T3_mT4_P12ihipStream_tbEUlT_E1_NS1_11comp_targetILNS1_3genE10ELNS1_11target_archE1201ELNS1_3gpuE5ELNS1_3repE0EEENS1_30default_config_static_selectorELNS0_4arch9wavefront6targetE0EEEvSQ_,comdat
.Lfunc_end708:
	.size	_ZN7rocprim17ROCPRIM_400000_NS6detail17trampoline_kernelINS0_14default_configENS1_22reduce_config_selectorIiEEZNS1_11reduce_implILb1ES3_PiS7_iN6hipcub16HIPCUB_304000_NS6detail34convert_binary_result_type_wrapperINS9_3SumENS9_22TransformInputIteratorIbN2at6native12_GLOBAL__N_19NonZeroOpIbEEPKblEEiEEEE10hipError_tPvRmT1_T2_T3_mT4_P12ihipStream_tbEUlT_E1_NS1_11comp_targetILNS1_3genE10ELNS1_11target_archE1201ELNS1_3gpuE5ELNS1_3repE0EEENS1_30default_config_static_selectorELNS0_4arch9wavefront6targetE0EEEvSQ_, .Lfunc_end708-_ZN7rocprim17ROCPRIM_400000_NS6detail17trampoline_kernelINS0_14default_configENS1_22reduce_config_selectorIiEEZNS1_11reduce_implILb1ES3_PiS7_iN6hipcub16HIPCUB_304000_NS6detail34convert_binary_result_type_wrapperINS9_3SumENS9_22TransformInputIteratorIbN2at6native12_GLOBAL__N_19NonZeroOpIbEEPKblEEiEEEE10hipError_tPvRmT1_T2_T3_mT4_P12ihipStream_tbEUlT_E1_NS1_11comp_targetILNS1_3genE10ELNS1_11target_archE1201ELNS1_3gpuE5ELNS1_3repE0EEENS1_30default_config_static_selectorELNS0_4arch9wavefront6targetE0EEEvSQ_
                                        ; -- End function
	.section	.AMDGPU.csdata,"",@progbits
; Kernel info:
; codeLenInByte = 0
; NumSgprs: 0
; NumVgprs: 0
; ScratchSize: 0
; MemoryBound: 0
; FloatMode: 240
; IeeeMode: 1
; LDSByteSize: 0 bytes/workgroup (compile time only)
; SGPRBlocks: 0
; VGPRBlocks: 0
; NumSGPRsForWavesPerEU: 1
; NumVGPRsForWavesPerEU: 1
; Occupancy: 16
; WaveLimiterHint : 0
; COMPUTE_PGM_RSRC2:SCRATCH_EN: 0
; COMPUTE_PGM_RSRC2:USER_SGPR: 15
; COMPUTE_PGM_RSRC2:TRAP_HANDLER: 0
; COMPUTE_PGM_RSRC2:TGID_X_EN: 1
; COMPUTE_PGM_RSRC2:TGID_Y_EN: 0
; COMPUTE_PGM_RSRC2:TGID_Z_EN: 0
; COMPUTE_PGM_RSRC2:TIDIG_COMP_CNT: 0
	.section	.text._ZN7rocprim17ROCPRIM_400000_NS6detail17trampoline_kernelINS0_14default_configENS1_22reduce_config_selectorIiEEZNS1_11reduce_implILb1ES3_PiS7_iN6hipcub16HIPCUB_304000_NS6detail34convert_binary_result_type_wrapperINS9_3SumENS9_22TransformInputIteratorIbN2at6native12_GLOBAL__N_19NonZeroOpIbEEPKblEEiEEEE10hipError_tPvRmT1_T2_T3_mT4_P12ihipStream_tbEUlT_E1_NS1_11comp_targetILNS1_3genE10ELNS1_11target_archE1200ELNS1_3gpuE4ELNS1_3repE0EEENS1_30default_config_static_selectorELNS0_4arch9wavefront6targetE0EEEvSQ_,"axG",@progbits,_ZN7rocprim17ROCPRIM_400000_NS6detail17trampoline_kernelINS0_14default_configENS1_22reduce_config_selectorIiEEZNS1_11reduce_implILb1ES3_PiS7_iN6hipcub16HIPCUB_304000_NS6detail34convert_binary_result_type_wrapperINS9_3SumENS9_22TransformInputIteratorIbN2at6native12_GLOBAL__N_19NonZeroOpIbEEPKblEEiEEEE10hipError_tPvRmT1_T2_T3_mT4_P12ihipStream_tbEUlT_E1_NS1_11comp_targetILNS1_3genE10ELNS1_11target_archE1200ELNS1_3gpuE4ELNS1_3repE0EEENS1_30default_config_static_selectorELNS0_4arch9wavefront6targetE0EEEvSQ_,comdat
	.globl	_ZN7rocprim17ROCPRIM_400000_NS6detail17trampoline_kernelINS0_14default_configENS1_22reduce_config_selectorIiEEZNS1_11reduce_implILb1ES3_PiS7_iN6hipcub16HIPCUB_304000_NS6detail34convert_binary_result_type_wrapperINS9_3SumENS9_22TransformInputIteratorIbN2at6native12_GLOBAL__N_19NonZeroOpIbEEPKblEEiEEEE10hipError_tPvRmT1_T2_T3_mT4_P12ihipStream_tbEUlT_E1_NS1_11comp_targetILNS1_3genE10ELNS1_11target_archE1200ELNS1_3gpuE4ELNS1_3repE0EEENS1_30default_config_static_selectorELNS0_4arch9wavefront6targetE0EEEvSQ_ ; -- Begin function _ZN7rocprim17ROCPRIM_400000_NS6detail17trampoline_kernelINS0_14default_configENS1_22reduce_config_selectorIiEEZNS1_11reduce_implILb1ES3_PiS7_iN6hipcub16HIPCUB_304000_NS6detail34convert_binary_result_type_wrapperINS9_3SumENS9_22TransformInputIteratorIbN2at6native12_GLOBAL__N_19NonZeroOpIbEEPKblEEiEEEE10hipError_tPvRmT1_T2_T3_mT4_P12ihipStream_tbEUlT_E1_NS1_11comp_targetILNS1_3genE10ELNS1_11target_archE1200ELNS1_3gpuE4ELNS1_3repE0EEENS1_30default_config_static_selectorELNS0_4arch9wavefront6targetE0EEEvSQ_
	.p2align	8
	.type	_ZN7rocprim17ROCPRIM_400000_NS6detail17trampoline_kernelINS0_14default_configENS1_22reduce_config_selectorIiEEZNS1_11reduce_implILb1ES3_PiS7_iN6hipcub16HIPCUB_304000_NS6detail34convert_binary_result_type_wrapperINS9_3SumENS9_22TransformInputIteratorIbN2at6native12_GLOBAL__N_19NonZeroOpIbEEPKblEEiEEEE10hipError_tPvRmT1_T2_T3_mT4_P12ihipStream_tbEUlT_E1_NS1_11comp_targetILNS1_3genE10ELNS1_11target_archE1200ELNS1_3gpuE4ELNS1_3repE0EEENS1_30default_config_static_selectorELNS0_4arch9wavefront6targetE0EEEvSQ_,@function
_ZN7rocprim17ROCPRIM_400000_NS6detail17trampoline_kernelINS0_14default_configENS1_22reduce_config_selectorIiEEZNS1_11reduce_implILb1ES3_PiS7_iN6hipcub16HIPCUB_304000_NS6detail34convert_binary_result_type_wrapperINS9_3SumENS9_22TransformInputIteratorIbN2at6native12_GLOBAL__N_19NonZeroOpIbEEPKblEEiEEEE10hipError_tPvRmT1_T2_T3_mT4_P12ihipStream_tbEUlT_E1_NS1_11comp_targetILNS1_3genE10ELNS1_11target_archE1200ELNS1_3gpuE4ELNS1_3repE0EEENS1_30default_config_static_selectorELNS0_4arch9wavefront6targetE0EEEvSQ_: ; @_ZN7rocprim17ROCPRIM_400000_NS6detail17trampoline_kernelINS0_14default_configENS1_22reduce_config_selectorIiEEZNS1_11reduce_implILb1ES3_PiS7_iN6hipcub16HIPCUB_304000_NS6detail34convert_binary_result_type_wrapperINS9_3SumENS9_22TransformInputIteratorIbN2at6native12_GLOBAL__N_19NonZeroOpIbEEPKblEEiEEEE10hipError_tPvRmT1_T2_T3_mT4_P12ihipStream_tbEUlT_E1_NS1_11comp_targetILNS1_3genE10ELNS1_11target_archE1200ELNS1_3gpuE4ELNS1_3repE0EEENS1_30default_config_static_selectorELNS0_4arch9wavefront6targetE0EEEvSQ_
; %bb.0:
	.section	.rodata,"a",@progbits
	.p2align	6, 0x0
	.amdhsa_kernel _ZN7rocprim17ROCPRIM_400000_NS6detail17trampoline_kernelINS0_14default_configENS1_22reduce_config_selectorIiEEZNS1_11reduce_implILb1ES3_PiS7_iN6hipcub16HIPCUB_304000_NS6detail34convert_binary_result_type_wrapperINS9_3SumENS9_22TransformInputIteratorIbN2at6native12_GLOBAL__N_19NonZeroOpIbEEPKblEEiEEEE10hipError_tPvRmT1_T2_T3_mT4_P12ihipStream_tbEUlT_E1_NS1_11comp_targetILNS1_3genE10ELNS1_11target_archE1200ELNS1_3gpuE4ELNS1_3repE0EEENS1_30default_config_static_selectorELNS0_4arch9wavefront6targetE0EEEvSQ_
		.amdhsa_group_segment_fixed_size 0
		.amdhsa_private_segment_fixed_size 0
		.amdhsa_kernarg_size 40
		.amdhsa_user_sgpr_count 15
		.amdhsa_user_sgpr_dispatch_ptr 0
		.amdhsa_user_sgpr_queue_ptr 0
		.amdhsa_user_sgpr_kernarg_segment_ptr 1
		.amdhsa_user_sgpr_dispatch_id 0
		.amdhsa_user_sgpr_private_segment_size 0
		.amdhsa_wavefront_size32 1
		.amdhsa_uses_dynamic_stack 0
		.amdhsa_enable_private_segment 0
		.amdhsa_system_sgpr_workgroup_id_x 1
		.amdhsa_system_sgpr_workgroup_id_y 0
		.amdhsa_system_sgpr_workgroup_id_z 0
		.amdhsa_system_sgpr_workgroup_info 0
		.amdhsa_system_vgpr_workitem_id 0
		.amdhsa_next_free_vgpr 1
		.amdhsa_next_free_sgpr 1
		.amdhsa_reserve_vcc 0
		.amdhsa_float_round_mode_32 0
		.amdhsa_float_round_mode_16_64 0
		.amdhsa_float_denorm_mode_32 3
		.amdhsa_float_denorm_mode_16_64 3
		.amdhsa_dx10_clamp 1
		.amdhsa_ieee_mode 1
		.amdhsa_fp16_overflow 0
		.amdhsa_workgroup_processor_mode 1
		.amdhsa_memory_ordered 1
		.amdhsa_forward_progress 0
		.amdhsa_shared_vgpr_count 0
		.amdhsa_exception_fp_ieee_invalid_op 0
		.amdhsa_exception_fp_denorm_src 0
		.amdhsa_exception_fp_ieee_div_zero 0
		.amdhsa_exception_fp_ieee_overflow 0
		.amdhsa_exception_fp_ieee_underflow 0
		.amdhsa_exception_fp_ieee_inexact 0
		.amdhsa_exception_int_div_zero 0
	.end_amdhsa_kernel
	.section	.text._ZN7rocprim17ROCPRIM_400000_NS6detail17trampoline_kernelINS0_14default_configENS1_22reduce_config_selectorIiEEZNS1_11reduce_implILb1ES3_PiS7_iN6hipcub16HIPCUB_304000_NS6detail34convert_binary_result_type_wrapperINS9_3SumENS9_22TransformInputIteratorIbN2at6native12_GLOBAL__N_19NonZeroOpIbEEPKblEEiEEEE10hipError_tPvRmT1_T2_T3_mT4_P12ihipStream_tbEUlT_E1_NS1_11comp_targetILNS1_3genE10ELNS1_11target_archE1200ELNS1_3gpuE4ELNS1_3repE0EEENS1_30default_config_static_selectorELNS0_4arch9wavefront6targetE0EEEvSQ_,"axG",@progbits,_ZN7rocprim17ROCPRIM_400000_NS6detail17trampoline_kernelINS0_14default_configENS1_22reduce_config_selectorIiEEZNS1_11reduce_implILb1ES3_PiS7_iN6hipcub16HIPCUB_304000_NS6detail34convert_binary_result_type_wrapperINS9_3SumENS9_22TransformInputIteratorIbN2at6native12_GLOBAL__N_19NonZeroOpIbEEPKblEEiEEEE10hipError_tPvRmT1_T2_T3_mT4_P12ihipStream_tbEUlT_E1_NS1_11comp_targetILNS1_3genE10ELNS1_11target_archE1200ELNS1_3gpuE4ELNS1_3repE0EEENS1_30default_config_static_selectorELNS0_4arch9wavefront6targetE0EEEvSQ_,comdat
.Lfunc_end709:
	.size	_ZN7rocprim17ROCPRIM_400000_NS6detail17trampoline_kernelINS0_14default_configENS1_22reduce_config_selectorIiEEZNS1_11reduce_implILb1ES3_PiS7_iN6hipcub16HIPCUB_304000_NS6detail34convert_binary_result_type_wrapperINS9_3SumENS9_22TransformInputIteratorIbN2at6native12_GLOBAL__N_19NonZeroOpIbEEPKblEEiEEEE10hipError_tPvRmT1_T2_T3_mT4_P12ihipStream_tbEUlT_E1_NS1_11comp_targetILNS1_3genE10ELNS1_11target_archE1200ELNS1_3gpuE4ELNS1_3repE0EEENS1_30default_config_static_selectorELNS0_4arch9wavefront6targetE0EEEvSQ_, .Lfunc_end709-_ZN7rocprim17ROCPRIM_400000_NS6detail17trampoline_kernelINS0_14default_configENS1_22reduce_config_selectorIiEEZNS1_11reduce_implILb1ES3_PiS7_iN6hipcub16HIPCUB_304000_NS6detail34convert_binary_result_type_wrapperINS9_3SumENS9_22TransformInputIteratorIbN2at6native12_GLOBAL__N_19NonZeroOpIbEEPKblEEiEEEE10hipError_tPvRmT1_T2_T3_mT4_P12ihipStream_tbEUlT_E1_NS1_11comp_targetILNS1_3genE10ELNS1_11target_archE1200ELNS1_3gpuE4ELNS1_3repE0EEENS1_30default_config_static_selectorELNS0_4arch9wavefront6targetE0EEEvSQ_
                                        ; -- End function
	.section	.AMDGPU.csdata,"",@progbits
; Kernel info:
; codeLenInByte = 0
; NumSgprs: 0
; NumVgprs: 0
; ScratchSize: 0
; MemoryBound: 0
; FloatMode: 240
; IeeeMode: 1
; LDSByteSize: 0 bytes/workgroup (compile time only)
; SGPRBlocks: 0
; VGPRBlocks: 0
; NumSGPRsForWavesPerEU: 1
; NumVGPRsForWavesPerEU: 1
; Occupancy: 16
; WaveLimiterHint : 0
; COMPUTE_PGM_RSRC2:SCRATCH_EN: 0
; COMPUTE_PGM_RSRC2:USER_SGPR: 15
; COMPUTE_PGM_RSRC2:TRAP_HANDLER: 0
; COMPUTE_PGM_RSRC2:TGID_X_EN: 1
; COMPUTE_PGM_RSRC2:TGID_Y_EN: 0
; COMPUTE_PGM_RSRC2:TGID_Z_EN: 0
; COMPUTE_PGM_RSRC2:TIDIG_COMP_CNT: 0
	.section	.text._ZN7rocprim17ROCPRIM_400000_NS6detail17trampoline_kernelINS0_14default_configENS1_22reduce_config_selectorIiEEZNS1_11reduce_implILb1ES3_PiS7_iN6hipcub16HIPCUB_304000_NS6detail34convert_binary_result_type_wrapperINS9_3SumENS9_22TransformInputIteratorIbN2at6native12_GLOBAL__N_19NonZeroOpIbEEPKblEEiEEEE10hipError_tPvRmT1_T2_T3_mT4_P12ihipStream_tbEUlT_E1_NS1_11comp_targetILNS1_3genE9ELNS1_11target_archE1100ELNS1_3gpuE3ELNS1_3repE0EEENS1_30default_config_static_selectorELNS0_4arch9wavefront6targetE0EEEvSQ_,"axG",@progbits,_ZN7rocprim17ROCPRIM_400000_NS6detail17trampoline_kernelINS0_14default_configENS1_22reduce_config_selectorIiEEZNS1_11reduce_implILb1ES3_PiS7_iN6hipcub16HIPCUB_304000_NS6detail34convert_binary_result_type_wrapperINS9_3SumENS9_22TransformInputIteratorIbN2at6native12_GLOBAL__N_19NonZeroOpIbEEPKblEEiEEEE10hipError_tPvRmT1_T2_T3_mT4_P12ihipStream_tbEUlT_E1_NS1_11comp_targetILNS1_3genE9ELNS1_11target_archE1100ELNS1_3gpuE3ELNS1_3repE0EEENS1_30default_config_static_selectorELNS0_4arch9wavefront6targetE0EEEvSQ_,comdat
	.globl	_ZN7rocprim17ROCPRIM_400000_NS6detail17trampoline_kernelINS0_14default_configENS1_22reduce_config_selectorIiEEZNS1_11reduce_implILb1ES3_PiS7_iN6hipcub16HIPCUB_304000_NS6detail34convert_binary_result_type_wrapperINS9_3SumENS9_22TransformInputIteratorIbN2at6native12_GLOBAL__N_19NonZeroOpIbEEPKblEEiEEEE10hipError_tPvRmT1_T2_T3_mT4_P12ihipStream_tbEUlT_E1_NS1_11comp_targetILNS1_3genE9ELNS1_11target_archE1100ELNS1_3gpuE3ELNS1_3repE0EEENS1_30default_config_static_selectorELNS0_4arch9wavefront6targetE0EEEvSQ_ ; -- Begin function _ZN7rocprim17ROCPRIM_400000_NS6detail17trampoline_kernelINS0_14default_configENS1_22reduce_config_selectorIiEEZNS1_11reduce_implILb1ES3_PiS7_iN6hipcub16HIPCUB_304000_NS6detail34convert_binary_result_type_wrapperINS9_3SumENS9_22TransformInputIteratorIbN2at6native12_GLOBAL__N_19NonZeroOpIbEEPKblEEiEEEE10hipError_tPvRmT1_T2_T3_mT4_P12ihipStream_tbEUlT_E1_NS1_11comp_targetILNS1_3genE9ELNS1_11target_archE1100ELNS1_3gpuE3ELNS1_3repE0EEENS1_30default_config_static_selectorELNS0_4arch9wavefront6targetE0EEEvSQ_
	.p2align	8
	.type	_ZN7rocprim17ROCPRIM_400000_NS6detail17trampoline_kernelINS0_14default_configENS1_22reduce_config_selectorIiEEZNS1_11reduce_implILb1ES3_PiS7_iN6hipcub16HIPCUB_304000_NS6detail34convert_binary_result_type_wrapperINS9_3SumENS9_22TransformInputIteratorIbN2at6native12_GLOBAL__N_19NonZeroOpIbEEPKblEEiEEEE10hipError_tPvRmT1_T2_T3_mT4_P12ihipStream_tbEUlT_E1_NS1_11comp_targetILNS1_3genE9ELNS1_11target_archE1100ELNS1_3gpuE3ELNS1_3repE0EEENS1_30default_config_static_selectorELNS0_4arch9wavefront6targetE0EEEvSQ_,@function
_ZN7rocprim17ROCPRIM_400000_NS6detail17trampoline_kernelINS0_14default_configENS1_22reduce_config_selectorIiEEZNS1_11reduce_implILb1ES3_PiS7_iN6hipcub16HIPCUB_304000_NS6detail34convert_binary_result_type_wrapperINS9_3SumENS9_22TransformInputIteratorIbN2at6native12_GLOBAL__N_19NonZeroOpIbEEPKblEEiEEEE10hipError_tPvRmT1_T2_T3_mT4_P12ihipStream_tbEUlT_E1_NS1_11comp_targetILNS1_3genE9ELNS1_11target_archE1100ELNS1_3gpuE3ELNS1_3repE0EEENS1_30default_config_static_selectorELNS0_4arch9wavefront6targetE0EEEvSQ_: ; @_ZN7rocprim17ROCPRIM_400000_NS6detail17trampoline_kernelINS0_14default_configENS1_22reduce_config_selectorIiEEZNS1_11reduce_implILb1ES3_PiS7_iN6hipcub16HIPCUB_304000_NS6detail34convert_binary_result_type_wrapperINS9_3SumENS9_22TransformInputIteratorIbN2at6native12_GLOBAL__N_19NonZeroOpIbEEPKblEEiEEEE10hipError_tPvRmT1_T2_T3_mT4_P12ihipStream_tbEUlT_E1_NS1_11comp_targetILNS1_3genE9ELNS1_11target_archE1100ELNS1_3gpuE3ELNS1_3repE0EEENS1_30default_config_static_selectorELNS0_4arch9wavefront6targetE0EEEvSQ_
; %bb.0:
	s_clause 0x1
	s_load_b32 s24, s[0:1], 0x4
	s_load_b128 s[16:19], s[0:1], 0x8
	s_mov_b32 s20, s15
	s_waitcnt lgkmcnt(0)
	s_cmp_lt_i32 s24, 8
	s_cbranch_scc1 .LBB710_11
; %bb.1:
	s_cmp_gt_i32 s24, 15
	s_cbranch_scc0 .LBB710_12
; %bb.2:
	s_cmp_gt_i32 s24, 31
	s_cbranch_scc0 .LBB710_13
; %bb.3:
	s_cmp_eq_u32 s24, 32
	s_mov_b32 s6, 0
	s_cbranch_scc0 .LBB710_14
; %bb.4:
	s_mov_b32 s21, 0
	s_lshl_b32 s4, s20, 13
	s_mov_b32 s5, s21
	s_lshr_b64 s[8:9], s[18:19], 13
	s_lshl_b64 s[2:3], s[4:5], 2
	s_delay_alu instid0(SALU_CYCLE_1)
	s_add_u32 s2, s16, s2
	s_addc_u32 s3, s17, s3
	s_cmp_lg_u64 s[8:9], s[20:21]
	s_cbranch_scc0 .LBB710_23
; %bb.5:
	v_lshlrev_b32_e32 v5, 2, v0
	s_clause 0x1
	global_load_b32 v9, v5, s[2:3]
	global_load_b32 v10, v5, s[2:3] offset:1024
	v_add_co_u32 v7, s5, s2, v5
	s_delay_alu instid0(VALU_DEP_1) | instskip(SKIP_1) | instid1(VALU_DEP_2)
	v_add_co_ci_u32_e64 v8, null, s3, 0, s5
	s_mov_b32 s5, exec_lo
	v_add_co_u32 v1, vcc_lo, 0x1000, v7
	s_delay_alu instid0(VALU_DEP_2)
	v_add_co_ci_u32_e32 v2, vcc_lo, 0, v8, vcc_lo
	s_clause 0x2
	global_load_b32 v11, v5, s[2:3] offset:2048
	global_load_b32 v12, v5, s[2:3] offset:3072
	global_load_b32 v13, v[1:2], off offset:1024
	v_add_co_u32 v3, vcc_lo, v7, 0x2000
	v_add_co_ci_u32_e32 v4, vcc_lo, 0, v8, vcc_lo
	v_add_co_u32 v5, vcc_lo, 0x2000, v7
	v_add_co_ci_u32_e32 v6, vcc_lo, 0, v8, vcc_lo
	s_clause 0x4
	global_load_b32 v14, v[3:4], off offset:-4096
	global_load_b32 v15, v[3:4], off
	global_load_b32 v16, v[1:2], off offset:2048
	global_load_b32 v17, v[1:2], off offset:3072
	;; [unrolled: 1-line block ×3, first 2 shown]
	v_add_co_u32 v1, vcc_lo, 0x3000, v7
	v_add_co_ci_u32_e32 v2, vcc_lo, 0, v8, vcc_lo
	s_clause 0x2
	global_load_b32 v19, v[5:6], off offset:2048
	global_load_b32 v20, v[5:6], off offset:3072
	;; [unrolled: 1-line block ×3, first 2 shown]
	v_add_co_u32 v3, vcc_lo, v7, 0x4000
	v_add_co_ci_u32_e32 v4, vcc_lo, 0, v8, vcc_lo
	v_add_co_u32 v5, vcc_lo, 0x4000, v7
	v_add_co_ci_u32_e32 v6, vcc_lo, 0, v8, vcc_lo
	s_clause 0x4
	global_load_b32 v22, v[3:4], off offset:-4096
	global_load_b32 v23, v[3:4], off
	global_load_b32 v24, v[1:2], off offset:2048
	global_load_b32 v25, v[1:2], off offset:3072
	;; [unrolled: 1-line block ×3, first 2 shown]
	v_add_co_u32 v1, vcc_lo, 0x5000, v7
	v_add_co_ci_u32_e32 v2, vcc_lo, 0, v8, vcc_lo
	v_add_co_u32 v3, vcc_lo, v7, 0x6000
	v_add_co_ci_u32_e32 v4, vcc_lo, 0, v8, vcc_lo
	s_clause 0x3
	global_load_b32 v27, v[5:6], off offset:2048
	global_load_b32 v28, v[5:6], off offset:3072
	global_load_b32 v29, v[3:4], off offset:-4096
	global_load_b32 v30, v[1:2], off offset:1024
	v_add_co_u32 v5, vcc_lo, 0x6000, v7
	v_add_co_ci_u32_e32 v6, vcc_lo, 0, v8, vcc_lo
	s_clause 0x3
	global_load_b32 v31, v[1:2], off offset:2048
	global_load_b32 v32, v[1:2], off offset:3072
	global_load_b32 v3, v[3:4], off
	global_load_b32 v4, v[5:6], off offset:1024
	v_add_co_u32 v1, vcc_lo, 0x7000, v7
	v_add_co_ci_u32_e32 v2, vcc_lo, 0, v8, vcc_lo
	s_clause 0x5
	global_load_b32 v7, v[5:6], off offset:2048
	global_load_b32 v5, v[5:6], off offset:3072
	global_load_b32 v6, v[1:2], off
	global_load_b32 v8, v[1:2], off offset:1024
	global_load_b32 v33, v[1:2], off offset:2048
	;; [unrolled: 1-line block ×3, first 2 shown]
	s_waitcnt vmcnt(30)
	v_add_nc_u32_e32 v2, v10, v9
	s_waitcnt vmcnt(28)
	s_delay_alu instid0(VALU_DEP_1) | instskip(SKIP_1) | instid1(VALU_DEP_1)
	v_add3_u32 v2, v2, v11, v12
	s_waitcnt vmcnt(26)
	v_add3_u32 v2, v2, v14, v13
	s_waitcnt vmcnt(23)
	s_delay_alu instid0(VALU_DEP_1) | instskip(SKIP_1) | instid1(VALU_DEP_1)
	v_add3_u32 v2, v2, v16, v17
	s_waitcnt vmcnt(22)
	v_add3_u32 v2, v2, v15, v18
	;; [unrolled: 5-line block ×6, first 2 shown]
	v_mov_b32_e32 v3, 0
	s_waitcnt vmcnt(4)
	s_delay_alu instid0(VALU_DEP_2) | instskip(SKIP_1) | instid1(VALU_DEP_1)
	v_add3_u32 v2, v2, v7, v5
	s_waitcnt vmcnt(2)
	v_add3_u32 v2, v2, v6, v8
	s_waitcnt vmcnt(0)
	s_delay_alu instid0(VALU_DEP_1) | instskip(NEXT) | instid1(VALU_DEP_1)
	v_add3_u32 v1, v2, v33, v1
	v_mov_b32_dpp v2, v1 quad_perm:[1,0,3,2] row_mask:0xf bank_mask:0xf
	s_delay_alu instid0(VALU_DEP_1) | instskip(NEXT) | instid1(VALU_DEP_1)
	v_add_nc_u32_e32 v1, v2, v1
	v_mov_b32_dpp v2, v1 quad_perm:[2,3,0,1] row_mask:0xf bank_mask:0xf
	s_delay_alu instid0(VALU_DEP_1) | instskip(NEXT) | instid1(VALU_DEP_1)
	v_add_nc_u32_e32 v1, v1, v2
	v_mov_b32_dpp v2, v1 row_ror:4 row_mask:0xf bank_mask:0xf
	s_delay_alu instid0(VALU_DEP_1) | instskip(NEXT) | instid1(VALU_DEP_1)
	v_add_nc_u32_e32 v1, v1, v2
	v_mov_b32_dpp v2, v1 row_ror:8 row_mask:0xf bank_mask:0xf
	s_delay_alu instid0(VALU_DEP_1)
	v_add_nc_u32_e32 v1, v1, v2
	ds_swizzle_b32 v2, v1 offset:swizzle(BROADCAST,32,15)
	s_waitcnt lgkmcnt(0)
	v_add_nc_u32_e32 v1, v1, v2
	v_mbcnt_lo_u32_b32 v2, -1, 0
	ds_bpermute_b32 v1, v3, v1 offset:124
	v_cmpx_eq_u32_e32 0, v2
	s_cbranch_execz .LBB710_7
; %bb.6:
	v_lshrrev_b32_e32 v3, 3, v0
	s_delay_alu instid0(VALU_DEP_1)
	v_and_b32_e32 v3, 28, v3
	s_waitcnt lgkmcnt(0)
	ds_store_b32 v3, v1 offset:96
.LBB710_7:
	s_or_b32 exec_lo, exec_lo, s5
	s_delay_alu instid0(SALU_CYCLE_1)
	s_mov_b32 s5, exec_lo
	s_waitcnt lgkmcnt(0)
	s_barrier
	buffer_gl0_inv
	v_cmpx_gt_u32_e32 32, v0
	s_cbranch_execz .LBB710_9
; %bb.8:
	v_lshl_or_b32 v1, v2, 2, 0x60
	v_and_b32_e32 v3, 7, v2
	ds_load_b32 v1, v1
	v_cmp_ne_u32_e32 vcc_lo, 7, v3
	v_add_co_ci_u32_e32 v4, vcc_lo, 0, v2, vcc_lo
	v_cmp_gt_u32_e32 vcc_lo, 6, v3
	s_delay_alu instid0(VALU_DEP_2) | instskip(SKIP_2) | instid1(VALU_DEP_2)
	v_lshlrev_b32_e32 v4, 2, v4
	v_cndmask_b32_e64 v5, 0, 1, vcc_lo
	v_cmp_gt_u32_e32 vcc_lo, 4, v3
	v_lshlrev_b32_e32 v5, 1, v5
	v_cndmask_b32_e64 v3, 0, 1, vcc_lo
	s_waitcnt lgkmcnt(0)
	ds_bpermute_b32 v4, v4, v1
	v_add_lshl_u32 v5, v5, v2, 2
	v_lshlrev_b32_e32 v3, 2, v3
	s_delay_alu instid0(VALU_DEP_1)
	v_add_lshl_u32 v2, v3, v2, 2
	s_waitcnt lgkmcnt(0)
	v_add_nc_u32_e32 v1, v4, v1
	ds_bpermute_b32 v4, v5, v1
	s_waitcnt lgkmcnt(0)
	v_add_nc_u32_e32 v1, v4, v1
	ds_bpermute_b32 v2, v2, v1
	s_waitcnt lgkmcnt(0)
	v_add_nc_u32_e32 v1, v2, v1
.LBB710_9:
	s_or_b32 exec_lo, exec_lo, s5
.LBB710_10:
	v_cmp_eq_u32_e64 s2, 0, v0
	s_and_b32 vcc_lo, exec_lo, s6
	s_cbranch_vccnz .LBB710_15
	s_branch .LBB710_93
.LBB710_11:
	s_mov_b32 s2, 0
                                        ; implicit-def: $vgpr1
	s_cbranch_execnz .LBB710_166
	s_branch .LBB710_224
.LBB710_12:
	s_mov_b32 s2, 0
                                        ; implicit-def: $vgpr1
	s_cbranch_execnz .LBB710_134
	s_branch .LBB710_142
.LBB710_13:
	s_mov_b32 s6, -1
.LBB710_14:
	s_mov_b32 s2, 0
                                        ; implicit-def: $vgpr1
	s_and_b32 vcc_lo, exec_lo, s6
	s_cbranch_vccz .LBB710_93
.LBB710_15:
	s_cmp_eq_u32 s24, 16
	s_cbranch_scc0 .LBB710_22
; %bb.16:
	s_mov_b32 s21, 0
	s_lshl_b32 s2, s20, 12
	s_mov_b32 s3, s21
	s_lshr_b64 s[6:7], s[18:19], 12
	s_lshl_b64 s[4:5], s[2:3], 2
	s_delay_alu instid0(SALU_CYCLE_1)
	s_add_u32 s22, s16, s4
	s_addc_u32 s23, s17, s5
	s_cmp_lg_u64 s[6:7], s[20:21]
	s_cbranch_scc0 .LBB710_94
; %bb.17:
	v_lshlrev_b32_e32 v5, 2, v0
	s_clause 0x1
	global_load_b32 v9, v5, s[22:23]
	global_load_b32 v10, v5, s[22:23] offset:1024
	v_add_co_u32 v7, s3, s22, v5
	s_delay_alu instid0(VALU_DEP_1) | instskip(SKIP_1) | instid1(VALU_DEP_2)
	v_add_co_ci_u32_e64 v8, null, s23, 0, s3
	s_mov_b32 s3, exec_lo
	v_add_co_u32 v1, vcc_lo, 0x1000, v7
	s_delay_alu instid0(VALU_DEP_2)
	v_add_co_ci_u32_e32 v2, vcc_lo, 0, v8, vcc_lo
	v_add_co_u32 v3, vcc_lo, v7, 0x2000
	v_add_co_ci_u32_e32 v4, vcc_lo, 0, v8, vcc_lo
	s_clause 0x3
	global_load_b32 v11, v5, s[22:23] offset:2048
	global_load_b32 v12, v5, s[22:23] offset:3072
	global_load_b32 v13, v[3:4], off offset:-4096
	global_load_b32 v14, v[1:2], off offset:1024
	v_add_co_u32 v5, vcc_lo, 0x2000, v7
	v_add_co_ci_u32_e32 v6, vcc_lo, 0, v8, vcc_lo
	s_clause 0x3
	global_load_b32 v15, v[1:2], off offset:2048
	global_load_b32 v16, v[1:2], off offset:3072
	global_load_b32 v3, v[3:4], off
	global_load_b32 v4, v[5:6], off offset:1024
	v_add_co_u32 v1, vcc_lo, 0x3000, v7
	v_add_co_ci_u32_e32 v2, vcc_lo, 0, v8, vcc_lo
	s_clause 0x5
	global_load_b32 v7, v[5:6], off offset:2048
	global_load_b32 v5, v[5:6], off offset:3072
	global_load_b32 v6, v[1:2], off
	global_load_b32 v8, v[1:2], off offset:1024
	global_load_b32 v17, v[1:2], off offset:2048
	;; [unrolled: 1-line block ×3, first 2 shown]
	s_waitcnt vmcnt(14)
	v_add_nc_u32_e32 v2, v10, v9
	s_waitcnt vmcnt(12)
	s_delay_alu instid0(VALU_DEP_1) | instskip(SKIP_1) | instid1(VALU_DEP_1)
	v_add3_u32 v2, v2, v11, v12
	s_waitcnt vmcnt(10)
	v_add3_u32 v2, v2, v13, v14
	s_waitcnt vmcnt(8)
	s_delay_alu instid0(VALU_DEP_1) | instskip(SKIP_1) | instid1(VALU_DEP_1)
	v_add3_u32 v2, v2, v15, v16
	s_waitcnt vmcnt(6)
	v_add3_u32 v2, v2, v3, v4
	v_mov_b32_e32 v3, 0
	s_waitcnt vmcnt(4)
	s_delay_alu instid0(VALU_DEP_2) | instskip(SKIP_1) | instid1(VALU_DEP_1)
	v_add3_u32 v2, v2, v7, v5
	s_waitcnt vmcnt(2)
	v_add3_u32 v2, v2, v6, v8
	s_waitcnt vmcnt(0)
	s_delay_alu instid0(VALU_DEP_1) | instskip(NEXT) | instid1(VALU_DEP_1)
	v_add3_u32 v1, v2, v17, v1
	v_mov_b32_dpp v2, v1 quad_perm:[1,0,3,2] row_mask:0xf bank_mask:0xf
	s_delay_alu instid0(VALU_DEP_1) | instskip(NEXT) | instid1(VALU_DEP_1)
	v_add_nc_u32_e32 v1, v2, v1
	v_mov_b32_dpp v2, v1 quad_perm:[2,3,0,1] row_mask:0xf bank_mask:0xf
	s_delay_alu instid0(VALU_DEP_1) | instskip(NEXT) | instid1(VALU_DEP_1)
	v_add_nc_u32_e32 v1, v1, v2
	v_mov_b32_dpp v2, v1 row_ror:4 row_mask:0xf bank_mask:0xf
	s_delay_alu instid0(VALU_DEP_1) | instskip(NEXT) | instid1(VALU_DEP_1)
	v_add_nc_u32_e32 v1, v1, v2
	v_mov_b32_dpp v2, v1 row_ror:8 row_mask:0xf bank_mask:0xf
	s_delay_alu instid0(VALU_DEP_1)
	v_add_nc_u32_e32 v1, v1, v2
	ds_swizzle_b32 v2, v1 offset:swizzle(BROADCAST,32,15)
	s_waitcnt lgkmcnt(0)
	v_add_nc_u32_e32 v1, v1, v2
	v_mbcnt_lo_u32_b32 v2, -1, 0
	ds_bpermute_b32 v1, v3, v1 offset:124
	v_cmpx_eq_u32_e32 0, v2
	s_cbranch_execz .LBB710_19
; %bb.18:
	v_lshrrev_b32_e32 v3, 3, v0
	s_delay_alu instid0(VALU_DEP_1)
	v_and_b32_e32 v3, 28, v3
	s_waitcnt lgkmcnt(0)
	ds_store_b32 v3, v1
.LBB710_19:
	s_or_b32 exec_lo, exec_lo, s3
	s_delay_alu instid0(SALU_CYCLE_1)
	s_mov_b32 s3, exec_lo
	s_waitcnt lgkmcnt(0)
	s_barrier
	buffer_gl0_inv
	v_cmpx_gt_u32_e32 32, v0
	s_cbranch_execz .LBB710_21
; %bb.20:
	v_and_b32_e32 v1, 7, v2
	s_delay_alu instid0(VALU_DEP_1) | instskip(SKIP_4) | instid1(VALU_DEP_2)
	v_lshlrev_b32_e32 v3, 2, v1
	v_cmp_ne_u32_e32 vcc_lo, 7, v1
	ds_load_b32 v3, v3
	v_add_co_ci_u32_e32 v4, vcc_lo, 0, v2, vcc_lo
	v_cmp_gt_u32_e32 vcc_lo, 6, v1
	v_lshlrev_b32_e32 v4, 2, v4
	v_cndmask_b32_e64 v5, 0, 1, vcc_lo
	v_cmp_gt_u32_e32 vcc_lo, 4, v1
	s_delay_alu instid0(VALU_DEP_2) | instskip(SKIP_1) | instid1(VALU_DEP_2)
	v_lshlrev_b32_e32 v5, 1, v5
	v_cndmask_b32_e64 v1, 0, 1, vcc_lo
	v_add_lshl_u32 v5, v5, v2, 2
	s_delay_alu instid0(VALU_DEP_2)
	v_lshlrev_b32_e32 v1, 2, v1
	s_waitcnt lgkmcnt(0)
	ds_bpermute_b32 v4, v4, v3
	v_add_lshl_u32 v1, v1, v2, 2
	s_waitcnt lgkmcnt(0)
	v_add_nc_u32_e32 v3, v4, v3
	ds_bpermute_b32 v4, v5, v3
	s_waitcnt lgkmcnt(0)
	v_add_nc_u32_e32 v3, v4, v3
	ds_bpermute_b32 v1, v1, v3
	s_waitcnt lgkmcnt(0)
	v_add_nc_u32_e32 v1, v1, v3
.LBB710_21:
	s_or_b32 exec_lo, exec_lo, s3
	s_mov_b32 s3, 0
	s_branch .LBB710_95
.LBB710_22:
                                        ; implicit-def: $vgpr1
	s_branch .LBB710_142
.LBB710_23:
                                        ; implicit-def: $vgpr1
	s_cbranch_execz .LBB710_10
; %bb.24:
	s_sub_i32 s4, s18, s4
	s_mov_b32 s5, exec_lo
                                        ; implicit-def: $vgpr1
	v_cmpx_gt_u32_e64 s4, v0
	s_cbranch_execz .LBB710_26
; %bb.25:
	v_lshlrev_b32_e32 v1, 2, v0
	global_load_b32 v1, v1, s[2:3]
.LBB710_26:
	s_or_b32 exec_lo, exec_lo, s5
	v_or_b32_e32 v3, 0x100, v0
	v_mov_b32_e32 v2, 0
	s_delay_alu instid0(VALU_DEP_2)
	v_cmp_gt_u32_e32 vcc_lo, s4, v3
	v_mov_b32_e32 v3, 0
	s_and_saveexec_b32 s5, vcc_lo
	s_cbranch_execz .LBB710_28
; %bb.27:
	v_lshlrev_b32_e32 v3, 2, v0
	global_load_b32 v3, v3, s[2:3] offset:1024
.LBB710_28:
	s_or_b32 exec_lo, exec_lo, s5
	v_or_b32_e32 v4, 0x200, v0
	s_mov_b32 s5, exec_lo
	s_delay_alu instid0(VALU_DEP_1)
	v_cmpx_gt_u32_e64 s4, v4
	s_cbranch_execz .LBB710_30
; %bb.29:
	v_lshlrev_b32_e32 v2, 2, v0
	global_load_b32 v2, v2, s[2:3] offset:2048
.LBB710_30:
	s_or_b32 exec_lo, exec_lo, s5
	v_or_b32_e32 v5, 0x300, v0
	v_mov_b32_e32 v4, 0
	s_delay_alu instid0(VALU_DEP_2)
	v_cmp_gt_u32_e32 vcc_lo, s4, v5
	v_mov_b32_e32 v5, 0
	s_and_saveexec_b32 s5, vcc_lo
	s_cbranch_execz .LBB710_32
; %bb.31:
	v_lshlrev_b32_e32 v5, 2, v0
	global_load_b32 v5, v5, s[2:3] offset:3072
.LBB710_32:
	s_or_b32 exec_lo, exec_lo, s5
	v_or_b32_e32 v6, 0x400, v0
	s_mov_b32 s5, exec_lo
	s_delay_alu instid0(VALU_DEP_1)
	v_cmpx_gt_u32_e64 s4, v6
	s_cbranch_execz .LBB710_34
; %bb.33:
	v_lshlrev_b32_e32 v4, 2, v6
	global_load_b32 v4, v4, s[2:3]
.LBB710_34:
	s_or_b32 exec_lo, exec_lo, s5
	v_or_b32_e32 v8, 0x500, v0
	v_dual_mov_b32 v6, 0 :: v_dual_mov_b32 v7, 0
	s_mov_b32 s5, exec_lo
	s_delay_alu instid0(VALU_DEP_2)
	v_cmpx_gt_u32_e64 s4, v8
	s_cbranch_execz .LBB710_36
; %bb.35:
	v_lshlrev_b32_e32 v7, 2, v8
	global_load_b32 v7, v7, s[2:3]
.LBB710_36:
	s_or_b32 exec_lo, exec_lo, s5
	v_or_b32_e32 v8, 0x600, v0
	s_mov_b32 s5, exec_lo
	s_delay_alu instid0(VALU_DEP_1)
	v_cmpx_gt_u32_e64 s4, v8
	s_cbranch_execz .LBB710_38
; %bb.37:
	v_lshlrev_b32_e32 v6, 2, v8
	global_load_b32 v6, v6, s[2:3]
.LBB710_38:
	s_or_b32 exec_lo, exec_lo, s5
	v_or_b32_e32 v10, 0x700, v0
	v_dual_mov_b32 v8, 0 :: v_dual_mov_b32 v9, 0
	s_mov_b32 s5, exec_lo
	s_delay_alu instid0(VALU_DEP_2)
	v_cmpx_gt_u32_e64 s4, v10
	s_cbranch_execz .LBB710_40
; %bb.39:
	v_lshlrev_b32_e32 v9, 2, v10
	global_load_b32 v9, v9, s[2:3]
.LBB710_40:
	;; [unrolled: 21-line block ×13, first 2 shown]
	s_or_b32 exec_lo, exec_lo, s5
	v_or_b32_e32 v32, 0x1e00, v0
	s_mov_b32 s5, exec_lo
	s_delay_alu instid0(VALU_DEP_1)
	v_cmpx_gt_u32_e64 s4, v32
	s_cbranch_execz .LBB710_86
; %bb.85:
	v_lshlrev_b32_e32 v30, 2, v32
	global_load_b32 v30, v30, s[2:3]
.LBB710_86:
	s_or_b32 exec_lo, exec_lo, s5
	v_or_b32_e32 v33, 0x1f00, v0
	v_mov_b32_e32 v32, 0
	s_mov_b32 s5, exec_lo
	s_delay_alu instid0(VALU_DEP_2)
	v_cmpx_gt_u32_e64 s4, v33
	s_cbranch_execz .LBB710_88
; %bb.87:
	v_lshlrev_b32_e32 v32, 2, v33
	global_load_b32 v32, v32, s[2:3]
.LBB710_88:
	s_or_b32 exec_lo, exec_lo, s5
	s_waitcnt vmcnt(0)
	v_add_nc_u32_e32 v1, v3, v1
	s_min_u32 s2, s4, 0x100
	s_mov_b32 s3, exec_lo
	s_delay_alu instid0(VALU_DEP_1) | instskip(SKIP_1) | instid1(VALU_DEP_2)
	v_add3_u32 v1, v1, v2, v5
	v_mbcnt_lo_u32_b32 v2, -1, 0
	v_add3_u32 v1, v1, v4, v7
	s_delay_alu instid0(VALU_DEP_2) | instskip(NEXT) | instid1(VALU_DEP_2)
	v_cmp_ne_u32_e32 vcc_lo, 31, v2
	v_add3_u32 v1, v1, v6, v9
	v_add_co_ci_u32_e32 v3, vcc_lo, 0, v2, vcc_lo
	v_cmp_gt_u32_e32 vcc_lo, 30, v2
	v_add_nc_u32_e32 v6, 1, v2
	s_delay_alu instid0(VALU_DEP_4) | instskip(NEXT) | instid1(VALU_DEP_4)
	v_add3_u32 v1, v1, v8, v11
	v_lshlrev_b32_e32 v3, 2, v3
	v_cndmask_b32_e64 v5, 0, 1, vcc_lo
	s_delay_alu instid0(VALU_DEP_3) | instskip(NEXT) | instid1(VALU_DEP_2)
	v_add3_u32 v1, v1, v10, v13
	v_lshlrev_b32_e32 v5, 1, v5
	s_delay_alu instid0(VALU_DEP_2) | instskip(NEXT) | instid1(VALU_DEP_2)
	v_add3_u32 v1, v1, v12, v15
	v_add_lshl_u32 v5, v5, v2, 2
	s_delay_alu instid0(VALU_DEP_2) | instskip(NEXT) | instid1(VALU_DEP_1)
	v_add3_u32 v1, v1, v14, v17
	v_add3_u32 v1, v1, v16, v19
	s_delay_alu instid0(VALU_DEP_1) | instskip(NEXT) | instid1(VALU_DEP_1)
	v_add3_u32 v1, v1, v18, v21
	v_add3_u32 v1, v1, v20, v23
	s_delay_alu instid0(VALU_DEP_1) | instskip(NEXT) | instid1(VALU_DEP_1)
	;; [unrolled: 3-line block ×3, first 2 shown]
	v_add3_u32 v1, v1, v26, v29
	v_add3_u32 v1, v1, v28, v31
	s_delay_alu instid0(VALU_DEP_1) | instskip(SKIP_2) | instid1(VALU_DEP_1)
	v_add3_u32 v1, v1, v30, v32
	ds_bpermute_b32 v3, v3, v1
	v_and_b32_e32 v4, 0xe0, v0
	v_sub_nc_u32_e64 v4, s2, v4 clamp
	s_delay_alu instid0(VALU_DEP_1) | instskip(SKIP_3) | instid1(VALU_DEP_2)
	v_cmp_lt_u32_e32 vcc_lo, v6, v4
	s_waitcnt lgkmcnt(0)
	v_dual_cndmask_b32 v3, 0, v3 :: v_dual_add_nc_u32 v6, 2, v2
	v_cmp_gt_u32_e32 vcc_lo, 28, v2
	v_add_nc_u32_e32 v1, v3, v1
	ds_bpermute_b32 v3, v5, v1
	v_cndmask_b32_e64 v5, 0, 1, vcc_lo
	v_cmp_lt_u32_e32 vcc_lo, v6, v4
	v_add_nc_u32_e32 v6, 4, v2
	s_delay_alu instid0(VALU_DEP_3) | instskip(NEXT) | instid1(VALU_DEP_1)
	v_lshlrev_b32_e32 v5, 2, v5
	v_add_lshl_u32 v5, v5, v2, 2
	s_waitcnt lgkmcnt(0)
	v_cndmask_b32_e32 v3, 0, v3, vcc_lo
	v_cmp_gt_u32_e32 vcc_lo, 24, v2
	s_delay_alu instid0(VALU_DEP_2) | instskip(SKIP_4) | instid1(VALU_DEP_3)
	v_add_nc_u32_e32 v1, v1, v3
	ds_bpermute_b32 v3, v5, v1
	v_cndmask_b32_e64 v5, 0, 1, vcc_lo
	v_cmp_lt_u32_e32 vcc_lo, v6, v4
	v_add_nc_u32_e32 v6, 8, v2
	v_lshlrev_b32_e32 v5, 3, v5
	s_delay_alu instid0(VALU_DEP_1) | instskip(SKIP_3) | instid1(VALU_DEP_2)
	v_add_lshl_u32 v5, v5, v2, 2
	s_waitcnt lgkmcnt(0)
	v_cndmask_b32_e32 v3, 0, v3, vcc_lo
	v_cmp_gt_u32_e32 vcc_lo, 16, v2
	v_add_nc_u32_e32 v1, v1, v3
	ds_bpermute_b32 v3, v5, v1
	v_cndmask_b32_e64 v5, 0, 1, vcc_lo
	v_cmp_lt_u32_e32 vcc_lo, v6, v4
	s_delay_alu instid0(VALU_DEP_2) | instskip(NEXT) | instid1(VALU_DEP_1)
	v_lshlrev_b32_e32 v5, 4, v5
	v_add_lshl_u32 v5, v5, v2, 2
	s_waitcnt lgkmcnt(0)
	v_cndmask_b32_e32 v3, 0, v3, vcc_lo
	s_delay_alu instid0(VALU_DEP_1) | instskip(SKIP_2) | instid1(VALU_DEP_1)
	v_add_nc_u32_e32 v1, v1, v3
	ds_bpermute_b32 v3, v5, v1
	v_add_nc_u32_e32 v5, 16, v2
	v_cmp_lt_u32_e32 vcc_lo, v5, v4
	s_waitcnt lgkmcnt(0)
	v_cndmask_b32_e32 v3, 0, v3, vcc_lo
	s_delay_alu instid0(VALU_DEP_1)
	v_add_nc_u32_e32 v1, v1, v3
	v_cmpx_eq_u32_e32 0, v2
	s_cbranch_execz .LBB710_90
; %bb.89:
	v_lshrrev_b32_e32 v3, 3, v0
	s_delay_alu instid0(VALU_DEP_1)
	v_and_b32_e32 v3, 28, v3
	ds_store_b32 v3, v1 offset:192
.LBB710_90:
	s_or_b32 exec_lo, exec_lo, s3
	s_delay_alu instid0(SALU_CYCLE_1)
	s_mov_b32 s3, exec_lo
	s_waitcnt lgkmcnt(0)
	s_barrier
	buffer_gl0_inv
	v_cmpx_gt_u32_e32 8, v0
	s_cbranch_execz .LBB710_92
; %bb.91:
	v_and_b32_e32 v3, 7, v2
	s_add_i32 s2, s2, 31
	s_delay_alu instid0(SALU_CYCLE_1) | instskip(NEXT) | instid1(VALU_DEP_1)
	s_lshr_b32 s2, s2, 5
	v_cmp_ne_u32_e32 vcc_lo, 7, v3
	v_add_nc_u32_e32 v6, 1, v3
	v_add_co_ci_u32_e32 v4, vcc_lo, 0, v2, vcc_lo
	v_cmp_gt_u32_e32 vcc_lo, 6, v3
	s_delay_alu instid0(VALU_DEP_2) | instskip(SKIP_3) | instid1(VALU_DEP_3)
	v_lshlrev_b32_e32 v4, 2, v4
	v_cndmask_b32_e64 v5, 0, 1, vcc_lo
	v_cmp_gt_u32_e32 vcc_lo, s2, v6
	v_lshlrev_b32_e32 v1, 2, v2
	v_lshlrev_b32_e32 v5, 1, v5
	ds_load_b32 v1, v1 offset:192
	v_add_lshl_u32 v5, v5, v2, 2
	s_waitcnt lgkmcnt(0)
	ds_bpermute_b32 v4, v4, v1
	s_waitcnt lgkmcnt(0)
	v_cndmask_b32_e32 v4, 0, v4, vcc_lo
	v_cmp_gt_u32_e32 vcc_lo, 4, v3
	s_delay_alu instid0(VALU_DEP_2) | instskip(SKIP_3) | instid1(VALU_DEP_1)
	v_add_nc_u32_e32 v1, v4, v1
	v_cndmask_b32_e64 v6, 0, 1, vcc_lo
	ds_bpermute_b32 v4, v5, v1
	v_add_nc_u32_e32 v5, 2, v3
	v_cmp_gt_u32_e32 vcc_lo, s2, v5
	v_lshlrev_b32_e32 v5, 2, v6
	s_delay_alu instid0(VALU_DEP_1) | instskip(SKIP_2) | instid1(VALU_DEP_1)
	v_add_lshl_u32 v2, v5, v2, 2
	s_waitcnt lgkmcnt(0)
	v_dual_cndmask_b32 v4, 0, v4 :: v_dual_add_nc_u32 v3, 4, v3
	v_add_nc_u32_e32 v1, v1, v4
	s_delay_alu instid0(VALU_DEP_2) | instskip(SKIP_3) | instid1(VALU_DEP_1)
	v_cmp_gt_u32_e32 vcc_lo, s2, v3
	ds_bpermute_b32 v2, v2, v1
	s_waitcnt lgkmcnt(0)
	v_cndmask_b32_e32 v2, 0, v2, vcc_lo
	v_add_nc_u32_e32 v1, v1, v2
.LBB710_92:
	s_or_b32 exec_lo, exec_lo, s3
	v_cmp_eq_u32_e64 s2, 0, v0
	s_and_b32 vcc_lo, exec_lo, s6
	s_cbranch_vccnz .LBB710_15
.LBB710_93:
	s_branch .LBB710_142
.LBB710_94:
	s_mov_b32 s3, -1
                                        ; implicit-def: $vgpr1
.LBB710_95:
	s_delay_alu instid0(SALU_CYCLE_1)
	s_and_b32 vcc_lo, exec_lo, s3
	s_cbranch_vccz .LBB710_133
; %bb.96:
	s_sub_i32 s25, s18, s2
	s_mov_b32 s2, exec_lo
                                        ; implicit-def: $vgpr1_vgpr2_vgpr3_vgpr4_vgpr5_vgpr6_vgpr7_vgpr8_vgpr9_vgpr10_vgpr11_vgpr12_vgpr13_vgpr14_vgpr15_vgpr16
	v_cmpx_gt_u32_e64 s25, v0
	s_cbranch_execz .LBB710_98
; %bb.97:
	v_lshlrev_b32_e32 v1, 2, v0
	global_load_b32 v1, v1, s[22:23]
.LBB710_98:
	s_or_b32 exec_lo, exec_lo, s2
	v_or_b32_e32 v17, 0x100, v0
	s_delay_alu instid0(VALU_DEP_1)
	v_cmp_gt_u32_e32 vcc_lo, s25, v17
	s_and_saveexec_b32 s2, vcc_lo
	s_cbranch_execz .LBB710_100
; %bb.99:
	v_lshlrev_b32_e32 v2, 2, v0
	global_load_b32 v2, v2, s[22:23] offset:1024
.LBB710_100:
	s_or_b32 exec_lo, exec_lo, s2
	v_or_b32_e32 v17, 0x200, v0
	s_delay_alu instid0(VALU_DEP_1) | instskip(NEXT) | instid1(VALU_DEP_1)
	v_cmp_gt_u32_e64 s2, s25, v17
	s_and_saveexec_b32 s3, s2
	s_cbranch_execz .LBB710_102
; %bb.101:
	v_lshlrev_b32_e32 v3, 2, v0
	global_load_b32 v3, v3, s[22:23] offset:2048
.LBB710_102:
	s_or_b32 exec_lo, exec_lo, s3
	v_or_b32_e32 v17, 0x300, v0
	s_delay_alu instid0(VALU_DEP_1) | instskip(NEXT) | instid1(VALU_DEP_1)
	v_cmp_gt_u32_e64 s3, s25, v17
	s_and_saveexec_b32 s4, s3
	;; [unrolled: 10-line block ×3, first 2 shown]
	s_cbranch_execz .LBB710_106
; %bb.105:
	v_lshlrev_b32_e32 v5, 2, v17
	global_load_b32 v5, v5, s[22:23]
.LBB710_106:
	s_or_b32 exec_lo, exec_lo, s5
	v_or_b32_e32 v17, 0x500, v0
	s_delay_alu instid0(VALU_DEP_1) | instskip(NEXT) | instid1(VALU_DEP_1)
	v_cmp_gt_u32_e64 s5, s25, v17
	s_and_saveexec_b32 s6, s5
	s_cbranch_execz .LBB710_108
; %bb.107:
	v_lshlrev_b32_e32 v6, 2, v17
	global_load_b32 v6, v6, s[22:23]
.LBB710_108:
	s_or_b32 exec_lo, exec_lo, s6
	v_or_b32_e32 v17, 0x600, v0
	s_delay_alu instid0(VALU_DEP_1) | instskip(NEXT) | instid1(VALU_DEP_1)
	v_cmp_gt_u32_e64 s6, s25, v17
	s_and_saveexec_b32 s7, s6
	;; [unrolled: 10-line block ×11, first 2 shown]
	s_cbranch_execz .LBB710_128
; %bb.127:
	v_lshlrev_b32_e32 v16, 2, v17
	global_load_b32 v16, v16, s[22:23]
.LBB710_128:
	s_or_b32 exec_lo, exec_lo, s26
	s_waitcnt vmcnt(0)
	v_cndmask_b32_e32 v2, 0, v2, vcc_lo
	v_cndmask_b32_e64 v3, 0, v3, s2
	v_cndmask_b32_e64 v4, 0, v4, s3
	s_min_u32 s2, s25, 0x100
	s_mov_b32 s3, exec_lo
	v_add_nc_u32_e32 v1, v2, v1
	v_cndmask_b32_e64 v2, 0, v5, s4
	v_cndmask_b32_e64 v5, 0, v6, s5
	;; [unrolled: 1-line block ×3, first 2 shown]
	s_delay_alu instid0(VALU_DEP_4) | instskip(SKIP_3) | instid1(VALU_DEP_4)
	v_add3_u32 v1, v1, v3, v4
	v_cndmask_b32_e64 v3, 0, v7, s6
	v_cndmask_b32_e64 v4, 0, v8, s7
	;; [unrolled: 1-line block ×3, first 2 shown]
	v_add3_u32 v1, v1, v2, v5
	v_cndmask_b32_e64 v2, 0, v9, s8
	v_cndmask_b32_e64 v5, 0, v10, s9
	s_delay_alu instid0(VALU_DEP_3) | instskip(SKIP_2) | instid1(VALU_DEP_3)
	v_add3_u32 v1, v1, v3, v4
	v_cndmask_b32_e64 v3, 0, v11, s10
	v_cndmask_b32_e64 v4, 0, v12, s11
	v_add3_u32 v1, v1, v2, v5
	v_mbcnt_lo_u32_b32 v2, -1, 0
	v_cndmask_b32_e64 v5, 0, v13, s12
	s_delay_alu instid0(VALU_DEP_3) | instskip(NEXT) | instid1(VALU_DEP_3)
	v_add3_u32 v1, v1, v3, v4
	v_cmp_ne_u32_e32 vcc_lo, 31, v2
	v_cndmask_b32_e64 v3, 0, v16, s15
	s_delay_alu instid0(VALU_DEP_3) | instskip(SKIP_3) | instid1(VALU_DEP_4)
	v_add3_u32 v1, v1, v5, v6
	v_add_co_ci_u32_e32 v4, vcc_lo, 0, v2, vcc_lo
	v_cmp_gt_u32_e32 vcc_lo, 30, v2
	v_add_nc_u32_e32 v6, 1, v2
	v_add3_u32 v1, v1, v7, v3
	s_delay_alu instid0(VALU_DEP_4) | instskip(SKIP_4) | instid1(VALU_DEP_2)
	v_lshlrev_b32_e32 v4, 2, v4
	v_cndmask_b32_e64 v5, 0, 1, vcc_lo
	ds_bpermute_b32 v3, v4, v1
	v_and_b32_e32 v4, 0xe0, v0
	v_lshlrev_b32_e32 v5, 1, v5
	v_sub_nc_u32_e64 v4, s2, v4 clamp
	s_delay_alu instid0(VALU_DEP_2) | instskip(NEXT) | instid1(VALU_DEP_2)
	v_add_lshl_u32 v5, v5, v2, 2
	v_cmp_lt_u32_e32 vcc_lo, v6, v4
	s_waitcnt lgkmcnt(0)
	v_dual_cndmask_b32 v3, 0, v3 :: v_dual_add_nc_u32 v6, 2, v2
	v_cmp_gt_u32_e32 vcc_lo, 28, v2
	s_delay_alu instid0(VALU_DEP_2) | instskip(SKIP_4) | instid1(VALU_DEP_3)
	v_add_nc_u32_e32 v1, v1, v3
	ds_bpermute_b32 v3, v5, v1
	v_cndmask_b32_e64 v5, 0, 1, vcc_lo
	v_cmp_lt_u32_e32 vcc_lo, v6, v4
	v_add_nc_u32_e32 v6, 4, v2
	v_lshlrev_b32_e32 v5, 2, v5
	s_delay_alu instid0(VALU_DEP_1) | instskip(SKIP_3) | instid1(VALU_DEP_2)
	v_add_lshl_u32 v5, v5, v2, 2
	s_waitcnt lgkmcnt(0)
	v_cndmask_b32_e32 v3, 0, v3, vcc_lo
	v_cmp_gt_u32_e32 vcc_lo, 24, v2
	v_add_nc_u32_e32 v1, v1, v3
	ds_bpermute_b32 v3, v5, v1
	v_cndmask_b32_e64 v5, 0, 1, vcc_lo
	v_cmp_lt_u32_e32 vcc_lo, v6, v4
	v_add_nc_u32_e32 v6, 8, v2
	s_delay_alu instid0(VALU_DEP_3) | instskip(NEXT) | instid1(VALU_DEP_1)
	v_lshlrev_b32_e32 v5, 3, v5
	v_add_lshl_u32 v5, v5, v2, 2
	s_waitcnt lgkmcnt(0)
	v_cndmask_b32_e32 v3, 0, v3, vcc_lo
	v_cmp_gt_u32_e32 vcc_lo, 16, v2
	s_delay_alu instid0(VALU_DEP_2) | instskip(SKIP_3) | instid1(VALU_DEP_2)
	v_add_nc_u32_e32 v1, v1, v3
	ds_bpermute_b32 v3, v5, v1
	v_cndmask_b32_e64 v5, 0, 1, vcc_lo
	v_cmp_lt_u32_e32 vcc_lo, v6, v4
	v_lshlrev_b32_e32 v5, 4, v5
	s_delay_alu instid0(VALU_DEP_1) | instskip(SKIP_2) | instid1(VALU_DEP_1)
	v_add_lshl_u32 v5, v5, v2, 2
	s_waitcnt lgkmcnt(0)
	v_cndmask_b32_e32 v3, 0, v3, vcc_lo
	v_add_nc_u32_e32 v1, v1, v3
	ds_bpermute_b32 v3, v5, v1
	v_add_nc_u32_e32 v5, 16, v2
	s_delay_alu instid0(VALU_DEP_1) | instskip(SKIP_2) | instid1(VALU_DEP_1)
	v_cmp_lt_u32_e32 vcc_lo, v5, v4
	s_waitcnt lgkmcnt(0)
	v_cndmask_b32_e32 v3, 0, v3, vcc_lo
	v_add_nc_u32_e32 v1, v1, v3
	v_cmpx_eq_u32_e32 0, v2
	s_cbranch_execz .LBB710_130
; %bb.129:
	v_lshrrev_b32_e32 v3, 3, v0
	s_delay_alu instid0(VALU_DEP_1)
	v_and_b32_e32 v3, 28, v3
	ds_store_b32 v3, v1 offset:192
.LBB710_130:
	s_or_b32 exec_lo, exec_lo, s3
	s_delay_alu instid0(SALU_CYCLE_1)
	s_mov_b32 s3, exec_lo
	s_waitcnt lgkmcnt(0)
	s_barrier
	buffer_gl0_inv
	v_cmpx_gt_u32_e32 8, v0
	s_cbranch_execz .LBB710_132
; %bb.131:
	v_and_b32_e32 v3, 7, v2
	s_add_i32 s2, s2, 31
	s_delay_alu instid0(SALU_CYCLE_1) | instskip(NEXT) | instid1(VALU_DEP_1)
	s_lshr_b32 s2, s2, 5
	v_cmp_ne_u32_e32 vcc_lo, 7, v3
	v_add_nc_u32_e32 v6, 1, v3
	v_add_co_ci_u32_e32 v4, vcc_lo, 0, v2, vcc_lo
	v_cmp_gt_u32_e32 vcc_lo, 6, v3
	s_delay_alu instid0(VALU_DEP_2) | instskip(SKIP_3) | instid1(VALU_DEP_3)
	v_lshlrev_b32_e32 v4, 2, v4
	v_cndmask_b32_e64 v5, 0, 1, vcc_lo
	v_cmp_gt_u32_e32 vcc_lo, s2, v6
	v_lshlrev_b32_e32 v1, 2, v2
	v_lshlrev_b32_e32 v5, 1, v5
	ds_load_b32 v1, v1 offset:192
	v_add_lshl_u32 v5, v5, v2, 2
	s_waitcnt lgkmcnt(0)
	ds_bpermute_b32 v4, v4, v1
	s_waitcnt lgkmcnt(0)
	v_cndmask_b32_e32 v4, 0, v4, vcc_lo
	v_cmp_gt_u32_e32 vcc_lo, 4, v3
	s_delay_alu instid0(VALU_DEP_2) | instskip(SKIP_3) | instid1(VALU_DEP_1)
	v_add_nc_u32_e32 v1, v4, v1
	v_cndmask_b32_e64 v6, 0, 1, vcc_lo
	ds_bpermute_b32 v4, v5, v1
	v_add_nc_u32_e32 v5, 2, v3
	v_cmp_gt_u32_e32 vcc_lo, s2, v5
	v_lshlrev_b32_e32 v5, 2, v6
	s_delay_alu instid0(VALU_DEP_1) | instskip(SKIP_2) | instid1(VALU_DEP_1)
	v_add_lshl_u32 v2, v5, v2, 2
	s_waitcnt lgkmcnt(0)
	v_dual_cndmask_b32 v4, 0, v4 :: v_dual_add_nc_u32 v3, 4, v3
	v_add_nc_u32_e32 v1, v1, v4
	s_delay_alu instid0(VALU_DEP_2) | instskip(SKIP_3) | instid1(VALU_DEP_1)
	v_cmp_gt_u32_e32 vcc_lo, s2, v3
	ds_bpermute_b32 v2, v2, v1
	s_waitcnt lgkmcnt(0)
	v_cndmask_b32_e32 v2, 0, v2, vcc_lo
	v_add_nc_u32_e32 v1, v1, v2
.LBB710_132:
	s_or_b32 exec_lo, exec_lo, s3
.LBB710_133:
	v_cmp_eq_u32_e64 s2, 0, v0
	s_branch .LBB710_142
.LBB710_134:
	s_cmp_eq_u32 s24, 8
	s_cbranch_scc0 .LBB710_141
; %bb.135:
	s_mov_b32 s21, 0
	s_lshl_b32 s2, s20, 11
	s_mov_b32 s3, s21
	s_lshr_b64 s[6:7], s[18:19], 11
	s_lshl_b64 s[4:5], s[2:3], 2
	s_delay_alu instid0(SALU_CYCLE_1)
	s_add_u32 s8, s16, s4
	s_addc_u32 s9, s17, s5
	s_cmp_lg_u64 s[6:7], s[20:21]
	s_cbranch_scc0 .LBB710_143
; %bb.136:
	v_lshlrev_b32_e32 v3, 2, v0
	s_clause 0x1
	global_load_b32 v4, v3, s[8:9]
	global_load_b32 v5, v3, s[8:9] offset:1024
	v_add_co_u32 v1, s3, s8, v3
	s_delay_alu instid0(VALU_DEP_1) | instskip(SKIP_1) | instid1(VALU_DEP_2)
	v_add_co_ci_u32_e64 v2, null, s9, 0, s3
	s_mov_b32 s3, exec_lo
	v_add_co_u32 v1, vcc_lo, 0x1000, v1
	s_delay_alu instid0(VALU_DEP_2)
	v_add_co_ci_u32_e32 v2, vcc_lo, 0, v2, vcc_lo
	s_clause 0x5
	global_load_b32 v6, v3, s[8:9] offset:2048
	global_load_b32 v3, v3, s[8:9] offset:3072
	global_load_b32 v7, v[1:2], off
	global_load_b32 v8, v[1:2], off offset:1024
	global_load_b32 v9, v[1:2], off offset:2048
	;; [unrolled: 1-line block ×3, first 2 shown]
	s_waitcnt vmcnt(6)
	v_add_nc_u32_e32 v2, v5, v4
	s_waitcnt vmcnt(4)
	s_delay_alu instid0(VALU_DEP_1) | instskip(SKIP_2) | instid1(VALU_DEP_2)
	v_add3_u32 v2, v2, v6, v3
	v_mov_b32_e32 v3, 0
	s_waitcnt vmcnt(2)
	v_add3_u32 v2, v2, v7, v8
	s_waitcnt vmcnt(0)
	s_delay_alu instid0(VALU_DEP_1) | instskip(NEXT) | instid1(VALU_DEP_1)
	v_add3_u32 v1, v2, v9, v1
	v_mov_b32_dpp v2, v1 quad_perm:[1,0,3,2] row_mask:0xf bank_mask:0xf
	s_delay_alu instid0(VALU_DEP_1) | instskip(NEXT) | instid1(VALU_DEP_1)
	v_add_nc_u32_e32 v1, v2, v1
	v_mov_b32_dpp v2, v1 quad_perm:[2,3,0,1] row_mask:0xf bank_mask:0xf
	s_delay_alu instid0(VALU_DEP_1) | instskip(NEXT) | instid1(VALU_DEP_1)
	v_add_nc_u32_e32 v1, v1, v2
	v_mov_b32_dpp v2, v1 row_ror:4 row_mask:0xf bank_mask:0xf
	s_delay_alu instid0(VALU_DEP_1) | instskip(NEXT) | instid1(VALU_DEP_1)
	v_add_nc_u32_e32 v1, v1, v2
	v_mov_b32_dpp v2, v1 row_ror:8 row_mask:0xf bank_mask:0xf
	s_delay_alu instid0(VALU_DEP_1)
	v_add_nc_u32_e32 v1, v1, v2
	ds_swizzle_b32 v2, v1 offset:swizzle(BROADCAST,32,15)
	s_waitcnt lgkmcnt(0)
	v_add_nc_u32_e32 v1, v1, v2
	v_mbcnt_lo_u32_b32 v2, -1, 0
	ds_bpermute_b32 v1, v3, v1 offset:124
	v_cmpx_eq_u32_e32 0, v2
	s_cbranch_execz .LBB710_138
; %bb.137:
	v_lshrrev_b32_e32 v3, 3, v0
	s_delay_alu instid0(VALU_DEP_1)
	v_and_b32_e32 v3, 28, v3
	s_waitcnt lgkmcnt(0)
	ds_store_b32 v3, v1 offset:160
.LBB710_138:
	s_or_b32 exec_lo, exec_lo, s3
	s_delay_alu instid0(SALU_CYCLE_1)
	s_mov_b32 s3, exec_lo
	s_waitcnt lgkmcnt(0)
	s_barrier
	buffer_gl0_inv
	v_cmpx_gt_u32_e32 32, v0
	s_cbranch_execz .LBB710_140
; %bb.139:
	v_and_b32_e32 v1, 7, v2
	s_delay_alu instid0(VALU_DEP_1) | instskip(SKIP_4) | instid1(VALU_DEP_2)
	v_lshlrev_b32_e32 v3, 2, v1
	v_cmp_ne_u32_e32 vcc_lo, 7, v1
	ds_load_b32 v3, v3 offset:160
	v_add_co_ci_u32_e32 v4, vcc_lo, 0, v2, vcc_lo
	v_cmp_gt_u32_e32 vcc_lo, 6, v1
	v_lshlrev_b32_e32 v4, 2, v4
	v_cndmask_b32_e64 v5, 0, 1, vcc_lo
	v_cmp_gt_u32_e32 vcc_lo, 4, v1
	s_delay_alu instid0(VALU_DEP_2) | instskip(SKIP_1) | instid1(VALU_DEP_2)
	v_lshlrev_b32_e32 v5, 1, v5
	v_cndmask_b32_e64 v1, 0, 1, vcc_lo
	v_add_lshl_u32 v5, v5, v2, 2
	s_delay_alu instid0(VALU_DEP_2)
	v_lshlrev_b32_e32 v1, 2, v1
	s_waitcnt lgkmcnt(0)
	ds_bpermute_b32 v4, v4, v3
	v_add_lshl_u32 v1, v1, v2, 2
	s_waitcnt lgkmcnt(0)
	v_add_nc_u32_e32 v3, v4, v3
	ds_bpermute_b32 v4, v5, v3
	s_waitcnt lgkmcnt(0)
	v_add_nc_u32_e32 v3, v4, v3
	ds_bpermute_b32 v1, v1, v3
	s_waitcnt lgkmcnt(0)
	v_add_nc_u32_e32 v1, v1, v3
.LBB710_140:
	s_or_b32 exec_lo, exec_lo, s3
	s_branch .LBB710_165
.LBB710_141:
                                        ; implicit-def: $vgpr1
.LBB710_142:
	s_branch .LBB710_224
.LBB710_143:
                                        ; implicit-def: $vgpr1
	s_cbranch_execz .LBB710_165
; %bb.144:
	s_sub_i32 s10, s18, s2
	s_mov_b32 s2, exec_lo
                                        ; implicit-def: $vgpr1_vgpr2_vgpr3_vgpr4_vgpr5_vgpr6_vgpr7_vgpr8
	v_cmpx_gt_u32_e64 s10, v0
	s_cbranch_execz .LBB710_146
; %bb.145:
	v_lshlrev_b32_e32 v1, 2, v0
	global_load_b32 v1, v1, s[8:9]
.LBB710_146:
	s_or_b32 exec_lo, exec_lo, s2
	v_or_b32_e32 v9, 0x100, v0
	s_delay_alu instid0(VALU_DEP_1)
	v_cmp_gt_u32_e32 vcc_lo, s10, v9
	s_and_saveexec_b32 s2, vcc_lo
	s_cbranch_execz .LBB710_148
; %bb.147:
	v_lshlrev_b32_e32 v2, 2, v0
	global_load_b32 v2, v2, s[8:9] offset:1024
.LBB710_148:
	s_or_b32 exec_lo, exec_lo, s2
	v_or_b32_e32 v9, 0x200, v0
	s_delay_alu instid0(VALU_DEP_1) | instskip(NEXT) | instid1(VALU_DEP_1)
	v_cmp_gt_u32_e64 s2, s10, v9
	s_and_saveexec_b32 s3, s2
	s_cbranch_execz .LBB710_150
; %bb.149:
	v_lshlrev_b32_e32 v3, 2, v0
	global_load_b32 v3, v3, s[8:9] offset:2048
.LBB710_150:
	s_or_b32 exec_lo, exec_lo, s3
	v_or_b32_e32 v9, 0x300, v0
	s_delay_alu instid0(VALU_DEP_1) | instskip(NEXT) | instid1(VALU_DEP_1)
	v_cmp_gt_u32_e64 s3, s10, v9
	s_and_saveexec_b32 s4, s3
	;; [unrolled: 10-line block ×3, first 2 shown]
	s_cbranch_execz .LBB710_154
; %bb.153:
	v_lshlrev_b32_e32 v5, 2, v9
	global_load_b32 v5, v5, s[8:9]
.LBB710_154:
	s_or_b32 exec_lo, exec_lo, s5
	v_or_b32_e32 v9, 0x500, v0
	s_delay_alu instid0(VALU_DEP_1) | instskip(NEXT) | instid1(VALU_DEP_1)
	v_cmp_gt_u32_e64 s5, s10, v9
	s_and_saveexec_b32 s6, s5
	s_cbranch_execz .LBB710_156
; %bb.155:
	v_lshlrev_b32_e32 v6, 2, v9
	global_load_b32 v6, v6, s[8:9]
.LBB710_156:
	s_or_b32 exec_lo, exec_lo, s6
	v_or_b32_e32 v9, 0x600, v0
	s_delay_alu instid0(VALU_DEP_1) | instskip(NEXT) | instid1(VALU_DEP_1)
	v_cmp_gt_u32_e64 s6, s10, v9
	s_and_saveexec_b32 s7, s6
	;; [unrolled: 10-line block ×3, first 2 shown]
	s_cbranch_execz .LBB710_160
; %bb.159:
	v_lshlrev_b32_e32 v8, 2, v9
	global_load_b32 v8, v8, s[8:9]
.LBB710_160:
	s_or_b32 exec_lo, exec_lo, s11
	s_waitcnt vmcnt(0)
	v_cndmask_b32_e32 v2, 0, v2, vcc_lo
	v_cndmask_b32_e64 v3, 0, v3, s2
	v_cndmask_b32_e64 v4, 0, v4, s3
	;; [unrolled: 1-line block ×4, first 2 shown]
	v_add_nc_u32_e32 v1, v2, v1
	v_mbcnt_lo_u32_b32 v2, -1, 0
	v_cndmask_b32_e64 v7, 0, v7, s6
	s_min_u32 s2, s10, 0x100
	s_mov_b32 s3, exec_lo
	v_add3_u32 v1, v1, v3, v4
	v_cmp_ne_u32_e32 vcc_lo, 31, v2
	v_cndmask_b32_e64 v3, 0, v8, s7
	s_delay_alu instid0(VALU_DEP_3) | instskip(SKIP_3) | instid1(VALU_DEP_4)
	v_add3_u32 v1, v1, v5, v6
	v_add_co_ci_u32_e32 v4, vcc_lo, 0, v2, vcc_lo
	v_cmp_gt_u32_e32 vcc_lo, 30, v2
	v_add_nc_u32_e32 v6, 1, v2
	v_add3_u32 v1, v1, v7, v3
	s_delay_alu instid0(VALU_DEP_4) | instskip(SKIP_4) | instid1(VALU_DEP_2)
	v_lshlrev_b32_e32 v4, 2, v4
	v_cndmask_b32_e64 v5, 0, 1, vcc_lo
	ds_bpermute_b32 v3, v4, v1
	v_and_b32_e32 v4, 0xe0, v0
	v_lshlrev_b32_e32 v5, 1, v5
	v_sub_nc_u32_e64 v4, s2, v4 clamp
	s_delay_alu instid0(VALU_DEP_2) | instskip(NEXT) | instid1(VALU_DEP_2)
	v_add_lshl_u32 v5, v5, v2, 2
	v_cmp_lt_u32_e32 vcc_lo, v6, v4
	s_waitcnt lgkmcnt(0)
	v_dual_cndmask_b32 v3, 0, v3 :: v_dual_add_nc_u32 v6, 2, v2
	v_cmp_gt_u32_e32 vcc_lo, 28, v2
	s_delay_alu instid0(VALU_DEP_2) | instskip(SKIP_4) | instid1(VALU_DEP_3)
	v_add_nc_u32_e32 v1, v1, v3
	ds_bpermute_b32 v3, v5, v1
	v_cndmask_b32_e64 v5, 0, 1, vcc_lo
	v_cmp_lt_u32_e32 vcc_lo, v6, v4
	v_add_nc_u32_e32 v6, 4, v2
	v_lshlrev_b32_e32 v5, 2, v5
	s_delay_alu instid0(VALU_DEP_1) | instskip(SKIP_3) | instid1(VALU_DEP_2)
	v_add_lshl_u32 v5, v5, v2, 2
	s_waitcnt lgkmcnt(0)
	v_cndmask_b32_e32 v3, 0, v3, vcc_lo
	v_cmp_gt_u32_e32 vcc_lo, 24, v2
	v_add_nc_u32_e32 v1, v1, v3
	ds_bpermute_b32 v3, v5, v1
	v_cndmask_b32_e64 v5, 0, 1, vcc_lo
	v_cmp_lt_u32_e32 vcc_lo, v6, v4
	v_add_nc_u32_e32 v6, 8, v2
	s_delay_alu instid0(VALU_DEP_3) | instskip(NEXT) | instid1(VALU_DEP_1)
	v_lshlrev_b32_e32 v5, 3, v5
	v_add_lshl_u32 v5, v5, v2, 2
	s_waitcnt lgkmcnt(0)
	v_cndmask_b32_e32 v3, 0, v3, vcc_lo
	v_cmp_gt_u32_e32 vcc_lo, 16, v2
	s_delay_alu instid0(VALU_DEP_2) | instskip(SKIP_3) | instid1(VALU_DEP_2)
	v_add_nc_u32_e32 v1, v1, v3
	ds_bpermute_b32 v3, v5, v1
	v_cndmask_b32_e64 v5, 0, 1, vcc_lo
	v_cmp_lt_u32_e32 vcc_lo, v6, v4
	v_lshlrev_b32_e32 v5, 4, v5
	s_delay_alu instid0(VALU_DEP_1) | instskip(SKIP_2) | instid1(VALU_DEP_1)
	v_add_lshl_u32 v5, v5, v2, 2
	s_waitcnt lgkmcnt(0)
	v_cndmask_b32_e32 v3, 0, v3, vcc_lo
	v_add_nc_u32_e32 v1, v1, v3
	ds_bpermute_b32 v3, v5, v1
	v_add_nc_u32_e32 v5, 16, v2
	s_delay_alu instid0(VALU_DEP_1) | instskip(SKIP_2) | instid1(VALU_DEP_1)
	v_cmp_lt_u32_e32 vcc_lo, v5, v4
	s_waitcnt lgkmcnt(0)
	v_cndmask_b32_e32 v3, 0, v3, vcc_lo
	v_add_nc_u32_e32 v1, v1, v3
	v_cmpx_eq_u32_e32 0, v2
	s_cbranch_execz .LBB710_162
; %bb.161:
	v_lshrrev_b32_e32 v3, 3, v0
	s_delay_alu instid0(VALU_DEP_1)
	v_and_b32_e32 v3, 28, v3
	ds_store_b32 v3, v1 offset:192
.LBB710_162:
	s_or_b32 exec_lo, exec_lo, s3
	s_delay_alu instid0(SALU_CYCLE_1)
	s_mov_b32 s3, exec_lo
	s_waitcnt lgkmcnt(0)
	s_barrier
	buffer_gl0_inv
	v_cmpx_gt_u32_e32 8, v0
	s_cbranch_execz .LBB710_164
; %bb.163:
	v_and_b32_e32 v3, 7, v2
	s_add_i32 s2, s2, 31
	s_delay_alu instid0(SALU_CYCLE_1) | instskip(NEXT) | instid1(VALU_DEP_1)
	s_lshr_b32 s2, s2, 5
	v_cmp_ne_u32_e32 vcc_lo, 7, v3
	v_add_nc_u32_e32 v6, 1, v3
	v_add_co_ci_u32_e32 v4, vcc_lo, 0, v2, vcc_lo
	v_cmp_gt_u32_e32 vcc_lo, 6, v3
	s_delay_alu instid0(VALU_DEP_2) | instskip(SKIP_3) | instid1(VALU_DEP_3)
	v_lshlrev_b32_e32 v4, 2, v4
	v_cndmask_b32_e64 v5, 0, 1, vcc_lo
	v_cmp_gt_u32_e32 vcc_lo, s2, v6
	v_lshlrev_b32_e32 v1, 2, v2
	v_lshlrev_b32_e32 v5, 1, v5
	ds_load_b32 v1, v1 offset:192
	v_add_lshl_u32 v5, v5, v2, 2
	s_waitcnt lgkmcnt(0)
	ds_bpermute_b32 v4, v4, v1
	s_waitcnt lgkmcnt(0)
	v_cndmask_b32_e32 v4, 0, v4, vcc_lo
	v_cmp_gt_u32_e32 vcc_lo, 4, v3
	s_delay_alu instid0(VALU_DEP_2) | instskip(SKIP_3) | instid1(VALU_DEP_1)
	v_add_nc_u32_e32 v1, v4, v1
	v_cndmask_b32_e64 v6, 0, 1, vcc_lo
	ds_bpermute_b32 v4, v5, v1
	v_add_nc_u32_e32 v5, 2, v3
	v_cmp_gt_u32_e32 vcc_lo, s2, v5
	v_lshlrev_b32_e32 v5, 2, v6
	s_delay_alu instid0(VALU_DEP_1) | instskip(SKIP_2) | instid1(VALU_DEP_1)
	v_add_lshl_u32 v2, v5, v2, 2
	s_waitcnt lgkmcnt(0)
	v_dual_cndmask_b32 v4, 0, v4 :: v_dual_add_nc_u32 v3, 4, v3
	v_add_nc_u32_e32 v1, v1, v4
	s_delay_alu instid0(VALU_DEP_2) | instskip(SKIP_3) | instid1(VALU_DEP_1)
	v_cmp_gt_u32_e32 vcc_lo, s2, v3
	ds_bpermute_b32 v2, v2, v1
	s_waitcnt lgkmcnt(0)
	v_cndmask_b32_e32 v2, 0, v2, vcc_lo
	v_add_nc_u32_e32 v1, v1, v2
.LBB710_164:
	s_or_b32 exec_lo, exec_lo, s3
.LBB710_165:
	v_cmp_eq_u32_e64 s2, 0, v0
	s_branch .LBB710_224
.LBB710_166:
	s_cmp_gt_i32 s24, 1
	s_cbranch_scc0 .LBB710_175
; %bb.167:
	s_cmp_gt_i32 s24, 3
	s_cbranch_scc0 .LBB710_176
; %bb.168:
	s_cmp_eq_u32 s24, 4
	s_cbranch_scc0 .LBB710_177
; %bb.169:
	s_mov_b32 s21, 0
	s_lshl_b32 s2, s20, 10
	s_mov_b32 s3, s21
	s_lshr_b64 s[6:7], s[18:19], 10
	s_lshl_b64 s[4:5], s[2:3], 2
	s_delay_alu instid0(SALU_CYCLE_1)
	s_add_u32 s4, s16, s4
	s_addc_u32 s5, s17, s5
	s_cmp_lg_u64 s[6:7], s[20:21]
	s_cbranch_scc0 .LBB710_179
; %bb.170:
	v_lshlrev_b32_e32 v1, 2, v0
	s_mov_b32 s3, exec_lo
	s_clause 0x3
	global_load_b32 v2, v1, s[4:5]
	global_load_b32 v3, v1, s[4:5] offset:1024
	global_load_b32 v4, v1, s[4:5] offset:2048
	;; [unrolled: 1-line block ×3, first 2 shown]
	s_waitcnt vmcnt(2)
	v_add_nc_u32_e32 v2, v3, v2
	s_waitcnt vmcnt(0)
	s_delay_alu instid0(VALU_DEP_1) | instskip(NEXT) | instid1(VALU_DEP_1)
	v_add3_u32 v1, v2, v4, v1
	v_mov_b32_dpp v2, v1 quad_perm:[1,0,3,2] row_mask:0xf bank_mask:0xf
	s_delay_alu instid0(VALU_DEP_1) | instskip(NEXT) | instid1(VALU_DEP_1)
	v_add_nc_u32_e32 v1, v2, v1
	v_mov_b32_dpp v2, v1 quad_perm:[2,3,0,1] row_mask:0xf bank_mask:0xf
	s_delay_alu instid0(VALU_DEP_1) | instskip(NEXT) | instid1(VALU_DEP_1)
	v_add_nc_u32_e32 v1, v1, v2
	v_mov_b32_dpp v2, v1 row_ror:4 row_mask:0xf bank_mask:0xf
	s_delay_alu instid0(VALU_DEP_1) | instskip(NEXT) | instid1(VALU_DEP_1)
	v_add_nc_u32_e32 v1, v1, v2
	v_mov_b32_dpp v2, v1 row_ror:8 row_mask:0xf bank_mask:0xf
	s_delay_alu instid0(VALU_DEP_1)
	v_add_nc_u32_e32 v1, v1, v2
	ds_swizzle_b32 v2, v1 offset:swizzle(BROADCAST,32,15)
	s_waitcnt lgkmcnt(0)
	v_dual_mov_b32 v2, 0 :: v_dual_add_nc_u32 v1, v1, v2
	ds_bpermute_b32 v1, v2, v1 offset:124
	v_mbcnt_lo_u32_b32 v2, -1, 0
	s_delay_alu instid0(VALU_DEP_1)
	v_cmpx_eq_u32_e32 0, v2
	s_cbranch_execz .LBB710_172
; %bb.171:
	v_lshrrev_b32_e32 v3, 3, v0
	s_delay_alu instid0(VALU_DEP_1)
	v_and_b32_e32 v3, 28, v3
	s_waitcnt lgkmcnt(0)
	ds_store_b32 v3, v1 offset:128
.LBB710_172:
	s_or_b32 exec_lo, exec_lo, s3
	s_delay_alu instid0(SALU_CYCLE_1)
	s_mov_b32 s3, exec_lo
	s_waitcnt lgkmcnt(0)
	s_barrier
	buffer_gl0_inv
	v_cmpx_gt_u32_e32 32, v0
	s_cbranch_execz .LBB710_174
; %bb.173:
	v_and_b32_e32 v1, 7, v2
	s_delay_alu instid0(VALU_DEP_1) | instskip(SKIP_4) | instid1(VALU_DEP_2)
	v_lshlrev_b32_e32 v3, 2, v1
	v_cmp_ne_u32_e32 vcc_lo, 7, v1
	ds_load_b32 v3, v3 offset:128
	v_add_co_ci_u32_e32 v4, vcc_lo, 0, v2, vcc_lo
	v_cmp_gt_u32_e32 vcc_lo, 6, v1
	v_lshlrev_b32_e32 v4, 2, v4
	v_cndmask_b32_e64 v5, 0, 1, vcc_lo
	v_cmp_gt_u32_e32 vcc_lo, 4, v1
	s_delay_alu instid0(VALU_DEP_2) | instskip(SKIP_1) | instid1(VALU_DEP_2)
	v_lshlrev_b32_e32 v5, 1, v5
	v_cndmask_b32_e64 v1, 0, 1, vcc_lo
	v_add_lshl_u32 v5, v5, v2, 2
	s_delay_alu instid0(VALU_DEP_2)
	v_lshlrev_b32_e32 v1, 2, v1
	s_waitcnt lgkmcnt(0)
	ds_bpermute_b32 v4, v4, v3
	v_add_lshl_u32 v1, v1, v2, 2
	s_waitcnt lgkmcnt(0)
	v_add_nc_u32_e32 v3, v4, v3
	ds_bpermute_b32 v4, v5, v3
	s_waitcnt lgkmcnt(0)
	v_add_nc_u32_e32 v3, v4, v3
	ds_bpermute_b32 v1, v1, v3
	s_waitcnt lgkmcnt(0)
	v_add_nc_u32_e32 v1, v1, v3
.LBB710_174:
	s_or_b32 exec_lo, exec_lo, s3
	s_mov_b32 s3, 0
	s_branch .LBB710_180
.LBB710_175:
                                        ; implicit-def: $vgpr1
	s_cbranch_execnz .LBB710_215
	s_branch .LBB710_224
.LBB710_176:
                                        ; implicit-def: $vgpr1
	s_cbranch_execz .LBB710_178
	s_branch .LBB710_195
.LBB710_177:
                                        ; implicit-def: $vgpr1
.LBB710_178:
	s_branch .LBB710_224
.LBB710_179:
	s_mov_b32 s3, -1
                                        ; implicit-def: $vgpr1
.LBB710_180:
	s_delay_alu instid0(SALU_CYCLE_1)
	s_and_b32 vcc_lo, exec_lo, s3
	s_cbranch_vccz .LBB710_194
; %bb.181:
	s_sub_i32 s6, s18, s2
	s_mov_b32 s2, exec_lo
                                        ; implicit-def: $vgpr1_vgpr2_vgpr3_vgpr4
	v_cmpx_gt_u32_e64 s6, v0
	s_cbranch_execz .LBB710_183
; %bb.182:
	v_lshlrev_b32_e32 v1, 2, v0
	global_load_b32 v1, v1, s[4:5]
.LBB710_183:
	s_or_b32 exec_lo, exec_lo, s2
	v_or_b32_e32 v5, 0x100, v0
	s_delay_alu instid0(VALU_DEP_1)
	v_cmp_gt_u32_e32 vcc_lo, s6, v5
	s_and_saveexec_b32 s2, vcc_lo
	s_cbranch_execz .LBB710_185
; %bb.184:
	v_lshlrev_b32_e32 v2, 2, v0
	global_load_b32 v2, v2, s[4:5] offset:1024
.LBB710_185:
	s_or_b32 exec_lo, exec_lo, s2
	v_or_b32_e32 v5, 0x200, v0
	s_delay_alu instid0(VALU_DEP_1) | instskip(NEXT) | instid1(VALU_DEP_1)
	v_cmp_gt_u32_e64 s2, s6, v5
	s_and_saveexec_b32 s3, s2
	s_cbranch_execz .LBB710_187
; %bb.186:
	v_lshlrev_b32_e32 v3, 2, v0
	global_load_b32 v3, v3, s[4:5] offset:2048
.LBB710_187:
	s_or_b32 exec_lo, exec_lo, s3
	v_or_b32_e32 v5, 0x300, v0
	s_delay_alu instid0(VALU_DEP_1) | instskip(NEXT) | instid1(VALU_DEP_1)
	v_cmp_gt_u32_e64 s3, s6, v5
	s_and_saveexec_b32 s7, s3
	s_cbranch_execz .LBB710_189
; %bb.188:
	v_lshlrev_b32_e32 v4, 2, v0
	global_load_b32 v4, v4, s[4:5] offset:3072
.LBB710_189:
	s_or_b32 exec_lo, exec_lo, s7
	s_waitcnt vmcnt(0)
	v_cndmask_b32_e32 v5, 0, v2, vcc_lo
	v_mbcnt_lo_u32_b32 v2, -1, 0
	v_cndmask_b32_e64 v3, 0, v3, s2
	v_cndmask_b32_e64 v4, 0, v4, s3
	s_min_u32 s2, s6, 0x100
	v_add_nc_u32_e32 v1, v5, v1
	v_cmp_ne_u32_e32 vcc_lo, 31, v2
	s_mov_b32 s3, exec_lo
	s_delay_alu instid0(VALU_DEP_2) | instskip(SKIP_3) | instid1(VALU_DEP_3)
	v_add3_u32 v1, v1, v3, v4
	v_and_b32_e32 v4, 0xe0, v0
	v_add_co_ci_u32_e32 v5, vcc_lo, 0, v2, vcc_lo
	v_cmp_gt_u32_e32 vcc_lo, 30, v2
	v_sub_nc_u32_e64 v4, s2, v4 clamp
	s_delay_alu instid0(VALU_DEP_3) | instskip(SKIP_4) | instid1(VALU_DEP_2)
	v_lshlrev_b32_e32 v3, 2, v5
	v_cndmask_b32_e64 v5, 0, 1, vcc_lo
	ds_bpermute_b32 v3, v3, v1
	v_add_nc_u32_e32 v6, 1, v2
	v_lshlrev_b32_e32 v5, 1, v5
	v_cmp_lt_u32_e32 vcc_lo, v6, v4
	s_delay_alu instid0(VALU_DEP_2) | instskip(SKIP_3) | instid1(VALU_DEP_2)
	v_add_lshl_u32 v5, v5, v2, 2
	s_waitcnt lgkmcnt(0)
	v_cndmask_b32_e32 v3, 0, v3, vcc_lo
	v_cmp_gt_u32_e32 vcc_lo, 28, v2
	v_add_nc_u32_e32 v1, v3, v1
	ds_bpermute_b32 v3, v5, v1
	v_add_nc_u32_e32 v6, 2, v2
	v_cndmask_b32_e64 v5, 0, 1, vcc_lo
	s_delay_alu instid0(VALU_DEP_2) | instskip(NEXT) | instid1(VALU_DEP_2)
	v_cmp_lt_u32_e32 vcc_lo, v6, v4
	v_lshlrev_b32_e32 v5, 2, v5
	s_delay_alu instid0(VALU_DEP_1) | instskip(SKIP_3) | instid1(VALU_DEP_2)
	v_add_lshl_u32 v5, v5, v2, 2
	s_waitcnt lgkmcnt(0)
	v_cndmask_b32_e32 v3, 0, v3, vcc_lo
	v_cmp_gt_u32_e32 vcc_lo, 24, v2
	v_add_nc_u32_e32 v1, v1, v3
	ds_bpermute_b32 v3, v5, v1
	v_add_nc_u32_e32 v6, 4, v2
	v_cndmask_b32_e64 v5, 0, 1, vcc_lo
	s_delay_alu instid0(VALU_DEP_2) | instskip(NEXT) | instid1(VALU_DEP_2)
	v_cmp_lt_u32_e32 vcc_lo, v6, v4
	v_lshlrev_b32_e32 v5, 3, v5
	s_delay_alu instid0(VALU_DEP_1) | instskip(SKIP_3) | instid1(VALU_DEP_2)
	v_add_lshl_u32 v5, v5, v2, 2
	s_waitcnt lgkmcnt(0)
	v_cndmask_b32_e32 v3, 0, v3, vcc_lo
	v_cmp_gt_u32_e32 vcc_lo, 16, v2
	v_add_nc_u32_e32 v1, v1, v3
	ds_bpermute_b32 v3, v5, v1
	v_add_nc_u32_e32 v6, 8, v2
	v_cndmask_b32_e64 v5, 0, 1, vcc_lo
	s_delay_alu instid0(VALU_DEP_2) | instskip(NEXT) | instid1(VALU_DEP_2)
	v_cmp_lt_u32_e32 vcc_lo, v6, v4
	v_lshlrev_b32_e32 v5, 4, v5
	s_delay_alu instid0(VALU_DEP_1) | instskip(SKIP_2) | instid1(VALU_DEP_1)
	v_add_lshl_u32 v5, v5, v2, 2
	s_waitcnt lgkmcnt(0)
	v_cndmask_b32_e32 v3, 0, v3, vcc_lo
	v_add_nc_u32_e32 v1, v1, v3
	ds_bpermute_b32 v3, v5, v1
	v_add_nc_u32_e32 v5, 16, v2
	s_delay_alu instid0(VALU_DEP_1) | instskip(SKIP_2) | instid1(VALU_DEP_1)
	v_cmp_lt_u32_e32 vcc_lo, v5, v4
	s_waitcnt lgkmcnt(0)
	v_cndmask_b32_e32 v3, 0, v3, vcc_lo
	v_add_nc_u32_e32 v1, v1, v3
	v_cmpx_eq_u32_e32 0, v2
	s_cbranch_execz .LBB710_191
; %bb.190:
	v_lshrrev_b32_e32 v3, 3, v0
	s_delay_alu instid0(VALU_DEP_1)
	v_and_b32_e32 v3, 28, v3
	ds_store_b32 v3, v1 offset:192
.LBB710_191:
	s_or_b32 exec_lo, exec_lo, s3
	s_delay_alu instid0(SALU_CYCLE_1)
	s_mov_b32 s3, exec_lo
	s_waitcnt lgkmcnt(0)
	s_barrier
	buffer_gl0_inv
	v_cmpx_gt_u32_e32 8, v0
	s_cbranch_execz .LBB710_193
; %bb.192:
	v_and_b32_e32 v3, 7, v2
	s_add_i32 s2, s2, 31
	s_delay_alu instid0(SALU_CYCLE_1) | instskip(NEXT) | instid1(VALU_DEP_1)
	s_lshr_b32 s2, s2, 5
	v_cmp_ne_u32_e32 vcc_lo, 7, v3
	v_add_nc_u32_e32 v6, 1, v3
	v_add_co_ci_u32_e32 v4, vcc_lo, 0, v2, vcc_lo
	v_cmp_gt_u32_e32 vcc_lo, 6, v3
	s_delay_alu instid0(VALU_DEP_2) | instskip(SKIP_3) | instid1(VALU_DEP_3)
	v_lshlrev_b32_e32 v4, 2, v4
	v_cndmask_b32_e64 v5, 0, 1, vcc_lo
	v_cmp_gt_u32_e32 vcc_lo, s2, v6
	v_lshlrev_b32_e32 v1, 2, v2
	v_lshlrev_b32_e32 v5, 1, v5
	ds_load_b32 v1, v1 offset:192
	v_add_lshl_u32 v5, v5, v2, 2
	s_waitcnt lgkmcnt(0)
	ds_bpermute_b32 v4, v4, v1
	s_waitcnt lgkmcnt(0)
	v_cndmask_b32_e32 v4, 0, v4, vcc_lo
	v_cmp_gt_u32_e32 vcc_lo, 4, v3
	s_delay_alu instid0(VALU_DEP_2) | instskip(SKIP_3) | instid1(VALU_DEP_1)
	v_add_nc_u32_e32 v1, v4, v1
	v_cndmask_b32_e64 v6, 0, 1, vcc_lo
	ds_bpermute_b32 v4, v5, v1
	v_add_nc_u32_e32 v5, 2, v3
	v_cmp_gt_u32_e32 vcc_lo, s2, v5
	v_lshlrev_b32_e32 v5, 2, v6
	s_delay_alu instid0(VALU_DEP_1) | instskip(SKIP_2) | instid1(VALU_DEP_1)
	v_add_lshl_u32 v2, v5, v2, 2
	s_waitcnt lgkmcnt(0)
	v_dual_cndmask_b32 v4, 0, v4 :: v_dual_add_nc_u32 v3, 4, v3
	v_add_nc_u32_e32 v1, v1, v4
	s_delay_alu instid0(VALU_DEP_2) | instskip(SKIP_3) | instid1(VALU_DEP_1)
	v_cmp_gt_u32_e32 vcc_lo, s2, v3
	ds_bpermute_b32 v2, v2, v1
	s_waitcnt lgkmcnt(0)
	v_cndmask_b32_e32 v2, 0, v2, vcc_lo
	v_add_nc_u32_e32 v1, v1, v2
.LBB710_193:
	s_or_b32 exec_lo, exec_lo, s3
.LBB710_194:
	v_cmp_eq_u32_e64 s2, 0, v0
	s_branch .LBB710_178
.LBB710_195:
	s_cmp_eq_u32 s24, 2
	s_cbranch_scc0 .LBB710_202
; %bb.196:
	s_mov_b32 s21, 0
	s_lshl_b32 s4, s20, 9
	s_mov_b32 s5, s21
	s_lshr_b64 s[6:7], s[18:19], 9
	s_lshl_b64 s[2:3], s[4:5], 2
	s_delay_alu instid0(SALU_CYCLE_1)
	s_add_u32 s2, s16, s2
	s_addc_u32 s3, s17, s3
	s_cmp_lg_u64 s[6:7], s[20:21]
	s_cbranch_scc0 .LBB710_203
; %bb.197:
	v_lshlrev_b32_e32 v1, 2, v0
	s_mov_b32 s5, exec_lo
	s_clause 0x1
	global_load_b32 v2, v1, s[2:3]
	global_load_b32 v1, v1, s[2:3] offset:1024
	s_waitcnt vmcnt(0)
	v_add_nc_u32_e32 v1, v1, v2
	s_delay_alu instid0(VALU_DEP_1) | instskip(NEXT) | instid1(VALU_DEP_1)
	v_mov_b32_dpp v2, v1 quad_perm:[1,0,3,2] row_mask:0xf bank_mask:0xf
	v_add_nc_u32_e32 v1, v2, v1
	s_delay_alu instid0(VALU_DEP_1) | instskip(NEXT) | instid1(VALU_DEP_1)
	v_mov_b32_dpp v2, v1 quad_perm:[2,3,0,1] row_mask:0xf bank_mask:0xf
	v_add_nc_u32_e32 v1, v1, v2
	s_delay_alu instid0(VALU_DEP_1) | instskip(NEXT) | instid1(VALU_DEP_1)
	v_mov_b32_dpp v2, v1 row_ror:4 row_mask:0xf bank_mask:0xf
	v_add_nc_u32_e32 v1, v1, v2
	s_delay_alu instid0(VALU_DEP_1) | instskip(NEXT) | instid1(VALU_DEP_1)
	v_mov_b32_dpp v2, v1 row_ror:8 row_mask:0xf bank_mask:0xf
	v_add_nc_u32_e32 v1, v1, v2
	ds_swizzle_b32 v2, v1 offset:swizzle(BROADCAST,32,15)
	s_waitcnt lgkmcnt(0)
	v_dual_mov_b32 v2, 0 :: v_dual_add_nc_u32 v1, v1, v2
	ds_bpermute_b32 v1, v2, v1 offset:124
	v_mbcnt_lo_u32_b32 v2, -1, 0
	s_delay_alu instid0(VALU_DEP_1)
	v_cmpx_eq_u32_e32 0, v2
	s_cbranch_execz .LBB710_199
; %bb.198:
	v_lshrrev_b32_e32 v3, 3, v0
	s_delay_alu instid0(VALU_DEP_1)
	v_and_b32_e32 v3, 28, v3
	s_waitcnt lgkmcnt(0)
	ds_store_b32 v3, v1 offset:64
.LBB710_199:
	s_or_b32 exec_lo, exec_lo, s5
	s_delay_alu instid0(SALU_CYCLE_1)
	s_mov_b32 s5, exec_lo
	s_waitcnt lgkmcnt(0)
	s_barrier
	buffer_gl0_inv
	v_cmpx_gt_u32_e32 32, v0
	s_cbranch_execz .LBB710_201
; %bb.200:
	v_and_b32_e32 v1, 7, v2
	s_delay_alu instid0(VALU_DEP_1) | instskip(SKIP_4) | instid1(VALU_DEP_2)
	v_lshlrev_b32_e32 v3, 2, v1
	v_cmp_ne_u32_e32 vcc_lo, 7, v1
	ds_load_b32 v3, v3 offset:64
	v_add_co_ci_u32_e32 v4, vcc_lo, 0, v2, vcc_lo
	v_cmp_gt_u32_e32 vcc_lo, 6, v1
	v_lshlrev_b32_e32 v4, 2, v4
	v_cndmask_b32_e64 v5, 0, 1, vcc_lo
	v_cmp_gt_u32_e32 vcc_lo, 4, v1
	s_delay_alu instid0(VALU_DEP_2) | instskip(SKIP_1) | instid1(VALU_DEP_2)
	v_lshlrev_b32_e32 v5, 1, v5
	v_cndmask_b32_e64 v1, 0, 1, vcc_lo
	v_add_lshl_u32 v5, v5, v2, 2
	s_delay_alu instid0(VALU_DEP_2)
	v_lshlrev_b32_e32 v1, 2, v1
	s_waitcnt lgkmcnt(0)
	ds_bpermute_b32 v4, v4, v3
	v_add_lshl_u32 v1, v1, v2, 2
	s_waitcnt lgkmcnt(0)
	v_add_nc_u32_e32 v3, v4, v3
	ds_bpermute_b32 v4, v5, v3
	s_waitcnt lgkmcnt(0)
	v_add_nc_u32_e32 v3, v4, v3
	ds_bpermute_b32 v1, v1, v3
	s_waitcnt lgkmcnt(0)
	v_add_nc_u32_e32 v1, v1, v3
.LBB710_201:
	s_or_b32 exec_lo, exec_lo, s5
	s_mov_b32 s5, 0
	s_branch .LBB710_204
.LBB710_202:
                                        ; implicit-def: $vgpr1
	s_branch .LBB710_224
.LBB710_203:
	s_mov_b32 s5, -1
                                        ; implicit-def: $vgpr1
.LBB710_204:
	s_delay_alu instid0(SALU_CYCLE_1)
	s_and_b32 vcc_lo, exec_lo, s5
	s_cbranch_vccz .LBB710_214
; %bb.205:
	s_sub_i32 s4, s18, s4
	s_mov_b32 s5, exec_lo
                                        ; implicit-def: $vgpr1_vgpr2
	v_cmpx_gt_u32_e64 s4, v0
	s_cbranch_execz .LBB710_207
; %bb.206:
	v_lshlrev_b32_e32 v1, 2, v0
	global_load_b32 v1, v1, s[2:3]
.LBB710_207:
	s_or_b32 exec_lo, exec_lo, s5
	v_or_b32_e32 v3, 0x100, v0
	s_delay_alu instid0(VALU_DEP_1)
	v_cmp_gt_u32_e32 vcc_lo, s4, v3
	s_and_saveexec_b32 s5, vcc_lo
	s_cbranch_execz .LBB710_209
; %bb.208:
	v_lshlrev_b32_e32 v2, 2, v0
	global_load_b32 v2, v2, s[2:3] offset:1024
.LBB710_209:
	s_or_b32 exec_lo, exec_lo, s5
	v_mbcnt_lo_u32_b32 v3, -1, 0
	s_waitcnt vmcnt(0)
	v_cndmask_b32_e32 v2, 0, v2, vcc_lo
	s_min_u32 s2, s4, 0x100
	s_mov_b32 s3, exec_lo
	v_cmp_ne_u32_e32 vcc_lo, 31, v3
	v_add_nc_u32_e32 v6, 1, v3
	v_add_co_ci_u32_e32 v4, vcc_lo, 0, v3, vcc_lo
	v_cmp_gt_u32_e32 vcc_lo, 30, v3
	v_cndmask_b32_e64 v5, 0, 1, vcc_lo
	s_delay_alu instid0(VALU_DEP_1) | instskip(SKIP_3) | instid1(VALU_DEP_4)
	v_lshlrev_b32_e32 v5, 1, v5
	v_add_nc_u32_e32 v1, v2, v1
	v_lshlrev_b32_e32 v2, 2, v4
	v_and_b32_e32 v4, 0xe0, v0
	v_add_lshl_u32 v5, v5, v3, 2
	ds_bpermute_b32 v2, v2, v1
	v_sub_nc_u32_e64 v4, s2, v4 clamp
	s_delay_alu instid0(VALU_DEP_1) | instskip(SKIP_4) | instid1(VALU_DEP_2)
	v_cmp_lt_u32_e32 vcc_lo, v6, v4
	v_add_nc_u32_e32 v6, 2, v3
	s_waitcnt lgkmcnt(0)
	v_cndmask_b32_e32 v2, 0, v2, vcc_lo
	v_cmp_gt_u32_e32 vcc_lo, 28, v3
	v_add_nc_u32_e32 v1, v2, v1
	ds_bpermute_b32 v2, v5, v1
	v_cndmask_b32_e64 v5, 0, 1, vcc_lo
	v_cmp_lt_u32_e32 vcc_lo, v6, v4
	v_add_nc_u32_e32 v6, 4, v3
	s_delay_alu instid0(VALU_DEP_3) | instskip(NEXT) | instid1(VALU_DEP_1)
	v_lshlrev_b32_e32 v5, 2, v5
	v_add_lshl_u32 v5, v5, v3, 2
	s_waitcnt lgkmcnt(0)
	v_cndmask_b32_e32 v2, 0, v2, vcc_lo
	v_cmp_gt_u32_e32 vcc_lo, 24, v3
	s_delay_alu instid0(VALU_DEP_2) | instskip(SKIP_4) | instid1(VALU_DEP_3)
	v_add_nc_u32_e32 v1, v1, v2
	ds_bpermute_b32 v2, v5, v1
	v_cndmask_b32_e64 v5, 0, 1, vcc_lo
	v_cmp_lt_u32_e32 vcc_lo, v6, v4
	v_add_nc_u32_e32 v6, 8, v3
	v_lshlrev_b32_e32 v5, 3, v5
	s_delay_alu instid0(VALU_DEP_1) | instskip(SKIP_3) | instid1(VALU_DEP_2)
	v_add_lshl_u32 v5, v5, v3, 2
	s_waitcnt lgkmcnt(0)
	v_cndmask_b32_e32 v2, 0, v2, vcc_lo
	v_cmp_gt_u32_e32 vcc_lo, 16, v3
	v_add_nc_u32_e32 v1, v1, v2
	ds_bpermute_b32 v2, v5, v1
	v_cndmask_b32_e64 v5, 0, 1, vcc_lo
	v_cmp_lt_u32_e32 vcc_lo, v6, v4
	s_delay_alu instid0(VALU_DEP_2) | instskip(NEXT) | instid1(VALU_DEP_1)
	v_lshlrev_b32_e32 v5, 4, v5
	v_add_lshl_u32 v5, v5, v3, 2
	s_waitcnt lgkmcnt(0)
	v_cndmask_b32_e32 v2, 0, v2, vcc_lo
	s_delay_alu instid0(VALU_DEP_1) | instskip(SKIP_2) | instid1(VALU_DEP_1)
	v_add_nc_u32_e32 v1, v1, v2
	ds_bpermute_b32 v2, v5, v1
	v_add_nc_u32_e32 v5, 16, v3
	v_cmp_lt_u32_e32 vcc_lo, v5, v4
	s_waitcnt lgkmcnt(0)
	v_cndmask_b32_e32 v2, 0, v2, vcc_lo
	s_delay_alu instid0(VALU_DEP_1)
	v_add_nc_u32_e32 v1, v1, v2
	v_cmpx_eq_u32_e32 0, v3
	s_cbranch_execz .LBB710_211
; %bb.210:
	v_lshrrev_b32_e32 v2, 3, v0
	s_delay_alu instid0(VALU_DEP_1)
	v_and_b32_e32 v2, 28, v2
	ds_store_b32 v2, v1 offset:192
.LBB710_211:
	s_or_b32 exec_lo, exec_lo, s3
	s_delay_alu instid0(SALU_CYCLE_1)
	s_mov_b32 s3, exec_lo
	s_waitcnt lgkmcnt(0)
	s_barrier
	buffer_gl0_inv
	v_cmpx_gt_u32_e32 8, v0
	s_cbranch_execz .LBB710_213
; %bb.212:
	v_and_b32_e32 v2, 7, v3
	s_add_i32 s2, s2, 31
	s_delay_alu instid0(SALU_CYCLE_1) | instskip(NEXT) | instid1(VALU_DEP_1)
	s_lshr_b32 s2, s2, 5
	v_cmp_ne_u32_e32 vcc_lo, 7, v2
	v_add_nc_u32_e32 v6, 1, v2
	v_add_co_ci_u32_e32 v4, vcc_lo, 0, v3, vcc_lo
	v_cmp_gt_u32_e32 vcc_lo, 6, v2
	s_delay_alu instid0(VALU_DEP_2) | instskip(SKIP_3) | instid1(VALU_DEP_3)
	v_lshlrev_b32_e32 v4, 2, v4
	v_cndmask_b32_e64 v5, 0, 1, vcc_lo
	v_cmp_gt_u32_e32 vcc_lo, s2, v6
	v_lshlrev_b32_e32 v1, 2, v3
	v_lshlrev_b32_e32 v5, 1, v5
	ds_load_b32 v1, v1 offset:192
	v_add_lshl_u32 v5, v5, v3, 2
	s_waitcnt lgkmcnt(0)
	ds_bpermute_b32 v4, v4, v1
	s_waitcnt lgkmcnt(0)
	v_cndmask_b32_e32 v4, 0, v4, vcc_lo
	v_cmp_gt_u32_e32 vcc_lo, 4, v2
	s_delay_alu instid0(VALU_DEP_2) | instskip(SKIP_4) | instid1(VALU_DEP_2)
	v_add_nc_u32_e32 v1, v4, v1
	v_cndmask_b32_e64 v6, 0, 1, vcc_lo
	ds_bpermute_b32 v4, v5, v1
	v_add_nc_u32_e32 v5, 2, v2
	v_add_nc_u32_e32 v2, 4, v2
	v_cmp_gt_u32_e32 vcc_lo, s2, v5
	v_lshlrev_b32_e32 v5, 2, v6
	s_delay_alu instid0(VALU_DEP_1) | instskip(SKIP_3) | instid1(VALU_DEP_2)
	v_add_lshl_u32 v3, v5, v3, 2
	s_waitcnt lgkmcnt(0)
	v_cndmask_b32_e32 v4, 0, v4, vcc_lo
	v_cmp_gt_u32_e32 vcc_lo, s2, v2
	v_add_nc_u32_e32 v1, v1, v4
	ds_bpermute_b32 v3, v3, v1
	s_waitcnt lgkmcnt(0)
	v_cndmask_b32_e32 v2, 0, v3, vcc_lo
	s_delay_alu instid0(VALU_DEP_1)
	v_add_nc_u32_e32 v1, v1, v2
.LBB710_213:
	s_or_b32 exec_lo, exec_lo, s3
.LBB710_214:
	v_cmp_eq_u32_e64 s2, 0, v0
	s_branch .LBB710_224
.LBB710_215:
	s_cmp_eq_u32 s24, 1
	s_cbranch_scc0 .LBB710_223
; %bb.216:
	s_mov_b32 s3, 0
	v_mbcnt_lo_u32_b32 v2, -1, 0
	s_lshr_b64 s[4:5], s[18:19], 8
	s_mov_b32 s21, s3
	s_lshl_b32 s2, s20, 8
	s_cmp_lg_u64 s[4:5], s[20:21]
	s_cbranch_scc0 .LBB710_227
; %bb.217:
	s_lshl_b64 s[4:5], s[2:3], 2
	v_lshlrev_b32_e32 v1, 2, v0
	s_add_u32 s4, s16, s4
	s_addc_u32 s5, s17, s5
	global_load_b32 v1, v1, s[4:5]
	s_mov_b32 s4, exec_lo
	s_waitcnt vmcnt(0)
	v_mov_b32_dpp v3, v1 quad_perm:[1,0,3,2] row_mask:0xf bank_mask:0xf
	s_delay_alu instid0(VALU_DEP_1) | instskip(NEXT) | instid1(VALU_DEP_1)
	v_add_nc_u32_e32 v1, v3, v1
	v_mov_b32_dpp v3, v1 quad_perm:[2,3,0,1] row_mask:0xf bank_mask:0xf
	s_delay_alu instid0(VALU_DEP_1) | instskip(NEXT) | instid1(VALU_DEP_1)
	v_add_nc_u32_e32 v1, v1, v3
	v_mov_b32_dpp v3, v1 row_ror:4 row_mask:0xf bank_mask:0xf
	s_delay_alu instid0(VALU_DEP_1) | instskip(NEXT) | instid1(VALU_DEP_1)
	v_add_nc_u32_e32 v1, v1, v3
	v_mov_b32_dpp v3, v1 row_ror:8 row_mask:0xf bank_mask:0xf
	s_delay_alu instid0(VALU_DEP_1)
	v_add_nc_u32_e32 v1, v1, v3
	ds_swizzle_b32 v3, v1 offset:swizzle(BROADCAST,32,15)
	s_waitcnt lgkmcnt(0)
	v_add_nc_u32_e32 v1, v1, v3
	v_mov_b32_e32 v3, 0
	ds_bpermute_b32 v1, v3, v1 offset:124
	v_cmpx_eq_u32_e32 0, v2
	s_cbranch_execz .LBB710_219
; %bb.218:
	v_lshrrev_b32_e32 v3, 3, v0
	s_delay_alu instid0(VALU_DEP_1)
	v_and_b32_e32 v3, 28, v3
	s_waitcnt lgkmcnt(0)
	ds_store_b32 v3, v1 offset:32
.LBB710_219:
	s_or_b32 exec_lo, exec_lo, s4
	s_delay_alu instid0(SALU_CYCLE_1)
	s_mov_b32 s4, exec_lo
	s_waitcnt lgkmcnt(0)
	s_barrier
	buffer_gl0_inv
	v_cmpx_gt_u32_e32 32, v0
	s_cbranch_execz .LBB710_221
; %bb.220:
	v_and_b32_e32 v1, 7, v2
	s_delay_alu instid0(VALU_DEP_1) | instskip(SKIP_4) | instid1(VALU_DEP_2)
	v_lshlrev_b32_e32 v3, 2, v1
	v_cmp_ne_u32_e32 vcc_lo, 7, v1
	ds_load_b32 v3, v3 offset:32
	v_add_co_ci_u32_e32 v4, vcc_lo, 0, v2, vcc_lo
	v_cmp_gt_u32_e32 vcc_lo, 6, v1
	v_lshlrev_b32_e32 v4, 2, v4
	v_cndmask_b32_e64 v5, 0, 1, vcc_lo
	v_cmp_gt_u32_e32 vcc_lo, 4, v1
	s_delay_alu instid0(VALU_DEP_2) | instskip(SKIP_1) | instid1(VALU_DEP_2)
	v_lshlrev_b32_e32 v5, 1, v5
	v_cndmask_b32_e64 v1, 0, 1, vcc_lo
	v_add_lshl_u32 v5, v5, v2, 2
	s_delay_alu instid0(VALU_DEP_2)
	v_lshlrev_b32_e32 v1, 2, v1
	s_waitcnt lgkmcnt(0)
	ds_bpermute_b32 v4, v4, v3
	v_add_lshl_u32 v1, v1, v2, 2
	s_waitcnt lgkmcnt(0)
	v_add_nc_u32_e32 v3, v4, v3
	ds_bpermute_b32 v4, v5, v3
	s_waitcnt lgkmcnt(0)
	v_add_nc_u32_e32 v3, v4, v3
	ds_bpermute_b32 v1, v1, v3
	s_waitcnt lgkmcnt(0)
	v_add_nc_u32_e32 v1, v1, v3
.LBB710_221:
	s_or_b32 exec_lo, exec_lo, s4
.LBB710_222:
	v_cmp_eq_u32_e64 s2, 0, v0
	s_delay_alu instid0(VALU_DEP_1)
	s_and_saveexec_b32 s3, s2
	s_cbranch_execnz .LBB710_225
	s_branch .LBB710_226
.LBB710_223:
                                        ; implicit-def: $vgpr1
                                        ; implicit-def: $sgpr20_sgpr21
.LBB710_224:
	s_delay_alu instid0(VALU_DEP_1)
	s_and_saveexec_b32 s3, s2
	s_cbranch_execz .LBB710_226
.LBB710_225:
	s_clause 0x1
	s_load_b64 s[2:3], s[0:1], 0x18
	s_load_b32 s4, s[0:1], 0x20
	s_lshl_b64 s[0:1], s[20:21], 2
	s_waitcnt lgkmcnt(0)
	s_add_u32 s0, s2, s0
	s_addc_u32 s1, s3, s1
	s_cmp_lg_u64 s[18:19], 0
	s_cselect_b32 vcc_lo, -1, 0
	v_dual_cndmask_b32 v0, 0, v1 :: v_dual_mov_b32 v1, 0
	s_delay_alu instid0(VALU_DEP_1)
	v_add_nc_u32_e32 v0, s4, v0
	global_store_b32 v1, v0, s[0:1]
.LBB710_226:
	s_nop 0
	s_sendmsg sendmsg(MSG_DEALLOC_VGPRS)
	s_endpgm
.LBB710_227:
                                        ; implicit-def: $vgpr1
	s_cbranch_execz .LBB710_222
; %bb.228:
	s_sub_i32 s4, s18, s2
	s_mov_b32 s5, exec_lo
                                        ; implicit-def: $vgpr1
	v_cmpx_gt_u32_e64 s4, v0
	s_cbranch_execz .LBB710_230
; %bb.229:
	s_lshl_b64 s[2:3], s[2:3], 2
	v_lshlrev_b32_e32 v1, 2, v0
	s_add_u32 s2, s16, s2
	s_addc_u32 s3, s17, s3
	global_load_b32 v1, v1, s[2:3]
.LBB710_230:
	s_or_b32 exec_lo, exec_lo, s5
	v_cmp_ne_u32_e32 vcc_lo, 31, v2
	s_min_u32 s2, s4, 0x100
	v_add_nc_u32_e32 v5, 1, v2
	s_mov_b32 s3, exec_lo
	v_add_co_ci_u32_e32 v3, vcc_lo, 0, v2, vcc_lo
	v_cmp_gt_u32_e32 vcc_lo, 30, v2
	s_delay_alu instid0(VALU_DEP_2)
	v_lshlrev_b32_e32 v3, 2, v3
	v_cndmask_b32_e64 v6, 0, 1, vcc_lo
	s_waitcnt vmcnt(0)
	ds_bpermute_b32 v3, v3, v1
	v_and_b32_e32 v4, 0xe0, v0
	v_lshlrev_b32_e32 v6, 1, v6
	s_delay_alu instid0(VALU_DEP_2) | instskip(NEXT) | instid1(VALU_DEP_1)
	v_sub_nc_u32_e64 v4, s2, v4 clamp
	v_cmp_lt_u32_e32 vcc_lo, v5, v4
	s_delay_alu instid0(VALU_DEP_3) | instskip(SKIP_3) | instid1(VALU_DEP_2)
	v_add_lshl_u32 v5, v6, v2, 2
	s_waitcnt lgkmcnt(0)
	v_dual_cndmask_b32 v3, 0, v3 :: v_dual_add_nc_u32 v6, 2, v2
	v_cmp_gt_u32_e32 vcc_lo, 28, v2
	v_add_nc_u32_e32 v1, v3, v1
	ds_bpermute_b32 v3, v5, v1
	v_cndmask_b32_e64 v5, 0, 1, vcc_lo
	v_cmp_lt_u32_e32 vcc_lo, v6, v4
	v_add_nc_u32_e32 v6, 4, v2
	s_delay_alu instid0(VALU_DEP_3) | instskip(NEXT) | instid1(VALU_DEP_1)
	v_lshlrev_b32_e32 v5, 2, v5
	v_add_lshl_u32 v5, v5, v2, 2
	s_waitcnt lgkmcnt(0)
	v_cndmask_b32_e32 v3, 0, v3, vcc_lo
	v_cmp_gt_u32_e32 vcc_lo, 24, v2
	s_delay_alu instid0(VALU_DEP_2) | instskip(SKIP_4) | instid1(VALU_DEP_3)
	v_add_nc_u32_e32 v1, v1, v3
	ds_bpermute_b32 v3, v5, v1
	v_cndmask_b32_e64 v5, 0, 1, vcc_lo
	v_cmp_lt_u32_e32 vcc_lo, v6, v4
	v_add_nc_u32_e32 v6, 8, v2
	v_lshlrev_b32_e32 v5, 3, v5
	s_delay_alu instid0(VALU_DEP_1) | instskip(SKIP_3) | instid1(VALU_DEP_2)
	v_add_lshl_u32 v5, v5, v2, 2
	s_waitcnt lgkmcnt(0)
	v_cndmask_b32_e32 v3, 0, v3, vcc_lo
	v_cmp_gt_u32_e32 vcc_lo, 16, v2
	v_add_nc_u32_e32 v1, v1, v3
	ds_bpermute_b32 v3, v5, v1
	v_cndmask_b32_e64 v5, 0, 1, vcc_lo
	v_cmp_lt_u32_e32 vcc_lo, v6, v4
	s_delay_alu instid0(VALU_DEP_2) | instskip(NEXT) | instid1(VALU_DEP_1)
	v_lshlrev_b32_e32 v5, 4, v5
	v_add_lshl_u32 v5, v5, v2, 2
	s_waitcnt lgkmcnt(0)
	v_cndmask_b32_e32 v3, 0, v3, vcc_lo
	s_delay_alu instid0(VALU_DEP_1) | instskip(SKIP_2) | instid1(VALU_DEP_1)
	v_add_nc_u32_e32 v1, v1, v3
	ds_bpermute_b32 v3, v5, v1
	v_add_nc_u32_e32 v5, 16, v2
	v_cmp_lt_u32_e32 vcc_lo, v5, v4
	s_waitcnt lgkmcnt(0)
	v_cndmask_b32_e32 v3, 0, v3, vcc_lo
	s_delay_alu instid0(VALU_DEP_1)
	v_add_nc_u32_e32 v1, v1, v3
	v_cmpx_eq_u32_e32 0, v2
	s_cbranch_execz .LBB710_232
; %bb.231:
	v_lshrrev_b32_e32 v3, 3, v0
	s_delay_alu instid0(VALU_DEP_1)
	v_and_b32_e32 v3, 28, v3
	ds_store_b32 v3, v1 offset:192
.LBB710_232:
	s_or_b32 exec_lo, exec_lo, s3
	s_delay_alu instid0(SALU_CYCLE_1)
	s_mov_b32 s3, exec_lo
	s_waitcnt lgkmcnt(0)
	s_barrier
	buffer_gl0_inv
	v_cmpx_gt_u32_e32 8, v0
	s_cbranch_execz .LBB710_234
; %bb.233:
	v_and_b32_e32 v3, 7, v2
	s_add_i32 s2, s2, 31
	s_delay_alu instid0(SALU_CYCLE_1) | instskip(NEXT) | instid1(VALU_DEP_1)
	s_lshr_b32 s2, s2, 5
	v_cmp_ne_u32_e32 vcc_lo, 7, v3
	v_add_nc_u32_e32 v6, 1, v3
	v_add_co_ci_u32_e32 v4, vcc_lo, 0, v2, vcc_lo
	v_cmp_gt_u32_e32 vcc_lo, 6, v3
	s_delay_alu instid0(VALU_DEP_2) | instskip(SKIP_3) | instid1(VALU_DEP_3)
	v_lshlrev_b32_e32 v4, 2, v4
	v_cndmask_b32_e64 v5, 0, 1, vcc_lo
	v_cmp_gt_u32_e32 vcc_lo, s2, v6
	v_lshlrev_b32_e32 v1, 2, v2
	v_lshlrev_b32_e32 v5, 1, v5
	ds_load_b32 v1, v1 offset:192
	v_add_lshl_u32 v5, v5, v2, 2
	s_waitcnt lgkmcnt(0)
	ds_bpermute_b32 v4, v4, v1
	s_waitcnt lgkmcnt(0)
	v_cndmask_b32_e32 v4, 0, v4, vcc_lo
	v_cmp_gt_u32_e32 vcc_lo, 4, v3
	s_delay_alu instid0(VALU_DEP_2) | instskip(SKIP_3) | instid1(VALU_DEP_1)
	v_add_nc_u32_e32 v1, v4, v1
	v_cndmask_b32_e64 v6, 0, 1, vcc_lo
	ds_bpermute_b32 v4, v5, v1
	v_add_nc_u32_e32 v5, 2, v3
	v_cmp_gt_u32_e32 vcc_lo, s2, v5
	v_lshlrev_b32_e32 v5, 2, v6
	s_delay_alu instid0(VALU_DEP_1) | instskip(SKIP_2) | instid1(VALU_DEP_1)
	v_add_lshl_u32 v2, v5, v2, 2
	s_waitcnt lgkmcnt(0)
	v_dual_cndmask_b32 v4, 0, v4 :: v_dual_add_nc_u32 v3, 4, v3
	v_add_nc_u32_e32 v1, v1, v4
	s_delay_alu instid0(VALU_DEP_2) | instskip(SKIP_3) | instid1(VALU_DEP_1)
	v_cmp_gt_u32_e32 vcc_lo, s2, v3
	ds_bpermute_b32 v2, v2, v1
	s_waitcnt lgkmcnt(0)
	v_cndmask_b32_e32 v2, 0, v2, vcc_lo
	v_add_nc_u32_e32 v1, v1, v2
.LBB710_234:
	s_or_b32 exec_lo, exec_lo, s3
	v_cmp_eq_u32_e64 s2, 0, v0
	s_delay_alu instid0(VALU_DEP_1)
	s_and_saveexec_b32 s3, s2
	s_cbranch_execnz .LBB710_225
	s_branch .LBB710_226
	.section	.rodata,"a",@progbits
	.p2align	6, 0x0
	.amdhsa_kernel _ZN7rocprim17ROCPRIM_400000_NS6detail17trampoline_kernelINS0_14default_configENS1_22reduce_config_selectorIiEEZNS1_11reduce_implILb1ES3_PiS7_iN6hipcub16HIPCUB_304000_NS6detail34convert_binary_result_type_wrapperINS9_3SumENS9_22TransformInputIteratorIbN2at6native12_GLOBAL__N_19NonZeroOpIbEEPKblEEiEEEE10hipError_tPvRmT1_T2_T3_mT4_P12ihipStream_tbEUlT_E1_NS1_11comp_targetILNS1_3genE9ELNS1_11target_archE1100ELNS1_3gpuE3ELNS1_3repE0EEENS1_30default_config_static_selectorELNS0_4arch9wavefront6targetE0EEEvSQ_
		.amdhsa_group_segment_fixed_size 224
		.amdhsa_private_segment_fixed_size 0
		.amdhsa_kernarg_size 40
		.amdhsa_user_sgpr_count 15
		.amdhsa_user_sgpr_dispatch_ptr 0
		.amdhsa_user_sgpr_queue_ptr 0
		.amdhsa_user_sgpr_kernarg_segment_ptr 1
		.amdhsa_user_sgpr_dispatch_id 0
		.amdhsa_user_sgpr_private_segment_size 0
		.amdhsa_wavefront_size32 1
		.amdhsa_uses_dynamic_stack 0
		.amdhsa_enable_private_segment 0
		.amdhsa_system_sgpr_workgroup_id_x 1
		.amdhsa_system_sgpr_workgroup_id_y 0
		.amdhsa_system_sgpr_workgroup_id_z 0
		.amdhsa_system_sgpr_workgroup_info 0
		.amdhsa_system_vgpr_workitem_id 0
		.amdhsa_next_free_vgpr 34
		.amdhsa_next_free_sgpr 27
		.amdhsa_reserve_vcc 1
		.amdhsa_float_round_mode_32 0
		.amdhsa_float_round_mode_16_64 0
		.amdhsa_float_denorm_mode_32 3
		.amdhsa_float_denorm_mode_16_64 3
		.amdhsa_dx10_clamp 1
		.amdhsa_ieee_mode 1
		.amdhsa_fp16_overflow 0
		.amdhsa_workgroup_processor_mode 1
		.amdhsa_memory_ordered 1
		.amdhsa_forward_progress 0
		.amdhsa_shared_vgpr_count 0
		.amdhsa_exception_fp_ieee_invalid_op 0
		.amdhsa_exception_fp_denorm_src 0
		.amdhsa_exception_fp_ieee_div_zero 0
		.amdhsa_exception_fp_ieee_overflow 0
		.amdhsa_exception_fp_ieee_underflow 0
		.amdhsa_exception_fp_ieee_inexact 0
		.amdhsa_exception_int_div_zero 0
	.end_amdhsa_kernel
	.section	.text._ZN7rocprim17ROCPRIM_400000_NS6detail17trampoline_kernelINS0_14default_configENS1_22reduce_config_selectorIiEEZNS1_11reduce_implILb1ES3_PiS7_iN6hipcub16HIPCUB_304000_NS6detail34convert_binary_result_type_wrapperINS9_3SumENS9_22TransformInputIteratorIbN2at6native12_GLOBAL__N_19NonZeroOpIbEEPKblEEiEEEE10hipError_tPvRmT1_T2_T3_mT4_P12ihipStream_tbEUlT_E1_NS1_11comp_targetILNS1_3genE9ELNS1_11target_archE1100ELNS1_3gpuE3ELNS1_3repE0EEENS1_30default_config_static_selectorELNS0_4arch9wavefront6targetE0EEEvSQ_,"axG",@progbits,_ZN7rocprim17ROCPRIM_400000_NS6detail17trampoline_kernelINS0_14default_configENS1_22reduce_config_selectorIiEEZNS1_11reduce_implILb1ES3_PiS7_iN6hipcub16HIPCUB_304000_NS6detail34convert_binary_result_type_wrapperINS9_3SumENS9_22TransformInputIteratorIbN2at6native12_GLOBAL__N_19NonZeroOpIbEEPKblEEiEEEE10hipError_tPvRmT1_T2_T3_mT4_P12ihipStream_tbEUlT_E1_NS1_11comp_targetILNS1_3genE9ELNS1_11target_archE1100ELNS1_3gpuE3ELNS1_3repE0EEENS1_30default_config_static_selectorELNS0_4arch9wavefront6targetE0EEEvSQ_,comdat
.Lfunc_end710:
	.size	_ZN7rocprim17ROCPRIM_400000_NS6detail17trampoline_kernelINS0_14default_configENS1_22reduce_config_selectorIiEEZNS1_11reduce_implILb1ES3_PiS7_iN6hipcub16HIPCUB_304000_NS6detail34convert_binary_result_type_wrapperINS9_3SumENS9_22TransformInputIteratorIbN2at6native12_GLOBAL__N_19NonZeroOpIbEEPKblEEiEEEE10hipError_tPvRmT1_T2_T3_mT4_P12ihipStream_tbEUlT_E1_NS1_11comp_targetILNS1_3genE9ELNS1_11target_archE1100ELNS1_3gpuE3ELNS1_3repE0EEENS1_30default_config_static_selectorELNS0_4arch9wavefront6targetE0EEEvSQ_, .Lfunc_end710-_ZN7rocprim17ROCPRIM_400000_NS6detail17trampoline_kernelINS0_14default_configENS1_22reduce_config_selectorIiEEZNS1_11reduce_implILb1ES3_PiS7_iN6hipcub16HIPCUB_304000_NS6detail34convert_binary_result_type_wrapperINS9_3SumENS9_22TransformInputIteratorIbN2at6native12_GLOBAL__N_19NonZeroOpIbEEPKblEEiEEEE10hipError_tPvRmT1_T2_T3_mT4_P12ihipStream_tbEUlT_E1_NS1_11comp_targetILNS1_3genE9ELNS1_11target_archE1100ELNS1_3gpuE3ELNS1_3repE0EEENS1_30default_config_static_selectorELNS0_4arch9wavefront6targetE0EEEvSQ_
                                        ; -- End function
	.section	.AMDGPU.csdata,"",@progbits
; Kernel info:
; codeLenInByte = 10768
; NumSgprs: 29
; NumVgprs: 34
; ScratchSize: 0
; MemoryBound: 0
; FloatMode: 240
; IeeeMode: 1
; LDSByteSize: 224 bytes/workgroup (compile time only)
; SGPRBlocks: 3
; VGPRBlocks: 4
; NumSGPRsForWavesPerEU: 29
; NumVGPRsForWavesPerEU: 34
; Occupancy: 16
; WaveLimiterHint : 1
; COMPUTE_PGM_RSRC2:SCRATCH_EN: 0
; COMPUTE_PGM_RSRC2:USER_SGPR: 15
; COMPUTE_PGM_RSRC2:TRAP_HANDLER: 0
; COMPUTE_PGM_RSRC2:TGID_X_EN: 1
; COMPUTE_PGM_RSRC2:TGID_Y_EN: 0
; COMPUTE_PGM_RSRC2:TGID_Z_EN: 0
; COMPUTE_PGM_RSRC2:TIDIG_COMP_CNT: 0
	.section	.text._ZN7rocprim17ROCPRIM_400000_NS6detail17trampoline_kernelINS0_14default_configENS1_22reduce_config_selectorIiEEZNS1_11reduce_implILb1ES3_PiS7_iN6hipcub16HIPCUB_304000_NS6detail34convert_binary_result_type_wrapperINS9_3SumENS9_22TransformInputIteratorIbN2at6native12_GLOBAL__N_19NonZeroOpIbEEPKblEEiEEEE10hipError_tPvRmT1_T2_T3_mT4_P12ihipStream_tbEUlT_E1_NS1_11comp_targetILNS1_3genE8ELNS1_11target_archE1030ELNS1_3gpuE2ELNS1_3repE0EEENS1_30default_config_static_selectorELNS0_4arch9wavefront6targetE0EEEvSQ_,"axG",@progbits,_ZN7rocprim17ROCPRIM_400000_NS6detail17trampoline_kernelINS0_14default_configENS1_22reduce_config_selectorIiEEZNS1_11reduce_implILb1ES3_PiS7_iN6hipcub16HIPCUB_304000_NS6detail34convert_binary_result_type_wrapperINS9_3SumENS9_22TransformInputIteratorIbN2at6native12_GLOBAL__N_19NonZeroOpIbEEPKblEEiEEEE10hipError_tPvRmT1_T2_T3_mT4_P12ihipStream_tbEUlT_E1_NS1_11comp_targetILNS1_3genE8ELNS1_11target_archE1030ELNS1_3gpuE2ELNS1_3repE0EEENS1_30default_config_static_selectorELNS0_4arch9wavefront6targetE0EEEvSQ_,comdat
	.globl	_ZN7rocprim17ROCPRIM_400000_NS6detail17trampoline_kernelINS0_14default_configENS1_22reduce_config_selectorIiEEZNS1_11reduce_implILb1ES3_PiS7_iN6hipcub16HIPCUB_304000_NS6detail34convert_binary_result_type_wrapperINS9_3SumENS9_22TransformInputIteratorIbN2at6native12_GLOBAL__N_19NonZeroOpIbEEPKblEEiEEEE10hipError_tPvRmT1_T2_T3_mT4_P12ihipStream_tbEUlT_E1_NS1_11comp_targetILNS1_3genE8ELNS1_11target_archE1030ELNS1_3gpuE2ELNS1_3repE0EEENS1_30default_config_static_selectorELNS0_4arch9wavefront6targetE0EEEvSQ_ ; -- Begin function _ZN7rocprim17ROCPRIM_400000_NS6detail17trampoline_kernelINS0_14default_configENS1_22reduce_config_selectorIiEEZNS1_11reduce_implILb1ES3_PiS7_iN6hipcub16HIPCUB_304000_NS6detail34convert_binary_result_type_wrapperINS9_3SumENS9_22TransformInputIteratorIbN2at6native12_GLOBAL__N_19NonZeroOpIbEEPKblEEiEEEE10hipError_tPvRmT1_T2_T3_mT4_P12ihipStream_tbEUlT_E1_NS1_11comp_targetILNS1_3genE8ELNS1_11target_archE1030ELNS1_3gpuE2ELNS1_3repE0EEENS1_30default_config_static_selectorELNS0_4arch9wavefront6targetE0EEEvSQ_
	.p2align	8
	.type	_ZN7rocprim17ROCPRIM_400000_NS6detail17trampoline_kernelINS0_14default_configENS1_22reduce_config_selectorIiEEZNS1_11reduce_implILb1ES3_PiS7_iN6hipcub16HIPCUB_304000_NS6detail34convert_binary_result_type_wrapperINS9_3SumENS9_22TransformInputIteratorIbN2at6native12_GLOBAL__N_19NonZeroOpIbEEPKblEEiEEEE10hipError_tPvRmT1_T2_T3_mT4_P12ihipStream_tbEUlT_E1_NS1_11comp_targetILNS1_3genE8ELNS1_11target_archE1030ELNS1_3gpuE2ELNS1_3repE0EEENS1_30default_config_static_selectorELNS0_4arch9wavefront6targetE0EEEvSQ_,@function
_ZN7rocprim17ROCPRIM_400000_NS6detail17trampoline_kernelINS0_14default_configENS1_22reduce_config_selectorIiEEZNS1_11reduce_implILb1ES3_PiS7_iN6hipcub16HIPCUB_304000_NS6detail34convert_binary_result_type_wrapperINS9_3SumENS9_22TransformInputIteratorIbN2at6native12_GLOBAL__N_19NonZeroOpIbEEPKblEEiEEEE10hipError_tPvRmT1_T2_T3_mT4_P12ihipStream_tbEUlT_E1_NS1_11comp_targetILNS1_3genE8ELNS1_11target_archE1030ELNS1_3gpuE2ELNS1_3repE0EEENS1_30default_config_static_selectorELNS0_4arch9wavefront6targetE0EEEvSQ_: ; @_ZN7rocprim17ROCPRIM_400000_NS6detail17trampoline_kernelINS0_14default_configENS1_22reduce_config_selectorIiEEZNS1_11reduce_implILb1ES3_PiS7_iN6hipcub16HIPCUB_304000_NS6detail34convert_binary_result_type_wrapperINS9_3SumENS9_22TransformInputIteratorIbN2at6native12_GLOBAL__N_19NonZeroOpIbEEPKblEEiEEEE10hipError_tPvRmT1_T2_T3_mT4_P12ihipStream_tbEUlT_E1_NS1_11comp_targetILNS1_3genE8ELNS1_11target_archE1030ELNS1_3gpuE2ELNS1_3repE0EEENS1_30default_config_static_selectorELNS0_4arch9wavefront6targetE0EEEvSQ_
; %bb.0:
	.section	.rodata,"a",@progbits
	.p2align	6, 0x0
	.amdhsa_kernel _ZN7rocprim17ROCPRIM_400000_NS6detail17trampoline_kernelINS0_14default_configENS1_22reduce_config_selectorIiEEZNS1_11reduce_implILb1ES3_PiS7_iN6hipcub16HIPCUB_304000_NS6detail34convert_binary_result_type_wrapperINS9_3SumENS9_22TransformInputIteratorIbN2at6native12_GLOBAL__N_19NonZeroOpIbEEPKblEEiEEEE10hipError_tPvRmT1_T2_T3_mT4_P12ihipStream_tbEUlT_E1_NS1_11comp_targetILNS1_3genE8ELNS1_11target_archE1030ELNS1_3gpuE2ELNS1_3repE0EEENS1_30default_config_static_selectorELNS0_4arch9wavefront6targetE0EEEvSQ_
		.amdhsa_group_segment_fixed_size 0
		.amdhsa_private_segment_fixed_size 0
		.amdhsa_kernarg_size 40
		.amdhsa_user_sgpr_count 15
		.amdhsa_user_sgpr_dispatch_ptr 0
		.amdhsa_user_sgpr_queue_ptr 0
		.amdhsa_user_sgpr_kernarg_segment_ptr 1
		.amdhsa_user_sgpr_dispatch_id 0
		.amdhsa_user_sgpr_private_segment_size 0
		.amdhsa_wavefront_size32 1
		.amdhsa_uses_dynamic_stack 0
		.amdhsa_enable_private_segment 0
		.amdhsa_system_sgpr_workgroup_id_x 1
		.amdhsa_system_sgpr_workgroup_id_y 0
		.amdhsa_system_sgpr_workgroup_id_z 0
		.amdhsa_system_sgpr_workgroup_info 0
		.amdhsa_system_vgpr_workitem_id 0
		.amdhsa_next_free_vgpr 1
		.amdhsa_next_free_sgpr 1
		.amdhsa_reserve_vcc 0
		.amdhsa_float_round_mode_32 0
		.amdhsa_float_round_mode_16_64 0
		.amdhsa_float_denorm_mode_32 3
		.amdhsa_float_denorm_mode_16_64 3
		.amdhsa_dx10_clamp 1
		.amdhsa_ieee_mode 1
		.amdhsa_fp16_overflow 0
		.amdhsa_workgroup_processor_mode 1
		.amdhsa_memory_ordered 1
		.amdhsa_forward_progress 0
		.amdhsa_shared_vgpr_count 0
		.amdhsa_exception_fp_ieee_invalid_op 0
		.amdhsa_exception_fp_denorm_src 0
		.amdhsa_exception_fp_ieee_div_zero 0
		.amdhsa_exception_fp_ieee_overflow 0
		.amdhsa_exception_fp_ieee_underflow 0
		.amdhsa_exception_fp_ieee_inexact 0
		.amdhsa_exception_int_div_zero 0
	.end_amdhsa_kernel
	.section	.text._ZN7rocprim17ROCPRIM_400000_NS6detail17trampoline_kernelINS0_14default_configENS1_22reduce_config_selectorIiEEZNS1_11reduce_implILb1ES3_PiS7_iN6hipcub16HIPCUB_304000_NS6detail34convert_binary_result_type_wrapperINS9_3SumENS9_22TransformInputIteratorIbN2at6native12_GLOBAL__N_19NonZeroOpIbEEPKblEEiEEEE10hipError_tPvRmT1_T2_T3_mT4_P12ihipStream_tbEUlT_E1_NS1_11comp_targetILNS1_3genE8ELNS1_11target_archE1030ELNS1_3gpuE2ELNS1_3repE0EEENS1_30default_config_static_selectorELNS0_4arch9wavefront6targetE0EEEvSQ_,"axG",@progbits,_ZN7rocprim17ROCPRIM_400000_NS6detail17trampoline_kernelINS0_14default_configENS1_22reduce_config_selectorIiEEZNS1_11reduce_implILb1ES3_PiS7_iN6hipcub16HIPCUB_304000_NS6detail34convert_binary_result_type_wrapperINS9_3SumENS9_22TransformInputIteratorIbN2at6native12_GLOBAL__N_19NonZeroOpIbEEPKblEEiEEEE10hipError_tPvRmT1_T2_T3_mT4_P12ihipStream_tbEUlT_E1_NS1_11comp_targetILNS1_3genE8ELNS1_11target_archE1030ELNS1_3gpuE2ELNS1_3repE0EEENS1_30default_config_static_selectorELNS0_4arch9wavefront6targetE0EEEvSQ_,comdat
.Lfunc_end711:
	.size	_ZN7rocprim17ROCPRIM_400000_NS6detail17trampoline_kernelINS0_14default_configENS1_22reduce_config_selectorIiEEZNS1_11reduce_implILb1ES3_PiS7_iN6hipcub16HIPCUB_304000_NS6detail34convert_binary_result_type_wrapperINS9_3SumENS9_22TransformInputIteratorIbN2at6native12_GLOBAL__N_19NonZeroOpIbEEPKblEEiEEEE10hipError_tPvRmT1_T2_T3_mT4_P12ihipStream_tbEUlT_E1_NS1_11comp_targetILNS1_3genE8ELNS1_11target_archE1030ELNS1_3gpuE2ELNS1_3repE0EEENS1_30default_config_static_selectorELNS0_4arch9wavefront6targetE0EEEvSQ_, .Lfunc_end711-_ZN7rocprim17ROCPRIM_400000_NS6detail17trampoline_kernelINS0_14default_configENS1_22reduce_config_selectorIiEEZNS1_11reduce_implILb1ES3_PiS7_iN6hipcub16HIPCUB_304000_NS6detail34convert_binary_result_type_wrapperINS9_3SumENS9_22TransformInputIteratorIbN2at6native12_GLOBAL__N_19NonZeroOpIbEEPKblEEiEEEE10hipError_tPvRmT1_T2_T3_mT4_P12ihipStream_tbEUlT_E1_NS1_11comp_targetILNS1_3genE8ELNS1_11target_archE1030ELNS1_3gpuE2ELNS1_3repE0EEENS1_30default_config_static_selectorELNS0_4arch9wavefront6targetE0EEEvSQ_
                                        ; -- End function
	.section	.AMDGPU.csdata,"",@progbits
; Kernel info:
; codeLenInByte = 0
; NumSgprs: 0
; NumVgprs: 0
; ScratchSize: 0
; MemoryBound: 0
; FloatMode: 240
; IeeeMode: 1
; LDSByteSize: 0 bytes/workgroup (compile time only)
; SGPRBlocks: 0
; VGPRBlocks: 0
; NumSGPRsForWavesPerEU: 1
; NumVGPRsForWavesPerEU: 1
; Occupancy: 16
; WaveLimiterHint : 0
; COMPUTE_PGM_RSRC2:SCRATCH_EN: 0
; COMPUTE_PGM_RSRC2:USER_SGPR: 15
; COMPUTE_PGM_RSRC2:TRAP_HANDLER: 0
; COMPUTE_PGM_RSRC2:TGID_X_EN: 1
; COMPUTE_PGM_RSRC2:TGID_Y_EN: 0
; COMPUTE_PGM_RSRC2:TGID_Z_EN: 0
; COMPUTE_PGM_RSRC2:TIDIG_COMP_CNT: 0
	.section	.text._ZN7rocprim17ROCPRIM_400000_NS6detail17trampoline_kernelINS0_14default_configENS1_22reduce_config_selectorIbEEZNS1_11reduce_implILb1ES3_N6hipcub16HIPCUB_304000_NS22TransformInputIteratorIbN2at6native12_GLOBAL__N_19NonZeroOpIbEEPKblEEPiiNS8_6detail34convert_binary_result_type_wrapperINS8_3SumESH_iEEEE10hipError_tPvRmT1_T2_T3_mT4_P12ihipStream_tbEUlT_E0_NS1_11comp_targetILNS1_3genE0ELNS1_11target_archE4294967295ELNS1_3gpuE0ELNS1_3repE0EEENS1_30default_config_static_selectorELNS0_4arch9wavefront6targetE0EEEvSQ_,"axG",@progbits,_ZN7rocprim17ROCPRIM_400000_NS6detail17trampoline_kernelINS0_14default_configENS1_22reduce_config_selectorIbEEZNS1_11reduce_implILb1ES3_N6hipcub16HIPCUB_304000_NS22TransformInputIteratorIbN2at6native12_GLOBAL__N_19NonZeroOpIbEEPKblEEPiiNS8_6detail34convert_binary_result_type_wrapperINS8_3SumESH_iEEEE10hipError_tPvRmT1_T2_T3_mT4_P12ihipStream_tbEUlT_E0_NS1_11comp_targetILNS1_3genE0ELNS1_11target_archE4294967295ELNS1_3gpuE0ELNS1_3repE0EEENS1_30default_config_static_selectorELNS0_4arch9wavefront6targetE0EEEvSQ_,comdat
	.globl	_ZN7rocprim17ROCPRIM_400000_NS6detail17trampoline_kernelINS0_14default_configENS1_22reduce_config_selectorIbEEZNS1_11reduce_implILb1ES3_N6hipcub16HIPCUB_304000_NS22TransformInputIteratorIbN2at6native12_GLOBAL__N_19NonZeroOpIbEEPKblEEPiiNS8_6detail34convert_binary_result_type_wrapperINS8_3SumESH_iEEEE10hipError_tPvRmT1_T2_T3_mT4_P12ihipStream_tbEUlT_E0_NS1_11comp_targetILNS1_3genE0ELNS1_11target_archE4294967295ELNS1_3gpuE0ELNS1_3repE0EEENS1_30default_config_static_selectorELNS0_4arch9wavefront6targetE0EEEvSQ_ ; -- Begin function _ZN7rocprim17ROCPRIM_400000_NS6detail17trampoline_kernelINS0_14default_configENS1_22reduce_config_selectorIbEEZNS1_11reduce_implILb1ES3_N6hipcub16HIPCUB_304000_NS22TransformInputIteratorIbN2at6native12_GLOBAL__N_19NonZeroOpIbEEPKblEEPiiNS8_6detail34convert_binary_result_type_wrapperINS8_3SumESH_iEEEE10hipError_tPvRmT1_T2_T3_mT4_P12ihipStream_tbEUlT_E0_NS1_11comp_targetILNS1_3genE0ELNS1_11target_archE4294967295ELNS1_3gpuE0ELNS1_3repE0EEENS1_30default_config_static_selectorELNS0_4arch9wavefront6targetE0EEEvSQ_
	.p2align	8
	.type	_ZN7rocprim17ROCPRIM_400000_NS6detail17trampoline_kernelINS0_14default_configENS1_22reduce_config_selectorIbEEZNS1_11reduce_implILb1ES3_N6hipcub16HIPCUB_304000_NS22TransformInputIteratorIbN2at6native12_GLOBAL__N_19NonZeroOpIbEEPKblEEPiiNS8_6detail34convert_binary_result_type_wrapperINS8_3SumESH_iEEEE10hipError_tPvRmT1_T2_T3_mT4_P12ihipStream_tbEUlT_E0_NS1_11comp_targetILNS1_3genE0ELNS1_11target_archE4294967295ELNS1_3gpuE0ELNS1_3repE0EEENS1_30default_config_static_selectorELNS0_4arch9wavefront6targetE0EEEvSQ_,@function
_ZN7rocprim17ROCPRIM_400000_NS6detail17trampoline_kernelINS0_14default_configENS1_22reduce_config_selectorIbEEZNS1_11reduce_implILb1ES3_N6hipcub16HIPCUB_304000_NS22TransformInputIteratorIbN2at6native12_GLOBAL__N_19NonZeroOpIbEEPKblEEPiiNS8_6detail34convert_binary_result_type_wrapperINS8_3SumESH_iEEEE10hipError_tPvRmT1_T2_T3_mT4_P12ihipStream_tbEUlT_E0_NS1_11comp_targetILNS1_3genE0ELNS1_11target_archE4294967295ELNS1_3gpuE0ELNS1_3repE0EEENS1_30default_config_static_selectorELNS0_4arch9wavefront6targetE0EEEvSQ_: ; @_ZN7rocprim17ROCPRIM_400000_NS6detail17trampoline_kernelINS0_14default_configENS1_22reduce_config_selectorIbEEZNS1_11reduce_implILb1ES3_N6hipcub16HIPCUB_304000_NS22TransformInputIteratorIbN2at6native12_GLOBAL__N_19NonZeroOpIbEEPKblEEPiiNS8_6detail34convert_binary_result_type_wrapperINS8_3SumESH_iEEEE10hipError_tPvRmT1_T2_T3_mT4_P12ihipStream_tbEUlT_E0_NS1_11comp_targetILNS1_3genE0ELNS1_11target_archE4294967295ELNS1_3gpuE0ELNS1_3repE0EEENS1_30default_config_static_selectorELNS0_4arch9wavefront6targetE0EEEvSQ_
; %bb.0:
	.section	.rodata,"a",@progbits
	.p2align	6, 0x0
	.amdhsa_kernel _ZN7rocprim17ROCPRIM_400000_NS6detail17trampoline_kernelINS0_14default_configENS1_22reduce_config_selectorIbEEZNS1_11reduce_implILb1ES3_N6hipcub16HIPCUB_304000_NS22TransformInputIteratorIbN2at6native12_GLOBAL__N_19NonZeroOpIbEEPKblEEPiiNS8_6detail34convert_binary_result_type_wrapperINS8_3SumESH_iEEEE10hipError_tPvRmT1_T2_T3_mT4_P12ihipStream_tbEUlT_E0_NS1_11comp_targetILNS1_3genE0ELNS1_11target_archE4294967295ELNS1_3gpuE0ELNS1_3repE0EEENS1_30default_config_static_selectorELNS0_4arch9wavefront6targetE0EEEvSQ_
		.amdhsa_group_segment_fixed_size 0
		.amdhsa_private_segment_fixed_size 0
		.amdhsa_kernarg_size 64
		.amdhsa_user_sgpr_count 15
		.amdhsa_user_sgpr_dispatch_ptr 0
		.amdhsa_user_sgpr_queue_ptr 0
		.amdhsa_user_sgpr_kernarg_segment_ptr 1
		.amdhsa_user_sgpr_dispatch_id 0
		.amdhsa_user_sgpr_private_segment_size 0
		.amdhsa_wavefront_size32 1
		.amdhsa_uses_dynamic_stack 0
		.amdhsa_enable_private_segment 0
		.amdhsa_system_sgpr_workgroup_id_x 1
		.amdhsa_system_sgpr_workgroup_id_y 0
		.amdhsa_system_sgpr_workgroup_id_z 0
		.amdhsa_system_sgpr_workgroup_info 0
		.amdhsa_system_vgpr_workitem_id 0
		.amdhsa_next_free_vgpr 1
		.amdhsa_next_free_sgpr 1
		.amdhsa_reserve_vcc 0
		.amdhsa_float_round_mode_32 0
		.amdhsa_float_round_mode_16_64 0
		.amdhsa_float_denorm_mode_32 3
		.amdhsa_float_denorm_mode_16_64 3
		.amdhsa_dx10_clamp 1
		.amdhsa_ieee_mode 1
		.amdhsa_fp16_overflow 0
		.amdhsa_workgroup_processor_mode 1
		.amdhsa_memory_ordered 1
		.amdhsa_forward_progress 0
		.amdhsa_shared_vgpr_count 0
		.amdhsa_exception_fp_ieee_invalid_op 0
		.amdhsa_exception_fp_denorm_src 0
		.amdhsa_exception_fp_ieee_div_zero 0
		.amdhsa_exception_fp_ieee_overflow 0
		.amdhsa_exception_fp_ieee_underflow 0
		.amdhsa_exception_fp_ieee_inexact 0
		.amdhsa_exception_int_div_zero 0
	.end_amdhsa_kernel
	.section	.text._ZN7rocprim17ROCPRIM_400000_NS6detail17trampoline_kernelINS0_14default_configENS1_22reduce_config_selectorIbEEZNS1_11reduce_implILb1ES3_N6hipcub16HIPCUB_304000_NS22TransformInputIteratorIbN2at6native12_GLOBAL__N_19NonZeroOpIbEEPKblEEPiiNS8_6detail34convert_binary_result_type_wrapperINS8_3SumESH_iEEEE10hipError_tPvRmT1_T2_T3_mT4_P12ihipStream_tbEUlT_E0_NS1_11comp_targetILNS1_3genE0ELNS1_11target_archE4294967295ELNS1_3gpuE0ELNS1_3repE0EEENS1_30default_config_static_selectorELNS0_4arch9wavefront6targetE0EEEvSQ_,"axG",@progbits,_ZN7rocprim17ROCPRIM_400000_NS6detail17trampoline_kernelINS0_14default_configENS1_22reduce_config_selectorIbEEZNS1_11reduce_implILb1ES3_N6hipcub16HIPCUB_304000_NS22TransformInputIteratorIbN2at6native12_GLOBAL__N_19NonZeroOpIbEEPKblEEPiiNS8_6detail34convert_binary_result_type_wrapperINS8_3SumESH_iEEEE10hipError_tPvRmT1_T2_T3_mT4_P12ihipStream_tbEUlT_E0_NS1_11comp_targetILNS1_3genE0ELNS1_11target_archE4294967295ELNS1_3gpuE0ELNS1_3repE0EEENS1_30default_config_static_selectorELNS0_4arch9wavefront6targetE0EEEvSQ_,comdat
.Lfunc_end712:
	.size	_ZN7rocprim17ROCPRIM_400000_NS6detail17trampoline_kernelINS0_14default_configENS1_22reduce_config_selectorIbEEZNS1_11reduce_implILb1ES3_N6hipcub16HIPCUB_304000_NS22TransformInputIteratorIbN2at6native12_GLOBAL__N_19NonZeroOpIbEEPKblEEPiiNS8_6detail34convert_binary_result_type_wrapperINS8_3SumESH_iEEEE10hipError_tPvRmT1_T2_T3_mT4_P12ihipStream_tbEUlT_E0_NS1_11comp_targetILNS1_3genE0ELNS1_11target_archE4294967295ELNS1_3gpuE0ELNS1_3repE0EEENS1_30default_config_static_selectorELNS0_4arch9wavefront6targetE0EEEvSQ_, .Lfunc_end712-_ZN7rocprim17ROCPRIM_400000_NS6detail17trampoline_kernelINS0_14default_configENS1_22reduce_config_selectorIbEEZNS1_11reduce_implILb1ES3_N6hipcub16HIPCUB_304000_NS22TransformInputIteratorIbN2at6native12_GLOBAL__N_19NonZeroOpIbEEPKblEEPiiNS8_6detail34convert_binary_result_type_wrapperINS8_3SumESH_iEEEE10hipError_tPvRmT1_T2_T3_mT4_P12ihipStream_tbEUlT_E0_NS1_11comp_targetILNS1_3genE0ELNS1_11target_archE4294967295ELNS1_3gpuE0ELNS1_3repE0EEENS1_30default_config_static_selectorELNS0_4arch9wavefront6targetE0EEEvSQ_
                                        ; -- End function
	.section	.AMDGPU.csdata,"",@progbits
; Kernel info:
; codeLenInByte = 0
; NumSgprs: 0
; NumVgprs: 0
; ScratchSize: 0
; MemoryBound: 0
; FloatMode: 240
; IeeeMode: 1
; LDSByteSize: 0 bytes/workgroup (compile time only)
; SGPRBlocks: 0
; VGPRBlocks: 0
; NumSGPRsForWavesPerEU: 1
; NumVGPRsForWavesPerEU: 1
; Occupancy: 16
; WaveLimiterHint : 0
; COMPUTE_PGM_RSRC2:SCRATCH_EN: 0
; COMPUTE_PGM_RSRC2:USER_SGPR: 15
; COMPUTE_PGM_RSRC2:TRAP_HANDLER: 0
; COMPUTE_PGM_RSRC2:TGID_X_EN: 1
; COMPUTE_PGM_RSRC2:TGID_Y_EN: 0
; COMPUTE_PGM_RSRC2:TGID_Z_EN: 0
; COMPUTE_PGM_RSRC2:TIDIG_COMP_CNT: 0
	.section	.text._ZN7rocprim17ROCPRIM_400000_NS6detail17trampoline_kernelINS0_14default_configENS1_22reduce_config_selectorIbEEZNS1_11reduce_implILb1ES3_N6hipcub16HIPCUB_304000_NS22TransformInputIteratorIbN2at6native12_GLOBAL__N_19NonZeroOpIbEEPKblEEPiiNS8_6detail34convert_binary_result_type_wrapperINS8_3SumESH_iEEEE10hipError_tPvRmT1_T2_T3_mT4_P12ihipStream_tbEUlT_E0_NS1_11comp_targetILNS1_3genE5ELNS1_11target_archE942ELNS1_3gpuE9ELNS1_3repE0EEENS1_30default_config_static_selectorELNS0_4arch9wavefront6targetE0EEEvSQ_,"axG",@progbits,_ZN7rocprim17ROCPRIM_400000_NS6detail17trampoline_kernelINS0_14default_configENS1_22reduce_config_selectorIbEEZNS1_11reduce_implILb1ES3_N6hipcub16HIPCUB_304000_NS22TransformInputIteratorIbN2at6native12_GLOBAL__N_19NonZeroOpIbEEPKblEEPiiNS8_6detail34convert_binary_result_type_wrapperINS8_3SumESH_iEEEE10hipError_tPvRmT1_T2_T3_mT4_P12ihipStream_tbEUlT_E0_NS1_11comp_targetILNS1_3genE5ELNS1_11target_archE942ELNS1_3gpuE9ELNS1_3repE0EEENS1_30default_config_static_selectorELNS0_4arch9wavefront6targetE0EEEvSQ_,comdat
	.globl	_ZN7rocprim17ROCPRIM_400000_NS6detail17trampoline_kernelINS0_14default_configENS1_22reduce_config_selectorIbEEZNS1_11reduce_implILb1ES3_N6hipcub16HIPCUB_304000_NS22TransformInputIteratorIbN2at6native12_GLOBAL__N_19NonZeroOpIbEEPKblEEPiiNS8_6detail34convert_binary_result_type_wrapperINS8_3SumESH_iEEEE10hipError_tPvRmT1_T2_T3_mT4_P12ihipStream_tbEUlT_E0_NS1_11comp_targetILNS1_3genE5ELNS1_11target_archE942ELNS1_3gpuE9ELNS1_3repE0EEENS1_30default_config_static_selectorELNS0_4arch9wavefront6targetE0EEEvSQ_ ; -- Begin function _ZN7rocprim17ROCPRIM_400000_NS6detail17trampoline_kernelINS0_14default_configENS1_22reduce_config_selectorIbEEZNS1_11reduce_implILb1ES3_N6hipcub16HIPCUB_304000_NS22TransformInputIteratorIbN2at6native12_GLOBAL__N_19NonZeroOpIbEEPKblEEPiiNS8_6detail34convert_binary_result_type_wrapperINS8_3SumESH_iEEEE10hipError_tPvRmT1_T2_T3_mT4_P12ihipStream_tbEUlT_E0_NS1_11comp_targetILNS1_3genE5ELNS1_11target_archE942ELNS1_3gpuE9ELNS1_3repE0EEENS1_30default_config_static_selectorELNS0_4arch9wavefront6targetE0EEEvSQ_
	.p2align	8
	.type	_ZN7rocprim17ROCPRIM_400000_NS6detail17trampoline_kernelINS0_14default_configENS1_22reduce_config_selectorIbEEZNS1_11reduce_implILb1ES3_N6hipcub16HIPCUB_304000_NS22TransformInputIteratorIbN2at6native12_GLOBAL__N_19NonZeroOpIbEEPKblEEPiiNS8_6detail34convert_binary_result_type_wrapperINS8_3SumESH_iEEEE10hipError_tPvRmT1_T2_T3_mT4_P12ihipStream_tbEUlT_E0_NS1_11comp_targetILNS1_3genE5ELNS1_11target_archE942ELNS1_3gpuE9ELNS1_3repE0EEENS1_30default_config_static_selectorELNS0_4arch9wavefront6targetE0EEEvSQ_,@function
_ZN7rocprim17ROCPRIM_400000_NS6detail17trampoline_kernelINS0_14default_configENS1_22reduce_config_selectorIbEEZNS1_11reduce_implILb1ES3_N6hipcub16HIPCUB_304000_NS22TransformInputIteratorIbN2at6native12_GLOBAL__N_19NonZeroOpIbEEPKblEEPiiNS8_6detail34convert_binary_result_type_wrapperINS8_3SumESH_iEEEE10hipError_tPvRmT1_T2_T3_mT4_P12ihipStream_tbEUlT_E0_NS1_11comp_targetILNS1_3genE5ELNS1_11target_archE942ELNS1_3gpuE9ELNS1_3repE0EEENS1_30default_config_static_selectorELNS0_4arch9wavefront6targetE0EEEvSQ_: ; @_ZN7rocprim17ROCPRIM_400000_NS6detail17trampoline_kernelINS0_14default_configENS1_22reduce_config_selectorIbEEZNS1_11reduce_implILb1ES3_N6hipcub16HIPCUB_304000_NS22TransformInputIteratorIbN2at6native12_GLOBAL__N_19NonZeroOpIbEEPKblEEPiiNS8_6detail34convert_binary_result_type_wrapperINS8_3SumESH_iEEEE10hipError_tPvRmT1_T2_T3_mT4_P12ihipStream_tbEUlT_E0_NS1_11comp_targetILNS1_3genE5ELNS1_11target_archE942ELNS1_3gpuE9ELNS1_3repE0EEENS1_30default_config_static_selectorELNS0_4arch9wavefront6targetE0EEEvSQ_
; %bb.0:
	.section	.rodata,"a",@progbits
	.p2align	6, 0x0
	.amdhsa_kernel _ZN7rocprim17ROCPRIM_400000_NS6detail17trampoline_kernelINS0_14default_configENS1_22reduce_config_selectorIbEEZNS1_11reduce_implILb1ES3_N6hipcub16HIPCUB_304000_NS22TransformInputIteratorIbN2at6native12_GLOBAL__N_19NonZeroOpIbEEPKblEEPiiNS8_6detail34convert_binary_result_type_wrapperINS8_3SumESH_iEEEE10hipError_tPvRmT1_T2_T3_mT4_P12ihipStream_tbEUlT_E0_NS1_11comp_targetILNS1_3genE5ELNS1_11target_archE942ELNS1_3gpuE9ELNS1_3repE0EEENS1_30default_config_static_selectorELNS0_4arch9wavefront6targetE0EEEvSQ_
		.amdhsa_group_segment_fixed_size 0
		.amdhsa_private_segment_fixed_size 0
		.amdhsa_kernarg_size 64
		.amdhsa_user_sgpr_count 15
		.amdhsa_user_sgpr_dispatch_ptr 0
		.amdhsa_user_sgpr_queue_ptr 0
		.amdhsa_user_sgpr_kernarg_segment_ptr 1
		.amdhsa_user_sgpr_dispatch_id 0
		.amdhsa_user_sgpr_private_segment_size 0
		.amdhsa_wavefront_size32 1
		.amdhsa_uses_dynamic_stack 0
		.amdhsa_enable_private_segment 0
		.amdhsa_system_sgpr_workgroup_id_x 1
		.amdhsa_system_sgpr_workgroup_id_y 0
		.amdhsa_system_sgpr_workgroup_id_z 0
		.amdhsa_system_sgpr_workgroup_info 0
		.amdhsa_system_vgpr_workitem_id 0
		.amdhsa_next_free_vgpr 1
		.amdhsa_next_free_sgpr 1
		.amdhsa_reserve_vcc 0
		.amdhsa_float_round_mode_32 0
		.amdhsa_float_round_mode_16_64 0
		.amdhsa_float_denorm_mode_32 3
		.amdhsa_float_denorm_mode_16_64 3
		.amdhsa_dx10_clamp 1
		.amdhsa_ieee_mode 1
		.amdhsa_fp16_overflow 0
		.amdhsa_workgroup_processor_mode 1
		.amdhsa_memory_ordered 1
		.amdhsa_forward_progress 0
		.amdhsa_shared_vgpr_count 0
		.amdhsa_exception_fp_ieee_invalid_op 0
		.amdhsa_exception_fp_denorm_src 0
		.amdhsa_exception_fp_ieee_div_zero 0
		.amdhsa_exception_fp_ieee_overflow 0
		.amdhsa_exception_fp_ieee_underflow 0
		.amdhsa_exception_fp_ieee_inexact 0
		.amdhsa_exception_int_div_zero 0
	.end_amdhsa_kernel
	.section	.text._ZN7rocprim17ROCPRIM_400000_NS6detail17trampoline_kernelINS0_14default_configENS1_22reduce_config_selectorIbEEZNS1_11reduce_implILb1ES3_N6hipcub16HIPCUB_304000_NS22TransformInputIteratorIbN2at6native12_GLOBAL__N_19NonZeroOpIbEEPKblEEPiiNS8_6detail34convert_binary_result_type_wrapperINS8_3SumESH_iEEEE10hipError_tPvRmT1_T2_T3_mT4_P12ihipStream_tbEUlT_E0_NS1_11comp_targetILNS1_3genE5ELNS1_11target_archE942ELNS1_3gpuE9ELNS1_3repE0EEENS1_30default_config_static_selectorELNS0_4arch9wavefront6targetE0EEEvSQ_,"axG",@progbits,_ZN7rocprim17ROCPRIM_400000_NS6detail17trampoline_kernelINS0_14default_configENS1_22reduce_config_selectorIbEEZNS1_11reduce_implILb1ES3_N6hipcub16HIPCUB_304000_NS22TransformInputIteratorIbN2at6native12_GLOBAL__N_19NonZeroOpIbEEPKblEEPiiNS8_6detail34convert_binary_result_type_wrapperINS8_3SumESH_iEEEE10hipError_tPvRmT1_T2_T3_mT4_P12ihipStream_tbEUlT_E0_NS1_11comp_targetILNS1_3genE5ELNS1_11target_archE942ELNS1_3gpuE9ELNS1_3repE0EEENS1_30default_config_static_selectorELNS0_4arch9wavefront6targetE0EEEvSQ_,comdat
.Lfunc_end713:
	.size	_ZN7rocprim17ROCPRIM_400000_NS6detail17trampoline_kernelINS0_14default_configENS1_22reduce_config_selectorIbEEZNS1_11reduce_implILb1ES3_N6hipcub16HIPCUB_304000_NS22TransformInputIteratorIbN2at6native12_GLOBAL__N_19NonZeroOpIbEEPKblEEPiiNS8_6detail34convert_binary_result_type_wrapperINS8_3SumESH_iEEEE10hipError_tPvRmT1_T2_T3_mT4_P12ihipStream_tbEUlT_E0_NS1_11comp_targetILNS1_3genE5ELNS1_11target_archE942ELNS1_3gpuE9ELNS1_3repE0EEENS1_30default_config_static_selectorELNS0_4arch9wavefront6targetE0EEEvSQ_, .Lfunc_end713-_ZN7rocprim17ROCPRIM_400000_NS6detail17trampoline_kernelINS0_14default_configENS1_22reduce_config_selectorIbEEZNS1_11reduce_implILb1ES3_N6hipcub16HIPCUB_304000_NS22TransformInputIteratorIbN2at6native12_GLOBAL__N_19NonZeroOpIbEEPKblEEPiiNS8_6detail34convert_binary_result_type_wrapperINS8_3SumESH_iEEEE10hipError_tPvRmT1_T2_T3_mT4_P12ihipStream_tbEUlT_E0_NS1_11comp_targetILNS1_3genE5ELNS1_11target_archE942ELNS1_3gpuE9ELNS1_3repE0EEENS1_30default_config_static_selectorELNS0_4arch9wavefront6targetE0EEEvSQ_
                                        ; -- End function
	.section	.AMDGPU.csdata,"",@progbits
; Kernel info:
; codeLenInByte = 0
; NumSgprs: 0
; NumVgprs: 0
; ScratchSize: 0
; MemoryBound: 0
; FloatMode: 240
; IeeeMode: 1
; LDSByteSize: 0 bytes/workgroup (compile time only)
; SGPRBlocks: 0
; VGPRBlocks: 0
; NumSGPRsForWavesPerEU: 1
; NumVGPRsForWavesPerEU: 1
; Occupancy: 16
; WaveLimiterHint : 0
; COMPUTE_PGM_RSRC2:SCRATCH_EN: 0
; COMPUTE_PGM_RSRC2:USER_SGPR: 15
; COMPUTE_PGM_RSRC2:TRAP_HANDLER: 0
; COMPUTE_PGM_RSRC2:TGID_X_EN: 1
; COMPUTE_PGM_RSRC2:TGID_Y_EN: 0
; COMPUTE_PGM_RSRC2:TGID_Z_EN: 0
; COMPUTE_PGM_RSRC2:TIDIG_COMP_CNT: 0
	.section	.text._ZN7rocprim17ROCPRIM_400000_NS6detail17trampoline_kernelINS0_14default_configENS1_22reduce_config_selectorIbEEZNS1_11reduce_implILb1ES3_N6hipcub16HIPCUB_304000_NS22TransformInputIteratorIbN2at6native12_GLOBAL__N_19NonZeroOpIbEEPKblEEPiiNS8_6detail34convert_binary_result_type_wrapperINS8_3SumESH_iEEEE10hipError_tPvRmT1_T2_T3_mT4_P12ihipStream_tbEUlT_E0_NS1_11comp_targetILNS1_3genE4ELNS1_11target_archE910ELNS1_3gpuE8ELNS1_3repE0EEENS1_30default_config_static_selectorELNS0_4arch9wavefront6targetE0EEEvSQ_,"axG",@progbits,_ZN7rocprim17ROCPRIM_400000_NS6detail17trampoline_kernelINS0_14default_configENS1_22reduce_config_selectorIbEEZNS1_11reduce_implILb1ES3_N6hipcub16HIPCUB_304000_NS22TransformInputIteratorIbN2at6native12_GLOBAL__N_19NonZeroOpIbEEPKblEEPiiNS8_6detail34convert_binary_result_type_wrapperINS8_3SumESH_iEEEE10hipError_tPvRmT1_T2_T3_mT4_P12ihipStream_tbEUlT_E0_NS1_11comp_targetILNS1_3genE4ELNS1_11target_archE910ELNS1_3gpuE8ELNS1_3repE0EEENS1_30default_config_static_selectorELNS0_4arch9wavefront6targetE0EEEvSQ_,comdat
	.globl	_ZN7rocprim17ROCPRIM_400000_NS6detail17trampoline_kernelINS0_14default_configENS1_22reduce_config_selectorIbEEZNS1_11reduce_implILb1ES3_N6hipcub16HIPCUB_304000_NS22TransformInputIteratorIbN2at6native12_GLOBAL__N_19NonZeroOpIbEEPKblEEPiiNS8_6detail34convert_binary_result_type_wrapperINS8_3SumESH_iEEEE10hipError_tPvRmT1_T2_T3_mT4_P12ihipStream_tbEUlT_E0_NS1_11comp_targetILNS1_3genE4ELNS1_11target_archE910ELNS1_3gpuE8ELNS1_3repE0EEENS1_30default_config_static_selectorELNS0_4arch9wavefront6targetE0EEEvSQ_ ; -- Begin function _ZN7rocprim17ROCPRIM_400000_NS6detail17trampoline_kernelINS0_14default_configENS1_22reduce_config_selectorIbEEZNS1_11reduce_implILb1ES3_N6hipcub16HIPCUB_304000_NS22TransformInputIteratorIbN2at6native12_GLOBAL__N_19NonZeroOpIbEEPKblEEPiiNS8_6detail34convert_binary_result_type_wrapperINS8_3SumESH_iEEEE10hipError_tPvRmT1_T2_T3_mT4_P12ihipStream_tbEUlT_E0_NS1_11comp_targetILNS1_3genE4ELNS1_11target_archE910ELNS1_3gpuE8ELNS1_3repE0EEENS1_30default_config_static_selectorELNS0_4arch9wavefront6targetE0EEEvSQ_
	.p2align	8
	.type	_ZN7rocprim17ROCPRIM_400000_NS6detail17trampoline_kernelINS0_14default_configENS1_22reduce_config_selectorIbEEZNS1_11reduce_implILb1ES3_N6hipcub16HIPCUB_304000_NS22TransformInputIteratorIbN2at6native12_GLOBAL__N_19NonZeroOpIbEEPKblEEPiiNS8_6detail34convert_binary_result_type_wrapperINS8_3SumESH_iEEEE10hipError_tPvRmT1_T2_T3_mT4_P12ihipStream_tbEUlT_E0_NS1_11comp_targetILNS1_3genE4ELNS1_11target_archE910ELNS1_3gpuE8ELNS1_3repE0EEENS1_30default_config_static_selectorELNS0_4arch9wavefront6targetE0EEEvSQ_,@function
_ZN7rocprim17ROCPRIM_400000_NS6detail17trampoline_kernelINS0_14default_configENS1_22reduce_config_selectorIbEEZNS1_11reduce_implILb1ES3_N6hipcub16HIPCUB_304000_NS22TransformInputIteratorIbN2at6native12_GLOBAL__N_19NonZeroOpIbEEPKblEEPiiNS8_6detail34convert_binary_result_type_wrapperINS8_3SumESH_iEEEE10hipError_tPvRmT1_T2_T3_mT4_P12ihipStream_tbEUlT_E0_NS1_11comp_targetILNS1_3genE4ELNS1_11target_archE910ELNS1_3gpuE8ELNS1_3repE0EEENS1_30default_config_static_selectorELNS0_4arch9wavefront6targetE0EEEvSQ_: ; @_ZN7rocprim17ROCPRIM_400000_NS6detail17trampoline_kernelINS0_14default_configENS1_22reduce_config_selectorIbEEZNS1_11reduce_implILb1ES3_N6hipcub16HIPCUB_304000_NS22TransformInputIteratorIbN2at6native12_GLOBAL__N_19NonZeroOpIbEEPKblEEPiiNS8_6detail34convert_binary_result_type_wrapperINS8_3SumESH_iEEEE10hipError_tPvRmT1_T2_T3_mT4_P12ihipStream_tbEUlT_E0_NS1_11comp_targetILNS1_3genE4ELNS1_11target_archE910ELNS1_3gpuE8ELNS1_3repE0EEENS1_30default_config_static_selectorELNS0_4arch9wavefront6targetE0EEEvSQ_
; %bb.0:
	.section	.rodata,"a",@progbits
	.p2align	6, 0x0
	.amdhsa_kernel _ZN7rocprim17ROCPRIM_400000_NS6detail17trampoline_kernelINS0_14default_configENS1_22reduce_config_selectorIbEEZNS1_11reduce_implILb1ES3_N6hipcub16HIPCUB_304000_NS22TransformInputIteratorIbN2at6native12_GLOBAL__N_19NonZeroOpIbEEPKblEEPiiNS8_6detail34convert_binary_result_type_wrapperINS8_3SumESH_iEEEE10hipError_tPvRmT1_T2_T3_mT4_P12ihipStream_tbEUlT_E0_NS1_11comp_targetILNS1_3genE4ELNS1_11target_archE910ELNS1_3gpuE8ELNS1_3repE0EEENS1_30default_config_static_selectorELNS0_4arch9wavefront6targetE0EEEvSQ_
		.amdhsa_group_segment_fixed_size 0
		.amdhsa_private_segment_fixed_size 0
		.amdhsa_kernarg_size 64
		.amdhsa_user_sgpr_count 15
		.amdhsa_user_sgpr_dispatch_ptr 0
		.amdhsa_user_sgpr_queue_ptr 0
		.amdhsa_user_sgpr_kernarg_segment_ptr 1
		.amdhsa_user_sgpr_dispatch_id 0
		.amdhsa_user_sgpr_private_segment_size 0
		.amdhsa_wavefront_size32 1
		.amdhsa_uses_dynamic_stack 0
		.amdhsa_enable_private_segment 0
		.amdhsa_system_sgpr_workgroup_id_x 1
		.amdhsa_system_sgpr_workgroup_id_y 0
		.amdhsa_system_sgpr_workgroup_id_z 0
		.amdhsa_system_sgpr_workgroup_info 0
		.amdhsa_system_vgpr_workitem_id 0
		.amdhsa_next_free_vgpr 1
		.amdhsa_next_free_sgpr 1
		.amdhsa_reserve_vcc 0
		.amdhsa_float_round_mode_32 0
		.amdhsa_float_round_mode_16_64 0
		.amdhsa_float_denorm_mode_32 3
		.amdhsa_float_denorm_mode_16_64 3
		.amdhsa_dx10_clamp 1
		.amdhsa_ieee_mode 1
		.amdhsa_fp16_overflow 0
		.amdhsa_workgroup_processor_mode 1
		.amdhsa_memory_ordered 1
		.amdhsa_forward_progress 0
		.amdhsa_shared_vgpr_count 0
		.amdhsa_exception_fp_ieee_invalid_op 0
		.amdhsa_exception_fp_denorm_src 0
		.amdhsa_exception_fp_ieee_div_zero 0
		.amdhsa_exception_fp_ieee_overflow 0
		.amdhsa_exception_fp_ieee_underflow 0
		.amdhsa_exception_fp_ieee_inexact 0
		.amdhsa_exception_int_div_zero 0
	.end_amdhsa_kernel
	.section	.text._ZN7rocprim17ROCPRIM_400000_NS6detail17trampoline_kernelINS0_14default_configENS1_22reduce_config_selectorIbEEZNS1_11reduce_implILb1ES3_N6hipcub16HIPCUB_304000_NS22TransformInputIteratorIbN2at6native12_GLOBAL__N_19NonZeroOpIbEEPKblEEPiiNS8_6detail34convert_binary_result_type_wrapperINS8_3SumESH_iEEEE10hipError_tPvRmT1_T2_T3_mT4_P12ihipStream_tbEUlT_E0_NS1_11comp_targetILNS1_3genE4ELNS1_11target_archE910ELNS1_3gpuE8ELNS1_3repE0EEENS1_30default_config_static_selectorELNS0_4arch9wavefront6targetE0EEEvSQ_,"axG",@progbits,_ZN7rocprim17ROCPRIM_400000_NS6detail17trampoline_kernelINS0_14default_configENS1_22reduce_config_selectorIbEEZNS1_11reduce_implILb1ES3_N6hipcub16HIPCUB_304000_NS22TransformInputIteratorIbN2at6native12_GLOBAL__N_19NonZeroOpIbEEPKblEEPiiNS8_6detail34convert_binary_result_type_wrapperINS8_3SumESH_iEEEE10hipError_tPvRmT1_T2_T3_mT4_P12ihipStream_tbEUlT_E0_NS1_11comp_targetILNS1_3genE4ELNS1_11target_archE910ELNS1_3gpuE8ELNS1_3repE0EEENS1_30default_config_static_selectorELNS0_4arch9wavefront6targetE0EEEvSQ_,comdat
.Lfunc_end714:
	.size	_ZN7rocprim17ROCPRIM_400000_NS6detail17trampoline_kernelINS0_14default_configENS1_22reduce_config_selectorIbEEZNS1_11reduce_implILb1ES3_N6hipcub16HIPCUB_304000_NS22TransformInputIteratorIbN2at6native12_GLOBAL__N_19NonZeroOpIbEEPKblEEPiiNS8_6detail34convert_binary_result_type_wrapperINS8_3SumESH_iEEEE10hipError_tPvRmT1_T2_T3_mT4_P12ihipStream_tbEUlT_E0_NS1_11comp_targetILNS1_3genE4ELNS1_11target_archE910ELNS1_3gpuE8ELNS1_3repE0EEENS1_30default_config_static_selectorELNS0_4arch9wavefront6targetE0EEEvSQ_, .Lfunc_end714-_ZN7rocprim17ROCPRIM_400000_NS6detail17trampoline_kernelINS0_14default_configENS1_22reduce_config_selectorIbEEZNS1_11reduce_implILb1ES3_N6hipcub16HIPCUB_304000_NS22TransformInputIteratorIbN2at6native12_GLOBAL__N_19NonZeroOpIbEEPKblEEPiiNS8_6detail34convert_binary_result_type_wrapperINS8_3SumESH_iEEEE10hipError_tPvRmT1_T2_T3_mT4_P12ihipStream_tbEUlT_E0_NS1_11comp_targetILNS1_3genE4ELNS1_11target_archE910ELNS1_3gpuE8ELNS1_3repE0EEENS1_30default_config_static_selectorELNS0_4arch9wavefront6targetE0EEEvSQ_
                                        ; -- End function
	.section	.AMDGPU.csdata,"",@progbits
; Kernel info:
; codeLenInByte = 0
; NumSgprs: 0
; NumVgprs: 0
; ScratchSize: 0
; MemoryBound: 0
; FloatMode: 240
; IeeeMode: 1
; LDSByteSize: 0 bytes/workgroup (compile time only)
; SGPRBlocks: 0
; VGPRBlocks: 0
; NumSGPRsForWavesPerEU: 1
; NumVGPRsForWavesPerEU: 1
; Occupancy: 16
; WaveLimiterHint : 0
; COMPUTE_PGM_RSRC2:SCRATCH_EN: 0
; COMPUTE_PGM_RSRC2:USER_SGPR: 15
; COMPUTE_PGM_RSRC2:TRAP_HANDLER: 0
; COMPUTE_PGM_RSRC2:TGID_X_EN: 1
; COMPUTE_PGM_RSRC2:TGID_Y_EN: 0
; COMPUTE_PGM_RSRC2:TGID_Z_EN: 0
; COMPUTE_PGM_RSRC2:TIDIG_COMP_CNT: 0
	.section	.text._ZN7rocprim17ROCPRIM_400000_NS6detail17trampoline_kernelINS0_14default_configENS1_22reduce_config_selectorIbEEZNS1_11reduce_implILb1ES3_N6hipcub16HIPCUB_304000_NS22TransformInputIteratorIbN2at6native12_GLOBAL__N_19NonZeroOpIbEEPKblEEPiiNS8_6detail34convert_binary_result_type_wrapperINS8_3SumESH_iEEEE10hipError_tPvRmT1_T2_T3_mT4_P12ihipStream_tbEUlT_E0_NS1_11comp_targetILNS1_3genE3ELNS1_11target_archE908ELNS1_3gpuE7ELNS1_3repE0EEENS1_30default_config_static_selectorELNS0_4arch9wavefront6targetE0EEEvSQ_,"axG",@progbits,_ZN7rocprim17ROCPRIM_400000_NS6detail17trampoline_kernelINS0_14default_configENS1_22reduce_config_selectorIbEEZNS1_11reduce_implILb1ES3_N6hipcub16HIPCUB_304000_NS22TransformInputIteratorIbN2at6native12_GLOBAL__N_19NonZeroOpIbEEPKblEEPiiNS8_6detail34convert_binary_result_type_wrapperINS8_3SumESH_iEEEE10hipError_tPvRmT1_T2_T3_mT4_P12ihipStream_tbEUlT_E0_NS1_11comp_targetILNS1_3genE3ELNS1_11target_archE908ELNS1_3gpuE7ELNS1_3repE0EEENS1_30default_config_static_selectorELNS0_4arch9wavefront6targetE0EEEvSQ_,comdat
	.globl	_ZN7rocprim17ROCPRIM_400000_NS6detail17trampoline_kernelINS0_14default_configENS1_22reduce_config_selectorIbEEZNS1_11reduce_implILb1ES3_N6hipcub16HIPCUB_304000_NS22TransformInputIteratorIbN2at6native12_GLOBAL__N_19NonZeroOpIbEEPKblEEPiiNS8_6detail34convert_binary_result_type_wrapperINS8_3SumESH_iEEEE10hipError_tPvRmT1_T2_T3_mT4_P12ihipStream_tbEUlT_E0_NS1_11comp_targetILNS1_3genE3ELNS1_11target_archE908ELNS1_3gpuE7ELNS1_3repE0EEENS1_30default_config_static_selectorELNS0_4arch9wavefront6targetE0EEEvSQ_ ; -- Begin function _ZN7rocprim17ROCPRIM_400000_NS6detail17trampoline_kernelINS0_14default_configENS1_22reduce_config_selectorIbEEZNS1_11reduce_implILb1ES3_N6hipcub16HIPCUB_304000_NS22TransformInputIteratorIbN2at6native12_GLOBAL__N_19NonZeroOpIbEEPKblEEPiiNS8_6detail34convert_binary_result_type_wrapperINS8_3SumESH_iEEEE10hipError_tPvRmT1_T2_T3_mT4_P12ihipStream_tbEUlT_E0_NS1_11comp_targetILNS1_3genE3ELNS1_11target_archE908ELNS1_3gpuE7ELNS1_3repE0EEENS1_30default_config_static_selectorELNS0_4arch9wavefront6targetE0EEEvSQ_
	.p2align	8
	.type	_ZN7rocprim17ROCPRIM_400000_NS6detail17trampoline_kernelINS0_14default_configENS1_22reduce_config_selectorIbEEZNS1_11reduce_implILb1ES3_N6hipcub16HIPCUB_304000_NS22TransformInputIteratorIbN2at6native12_GLOBAL__N_19NonZeroOpIbEEPKblEEPiiNS8_6detail34convert_binary_result_type_wrapperINS8_3SumESH_iEEEE10hipError_tPvRmT1_T2_T3_mT4_P12ihipStream_tbEUlT_E0_NS1_11comp_targetILNS1_3genE3ELNS1_11target_archE908ELNS1_3gpuE7ELNS1_3repE0EEENS1_30default_config_static_selectorELNS0_4arch9wavefront6targetE0EEEvSQ_,@function
_ZN7rocprim17ROCPRIM_400000_NS6detail17trampoline_kernelINS0_14default_configENS1_22reduce_config_selectorIbEEZNS1_11reduce_implILb1ES3_N6hipcub16HIPCUB_304000_NS22TransformInputIteratorIbN2at6native12_GLOBAL__N_19NonZeroOpIbEEPKblEEPiiNS8_6detail34convert_binary_result_type_wrapperINS8_3SumESH_iEEEE10hipError_tPvRmT1_T2_T3_mT4_P12ihipStream_tbEUlT_E0_NS1_11comp_targetILNS1_3genE3ELNS1_11target_archE908ELNS1_3gpuE7ELNS1_3repE0EEENS1_30default_config_static_selectorELNS0_4arch9wavefront6targetE0EEEvSQ_: ; @_ZN7rocprim17ROCPRIM_400000_NS6detail17trampoline_kernelINS0_14default_configENS1_22reduce_config_selectorIbEEZNS1_11reduce_implILb1ES3_N6hipcub16HIPCUB_304000_NS22TransformInputIteratorIbN2at6native12_GLOBAL__N_19NonZeroOpIbEEPKblEEPiiNS8_6detail34convert_binary_result_type_wrapperINS8_3SumESH_iEEEE10hipError_tPvRmT1_T2_T3_mT4_P12ihipStream_tbEUlT_E0_NS1_11comp_targetILNS1_3genE3ELNS1_11target_archE908ELNS1_3gpuE7ELNS1_3repE0EEENS1_30default_config_static_selectorELNS0_4arch9wavefront6targetE0EEEvSQ_
; %bb.0:
	.section	.rodata,"a",@progbits
	.p2align	6, 0x0
	.amdhsa_kernel _ZN7rocprim17ROCPRIM_400000_NS6detail17trampoline_kernelINS0_14default_configENS1_22reduce_config_selectorIbEEZNS1_11reduce_implILb1ES3_N6hipcub16HIPCUB_304000_NS22TransformInputIteratorIbN2at6native12_GLOBAL__N_19NonZeroOpIbEEPKblEEPiiNS8_6detail34convert_binary_result_type_wrapperINS8_3SumESH_iEEEE10hipError_tPvRmT1_T2_T3_mT4_P12ihipStream_tbEUlT_E0_NS1_11comp_targetILNS1_3genE3ELNS1_11target_archE908ELNS1_3gpuE7ELNS1_3repE0EEENS1_30default_config_static_selectorELNS0_4arch9wavefront6targetE0EEEvSQ_
		.amdhsa_group_segment_fixed_size 0
		.amdhsa_private_segment_fixed_size 0
		.amdhsa_kernarg_size 64
		.amdhsa_user_sgpr_count 15
		.amdhsa_user_sgpr_dispatch_ptr 0
		.amdhsa_user_sgpr_queue_ptr 0
		.amdhsa_user_sgpr_kernarg_segment_ptr 1
		.amdhsa_user_sgpr_dispatch_id 0
		.amdhsa_user_sgpr_private_segment_size 0
		.amdhsa_wavefront_size32 1
		.amdhsa_uses_dynamic_stack 0
		.amdhsa_enable_private_segment 0
		.amdhsa_system_sgpr_workgroup_id_x 1
		.amdhsa_system_sgpr_workgroup_id_y 0
		.amdhsa_system_sgpr_workgroup_id_z 0
		.amdhsa_system_sgpr_workgroup_info 0
		.amdhsa_system_vgpr_workitem_id 0
		.amdhsa_next_free_vgpr 1
		.amdhsa_next_free_sgpr 1
		.amdhsa_reserve_vcc 0
		.amdhsa_float_round_mode_32 0
		.amdhsa_float_round_mode_16_64 0
		.amdhsa_float_denorm_mode_32 3
		.amdhsa_float_denorm_mode_16_64 3
		.amdhsa_dx10_clamp 1
		.amdhsa_ieee_mode 1
		.amdhsa_fp16_overflow 0
		.amdhsa_workgroup_processor_mode 1
		.amdhsa_memory_ordered 1
		.amdhsa_forward_progress 0
		.amdhsa_shared_vgpr_count 0
		.amdhsa_exception_fp_ieee_invalid_op 0
		.amdhsa_exception_fp_denorm_src 0
		.amdhsa_exception_fp_ieee_div_zero 0
		.amdhsa_exception_fp_ieee_overflow 0
		.amdhsa_exception_fp_ieee_underflow 0
		.amdhsa_exception_fp_ieee_inexact 0
		.amdhsa_exception_int_div_zero 0
	.end_amdhsa_kernel
	.section	.text._ZN7rocprim17ROCPRIM_400000_NS6detail17trampoline_kernelINS0_14default_configENS1_22reduce_config_selectorIbEEZNS1_11reduce_implILb1ES3_N6hipcub16HIPCUB_304000_NS22TransformInputIteratorIbN2at6native12_GLOBAL__N_19NonZeroOpIbEEPKblEEPiiNS8_6detail34convert_binary_result_type_wrapperINS8_3SumESH_iEEEE10hipError_tPvRmT1_T2_T3_mT4_P12ihipStream_tbEUlT_E0_NS1_11comp_targetILNS1_3genE3ELNS1_11target_archE908ELNS1_3gpuE7ELNS1_3repE0EEENS1_30default_config_static_selectorELNS0_4arch9wavefront6targetE0EEEvSQ_,"axG",@progbits,_ZN7rocprim17ROCPRIM_400000_NS6detail17trampoline_kernelINS0_14default_configENS1_22reduce_config_selectorIbEEZNS1_11reduce_implILb1ES3_N6hipcub16HIPCUB_304000_NS22TransformInputIteratorIbN2at6native12_GLOBAL__N_19NonZeroOpIbEEPKblEEPiiNS8_6detail34convert_binary_result_type_wrapperINS8_3SumESH_iEEEE10hipError_tPvRmT1_T2_T3_mT4_P12ihipStream_tbEUlT_E0_NS1_11comp_targetILNS1_3genE3ELNS1_11target_archE908ELNS1_3gpuE7ELNS1_3repE0EEENS1_30default_config_static_selectorELNS0_4arch9wavefront6targetE0EEEvSQ_,comdat
.Lfunc_end715:
	.size	_ZN7rocprim17ROCPRIM_400000_NS6detail17trampoline_kernelINS0_14default_configENS1_22reduce_config_selectorIbEEZNS1_11reduce_implILb1ES3_N6hipcub16HIPCUB_304000_NS22TransformInputIteratorIbN2at6native12_GLOBAL__N_19NonZeroOpIbEEPKblEEPiiNS8_6detail34convert_binary_result_type_wrapperINS8_3SumESH_iEEEE10hipError_tPvRmT1_T2_T3_mT4_P12ihipStream_tbEUlT_E0_NS1_11comp_targetILNS1_3genE3ELNS1_11target_archE908ELNS1_3gpuE7ELNS1_3repE0EEENS1_30default_config_static_selectorELNS0_4arch9wavefront6targetE0EEEvSQ_, .Lfunc_end715-_ZN7rocprim17ROCPRIM_400000_NS6detail17trampoline_kernelINS0_14default_configENS1_22reduce_config_selectorIbEEZNS1_11reduce_implILb1ES3_N6hipcub16HIPCUB_304000_NS22TransformInputIteratorIbN2at6native12_GLOBAL__N_19NonZeroOpIbEEPKblEEPiiNS8_6detail34convert_binary_result_type_wrapperINS8_3SumESH_iEEEE10hipError_tPvRmT1_T2_T3_mT4_P12ihipStream_tbEUlT_E0_NS1_11comp_targetILNS1_3genE3ELNS1_11target_archE908ELNS1_3gpuE7ELNS1_3repE0EEENS1_30default_config_static_selectorELNS0_4arch9wavefront6targetE0EEEvSQ_
                                        ; -- End function
	.section	.AMDGPU.csdata,"",@progbits
; Kernel info:
; codeLenInByte = 0
; NumSgprs: 0
; NumVgprs: 0
; ScratchSize: 0
; MemoryBound: 0
; FloatMode: 240
; IeeeMode: 1
; LDSByteSize: 0 bytes/workgroup (compile time only)
; SGPRBlocks: 0
; VGPRBlocks: 0
; NumSGPRsForWavesPerEU: 1
; NumVGPRsForWavesPerEU: 1
; Occupancy: 16
; WaveLimiterHint : 0
; COMPUTE_PGM_RSRC2:SCRATCH_EN: 0
; COMPUTE_PGM_RSRC2:USER_SGPR: 15
; COMPUTE_PGM_RSRC2:TRAP_HANDLER: 0
; COMPUTE_PGM_RSRC2:TGID_X_EN: 1
; COMPUTE_PGM_RSRC2:TGID_Y_EN: 0
; COMPUTE_PGM_RSRC2:TGID_Z_EN: 0
; COMPUTE_PGM_RSRC2:TIDIG_COMP_CNT: 0
	.section	.text._ZN7rocprim17ROCPRIM_400000_NS6detail17trampoline_kernelINS0_14default_configENS1_22reduce_config_selectorIbEEZNS1_11reduce_implILb1ES3_N6hipcub16HIPCUB_304000_NS22TransformInputIteratorIbN2at6native12_GLOBAL__N_19NonZeroOpIbEEPKblEEPiiNS8_6detail34convert_binary_result_type_wrapperINS8_3SumESH_iEEEE10hipError_tPvRmT1_T2_T3_mT4_P12ihipStream_tbEUlT_E0_NS1_11comp_targetILNS1_3genE2ELNS1_11target_archE906ELNS1_3gpuE6ELNS1_3repE0EEENS1_30default_config_static_selectorELNS0_4arch9wavefront6targetE0EEEvSQ_,"axG",@progbits,_ZN7rocprim17ROCPRIM_400000_NS6detail17trampoline_kernelINS0_14default_configENS1_22reduce_config_selectorIbEEZNS1_11reduce_implILb1ES3_N6hipcub16HIPCUB_304000_NS22TransformInputIteratorIbN2at6native12_GLOBAL__N_19NonZeroOpIbEEPKblEEPiiNS8_6detail34convert_binary_result_type_wrapperINS8_3SumESH_iEEEE10hipError_tPvRmT1_T2_T3_mT4_P12ihipStream_tbEUlT_E0_NS1_11comp_targetILNS1_3genE2ELNS1_11target_archE906ELNS1_3gpuE6ELNS1_3repE0EEENS1_30default_config_static_selectorELNS0_4arch9wavefront6targetE0EEEvSQ_,comdat
	.globl	_ZN7rocprim17ROCPRIM_400000_NS6detail17trampoline_kernelINS0_14default_configENS1_22reduce_config_selectorIbEEZNS1_11reduce_implILb1ES3_N6hipcub16HIPCUB_304000_NS22TransformInputIteratorIbN2at6native12_GLOBAL__N_19NonZeroOpIbEEPKblEEPiiNS8_6detail34convert_binary_result_type_wrapperINS8_3SumESH_iEEEE10hipError_tPvRmT1_T2_T3_mT4_P12ihipStream_tbEUlT_E0_NS1_11comp_targetILNS1_3genE2ELNS1_11target_archE906ELNS1_3gpuE6ELNS1_3repE0EEENS1_30default_config_static_selectorELNS0_4arch9wavefront6targetE0EEEvSQ_ ; -- Begin function _ZN7rocprim17ROCPRIM_400000_NS6detail17trampoline_kernelINS0_14default_configENS1_22reduce_config_selectorIbEEZNS1_11reduce_implILb1ES3_N6hipcub16HIPCUB_304000_NS22TransformInputIteratorIbN2at6native12_GLOBAL__N_19NonZeroOpIbEEPKblEEPiiNS8_6detail34convert_binary_result_type_wrapperINS8_3SumESH_iEEEE10hipError_tPvRmT1_T2_T3_mT4_P12ihipStream_tbEUlT_E0_NS1_11comp_targetILNS1_3genE2ELNS1_11target_archE906ELNS1_3gpuE6ELNS1_3repE0EEENS1_30default_config_static_selectorELNS0_4arch9wavefront6targetE0EEEvSQ_
	.p2align	8
	.type	_ZN7rocprim17ROCPRIM_400000_NS6detail17trampoline_kernelINS0_14default_configENS1_22reduce_config_selectorIbEEZNS1_11reduce_implILb1ES3_N6hipcub16HIPCUB_304000_NS22TransformInputIteratorIbN2at6native12_GLOBAL__N_19NonZeroOpIbEEPKblEEPiiNS8_6detail34convert_binary_result_type_wrapperINS8_3SumESH_iEEEE10hipError_tPvRmT1_T2_T3_mT4_P12ihipStream_tbEUlT_E0_NS1_11comp_targetILNS1_3genE2ELNS1_11target_archE906ELNS1_3gpuE6ELNS1_3repE0EEENS1_30default_config_static_selectorELNS0_4arch9wavefront6targetE0EEEvSQ_,@function
_ZN7rocprim17ROCPRIM_400000_NS6detail17trampoline_kernelINS0_14default_configENS1_22reduce_config_selectorIbEEZNS1_11reduce_implILb1ES3_N6hipcub16HIPCUB_304000_NS22TransformInputIteratorIbN2at6native12_GLOBAL__N_19NonZeroOpIbEEPKblEEPiiNS8_6detail34convert_binary_result_type_wrapperINS8_3SumESH_iEEEE10hipError_tPvRmT1_T2_T3_mT4_P12ihipStream_tbEUlT_E0_NS1_11comp_targetILNS1_3genE2ELNS1_11target_archE906ELNS1_3gpuE6ELNS1_3repE0EEENS1_30default_config_static_selectorELNS0_4arch9wavefront6targetE0EEEvSQ_: ; @_ZN7rocprim17ROCPRIM_400000_NS6detail17trampoline_kernelINS0_14default_configENS1_22reduce_config_selectorIbEEZNS1_11reduce_implILb1ES3_N6hipcub16HIPCUB_304000_NS22TransformInputIteratorIbN2at6native12_GLOBAL__N_19NonZeroOpIbEEPKblEEPiiNS8_6detail34convert_binary_result_type_wrapperINS8_3SumESH_iEEEE10hipError_tPvRmT1_T2_T3_mT4_P12ihipStream_tbEUlT_E0_NS1_11comp_targetILNS1_3genE2ELNS1_11target_archE906ELNS1_3gpuE6ELNS1_3repE0EEENS1_30default_config_static_selectorELNS0_4arch9wavefront6targetE0EEEvSQ_
; %bb.0:
	.section	.rodata,"a",@progbits
	.p2align	6, 0x0
	.amdhsa_kernel _ZN7rocprim17ROCPRIM_400000_NS6detail17trampoline_kernelINS0_14default_configENS1_22reduce_config_selectorIbEEZNS1_11reduce_implILb1ES3_N6hipcub16HIPCUB_304000_NS22TransformInputIteratorIbN2at6native12_GLOBAL__N_19NonZeroOpIbEEPKblEEPiiNS8_6detail34convert_binary_result_type_wrapperINS8_3SumESH_iEEEE10hipError_tPvRmT1_T2_T3_mT4_P12ihipStream_tbEUlT_E0_NS1_11comp_targetILNS1_3genE2ELNS1_11target_archE906ELNS1_3gpuE6ELNS1_3repE0EEENS1_30default_config_static_selectorELNS0_4arch9wavefront6targetE0EEEvSQ_
		.amdhsa_group_segment_fixed_size 0
		.amdhsa_private_segment_fixed_size 0
		.amdhsa_kernarg_size 64
		.amdhsa_user_sgpr_count 15
		.amdhsa_user_sgpr_dispatch_ptr 0
		.amdhsa_user_sgpr_queue_ptr 0
		.amdhsa_user_sgpr_kernarg_segment_ptr 1
		.amdhsa_user_sgpr_dispatch_id 0
		.amdhsa_user_sgpr_private_segment_size 0
		.amdhsa_wavefront_size32 1
		.amdhsa_uses_dynamic_stack 0
		.amdhsa_enable_private_segment 0
		.amdhsa_system_sgpr_workgroup_id_x 1
		.amdhsa_system_sgpr_workgroup_id_y 0
		.amdhsa_system_sgpr_workgroup_id_z 0
		.amdhsa_system_sgpr_workgroup_info 0
		.amdhsa_system_vgpr_workitem_id 0
		.amdhsa_next_free_vgpr 1
		.amdhsa_next_free_sgpr 1
		.amdhsa_reserve_vcc 0
		.amdhsa_float_round_mode_32 0
		.amdhsa_float_round_mode_16_64 0
		.amdhsa_float_denorm_mode_32 3
		.amdhsa_float_denorm_mode_16_64 3
		.amdhsa_dx10_clamp 1
		.amdhsa_ieee_mode 1
		.amdhsa_fp16_overflow 0
		.amdhsa_workgroup_processor_mode 1
		.amdhsa_memory_ordered 1
		.amdhsa_forward_progress 0
		.amdhsa_shared_vgpr_count 0
		.amdhsa_exception_fp_ieee_invalid_op 0
		.amdhsa_exception_fp_denorm_src 0
		.amdhsa_exception_fp_ieee_div_zero 0
		.amdhsa_exception_fp_ieee_overflow 0
		.amdhsa_exception_fp_ieee_underflow 0
		.amdhsa_exception_fp_ieee_inexact 0
		.amdhsa_exception_int_div_zero 0
	.end_amdhsa_kernel
	.section	.text._ZN7rocprim17ROCPRIM_400000_NS6detail17trampoline_kernelINS0_14default_configENS1_22reduce_config_selectorIbEEZNS1_11reduce_implILb1ES3_N6hipcub16HIPCUB_304000_NS22TransformInputIteratorIbN2at6native12_GLOBAL__N_19NonZeroOpIbEEPKblEEPiiNS8_6detail34convert_binary_result_type_wrapperINS8_3SumESH_iEEEE10hipError_tPvRmT1_T2_T3_mT4_P12ihipStream_tbEUlT_E0_NS1_11comp_targetILNS1_3genE2ELNS1_11target_archE906ELNS1_3gpuE6ELNS1_3repE0EEENS1_30default_config_static_selectorELNS0_4arch9wavefront6targetE0EEEvSQ_,"axG",@progbits,_ZN7rocprim17ROCPRIM_400000_NS6detail17trampoline_kernelINS0_14default_configENS1_22reduce_config_selectorIbEEZNS1_11reduce_implILb1ES3_N6hipcub16HIPCUB_304000_NS22TransformInputIteratorIbN2at6native12_GLOBAL__N_19NonZeroOpIbEEPKblEEPiiNS8_6detail34convert_binary_result_type_wrapperINS8_3SumESH_iEEEE10hipError_tPvRmT1_T2_T3_mT4_P12ihipStream_tbEUlT_E0_NS1_11comp_targetILNS1_3genE2ELNS1_11target_archE906ELNS1_3gpuE6ELNS1_3repE0EEENS1_30default_config_static_selectorELNS0_4arch9wavefront6targetE0EEEvSQ_,comdat
.Lfunc_end716:
	.size	_ZN7rocprim17ROCPRIM_400000_NS6detail17trampoline_kernelINS0_14default_configENS1_22reduce_config_selectorIbEEZNS1_11reduce_implILb1ES3_N6hipcub16HIPCUB_304000_NS22TransformInputIteratorIbN2at6native12_GLOBAL__N_19NonZeroOpIbEEPKblEEPiiNS8_6detail34convert_binary_result_type_wrapperINS8_3SumESH_iEEEE10hipError_tPvRmT1_T2_T3_mT4_P12ihipStream_tbEUlT_E0_NS1_11comp_targetILNS1_3genE2ELNS1_11target_archE906ELNS1_3gpuE6ELNS1_3repE0EEENS1_30default_config_static_selectorELNS0_4arch9wavefront6targetE0EEEvSQ_, .Lfunc_end716-_ZN7rocprim17ROCPRIM_400000_NS6detail17trampoline_kernelINS0_14default_configENS1_22reduce_config_selectorIbEEZNS1_11reduce_implILb1ES3_N6hipcub16HIPCUB_304000_NS22TransformInputIteratorIbN2at6native12_GLOBAL__N_19NonZeroOpIbEEPKblEEPiiNS8_6detail34convert_binary_result_type_wrapperINS8_3SumESH_iEEEE10hipError_tPvRmT1_T2_T3_mT4_P12ihipStream_tbEUlT_E0_NS1_11comp_targetILNS1_3genE2ELNS1_11target_archE906ELNS1_3gpuE6ELNS1_3repE0EEENS1_30default_config_static_selectorELNS0_4arch9wavefront6targetE0EEEvSQ_
                                        ; -- End function
	.section	.AMDGPU.csdata,"",@progbits
; Kernel info:
; codeLenInByte = 0
; NumSgprs: 0
; NumVgprs: 0
; ScratchSize: 0
; MemoryBound: 0
; FloatMode: 240
; IeeeMode: 1
; LDSByteSize: 0 bytes/workgroup (compile time only)
; SGPRBlocks: 0
; VGPRBlocks: 0
; NumSGPRsForWavesPerEU: 1
; NumVGPRsForWavesPerEU: 1
; Occupancy: 16
; WaveLimiterHint : 0
; COMPUTE_PGM_RSRC2:SCRATCH_EN: 0
; COMPUTE_PGM_RSRC2:USER_SGPR: 15
; COMPUTE_PGM_RSRC2:TRAP_HANDLER: 0
; COMPUTE_PGM_RSRC2:TGID_X_EN: 1
; COMPUTE_PGM_RSRC2:TGID_Y_EN: 0
; COMPUTE_PGM_RSRC2:TGID_Z_EN: 0
; COMPUTE_PGM_RSRC2:TIDIG_COMP_CNT: 0
	.section	.text._ZN7rocprim17ROCPRIM_400000_NS6detail17trampoline_kernelINS0_14default_configENS1_22reduce_config_selectorIbEEZNS1_11reduce_implILb1ES3_N6hipcub16HIPCUB_304000_NS22TransformInputIteratorIbN2at6native12_GLOBAL__N_19NonZeroOpIbEEPKblEEPiiNS8_6detail34convert_binary_result_type_wrapperINS8_3SumESH_iEEEE10hipError_tPvRmT1_T2_T3_mT4_P12ihipStream_tbEUlT_E0_NS1_11comp_targetILNS1_3genE10ELNS1_11target_archE1201ELNS1_3gpuE5ELNS1_3repE0EEENS1_30default_config_static_selectorELNS0_4arch9wavefront6targetE0EEEvSQ_,"axG",@progbits,_ZN7rocprim17ROCPRIM_400000_NS6detail17trampoline_kernelINS0_14default_configENS1_22reduce_config_selectorIbEEZNS1_11reduce_implILb1ES3_N6hipcub16HIPCUB_304000_NS22TransformInputIteratorIbN2at6native12_GLOBAL__N_19NonZeroOpIbEEPKblEEPiiNS8_6detail34convert_binary_result_type_wrapperINS8_3SumESH_iEEEE10hipError_tPvRmT1_T2_T3_mT4_P12ihipStream_tbEUlT_E0_NS1_11comp_targetILNS1_3genE10ELNS1_11target_archE1201ELNS1_3gpuE5ELNS1_3repE0EEENS1_30default_config_static_selectorELNS0_4arch9wavefront6targetE0EEEvSQ_,comdat
	.globl	_ZN7rocprim17ROCPRIM_400000_NS6detail17trampoline_kernelINS0_14default_configENS1_22reduce_config_selectorIbEEZNS1_11reduce_implILb1ES3_N6hipcub16HIPCUB_304000_NS22TransformInputIteratorIbN2at6native12_GLOBAL__N_19NonZeroOpIbEEPKblEEPiiNS8_6detail34convert_binary_result_type_wrapperINS8_3SumESH_iEEEE10hipError_tPvRmT1_T2_T3_mT4_P12ihipStream_tbEUlT_E0_NS1_11comp_targetILNS1_3genE10ELNS1_11target_archE1201ELNS1_3gpuE5ELNS1_3repE0EEENS1_30default_config_static_selectorELNS0_4arch9wavefront6targetE0EEEvSQ_ ; -- Begin function _ZN7rocprim17ROCPRIM_400000_NS6detail17trampoline_kernelINS0_14default_configENS1_22reduce_config_selectorIbEEZNS1_11reduce_implILb1ES3_N6hipcub16HIPCUB_304000_NS22TransformInputIteratorIbN2at6native12_GLOBAL__N_19NonZeroOpIbEEPKblEEPiiNS8_6detail34convert_binary_result_type_wrapperINS8_3SumESH_iEEEE10hipError_tPvRmT1_T2_T3_mT4_P12ihipStream_tbEUlT_E0_NS1_11comp_targetILNS1_3genE10ELNS1_11target_archE1201ELNS1_3gpuE5ELNS1_3repE0EEENS1_30default_config_static_selectorELNS0_4arch9wavefront6targetE0EEEvSQ_
	.p2align	8
	.type	_ZN7rocprim17ROCPRIM_400000_NS6detail17trampoline_kernelINS0_14default_configENS1_22reduce_config_selectorIbEEZNS1_11reduce_implILb1ES3_N6hipcub16HIPCUB_304000_NS22TransformInputIteratorIbN2at6native12_GLOBAL__N_19NonZeroOpIbEEPKblEEPiiNS8_6detail34convert_binary_result_type_wrapperINS8_3SumESH_iEEEE10hipError_tPvRmT1_T2_T3_mT4_P12ihipStream_tbEUlT_E0_NS1_11comp_targetILNS1_3genE10ELNS1_11target_archE1201ELNS1_3gpuE5ELNS1_3repE0EEENS1_30default_config_static_selectorELNS0_4arch9wavefront6targetE0EEEvSQ_,@function
_ZN7rocprim17ROCPRIM_400000_NS6detail17trampoline_kernelINS0_14default_configENS1_22reduce_config_selectorIbEEZNS1_11reduce_implILb1ES3_N6hipcub16HIPCUB_304000_NS22TransformInputIteratorIbN2at6native12_GLOBAL__N_19NonZeroOpIbEEPKblEEPiiNS8_6detail34convert_binary_result_type_wrapperINS8_3SumESH_iEEEE10hipError_tPvRmT1_T2_T3_mT4_P12ihipStream_tbEUlT_E0_NS1_11comp_targetILNS1_3genE10ELNS1_11target_archE1201ELNS1_3gpuE5ELNS1_3repE0EEENS1_30default_config_static_selectorELNS0_4arch9wavefront6targetE0EEEvSQ_: ; @_ZN7rocprim17ROCPRIM_400000_NS6detail17trampoline_kernelINS0_14default_configENS1_22reduce_config_selectorIbEEZNS1_11reduce_implILb1ES3_N6hipcub16HIPCUB_304000_NS22TransformInputIteratorIbN2at6native12_GLOBAL__N_19NonZeroOpIbEEPKblEEPiiNS8_6detail34convert_binary_result_type_wrapperINS8_3SumESH_iEEEE10hipError_tPvRmT1_T2_T3_mT4_P12ihipStream_tbEUlT_E0_NS1_11comp_targetILNS1_3genE10ELNS1_11target_archE1201ELNS1_3gpuE5ELNS1_3repE0EEENS1_30default_config_static_selectorELNS0_4arch9wavefront6targetE0EEEvSQ_
; %bb.0:
	.section	.rodata,"a",@progbits
	.p2align	6, 0x0
	.amdhsa_kernel _ZN7rocprim17ROCPRIM_400000_NS6detail17trampoline_kernelINS0_14default_configENS1_22reduce_config_selectorIbEEZNS1_11reduce_implILb1ES3_N6hipcub16HIPCUB_304000_NS22TransformInputIteratorIbN2at6native12_GLOBAL__N_19NonZeroOpIbEEPKblEEPiiNS8_6detail34convert_binary_result_type_wrapperINS8_3SumESH_iEEEE10hipError_tPvRmT1_T2_T3_mT4_P12ihipStream_tbEUlT_E0_NS1_11comp_targetILNS1_3genE10ELNS1_11target_archE1201ELNS1_3gpuE5ELNS1_3repE0EEENS1_30default_config_static_selectorELNS0_4arch9wavefront6targetE0EEEvSQ_
		.amdhsa_group_segment_fixed_size 0
		.amdhsa_private_segment_fixed_size 0
		.amdhsa_kernarg_size 64
		.amdhsa_user_sgpr_count 15
		.amdhsa_user_sgpr_dispatch_ptr 0
		.amdhsa_user_sgpr_queue_ptr 0
		.amdhsa_user_sgpr_kernarg_segment_ptr 1
		.amdhsa_user_sgpr_dispatch_id 0
		.amdhsa_user_sgpr_private_segment_size 0
		.amdhsa_wavefront_size32 1
		.amdhsa_uses_dynamic_stack 0
		.amdhsa_enable_private_segment 0
		.amdhsa_system_sgpr_workgroup_id_x 1
		.amdhsa_system_sgpr_workgroup_id_y 0
		.amdhsa_system_sgpr_workgroup_id_z 0
		.amdhsa_system_sgpr_workgroup_info 0
		.amdhsa_system_vgpr_workitem_id 0
		.amdhsa_next_free_vgpr 1
		.amdhsa_next_free_sgpr 1
		.amdhsa_reserve_vcc 0
		.amdhsa_float_round_mode_32 0
		.amdhsa_float_round_mode_16_64 0
		.amdhsa_float_denorm_mode_32 3
		.amdhsa_float_denorm_mode_16_64 3
		.amdhsa_dx10_clamp 1
		.amdhsa_ieee_mode 1
		.amdhsa_fp16_overflow 0
		.amdhsa_workgroup_processor_mode 1
		.amdhsa_memory_ordered 1
		.amdhsa_forward_progress 0
		.amdhsa_shared_vgpr_count 0
		.amdhsa_exception_fp_ieee_invalid_op 0
		.amdhsa_exception_fp_denorm_src 0
		.amdhsa_exception_fp_ieee_div_zero 0
		.amdhsa_exception_fp_ieee_overflow 0
		.amdhsa_exception_fp_ieee_underflow 0
		.amdhsa_exception_fp_ieee_inexact 0
		.amdhsa_exception_int_div_zero 0
	.end_amdhsa_kernel
	.section	.text._ZN7rocprim17ROCPRIM_400000_NS6detail17trampoline_kernelINS0_14default_configENS1_22reduce_config_selectorIbEEZNS1_11reduce_implILb1ES3_N6hipcub16HIPCUB_304000_NS22TransformInputIteratorIbN2at6native12_GLOBAL__N_19NonZeroOpIbEEPKblEEPiiNS8_6detail34convert_binary_result_type_wrapperINS8_3SumESH_iEEEE10hipError_tPvRmT1_T2_T3_mT4_P12ihipStream_tbEUlT_E0_NS1_11comp_targetILNS1_3genE10ELNS1_11target_archE1201ELNS1_3gpuE5ELNS1_3repE0EEENS1_30default_config_static_selectorELNS0_4arch9wavefront6targetE0EEEvSQ_,"axG",@progbits,_ZN7rocprim17ROCPRIM_400000_NS6detail17trampoline_kernelINS0_14default_configENS1_22reduce_config_selectorIbEEZNS1_11reduce_implILb1ES3_N6hipcub16HIPCUB_304000_NS22TransformInputIteratorIbN2at6native12_GLOBAL__N_19NonZeroOpIbEEPKblEEPiiNS8_6detail34convert_binary_result_type_wrapperINS8_3SumESH_iEEEE10hipError_tPvRmT1_T2_T3_mT4_P12ihipStream_tbEUlT_E0_NS1_11comp_targetILNS1_3genE10ELNS1_11target_archE1201ELNS1_3gpuE5ELNS1_3repE0EEENS1_30default_config_static_selectorELNS0_4arch9wavefront6targetE0EEEvSQ_,comdat
.Lfunc_end717:
	.size	_ZN7rocprim17ROCPRIM_400000_NS6detail17trampoline_kernelINS0_14default_configENS1_22reduce_config_selectorIbEEZNS1_11reduce_implILb1ES3_N6hipcub16HIPCUB_304000_NS22TransformInputIteratorIbN2at6native12_GLOBAL__N_19NonZeroOpIbEEPKblEEPiiNS8_6detail34convert_binary_result_type_wrapperINS8_3SumESH_iEEEE10hipError_tPvRmT1_T2_T3_mT4_P12ihipStream_tbEUlT_E0_NS1_11comp_targetILNS1_3genE10ELNS1_11target_archE1201ELNS1_3gpuE5ELNS1_3repE0EEENS1_30default_config_static_selectorELNS0_4arch9wavefront6targetE0EEEvSQ_, .Lfunc_end717-_ZN7rocprim17ROCPRIM_400000_NS6detail17trampoline_kernelINS0_14default_configENS1_22reduce_config_selectorIbEEZNS1_11reduce_implILb1ES3_N6hipcub16HIPCUB_304000_NS22TransformInputIteratorIbN2at6native12_GLOBAL__N_19NonZeroOpIbEEPKblEEPiiNS8_6detail34convert_binary_result_type_wrapperINS8_3SumESH_iEEEE10hipError_tPvRmT1_T2_T3_mT4_P12ihipStream_tbEUlT_E0_NS1_11comp_targetILNS1_3genE10ELNS1_11target_archE1201ELNS1_3gpuE5ELNS1_3repE0EEENS1_30default_config_static_selectorELNS0_4arch9wavefront6targetE0EEEvSQ_
                                        ; -- End function
	.section	.AMDGPU.csdata,"",@progbits
; Kernel info:
; codeLenInByte = 0
; NumSgprs: 0
; NumVgprs: 0
; ScratchSize: 0
; MemoryBound: 0
; FloatMode: 240
; IeeeMode: 1
; LDSByteSize: 0 bytes/workgroup (compile time only)
; SGPRBlocks: 0
; VGPRBlocks: 0
; NumSGPRsForWavesPerEU: 1
; NumVGPRsForWavesPerEU: 1
; Occupancy: 16
; WaveLimiterHint : 0
; COMPUTE_PGM_RSRC2:SCRATCH_EN: 0
; COMPUTE_PGM_RSRC2:USER_SGPR: 15
; COMPUTE_PGM_RSRC2:TRAP_HANDLER: 0
; COMPUTE_PGM_RSRC2:TGID_X_EN: 1
; COMPUTE_PGM_RSRC2:TGID_Y_EN: 0
; COMPUTE_PGM_RSRC2:TGID_Z_EN: 0
; COMPUTE_PGM_RSRC2:TIDIG_COMP_CNT: 0
	.section	.text._ZN7rocprim17ROCPRIM_400000_NS6detail17trampoline_kernelINS0_14default_configENS1_22reduce_config_selectorIbEEZNS1_11reduce_implILb1ES3_N6hipcub16HIPCUB_304000_NS22TransformInputIteratorIbN2at6native12_GLOBAL__N_19NonZeroOpIbEEPKblEEPiiNS8_6detail34convert_binary_result_type_wrapperINS8_3SumESH_iEEEE10hipError_tPvRmT1_T2_T3_mT4_P12ihipStream_tbEUlT_E0_NS1_11comp_targetILNS1_3genE10ELNS1_11target_archE1200ELNS1_3gpuE4ELNS1_3repE0EEENS1_30default_config_static_selectorELNS0_4arch9wavefront6targetE0EEEvSQ_,"axG",@progbits,_ZN7rocprim17ROCPRIM_400000_NS6detail17trampoline_kernelINS0_14default_configENS1_22reduce_config_selectorIbEEZNS1_11reduce_implILb1ES3_N6hipcub16HIPCUB_304000_NS22TransformInputIteratorIbN2at6native12_GLOBAL__N_19NonZeroOpIbEEPKblEEPiiNS8_6detail34convert_binary_result_type_wrapperINS8_3SumESH_iEEEE10hipError_tPvRmT1_T2_T3_mT4_P12ihipStream_tbEUlT_E0_NS1_11comp_targetILNS1_3genE10ELNS1_11target_archE1200ELNS1_3gpuE4ELNS1_3repE0EEENS1_30default_config_static_selectorELNS0_4arch9wavefront6targetE0EEEvSQ_,comdat
	.globl	_ZN7rocprim17ROCPRIM_400000_NS6detail17trampoline_kernelINS0_14default_configENS1_22reduce_config_selectorIbEEZNS1_11reduce_implILb1ES3_N6hipcub16HIPCUB_304000_NS22TransformInputIteratorIbN2at6native12_GLOBAL__N_19NonZeroOpIbEEPKblEEPiiNS8_6detail34convert_binary_result_type_wrapperINS8_3SumESH_iEEEE10hipError_tPvRmT1_T2_T3_mT4_P12ihipStream_tbEUlT_E0_NS1_11comp_targetILNS1_3genE10ELNS1_11target_archE1200ELNS1_3gpuE4ELNS1_3repE0EEENS1_30default_config_static_selectorELNS0_4arch9wavefront6targetE0EEEvSQ_ ; -- Begin function _ZN7rocprim17ROCPRIM_400000_NS6detail17trampoline_kernelINS0_14default_configENS1_22reduce_config_selectorIbEEZNS1_11reduce_implILb1ES3_N6hipcub16HIPCUB_304000_NS22TransformInputIteratorIbN2at6native12_GLOBAL__N_19NonZeroOpIbEEPKblEEPiiNS8_6detail34convert_binary_result_type_wrapperINS8_3SumESH_iEEEE10hipError_tPvRmT1_T2_T3_mT4_P12ihipStream_tbEUlT_E0_NS1_11comp_targetILNS1_3genE10ELNS1_11target_archE1200ELNS1_3gpuE4ELNS1_3repE0EEENS1_30default_config_static_selectorELNS0_4arch9wavefront6targetE0EEEvSQ_
	.p2align	8
	.type	_ZN7rocprim17ROCPRIM_400000_NS6detail17trampoline_kernelINS0_14default_configENS1_22reduce_config_selectorIbEEZNS1_11reduce_implILb1ES3_N6hipcub16HIPCUB_304000_NS22TransformInputIteratorIbN2at6native12_GLOBAL__N_19NonZeroOpIbEEPKblEEPiiNS8_6detail34convert_binary_result_type_wrapperINS8_3SumESH_iEEEE10hipError_tPvRmT1_T2_T3_mT4_P12ihipStream_tbEUlT_E0_NS1_11comp_targetILNS1_3genE10ELNS1_11target_archE1200ELNS1_3gpuE4ELNS1_3repE0EEENS1_30default_config_static_selectorELNS0_4arch9wavefront6targetE0EEEvSQ_,@function
_ZN7rocprim17ROCPRIM_400000_NS6detail17trampoline_kernelINS0_14default_configENS1_22reduce_config_selectorIbEEZNS1_11reduce_implILb1ES3_N6hipcub16HIPCUB_304000_NS22TransformInputIteratorIbN2at6native12_GLOBAL__N_19NonZeroOpIbEEPKblEEPiiNS8_6detail34convert_binary_result_type_wrapperINS8_3SumESH_iEEEE10hipError_tPvRmT1_T2_T3_mT4_P12ihipStream_tbEUlT_E0_NS1_11comp_targetILNS1_3genE10ELNS1_11target_archE1200ELNS1_3gpuE4ELNS1_3repE0EEENS1_30default_config_static_selectorELNS0_4arch9wavefront6targetE0EEEvSQ_: ; @_ZN7rocprim17ROCPRIM_400000_NS6detail17trampoline_kernelINS0_14default_configENS1_22reduce_config_selectorIbEEZNS1_11reduce_implILb1ES3_N6hipcub16HIPCUB_304000_NS22TransformInputIteratorIbN2at6native12_GLOBAL__N_19NonZeroOpIbEEPKblEEPiiNS8_6detail34convert_binary_result_type_wrapperINS8_3SumESH_iEEEE10hipError_tPvRmT1_T2_T3_mT4_P12ihipStream_tbEUlT_E0_NS1_11comp_targetILNS1_3genE10ELNS1_11target_archE1200ELNS1_3gpuE4ELNS1_3repE0EEENS1_30default_config_static_selectorELNS0_4arch9wavefront6targetE0EEEvSQ_
; %bb.0:
	.section	.rodata,"a",@progbits
	.p2align	6, 0x0
	.amdhsa_kernel _ZN7rocprim17ROCPRIM_400000_NS6detail17trampoline_kernelINS0_14default_configENS1_22reduce_config_selectorIbEEZNS1_11reduce_implILb1ES3_N6hipcub16HIPCUB_304000_NS22TransformInputIteratorIbN2at6native12_GLOBAL__N_19NonZeroOpIbEEPKblEEPiiNS8_6detail34convert_binary_result_type_wrapperINS8_3SumESH_iEEEE10hipError_tPvRmT1_T2_T3_mT4_P12ihipStream_tbEUlT_E0_NS1_11comp_targetILNS1_3genE10ELNS1_11target_archE1200ELNS1_3gpuE4ELNS1_3repE0EEENS1_30default_config_static_selectorELNS0_4arch9wavefront6targetE0EEEvSQ_
		.amdhsa_group_segment_fixed_size 0
		.amdhsa_private_segment_fixed_size 0
		.amdhsa_kernarg_size 64
		.amdhsa_user_sgpr_count 15
		.amdhsa_user_sgpr_dispatch_ptr 0
		.amdhsa_user_sgpr_queue_ptr 0
		.amdhsa_user_sgpr_kernarg_segment_ptr 1
		.amdhsa_user_sgpr_dispatch_id 0
		.amdhsa_user_sgpr_private_segment_size 0
		.amdhsa_wavefront_size32 1
		.amdhsa_uses_dynamic_stack 0
		.amdhsa_enable_private_segment 0
		.amdhsa_system_sgpr_workgroup_id_x 1
		.amdhsa_system_sgpr_workgroup_id_y 0
		.amdhsa_system_sgpr_workgroup_id_z 0
		.amdhsa_system_sgpr_workgroup_info 0
		.amdhsa_system_vgpr_workitem_id 0
		.amdhsa_next_free_vgpr 1
		.amdhsa_next_free_sgpr 1
		.amdhsa_reserve_vcc 0
		.amdhsa_float_round_mode_32 0
		.amdhsa_float_round_mode_16_64 0
		.amdhsa_float_denorm_mode_32 3
		.amdhsa_float_denorm_mode_16_64 3
		.amdhsa_dx10_clamp 1
		.amdhsa_ieee_mode 1
		.amdhsa_fp16_overflow 0
		.amdhsa_workgroup_processor_mode 1
		.amdhsa_memory_ordered 1
		.amdhsa_forward_progress 0
		.amdhsa_shared_vgpr_count 0
		.amdhsa_exception_fp_ieee_invalid_op 0
		.amdhsa_exception_fp_denorm_src 0
		.amdhsa_exception_fp_ieee_div_zero 0
		.amdhsa_exception_fp_ieee_overflow 0
		.amdhsa_exception_fp_ieee_underflow 0
		.amdhsa_exception_fp_ieee_inexact 0
		.amdhsa_exception_int_div_zero 0
	.end_amdhsa_kernel
	.section	.text._ZN7rocprim17ROCPRIM_400000_NS6detail17trampoline_kernelINS0_14default_configENS1_22reduce_config_selectorIbEEZNS1_11reduce_implILb1ES3_N6hipcub16HIPCUB_304000_NS22TransformInputIteratorIbN2at6native12_GLOBAL__N_19NonZeroOpIbEEPKblEEPiiNS8_6detail34convert_binary_result_type_wrapperINS8_3SumESH_iEEEE10hipError_tPvRmT1_T2_T3_mT4_P12ihipStream_tbEUlT_E0_NS1_11comp_targetILNS1_3genE10ELNS1_11target_archE1200ELNS1_3gpuE4ELNS1_3repE0EEENS1_30default_config_static_selectorELNS0_4arch9wavefront6targetE0EEEvSQ_,"axG",@progbits,_ZN7rocprim17ROCPRIM_400000_NS6detail17trampoline_kernelINS0_14default_configENS1_22reduce_config_selectorIbEEZNS1_11reduce_implILb1ES3_N6hipcub16HIPCUB_304000_NS22TransformInputIteratorIbN2at6native12_GLOBAL__N_19NonZeroOpIbEEPKblEEPiiNS8_6detail34convert_binary_result_type_wrapperINS8_3SumESH_iEEEE10hipError_tPvRmT1_T2_T3_mT4_P12ihipStream_tbEUlT_E0_NS1_11comp_targetILNS1_3genE10ELNS1_11target_archE1200ELNS1_3gpuE4ELNS1_3repE0EEENS1_30default_config_static_selectorELNS0_4arch9wavefront6targetE0EEEvSQ_,comdat
.Lfunc_end718:
	.size	_ZN7rocprim17ROCPRIM_400000_NS6detail17trampoline_kernelINS0_14default_configENS1_22reduce_config_selectorIbEEZNS1_11reduce_implILb1ES3_N6hipcub16HIPCUB_304000_NS22TransformInputIteratorIbN2at6native12_GLOBAL__N_19NonZeroOpIbEEPKblEEPiiNS8_6detail34convert_binary_result_type_wrapperINS8_3SumESH_iEEEE10hipError_tPvRmT1_T2_T3_mT4_P12ihipStream_tbEUlT_E0_NS1_11comp_targetILNS1_3genE10ELNS1_11target_archE1200ELNS1_3gpuE4ELNS1_3repE0EEENS1_30default_config_static_selectorELNS0_4arch9wavefront6targetE0EEEvSQ_, .Lfunc_end718-_ZN7rocprim17ROCPRIM_400000_NS6detail17trampoline_kernelINS0_14default_configENS1_22reduce_config_selectorIbEEZNS1_11reduce_implILb1ES3_N6hipcub16HIPCUB_304000_NS22TransformInputIteratorIbN2at6native12_GLOBAL__N_19NonZeroOpIbEEPKblEEPiiNS8_6detail34convert_binary_result_type_wrapperINS8_3SumESH_iEEEE10hipError_tPvRmT1_T2_T3_mT4_P12ihipStream_tbEUlT_E0_NS1_11comp_targetILNS1_3genE10ELNS1_11target_archE1200ELNS1_3gpuE4ELNS1_3repE0EEENS1_30default_config_static_selectorELNS0_4arch9wavefront6targetE0EEEvSQ_
                                        ; -- End function
	.section	.AMDGPU.csdata,"",@progbits
; Kernel info:
; codeLenInByte = 0
; NumSgprs: 0
; NumVgprs: 0
; ScratchSize: 0
; MemoryBound: 0
; FloatMode: 240
; IeeeMode: 1
; LDSByteSize: 0 bytes/workgroup (compile time only)
; SGPRBlocks: 0
; VGPRBlocks: 0
; NumSGPRsForWavesPerEU: 1
; NumVGPRsForWavesPerEU: 1
; Occupancy: 16
; WaveLimiterHint : 0
; COMPUTE_PGM_RSRC2:SCRATCH_EN: 0
; COMPUTE_PGM_RSRC2:USER_SGPR: 15
; COMPUTE_PGM_RSRC2:TRAP_HANDLER: 0
; COMPUTE_PGM_RSRC2:TGID_X_EN: 1
; COMPUTE_PGM_RSRC2:TGID_Y_EN: 0
; COMPUTE_PGM_RSRC2:TGID_Z_EN: 0
; COMPUTE_PGM_RSRC2:TIDIG_COMP_CNT: 0
	.section	.text._ZN7rocprim17ROCPRIM_400000_NS6detail17trampoline_kernelINS0_14default_configENS1_22reduce_config_selectorIbEEZNS1_11reduce_implILb1ES3_N6hipcub16HIPCUB_304000_NS22TransformInputIteratorIbN2at6native12_GLOBAL__N_19NonZeroOpIbEEPKblEEPiiNS8_6detail34convert_binary_result_type_wrapperINS8_3SumESH_iEEEE10hipError_tPvRmT1_T2_T3_mT4_P12ihipStream_tbEUlT_E0_NS1_11comp_targetILNS1_3genE9ELNS1_11target_archE1100ELNS1_3gpuE3ELNS1_3repE0EEENS1_30default_config_static_selectorELNS0_4arch9wavefront6targetE0EEEvSQ_,"axG",@progbits,_ZN7rocprim17ROCPRIM_400000_NS6detail17trampoline_kernelINS0_14default_configENS1_22reduce_config_selectorIbEEZNS1_11reduce_implILb1ES3_N6hipcub16HIPCUB_304000_NS22TransformInputIteratorIbN2at6native12_GLOBAL__N_19NonZeroOpIbEEPKblEEPiiNS8_6detail34convert_binary_result_type_wrapperINS8_3SumESH_iEEEE10hipError_tPvRmT1_T2_T3_mT4_P12ihipStream_tbEUlT_E0_NS1_11comp_targetILNS1_3genE9ELNS1_11target_archE1100ELNS1_3gpuE3ELNS1_3repE0EEENS1_30default_config_static_selectorELNS0_4arch9wavefront6targetE0EEEvSQ_,comdat
	.globl	_ZN7rocprim17ROCPRIM_400000_NS6detail17trampoline_kernelINS0_14default_configENS1_22reduce_config_selectorIbEEZNS1_11reduce_implILb1ES3_N6hipcub16HIPCUB_304000_NS22TransformInputIteratorIbN2at6native12_GLOBAL__N_19NonZeroOpIbEEPKblEEPiiNS8_6detail34convert_binary_result_type_wrapperINS8_3SumESH_iEEEE10hipError_tPvRmT1_T2_T3_mT4_P12ihipStream_tbEUlT_E0_NS1_11comp_targetILNS1_3genE9ELNS1_11target_archE1100ELNS1_3gpuE3ELNS1_3repE0EEENS1_30default_config_static_selectorELNS0_4arch9wavefront6targetE0EEEvSQ_ ; -- Begin function _ZN7rocprim17ROCPRIM_400000_NS6detail17trampoline_kernelINS0_14default_configENS1_22reduce_config_selectorIbEEZNS1_11reduce_implILb1ES3_N6hipcub16HIPCUB_304000_NS22TransformInputIteratorIbN2at6native12_GLOBAL__N_19NonZeroOpIbEEPKblEEPiiNS8_6detail34convert_binary_result_type_wrapperINS8_3SumESH_iEEEE10hipError_tPvRmT1_T2_T3_mT4_P12ihipStream_tbEUlT_E0_NS1_11comp_targetILNS1_3genE9ELNS1_11target_archE1100ELNS1_3gpuE3ELNS1_3repE0EEENS1_30default_config_static_selectorELNS0_4arch9wavefront6targetE0EEEvSQ_
	.p2align	8
	.type	_ZN7rocprim17ROCPRIM_400000_NS6detail17trampoline_kernelINS0_14default_configENS1_22reduce_config_selectorIbEEZNS1_11reduce_implILb1ES3_N6hipcub16HIPCUB_304000_NS22TransformInputIteratorIbN2at6native12_GLOBAL__N_19NonZeroOpIbEEPKblEEPiiNS8_6detail34convert_binary_result_type_wrapperINS8_3SumESH_iEEEE10hipError_tPvRmT1_T2_T3_mT4_P12ihipStream_tbEUlT_E0_NS1_11comp_targetILNS1_3genE9ELNS1_11target_archE1100ELNS1_3gpuE3ELNS1_3repE0EEENS1_30default_config_static_selectorELNS0_4arch9wavefront6targetE0EEEvSQ_,@function
_ZN7rocprim17ROCPRIM_400000_NS6detail17trampoline_kernelINS0_14default_configENS1_22reduce_config_selectorIbEEZNS1_11reduce_implILb1ES3_N6hipcub16HIPCUB_304000_NS22TransformInputIteratorIbN2at6native12_GLOBAL__N_19NonZeroOpIbEEPKblEEPiiNS8_6detail34convert_binary_result_type_wrapperINS8_3SumESH_iEEEE10hipError_tPvRmT1_T2_T3_mT4_P12ihipStream_tbEUlT_E0_NS1_11comp_targetILNS1_3genE9ELNS1_11target_archE1100ELNS1_3gpuE3ELNS1_3repE0EEENS1_30default_config_static_selectorELNS0_4arch9wavefront6targetE0EEEvSQ_: ; @_ZN7rocprim17ROCPRIM_400000_NS6detail17trampoline_kernelINS0_14default_configENS1_22reduce_config_selectorIbEEZNS1_11reduce_implILb1ES3_N6hipcub16HIPCUB_304000_NS22TransformInputIteratorIbN2at6native12_GLOBAL__N_19NonZeroOpIbEEPKblEEPiiNS8_6detail34convert_binary_result_type_wrapperINS8_3SumESH_iEEEE10hipError_tPvRmT1_T2_T3_mT4_P12ihipStream_tbEUlT_E0_NS1_11comp_targetILNS1_3genE9ELNS1_11target_archE1100ELNS1_3gpuE3ELNS1_3repE0EEENS1_30default_config_static_selectorELNS0_4arch9wavefront6targetE0EEEvSQ_
; %bb.0:
	s_clause 0x2
	s_load_b64 s[2:3], s[0:1], 0x0
	s_load_b256 s[16:23], s[0:1], 0x10
	s_load_b64 s[26:27], s[0:1], 0x30
	v_mbcnt_lo_u32_b32 v17, -1, 0
	s_mov_b32 s24, s15
	s_mov_b32 s25, 0
	s_waitcnt lgkmcnt(0)
	s_add_u32 s6, s2, s16
	s_addc_u32 s3, s3, s17
	s_lshl_b32 s2, s15, 11
	s_lshr_b64 s[4:5], s[18:19], 11
	s_add_u32 s16, s6, s2
	s_addc_u32 s17, s3, 0
	s_cmp_lg_u64 s[4:5], s[24:25]
	s_cbranch_scc0 .LBB719_6
; %bb.1:
	s_clause 0xf
	global_load_u8 v1, v0, s[16:17]
	global_load_u8 v2, v0, s[16:17] offset:128
	global_load_u8 v3, v0, s[16:17] offset:256
	;; [unrolled: 1-line block ×15, first 2 shown]
	s_mov_b32 s3, exec_lo
	s_waitcnt vmcnt(14)
	v_add_nc_u16 v1, v2, v1
	s_waitcnt vmcnt(13)
	s_delay_alu instid0(VALU_DEP_1) | instskip(SKIP_1) | instid1(VALU_DEP_1)
	v_add_nc_u16 v1, v1, v3
	s_waitcnt vmcnt(12)
	v_add_nc_u16 v1, v1, v4
	s_waitcnt vmcnt(11)
	s_delay_alu instid0(VALU_DEP_1) | instskip(SKIP_1) | instid1(VALU_DEP_1)
	v_add_nc_u16 v1, v1, v5
	s_waitcnt vmcnt(10)
	v_add_nc_u16 v1, v1, v6
	s_waitcnt vmcnt(9)
	s_delay_alu instid0(VALU_DEP_1) | instskip(NEXT) | instid1(VALU_DEP_1)
	v_add_nc_u16 v1, v1, v7
	v_and_b32_e32 v1, 0xff, v1
	s_waitcnt vmcnt(8)
	s_delay_alu instid0(VALU_DEP_1) | instskip(SKIP_1) | instid1(VALU_DEP_1)
	v_add_nc_u32_e32 v1, v1, v8
	s_waitcnt vmcnt(6)
	v_add3_u32 v1, v1, v9, v10
	s_waitcnt vmcnt(4)
	s_delay_alu instid0(VALU_DEP_1) | instskip(SKIP_1) | instid1(VALU_DEP_1)
	v_add3_u32 v1, v1, v11, v12
	s_waitcnt vmcnt(2)
	v_add3_u32 v1, v1, v13, v14
	s_waitcnt vmcnt(0)
	s_delay_alu instid0(VALU_DEP_1) | instskip(NEXT) | instid1(VALU_DEP_1)
	v_add3_u32 v1, v1, v15, v16
	v_mov_b32_dpp v2, v1 quad_perm:[1,0,3,2] row_mask:0xf bank_mask:0xf
	s_delay_alu instid0(VALU_DEP_1) | instskip(NEXT) | instid1(VALU_DEP_1)
	v_add_nc_u32_e32 v1, v2, v1
	v_mov_b32_dpp v2, v1 quad_perm:[2,3,0,1] row_mask:0xf bank_mask:0xf
	s_delay_alu instid0(VALU_DEP_1) | instskip(NEXT) | instid1(VALU_DEP_1)
	v_add_nc_u32_e32 v1, v1, v2
	v_mov_b32_dpp v2, v1 row_ror:4 row_mask:0xf bank_mask:0xf
	s_delay_alu instid0(VALU_DEP_1) | instskip(NEXT) | instid1(VALU_DEP_1)
	v_add_nc_u32_e32 v1, v1, v2
	v_mov_b32_dpp v2, v1 row_ror:8 row_mask:0xf bank_mask:0xf
	s_delay_alu instid0(VALU_DEP_1)
	v_add_nc_u32_e32 v1, v1, v2
	ds_swizzle_b32 v2, v1 offset:swizzle(BROADCAST,32,15)
	s_waitcnt lgkmcnt(0)
	v_dual_mov_b32 v2, 0 :: v_dual_add_nc_u32 v1, v1, v2
	ds_bpermute_b32 v1, v2, v1 offset:124
	v_cmpx_eq_u32_e32 0, v17
	s_cbranch_execz .LBB719_3
; %bb.2:
	v_lshrrev_b32_e32 v2, 3, v0
	s_delay_alu instid0(VALU_DEP_1)
	v_and_b32_e32 v2, 12, v2
	s_waitcnt lgkmcnt(0)
	ds_store_b32 v2, v1
.LBB719_3:
	s_or_b32 exec_lo, exec_lo, s3
	s_delay_alu instid0(SALU_CYCLE_1)
	s_mov_b32 s3, exec_lo
	s_waitcnt lgkmcnt(0)
	s_barrier
	buffer_gl0_inv
	v_cmpx_gt_u32_e32 32, v0
	s_cbranch_execz .LBB719_5
; %bb.4:
	v_and_b32_e32 v1, 3, v17
	s_delay_alu instid0(VALU_DEP_1) | instskip(SKIP_4) | instid1(VALU_DEP_2)
	v_lshlrev_b32_e32 v2, 2, v1
	v_cmp_ne_u32_e32 vcc_lo, 3, v1
	ds_load_b32 v2, v2
	v_add_co_ci_u32_e32 v3, vcc_lo, 0, v17, vcc_lo
	v_cmp_gt_u32_e32 vcc_lo, 2, v1
	v_lshlrev_b32_e32 v3, 2, v3
	v_cndmask_b32_e64 v1, 0, 1, vcc_lo
	s_delay_alu instid0(VALU_DEP_1) | instskip(NEXT) | instid1(VALU_DEP_1)
	v_lshlrev_b32_e32 v1, 1, v1
	v_add_lshl_u32 v1, v1, v17, 2
	s_waitcnt lgkmcnt(0)
	ds_bpermute_b32 v3, v3, v2
	s_waitcnt lgkmcnt(0)
	v_add_nc_u32_e32 v2, v3, v2
	ds_bpermute_b32 v1, v1, v2
	s_waitcnt lgkmcnt(0)
	v_add_nc_u32_e32 v1, v1, v2
.LBB719_5:
	s_or_b32 exec_lo, exec_lo, s3
	s_branch .LBB719_44
.LBB719_6:
                                        ; implicit-def: $vgpr1
	s_cbranch_execz .LBB719_44
; %bb.7:
	s_sub_i32 s28, s18, s2
	s_mov_b32 s2, exec_lo
                                        ; implicit-def: $vgpr1_vgpr2_vgpr3_vgpr4_vgpr5_vgpr6_vgpr7_vgpr8_vgpr9_vgpr10_vgpr11_vgpr12_vgpr13_vgpr14_vgpr15_vgpr16
	v_cmpx_gt_u32_e64 s28, v0
	s_cbranch_execz .LBB719_9
; %bb.8:
	global_load_u8 v1, v0, s[16:17]
.LBB719_9:
	s_or_b32 exec_lo, exec_lo, s2
	v_or_b32_e32 v18, 0x80, v0
	s_delay_alu instid0(VALU_DEP_1)
	v_cmp_gt_u32_e32 vcc_lo, s28, v18
	s_and_saveexec_b32 s2, vcc_lo
	s_cbranch_execz .LBB719_11
; %bb.10:
	global_load_u8 v2, v0, s[16:17] offset:128
.LBB719_11:
	s_or_b32 exec_lo, exec_lo, s2
	v_or_b32_e32 v18, 0x100, v0
	s_delay_alu instid0(VALU_DEP_1) | instskip(NEXT) | instid1(VALU_DEP_1)
	v_cmp_gt_u32_e64 s2, s28, v18
	s_and_saveexec_b32 s3, s2
	s_cbranch_execz .LBB719_13
; %bb.12:
	global_load_u8 v3, v0, s[16:17] offset:256
.LBB719_13:
	s_or_b32 exec_lo, exec_lo, s3
	v_or_b32_e32 v18, 0x180, v0
	s_delay_alu instid0(VALU_DEP_1) | instskip(NEXT) | instid1(VALU_DEP_1)
	v_cmp_gt_u32_e64 s3, s28, v18
	s_and_saveexec_b32 s4, s3
	;; [unrolled: 9-line block ×14, first 2 shown]
	s_cbranch_execz .LBB719_39
; %bb.38:
	global_load_u8 v16, v0, s[16:17] offset:1920
.LBB719_39:
	s_or_b32 exec_lo, exec_lo, s29
	s_waitcnt vmcnt(0)
	v_cndmask_b32_e32 v2, 0, v2, vcc_lo
	v_cndmask_b32_e64 v3, 0, v3, s2
	v_cndmask_b32_e64 v4, 0, v4, s3
	v_cmp_ne_u32_e32 vcc_lo, 31, v17
	s_min_u32 s2, s28, 0x80
	v_add_nc_u32_e32 v1, v2, v1
	v_cndmask_b32_e64 v2, 0, v5, s4
	v_cndmask_b32_e64 v5, 0, v6, s5
	;; [unrolled: 1-line block ×3, first 2 shown]
	s_mov_b32 s3, exec_lo
	v_add3_u32 v1, v1, v3, v4
	v_cndmask_b32_e64 v3, 0, v7, s6
	v_cndmask_b32_e64 v4, 0, v8, s7
	s_delay_alu instid0(VALU_DEP_3) | instskip(SKIP_2) | instid1(VALU_DEP_3)
	v_add3_u32 v1, v1, v2, v5
	v_cndmask_b32_e64 v2, 0, v9, s8
	v_cndmask_b32_e64 v5, 0, v10, s9
	v_add3_u32 v1, v1, v3, v4
	v_cndmask_b32_e64 v3, 0, v11, s10
	v_cndmask_b32_e64 v4, 0, v12, s11
	s_delay_alu instid0(VALU_DEP_3) | instskip(SKIP_2) | instid1(VALU_DEP_3)
	v_add3_u32 v1, v1, v2, v5
	v_cndmask_b32_e64 v2, 0, v13, s12
	v_cndmask_b32_e64 v5, 0, v14, s13
	v_add3_u32 v1, v1, v3, v4
	v_cndmask_b32_e64 v3, 0, v16, s15
	v_add_co_ci_u32_e32 v4, vcc_lo, 0, v17, vcc_lo
	v_cmp_gt_u32_e32 vcc_lo, 30, v17
	s_delay_alu instid0(VALU_DEP_4) | instskip(NEXT) | instid1(VALU_DEP_3)
	v_add3_u32 v1, v1, v2, v5
	v_lshlrev_b32_e32 v2, 2, v4
	v_add_nc_u32_e32 v4, 1, v17
	v_cndmask_b32_e64 v5, 0, 1, vcc_lo
	s_delay_alu instid0(VALU_DEP_4) | instskip(SKIP_1) | instid1(VALU_DEP_3)
	v_add3_u32 v1, v1, v6, v3
	v_and_b32_e32 v3, 0x60, v0
	v_lshlrev_b32_e32 v5, 1, v5
	ds_bpermute_b32 v2, v2, v1
	v_sub_nc_u32_e64 v3, s2, v3 clamp
	s_delay_alu instid0(VALU_DEP_1) | instskip(SKIP_4) | instid1(VALU_DEP_2)
	v_cmp_lt_u32_e32 vcc_lo, v4, v3
	v_add_lshl_u32 v4, v5, v17, 2
	s_waitcnt lgkmcnt(0)
	v_dual_cndmask_b32 v2, 0, v2 :: v_dual_add_nc_u32 v5, 2, v17
	v_cmp_gt_u32_e32 vcc_lo, 28, v17
	v_add_nc_u32_e32 v1, v1, v2
	ds_bpermute_b32 v2, v4, v1
	v_cndmask_b32_e64 v4, 0, 1, vcc_lo
	v_cmp_lt_u32_e32 vcc_lo, v5, v3
	v_add_nc_u32_e32 v5, 4, v17
	s_delay_alu instid0(VALU_DEP_3) | instskip(NEXT) | instid1(VALU_DEP_1)
	v_lshlrev_b32_e32 v4, 2, v4
	v_add_lshl_u32 v4, v4, v17, 2
	s_waitcnt lgkmcnt(0)
	v_cndmask_b32_e32 v2, 0, v2, vcc_lo
	v_cmp_gt_u32_e32 vcc_lo, 24, v17
	s_delay_alu instid0(VALU_DEP_2) | instskip(SKIP_4) | instid1(VALU_DEP_3)
	v_add_nc_u32_e32 v1, v1, v2
	ds_bpermute_b32 v2, v4, v1
	v_cndmask_b32_e64 v4, 0, 1, vcc_lo
	v_cmp_lt_u32_e32 vcc_lo, v5, v3
	v_add_nc_u32_e32 v5, 8, v17
	v_lshlrev_b32_e32 v4, 3, v4
	s_delay_alu instid0(VALU_DEP_1) | instskip(SKIP_3) | instid1(VALU_DEP_2)
	v_add_lshl_u32 v4, v4, v17, 2
	s_waitcnt lgkmcnt(0)
	v_cndmask_b32_e32 v2, 0, v2, vcc_lo
	v_cmp_gt_u32_e32 vcc_lo, 16, v17
	v_add_nc_u32_e32 v1, v1, v2
	ds_bpermute_b32 v2, v4, v1
	v_cndmask_b32_e64 v4, 0, 1, vcc_lo
	v_cmp_lt_u32_e32 vcc_lo, v5, v3
	s_delay_alu instid0(VALU_DEP_2) | instskip(NEXT) | instid1(VALU_DEP_1)
	v_lshlrev_b32_e32 v4, 4, v4
	v_add_lshl_u32 v4, v4, v17, 2
	s_waitcnt lgkmcnt(0)
	v_cndmask_b32_e32 v2, 0, v2, vcc_lo
	s_delay_alu instid0(VALU_DEP_1) | instskip(SKIP_2) | instid1(VALU_DEP_1)
	v_add_nc_u32_e32 v1, v1, v2
	ds_bpermute_b32 v2, v4, v1
	v_add_nc_u32_e32 v4, 16, v17
	v_cmp_lt_u32_e32 vcc_lo, v4, v3
	s_waitcnt lgkmcnt(0)
	v_cndmask_b32_e32 v2, 0, v2, vcc_lo
	s_delay_alu instid0(VALU_DEP_1)
	v_add_nc_u32_e32 v1, v1, v2
	v_cmpx_eq_u32_e32 0, v17
	s_cbranch_execz .LBB719_41
; %bb.40:
	v_lshrrev_b32_e32 v2, 3, v0
	s_delay_alu instid0(VALU_DEP_1)
	v_and_b32_e32 v2, 12, v2
	ds_store_b32 v2, v1 offset:16
.LBB719_41:
	s_or_b32 exec_lo, exec_lo, s3
	s_delay_alu instid0(SALU_CYCLE_1)
	s_mov_b32 s3, exec_lo
	s_waitcnt lgkmcnt(0)
	s_barrier
	buffer_gl0_inv
	v_cmpx_gt_u32_e32 4, v0
	s_cbranch_execz .LBB719_43
; %bb.42:
	v_lshlrev_b32_e32 v1, 2, v17
	v_and_b32_e32 v2, 3, v17
	s_add_i32 s2, s2, 31
	s_delay_alu instid0(SALU_CYCLE_1)
	s_lshr_b32 s2, s2, 5
	ds_load_b32 v1, v1 offset:16
	v_cmp_ne_u32_e32 vcc_lo, 3, v2
	v_add_nc_u32_e32 v4, 1, v2
	v_add_co_ci_u32_e32 v3, vcc_lo, 0, v17, vcc_lo
	v_cmp_gt_u32_e32 vcc_lo, 2, v2
	s_delay_alu instid0(VALU_DEP_2) | instskip(SKIP_2) | instid1(VALU_DEP_2)
	v_lshlrev_b32_e32 v3, 2, v3
	v_cndmask_b32_e64 v5, 0, 1, vcc_lo
	v_cmp_gt_u32_e32 vcc_lo, s2, v4
	v_lshlrev_b32_e32 v4, 1, v5
	s_waitcnt lgkmcnt(0)
	ds_bpermute_b32 v3, v3, v1
	s_waitcnt lgkmcnt(0)
	v_dual_cndmask_b32 v3, 0, v3 :: v_dual_add_nc_u32 v2, 2, v2
	s_delay_alu instid0(VALU_DEP_1) | instskip(SKIP_1) | instid1(VALU_DEP_3)
	v_add_nc_u32_e32 v1, v3, v1
	v_add_lshl_u32 v3, v4, v17, 2
	v_cmp_gt_u32_e32 vcc_lo, s2, v2
	ds_bpermute_b32 v3, v3, v1
	s_waitcnt lgkmcnt(0)
	v_cndmask_b32_e32 v2, 0, v3, vcc_lo
	s_delay_alu instid0(VALU_DEP_1)
	v_add_nc_u32_e32 v1, v1, v2
.LBB719_43:
	s_or_b32 exec_lo, exec_lo, s3
.LBB719_44:
	s_load_b32 s0, s[0:1], 0x38
	s_mov_b32 s1, exec_lo
	v_cmpx_eq_u32_e32 0, v0
	s_cbranch_execz .LBB719_46
; %bb.45:
	s_mul_i32 s1, s26, s23
	s_mul_hi_u32 s2, s26, s22
	s_mul_i32 s3, s27, s22
	s_add_i32 s1, s2, s1
	s_mul_i32 s2, s26, s22
	s_add_i32 s3, s1, s3
	s_delay_alu instid0(SALU_CYCLE_1) | instskip(NEXT) | instid1(SALU_CYCLE_1)
	s_lshl_b64 s[2:3], s[2:3], 2
	s_add_u32 s2, s20, s2
	s_addc_u32 s3, s21, s3
	s_cmp_eq_u64 s[18:19], 0
	s_cselect_b32 s1, -1, 0
	s_waitcnt lgkmcnt(0)
	v_cndmask_b32_e64 v0, v1, s0, s1
	s_lshl_b64 s[0:1], s[24:25], 2
	v_mov_b32_e32 v1, 0
	s_add_u32 s0, s2, s0
	s_addc_u32 s1, s3, s1
	global_store_b32 v1, v0, s[0:1]
.LBB719_46:
	s_nop 0
	s_sendmsg sendmsg(MSG_DEALLOC_VGPRS)
	s_endpgm
	.section	.rodata,"a",@progbits
	.p2align	6, 0x0
	.amdhsa_kernel _ZN7rocprim17ROCPRIM_400000_NS6detail17trampoline_kernelINS0_14default_configENS1_22reduce_config_selectorIbEEZNS1_11reduce_implILb1ES3_N6hipcub16HIPCUB_304000_NS22TransformInputIteratorIbN2at6native12_GLOBAL__N_19NonZeroOpIbEEPKblEEPiiNS8_6detail34convert_binary_result_type_wrapperINS8_3SumESH_iEEEE10hipError_tPvRmT1_T2_T3_mT4_P12ihipStream_tbEUlT_E0_NS1_11comp_targetILNS1_3genE9ELNS1_11target_archE1100ELNS1_3gpuE3ELNS1_3repE0EEENS1_30default_config_static_selectorELNS0_4arch9wavefront6targetE0EEEvSQ_
		.amdhsa_group_segment_fixed_size 32
		.amdhsa_private_segment_fixed_size 0
		.amdhsa_kernarg_size 64
		.amdhsa_user_sgpr_count 15
		.amdhsa_user_sgpr_dispatch_ptr 0
		.amdhsa_user_sgpr_queue_ptr 0
		.amdhsa_user_sgpr_kernarg_segment_ptr 1
		.amdhsa_user_sgpr_dispatch_id 0
		.amdhsa_user_sgpr_private_segment_size 0
		.amdhsa_wavefront_size32 1
		.amdhsa_uses_dynamic_stack 0
		.amdhsa_enable_private_segment 0
		.amdhsa_system_sgpr_workgroup_id_x 1
		.amdhsa_system_sgpr_workgroup_id_y 0
		.amdhsa_system_sgpr_workgroup_id_z 0
		.amdhsa_system_sgpr_workgroup_info 0
		.amdhsa_system_vgpr_workitem_id 0
		.amdhsa_next_free_vgpr 19
		.amdhsa_next_free_sgpr 30
		.amdhsa_reserve_vcc 1
		.amdhsa_float_round_mode_32 0
		.amdhsa_float_round_mode_16_64 0
		.amdhsa_float_denorm_mode_32 3
		.amdhsa_float_denorm_mode_16_64 3
		.amdhsa_dx10_clamp 1
		.amdhsa_ieee_mode 1
		.amdhsa_fp16_overflow 0
		.amdhsa_workgroup_processor_mode 1
		.amdhsa_memory_ordered 1
		.amdhsa_forward_progress 0
		.amdhsa_shared_vgpr_count 0
		.amdhsa_exception_fp_ieee_invalid_op 0
		.amdhsa_exception_fp_denorm_src 0
		.amdhsa_exception_fp_ieee_div_zero 0
		.amdhsa_exception_fp_ieee_overflow 0
		.amdhsa_exception_fp_ieee_underflow 0
		.amdhsa_exception_fp_ieee_inexact 0
		.amdhsa_exception_int_div_zero 0
	.end_amdhsa_kernel
	.section	.text._ZN7rocprim17ROCPRIM_400000_NS6detail17trampoline_kernelINS0_14default_configENS1_22reduce_config_selectorIbEEZNS1_11reduce_implILb1ES3_N6hipcub16HIPCUB_304000_NS22TransformInputIteratorIbN2at6native12_GLOBAL__N_19NonZeroOpIbEEPKblEEPiiNS8_6detail34convert_binary_result_type_wrapperINS8_3SumESH_iEEEE10hipError_tPvRmT1_T2_T3_mT4_P12ihipStream_tbEUlT_E0_NS1_11comp_targetILNS1_3genE9ELNS1_11target_archE1100ELNS1_3gpuE3ELNS1_3repE0EEENS1_30default_config_static_selectorELNS0_4arch9wavefront6targetE0EEEvSQ_,"axG",@progbits,_ZN7rocprim17ROCPRIM_400000_NS6detail17trampoline_kernelINS0_14default_configENS1_22reduce_config_selectorIbEEZNS1_11reduce_implILb1ES3_N6hipcub16HIPCUB_304000_NS22TransformInputIteratorIbN2at6native12_GLOBAL__N_19NonZeroOpIbEEPKblEEPiiNS8_6detail34convert_binary_result_type_wrapperINS8_3SumESH_iEEEE10hipError_tPvRmT1_T2_T3_mT4_P12ihipStream_tbEUlT_E0_NS1_11comp_targetILNS1_3genE9ELNS1_11target_archE1100ELNS1_3gpuE3ELNS1_3repE0EEENS1_30default_config_static_selectorELNS0_4arch9wavefront6targetE0EEEvSQ_,comdat
.Lfunc_end719:
	.size	_ZN7rocprim17ROCPRIM_400000_NS6detail17trampoline_kernelINS0_14default_configENS1_22reduce_config_selectorIbEEZNS1_11reduce_implILb1ES3_N6hipcub16HIPCUB_304000_NS22TransformInputIteratorIbN2at6native12_GLOBAL__N_19NonZeroOpIbEEPKblEEPiiNS8_6detail34convert_binary_result_type_wrapperINS8_3SumESH_iEEEE10hipError_tPvRmT1_T2_T3_mT4_P12ihipStream_tbEUlT_E0_NS1_11comp_targetILNS1_3genE9ELNS1_11target_archE1100ELNS1_3gpuE3ELNS1_3repE0EEENS1_30default_config_static_selectorELNS0_4arch9wavefront6targetE0EEEvSQ_, .Lfunc_end719-_ZN7rocprim17ROCPRIM_400000_NS6detail17trampoline_kernelINS0_14default_configENS1_22reduce_config_selectorIbEEZNS1_11reduce_implILb1ES3_N6hipcub16HIPCUB_304000_NS22TransformInputIteratorIbN2at6native12_GLOBAL__N_19NonZeroOpIbEEPKblEEPiiNS8_6detail34convert_binary_result_type_wrapperINS8_3SumESH_iEEEE10hipError_tPvRmT1_T2_T3_mT4_P12ihipStream_tbEUlT_E0_NS1_11comp_targetILNS1_3genE9ELNS1_11target_archE1100ELNS1_3gpuE3ELNS1_3repE0EEENS1_30default_config_static_selectorELNS0_4arch9wavefront6targetE0EEEvSQ_
                                        ; -- End function
	.section	.AMDGPU.csdata,"",@progbits
; Kernel info:
; codeLenInByte = 2092
; NumSgprs: 32
; NumVgprs: 19
; ScratchSize: 0
; MemoryBound: 0
; FloatMode: 240
; IeeeMode: 1
; LDSByteSize: 32 bytes/workgroup (compile time only)
; SGPRBlocks: 3
; VGPRBlocks: 2
; NumSGPRsForWavesPerEU: 32
; NumVGPRsForWavesPerEU: 19
; Occupancy: 16
; WaveLimiterHint : 1
; COMPUTE_PGM_RSRC2:SCRATCH_EN: 0
; COMPUTE_PGM_RSRC2:USER_SGPR: 15
; COMPUTE_PGM_RSRC2:TRAP_HANDLER: 0
; COMPUTE_PGM_RSRC2:TGID_X_EN: 1
; COMPUTE_PGM_RSRC2:TGID_Y_EN: 0
; COMPUTE_PGM_RSRC2:TGID_Z_EN: 0
; COMPUTE_PGM_RSRC2:TIDIG_COMP_CNT: 0
	.section	.text._ZN7rocprim17ROCPRIM_400000_NS6detail17trampoline_kernelINS0_14default_configENS1_22reduce_config_selectorIbEEZNS1_11reduce_implILb1ES3_N6hipcub16HIPCUB_304000_NS22TransformInputIteratorIbN2at6native12_GLOBAL__N_19NonZeroOpIbEEPKblEEPiiNS8_6detail34convert_binary_result_type_wrapperINS8_3SumESH_iEEEE10hipError_tPvRmT1_T2_T3_mT4_P12ihipStream_tbEUlT_E0_NS1_11comp_targetILNS1_3genE8ELNS1_11target_archE1030ELNS1_3gpuE2ELNS1_3repE0EEENS1_30default_config_static_selectorELNS0_4arch9wavefront6targetE0EEEvSQ_,"axG",@progbits,_ZN7rocprim17ROCPRIM_400000_NS6detail17trampoline_kernelINS0_14default_configENS1_22reduce_config_selectorIbEEZNS1_11reduce_implILb1ES3_N6hipcub16HIPCUB_304000_NS22TransformInputIteratorIbN2at6native12_GLOBAL__N_19NonZeroOpIbEEPKblEEPiiNS8_6detail34convert_binary_result_type_wrapperINS8_3SumESH_iEEEE10hipError_tPvRmT1_T2_T3_mT4_P12ihipStream_tbEUlT_E0_NS1_11comp_targetILNS1_3genE8ELNS1_11target_archE1030ELNS1_3gpuE2ELNS1_3repE0EEENS1_30default_config_static_selectorELNS0_4arch9wavefront6targetE0EEEvSQ_,comdat
	.globl	_ZN7rocprim17ROCPRIM_400000_NS6detail17trampoline_kernelINS0_14default_configENS1_22reduce_config_selectorIbEEZNS1_11reduce_implILb1ES3_N6hipcub16HIPCUB_304000_NS22TransformInputIteratorIbN2at6native12_GLOBAL__N_19NonZeroOpIbEEPKblEEPiiNS8_6detail34convert_binary_result_type_wrapperINS8_3SumESH_iEEEE10hipError_tPvRmT1_T2_T3_mT4_P12ihipStream_tbEUlT_E0_NS1_11comp_targetILNS1_3genE8ELNS1_11target_archE1030ELNS1_3gpuE2ELNS1_3repE0EEENS1_30default_config_static_selectorELNS0_4arch9wavefront6targetE0EEEvSQ_ ; -- Begin function _ZN7rocprim17ROCPRIM_400000_NS6detail17trampoline_kernelINS0_14default_configENS1_22reduce_config_selectorIbEEZNS1_11reduce_implILb1ES3_N6hipcub16HIPCUB_304000_NS22TransformInputIteratorIbN2at6native12_GLOBAL__N_19NonZeroOpIbEEPKblEEPiiNS8_6detail34convert_binary_result_type_wrapperINS8_3SumESH_iEEEE10hipError_tPvRmT1_T2_T3_mT4_P12ihipStream_tbEUlT_E0_NS1_11comp_targetILNS1_3genE8ELNS1_11target_archE1030ELNS1_3gpuE2ELNS1_3repE0EEENS1_30default_config_static_selectorELNS0_4arch9wavefront6targetE0EEEvSQ_
	.p2align	8
	.type	_ZN7rocprim17ROCPRIM_400000_NS6detail17trampoline_kernelINS0_14default_configENS1_22reduce_config_selectorIbEEZNS1_11reduce_implILb1ES3_N6hipcub16HIPCUB_304000_NS22TransformInputIteratorIbN2at6native12_GLOBAL__N_19NonZeroOpIbEEPKblEEPiiNS8_6detail34convert_binary_result_type_wrapperINS8_3SumESH_iEEEE10hipError_tPvRmT1_T2_T3_mT4_P12ihipStream_tbEUlT_E0_NS1_11comp_targetILNS1_3genE8ELNS1_11target_archE1030ELNS1_3gpuE2ELNS1_3repE0EEENS1_30default_config_static_selectorELNS0_4arch9wavefront6targetE0EEEvSQ_,@function
_ZN7rocprim17ROCPRIM_400000_NS6detail17trampoline_kernelINS0_14default_configENS1_22reduce_config_selectorIbEEZNS1_11reduce_implILb1ES3_N6hipcub16HIPCUB_304000_NS22TransformInputIteratorIbN2at6native12_GLOBAL__N_19NonZeroOpIbEEPKblEEPiiNS8_6detail34convert_binary_result_type_wrapperINS8_3SumESH_iEEEE10hipError_tPvRmT1_T2_T3_mT4_P12ihipStream_tbEUlT_E0_NS1_11comp_targetILNS1_3genE8ELNS1_11target_archE1030ELNS1_3gpuE2ELNS1_3repE0EEENS1_30default_config_static_selectorELNS0_4arch9wavefront6targetE0EEEvSQ_: ; @_ZN7rocprim17ROCPRIM_400000_NS6detail17trampoline_kernelINS0_14default_configENS1_22reduce_config_selectorIbEEZNS1_11reduce_implILb1ES3_N6hipcub16HIPCUB_304000_NS22TransformInputIteratorIbN2at6native12_GLOBAL__N_19NonZeroOpIbEEPKblEEPiiNS8_6detail34convert_binary_result_type_wrapperINS8_3SumESH_iEEEE10hipError_tPvRmT1_T2_T3_mT4_P12ihipStream_tbEUlT_E0_NS1_11comp_targetILNS1_3genE8ELNS1_11target_archE1030ELNS1_3gpuE2ELNS1_3repE0EEENS1_30default_config_static_selectorELNS0_4arch9wavefront6targetE0EEEvSQ_
; %bb.0:
	.section	.rodata,"a",@progbits
	.p2align	6, 0x0
	.amdhsa_kernel _ZN7rocprim17ROCPRIM_400000_NS6detail17trampoline_kernelINS0_14default_configENS1_22reduce_config_selectorIbEEZNS1_11reduce_implILb1ES3_N6hipcub16HIPCUB_304000_NS22TransformInputIteratorIbN2at6native12_GLOBAL__N_19NonZeroOpIbEEPKblEEPiiNS8_6detail34convert_binary_result_type_wrapperINS8_3SumESH_iEEEE10hipError_tPvRmT1_T2_T3_mT4_P12ihipStream_tbEUlT_E0_NS1_11comp_targetILNS1_3genE8ELNS1_11target_archE1030ELNS1_3gpuE2ELNS1_3repE0EEENS1_30default_config_static_selectorELNS0_4arch9wavefront6targetE0EEEvSQ_
		.amdhsa_group_segment_fixed_size 0
		.amdhsa_private_segment_fixed_size 0
		.amdhsa_kernarg_size 64
		.amdhsa_user_sgpr_count 15
		.amdhsa_user_sgpr_dispatch_ptr 0
		.amdhsa_user_sgpr_queue_ptr 0
		.amdhsa_user_sgpr_kernarg_segment_ptr 1
		.amdhsa_user_sgpr_dispatch_id 0
		.amdhsa_user_sgpr_private_segment_size 0
		.amdhsa_wavefront_size32 1
		.amdhsa_uses_dynamic_stack 0
		.amdhsa_enable_private_segment 0
		.amdhsa_system_sgpr_workgroup_id_x 1
		.amdhsa_system_sgpr_workgroup_id_y 0
		.amdhsa_system_sgpr_workgroup_id_z 0
		.amdhsa_system_sgpr_workgroup_info 0
		.amdhsa_system_vgpr_workitem_id 0
		.amdhsa_next_free_vgpr 1
		.amdhsa_next_free_sgpr 1
		.amdhsa_reserve_vcc 0
		.amdhsa_float_round_mode_32 0
		.amdhsa_float_round_mode_16_64 0
		.amdhsa_float_denorm_mode_32 3
		.amdhsa_float_denorm_mode_16_64 3
		.amdhsa_dx10_clamp 1
		.amdhsa_ieee_mode 1
		.amdhsa_fp16_overflow 0
		.amdhsa_workgroup_processor_mode 1
		.amdhsa_memory_ordered 1
		.amdhsa_forward_progress 0
		.amdhsa_shared_vgpr_count 0
		.amdhsa_exception_fp_ieee_invalid_op 0
		.amdhsa_exception_fp_denorm_src 0
		.amdhsa_exception_fp_ieee_div_zero 0
		.amdhsa_exception_fp_ieee_overflow 0
		.amdhsa_exception_fp_ieee_underflow 0
		.amdhsa_exception_fp_ieee_inexact 0
		.amdhsa_exception_int_div_zero 0
	.end_amdhsa_kernel
	.section	.text._ZN7rocprim17ROCPRIM_400000_NS6detail17trampoline_kernelINS0_14default_configENS1_22reduce_config_selectorIbEEZNS1_11reduce_implILb1ES3_N6hipcub16HIPCUB_304000_NS22TransformInputIteratorIbN2at6native12_GLOBAL__N_19NonZeroOpIbEEPKblEEPiiNS8_6detail34convert_binary_result_type_wrapperINS8_3SumESH_iEEEE10hipError_tPvRmT1_T2_T3_mT4_P12ihipStream_tbEUlT_E0_NS1_11comp_targetILNS1_3genE8ELNS1_11target_archE1030ELNS1_3gpuE2ELNS1_3repE0EEENS1_30default_config_static_selectorELNS0_4arch9wavefront6targetE0EEEvSQ_,"axG",@progbits,_ZN7rocprim17ROCPRIM_400000_NS6detail17trampoline_kernelINS0_14default_configENS1_22reduce_config_selectorIbEEZNS1_11reduce_implILb1ES3_N6hipcub16HIPCUB_304000_NS22TransformInputIteratorIbN2at6native12_GLOBAL__N_19NonZeroOpIbEEPKblEEPiiNS8_6detail34convert_binary_result_type_wrapperINS8_3SumESH_iEEEE10hipError_tPvRmT1_T2_T3_mT4_P12ihipStream_tbEUlT_E0_NS1_11comp_targetILNS1_3genE8ELNS1_11target_archE1030ELNS1_3gpuE2ELNS1_3repE0EEENS1_30default_config_static_selectorELNS0_4arch9wavefront6targetE0EEEvSQ_,comdat
.Lfunc_end720:
	.size	_ZN7rocprim17ROCPRIM_400000_NS6detail17trampoline_kernelINS0_14default_configENS1_22reduce_config_selectorIbEEZNS1_11reduce_implILb1ES3_N6hipcub16HIPCUB_304000_NS22TransformInputIteratorIbN2at6native12_GLOBAL__N_19NonZeroOpIbEEPKblEEPiiNS8_6detail34convert_binary_result_type_wrapperINS8_3SumESH_iEEEE10hipError_tPvRmT1_T2_T3_mT4_P12ihipStream_tbEUlT_E0_NS1_11comp_targetILNS1_3genE8ELNS1_11target_archE1030ELNS1_3gpuE2ELNS1_3repE0EEENS1_30default_config_static_selectorELNS0_4arch9wavefront6targetE0EEEvSQ_, .Lfunc_end720-_ZN7rocprim17ROCPRIM_400000_NS6detail17trampoline_kernelINS0_14default_configENS1_22reduce_config_selectorIbEEZNS1_11reduce_implILb1ES3_N6hipcub16HIPCUB_304000_NS22TransformInputIteratorIbN2at6native12_GLOBAL__N_19NonZeroOpIbEEPKblEEPiiNS8_6detail34convert_binary_result_type_wrapperINS8_3SumESH_iEEEE10hipError_tPvRmT1_T2_T3_mT4_P12ihipStream_tbEUlT_E0_NS1_11comp_targetILNS1_3genE8ELNS1_11target_archE1030ELNS1_3gpuE2ELNS1_3repE0EEENS1_30default_config_static_selectorELNS0_4arch9wavefront6targetE0EEEvSQ_
                                        ; -- End function
	.section	.AMDGPU.csdata,"",@progbits
; Kernel info:
; codeLenInByte = 0
; NumSgprs: 0
; NumVgprs: 0
; ScratchSize: 0
; MemoryBound: 0
; FloatMode: 240
; IeeeMode: 1
; LDSByteSize: 0 bytes/workgroup (compile time only)
; SGPRBlocks: 0
; VGPRBlocks: 0
; NumSGPRsForWavesPerEU: 1
; NumVGPRsForWavesPerEU: 1
; Occupancy: 16
; WaveLimiterHint : 0
; COMPUTE_PGM_RSRC2:SCRATCH_EN: 0
; COMPUTE_PGM_RSRC2:USER_SGPR: 15
; COMPUTE_PGM_RSRC2:TRAP_HANDLER: 0
; COMPUTE_PGM_RSRC2:TGID_X_EN: 1
; COMPUTE_PGM_RSRC2:TGID_Y_EN: 0
; COMPUTE_PGM_RSRC2:TGID_Z_EN: 0
; COMPUTE_PGM_RSRC2:TIDIG_COMP_CNT: 0
	.section	.text._ZN7rocprim17ROCPRIM_400000_NS6detail17trampoline_kernelINS0_14default_configENS1_22reduce_config_selectorIbEEZNS1_11reduce_implILb1ES3_N6hipcub16HIPCUB_304000_NS22TransformInputIteratorIbN2at6native12_GLOBAL__N_19NonZeroOpIbEEPKblEEPiiNS8_6detail34convert_binary_result_type_wrapperINS8_3SumESH_iEEEE10hipError_tPvRmT1_T2_T3_mT4_P12ihipStream_tbEUlT_E1_NS1_11comp_targetILNS1_3genE0ELNS1_11target_archE4294967295ELNS1_3gpuE0ELNS1_3repE0EEENS1_30default_config_static_selectorELNS0_4arch9wavefront6targetE0EEEvSQ_,"axG",@progbits,_ZN7rocprim17ROCPRIM_400000_NS6detail17trampoline_kernelINS0_14default_configENS1_22reduce_config_selectorIbEEZNS1_11reduce_implILb1ES3_N6hipcub16HIPCUB_304000_NS22TransformInputIteratorIbN2at6native12_GLOBAL__N_19NonZeroOpIbEEPKblEEPiiNS8_6detail34convert_binary_result_type_wrapperINS8_3SumESH_iEEEE10hipError_tPvRmT1_T2_T3_mT4_P12ihipStream_tbEUlT_E1_NS1_11comp_targetILNS1_3genE0ELNS1_11target_archE4294967295ELNS1_3gpuE0ELNS1_3repE0EEENS1_30default_config_static_selectorELNS0_4arch9wavefront6targetE0EEEvSQ_,comdat
	.globl	_ZN7rocprim17ROCPRIM_400000_NS6detail17trampoline_kernelINS0_14default_configENS1_22reduce_config_selectorIbEEZNS1_11reduce_implILb1ES3_N6hipcub16HIPCUB_304000_NS22TransformInputIteratorIbN2at6native12_GLOBAL__N_19NonZeroOpIbEEPKblEEPiiNS8_6detail34convert_binary_result_type_wrapperINS8_3SumESH_iEEEE10hipError_tPvRmT1_T2_T3_mT4_P12ihipStream_tbEUlT_E1_NS1_11comp_targetILNS1_3genE0ELNS1_11target_archE4294967295ELNS1_3gpuE0ELNS1_3repE0EEENS1_30default_config_static_selectorELNS0_4arch9wavefront6targetE0EEEvSQ_ ; -- Begin function _ZN7rocprim17ROCPRIM_400000_NS6detail17trampoline_kernelINS0_14default_configENS1_22reduce_config_selectorIbEEZNS1_11reduce_implILb1ES3_N6hipcub16HIPCUB_304000_NS22TransformInputIteratorIbN2at6native12_GLOBAL__N_19NonZeroOpIbEEPKblEEPiiNS8_6detail34convert_binary_result_type_wrapperINS8_3SumESH_iEEEE10hipError_tPvRmT1_T2_T3_mT4_P12ihipStream_tbEUlT_E1_NS1_11comp_targetILNS1_3genE0ELNS1_11target_archE4294967295ELNS1_3gpuE0ELNS1_3repE0EEENS1_30default_config_static_selectorELNS0_4arch9wavefront6targetE0EEEvSQ_
	.p2align	8
	.type	_ZN7rocprim17ROCPRIM_400000_NS6detail17trampoline_kernelINS0_14default_configENS1_22reduce_config_selectorIbEEZNS1_11reduce_implILb1ES3_N6hipcub16HIPCUB_304000_NS22TransformInputIteratorIbN2at6native12_GLOBAL__N_19NonZeroOpIbEEPKblEEPiiNS8_6detail34convert_binary_result_type_wrapperINS8_3SumESH_iEEEE10hipError_tPvRmT1_T2_T3_mT4_P12ihipStream_tbEUlT_E1_NS1_11comp_targetILNS1_3genE0ELNS1_11target_archE4294967295ELNS1_3gpuE0ELNS1_3repE0EEENS1_30default_config_static_selectorELNS0_4arch9wavefront6targetE0EEEvSQ_,@function
_ZN7rocprim17ROCPRIM_400000_NS6detail17trampoline_kernelINS0_14default_configENS1_22reduce_config_selectorIbEEZNS1_11reduce_implILb1ES3_N6hipcub16HIPCUB_304000_NS22TransformInputIteratorIbN2at6native12_GLOBAL__N_19NonZeroOpIbEEPKblEEPiiNS8_6detail34convert_binary_result_type_wrapperINS8_3SumESH_iEEEE10hipError_tPvRmT1_T2_T3_mT4_P12ihipStream_tbEUlT_E1_NS1_11comp_targetILNS1_3genE0ELNS1_11target_archE4294967295ELNS1_3gpuE0ELNS1_3repE0EEENS1_30default_config_static_selectorELNS0_4arch9wavefront6targetE0EEEvSQ_: ; @_ZN7rocprim17ROCPRIM_400000_NS6detail17trampoline_kernelINS0_14default_configENS1_22reduce_config_selectorIbEEZNS1_11reduce_implILb1ES3_N6hipcub16HIPCUB_304000_NS22TransformInputIteratorIbN2at6native12_GLOBAL__N_19NonZeroOpIbEEPKblEEPiiNS8_6detail34convert_binary_result_type_wrapperINS8_3SumESH_iEEEE10hipError_tPvRmT1_T2_T3_mT4_P12ihipStream_tbEUlT_E1_NS1_11comp_targetILNS1_3genE0ELNS1_11target_archE4294967295ELNS1_3gpuE0ELNS1_3repE0EEENS1_30default_config_static_selectorELNS0_4arch9wavefront6targetE0EEEvSQ_
; %bb.0:
	.section	.rodata,"a",@progbits
	.p2align	6, 0x0
	.amdhsa_kernel _ZN7rocprim17ROCPRIM_400000_NS6detail17trampoline_kernelINS0_14default_configENS1_22reduce_config_selectorIbEEZNS1_11reduce_implILb1ES3_N6hipcub16HIPCUB_304000_NS22TransformInputIteratorIbN2at6native12_GLOBAL__N_19NonZeroOpIbEEPKblEEPiiNS8_6detail34convert_binary_result_type_wrapperINS8_3SumESH_iEEEE10hipError_tPvRmT1_T2_T3_mT4_P12ihipStream_tbEUlT_E1_NS1_11comp_targetILNS1_3genE0ELNS1_11target_archE4294967295ELNS1_3gpuE0ELNS1_3repE0EEENS1_30default_config_static_selectorELNS0_4arch9wavefront6targetE0EEEvSQ_
		.amdhsa_group_segment_fixed_size 0
		.amdhsa_private_segment_fixed_size 0
		.amdhsa_kernarg_size 48
		.amdhsa_user_sgpr_count 15
		.amdhsa_user_sgpr_dispatch_ptr 0
		.amdhsa_user_sgpr_queue_ptr 0
		.amdhsa_user_sgpr_kernarg_segment_ptr 1
		.amdhsa_user_sgpr_dispatch_id 0
		.amdhsa_user_sgpr_private_segment_size 0
		.amdhsa_wavefront_size32 1
		.amdhsa_uses_dynamic_stack 0
		.amdhsa_enable_private_segment 0
		.amdhsa_system_sgpr_workgroup_id_x 1
		.amdhsa_system_sgpr_workgroup_id_y 0
		.amdhsa_system_sgpr_workgroup_id_z 0
		.amdhsa_system_sgpr_workgroup_info 0
		.amdhsa_system_vgpr_workitem_id 0
		.amdhsa_next_free_vgpr 1
		.amdhsa_next_free_sgpr 1
		.amdhsa_reserve_vcc 0
		.amdhsa_float_round_mode_32 0
		.amdhsa_float_round_mode_16_64 0
		.amdhsa_float_denorm_mode_32 3
		.amdhsa_float_denorm_mode_16_64 3
		.amdhsa_dx10_clamp 1
		.amdhsa_ieee_mode 1
		.amdhsa_fp16_overflow 0
		.amdhsa_workgroup_processor_mode 1
		.amdhsa_memory_ordered 1
		.amdhsa_forward_progress 0
		.amdhsa_shared_vgpr_count 0
		.amdhsa_exception_fp_ieee_invalid_op 0
		.amdhsa_exception_fp_denorm_src 0
		.amdhsa_exception_fp_ieee_div_zero 0
		.amdhsa_exception_fp_ieee_overflow 0
		.amdhsa_exception_fp_ieee_underflow 0
		.amdhsa_exception_fp_ieee_inexact 0
		.amdhsa_exception_int_div_zero 0
	.end_amdhsa_kernel
	.section	.text._ZN7rocprim17ROCPRIM_400000_NS6detail17trampoline_kernelINS0_14default_configENS1_22reduce_config_selectorIbEEZNS1_11reduce_implILb1ES3_N6hipcub16HIPCUB_304000_NS22TransformInputIteratorIbN2at6native12_GLOBAL__N_19NonZeroOpIbEEPKblEEPiiNS8_6detail34convert_binary_result_type_wrapperINS8_3SumESH_iEEEE10hipError_tPvRmT1_T2_T3_mT4_P12ihipStream_tbEUlT_E1_NS1_11comp_targetILNS1_3genE0ELNS1_11target_archE4294967295ELNS1_3gpuE0ELNS1_3repE0EEENS1_30default_config_static_selectorELNS0_4arch9wavefront6targetE0EEEvSQ_,"axG",@progbits,_ZN7rocprim17ROCPRIM_400000_NS6detail17trampoline_kernelINS0_14default_configENS1_22reduce_config_selectorIbEEZNS1_11reduce_implILb1ES3_N6hipcub16HIPCUB_304000_NS22TransformInputIteratorIbN2at6native12_GLOBAL__N_19NonZeroOpIbEEPKblEEPiiNS8_6detail34convert_binary_result_type_wrapperINS8_3SumESH_iEEEE10hipError_tPvRmT1_T2_T3_mT4_P12ihipStream_tbEUlT_E1_NS1_11comp_targetILNS1_3genE0ELNS1_11target_archE4294967295ELNS1_3gpuE0ELNS1_3repE0EEENS1_30default_config_static_selectorELNS0_4arch9wavefront6targetE0EEEvSQ_,comdat
.Lfunc_end721:
	.size	_ZN7rocprim17ROCPRIM_400000_NS6detail17trampoline_kernelINS0_14default_configENS1_22reduce_config_selectorIbEEZNS1_11reduce_implILb1ES3_N6hipcub16HIPCUB_304000_NS22TransformInputIteratorIbN2at6native12_GLOBAL__N_19NonZeroOpIbEEPKblEEPiiNS8_6detail34convert_binary_result_type_wrapperINS8_3SumESH_iEEEE10hipError_tPvRmT1_T2_T3_mT4_P12ihipStream_tbEUlT_E1_NS1_11comp_targetILNS1_3genE0ELNS1_11target_archE4294967295ELNS1_3gpuE0ELNS1_3repE0EEENS1_30default_config_static_selectorELNS0_4arch9wavefront6targetE0EEEvSQ_, .Lfunc_end721-_ZN7rocprim17ROCPRIM_400000_NS6detail17trampoline_kernelINS0_14default_configENS1_22reduce_config_selectorIbEEZNS1_11reduce_implILb1ES3_N6hipcub16HIPCUB_304000_NS22TransformInputIteratorIbN2at6native12_GLOBAL__N_19NonZeroOpIbEEPKblEEPiiNS8_6detail34convert_binary_result_type_wrapperINS8_3SumESH_iEEEE10hipError_tPvRmT1_T2_T3_mT4_P12ihipStream_tbEUlT_E1_NS1_11comp_targetILNS1_3genE0ELNS1_11target_archE4294967295ELNS1_3gpuE0ELNS1_3repE0EEENS1_30default_config_static_selectorELNS0_4arch9wavefront6targetE0EEEvSQ_
                                        ; -- End function
	.section	.AMDGPU.csdata,"",@progbits
; Kernel info:
; codeLenInByte = 0
; NumSgprs: 0
; NumVgprs: 0
; ScratchSize: 0
; MemoryBound: 0
; FloatMode: 240
; IeeeMode: 1
; LDSByteSize: 0 bytes/workgroup (compile time only)
; SGPRBlocks: 0
; VGPRBlocks: 0
; NumSGPRsForWavesPerEU: 1
; NumVGPRsForWavesPerEU: 1
; Occupancy: 16
; WaveLimiterHint : 0
; COMPUTE_PGM_RSRC2:SCRATCH_EN: 0
; COMPUTE_PGM_RSRC2:USER_SGPR: 15
; COMPUTE_PGM_RSRC2:TRAP_HANDLER: 0
; COMPUTE_PGM_RSRC2:TGID_X_EN: 1
; COMPUTE_PGM_RSRC2:TGID_Y_EN: 0
; COMPUTE_PGM_RSRC2:TGID_Z_EN: 0
; COMPUTE_PGM_RSRC2:TIDIG_COMP_CNT: 0
	.section	.text._ZN7rocprim17ROCPRIM_400000_NS6detail17trampoline_kernelINS0_14default_configENS1_22reduce_config_selectorIbEEZNS1_11reduce_implILb1ES3_N6hipcub16HIPCUB_304000_NS22TransformInputIteratorIbN2at6native12_GLOBAL__N_19NonZeroOpIbEEPKblEEPiiNS8_6detail34convert_binary_result_type_wrapperINS8_3SumESH_iEEEE10hipError_tPvRmT1_T2_T3_mT4_P12ihipStream_tbEUlT_E1_NS1_11comp_targetILNS1_3genE5ELNS1_11target_archE942ELNS1_3gpuE9ELNS1_3repE0EEENS1_30default_config_static_selectorELNS0_4arch9wavefront6targetE0EEEvSQ_,"axG",@progbits,_ZN7rocprim17ROCPRIM_400000_NS6detail17trampoline_kernelINS0_14default_configENS1_22reduce_config_selectorIbEEZNS1_11reduce_implILb1ES3_N6hipcub16HIPCUB_304000_NS22TransformInputIteratorIbN2at6native12_GLOBAL__N_19NonZeroOpIbEEPKblEEPiiNS8_6detail34convert_binary_result_type_wrapperINS8_3SumESH_iEEEE10hipError_tPvRmT1_T2_T3_mT4_P12ihipStream_tbEUlT_E1_NS1_11comp_targetILNS1_3genE5ELNS1_11target_archE942ELNS1_3gpuE9ELNS1_3repE0EEENS1_30default_config_static_selectorELNS0_4arch9wavefront6targetE0EEEvSQ_,comdat
	.globl	_ZN7rocprim17ROCPRIM_400000_NS6detail17trampoline_kernelINS0_14default_configENS1_22reduce_config_selectorIbEEZNS1_11reduce_implILb1ES3_N6hipcub16HIPCUB_304000_NS22TransformInputIteratorIbN2at6native12_GLOBAL__N_19NonZeroOpIbEEPKblEEPiiNS8_6detail34convert_binary_result_type_wrapperINS8_3SumESH_iEEEE10hipError_tPvRmT1_T2_T3_mT4_P12ihipStream_tbEUlT_E1_NS1_11comp_targetILNS1_3genE5ELNS1_11target_archE942ELNS1_3gpuE9ELNS1_3repE0EEENS1_30default_config_static_selectorELNS0_4arch9wavefront6targetE0EEEvSQ_ ; -- Begin function _ZN7rocprim17ROCPRIM_400000_NS6detail17trampoline_kernelINS0_14default_configENS1_22reduce_config_selectorIbEEZNS1_11reduce_implILb1ES3_N6hipcub16HIPCUB_304000_NS22TransformInputIteratorIbN2at6native12_GLOBAL__N_19NonZeroOpIbEEPKblEEPiiNS8_6detail34convert_binary_result_type_wrapperINS8_3SumESH_iEEEE10hipError_tPvRmT1_T2_T3_mT4_P12ihipStream_tbEUlT_E1_NS1_11comp_targetILNS1_3genE5ELNS1_11target_archE942ELNS1_3gpuE9ELNS1_3repE0EEENS1_30default_config_static_selectorELNS0_4arch9wavefront6targetE0EEEvSQ_
	.p2align	8
	.type	_ZN7rocprim17ROCPRIM_400000_NS6detail17trampoline_kernelINS0_14default_configENS1_22reduce_config_selectorIbEEZNS1_11reduce_implILb1ES3_N6hipcub16HIPCUB_304000_NS22TransformInputIteratorIbN2at6native12_GLOBAL__N_19NonZeroOpIbEEPKblEEPiiNS8_6detail34convert_binary_result_type_wrapperINS8_3SumESH_iEEEE10hipError_tPvRmT1_T2_T3_mT4_P12ihipStream_tbEUlT_E1_NS1_11comp_targetILNS1_3genE5ELNS1_11target_archE942ELNS1_3gpuE9ELNS1_3repE0EEENS1_30default_config_static_selectorELNS0_4arch9wavefront6targetE0EEEvSQ_,@function
_ZN7rocprim17ROCPRIM_400000_NS6detail17trampoline_kernelINS0_14default_configENS1_22reduce_config_selectorIbEEZNS1_11reduce_implILb1ES3_N6hipcub16HIPCUB_304000_NS22TransformInputIteratorIbN2at6native12_GLOBAL__N_19NonZeroOpIbEEPKblEEPiiNS8_6detail34convert_binary_result_type_wrapperINS8_3SumESH_iEEEE10hipError_tPvRmT1_T2_T3_mT4_P12ihipStream_tbEUlT_E1_NS1_11comp_targetILNS1_3genE5ELNS1_11target_archE942ELNS1_3gpuE9ELNS1_3repE0EEENS1_30default_config_static_selectorELNS0_4arch9wavefront6targetE0EEEvSQ_: ; @_ZN7rocprim17ROCPRIM_400000_NS6detail17trampoline_kernelINS0_14default_configENS1_22reduce_config_selectorIbEEZNS1_11reduce_implILb1ES3_N6hipcub16HIPCUB_304000_NS22TransformInputIteratorIbN2at6native12_GLOBAL__N_19NonZeroOpIbEEPKblEEPiiNS8_6detail34convert_binary_result_type_wrapperINS8_3SumESH_iEEEE10hipError_tPvRmT1_T2_T3_mT4_P12ihipStream_tbEUlT_E1_NS1_11comp_targetILNS1_3genE5ELNS1_11target_archE942ELNS1_3gpuE9ELNS1_3repE0EEENS1_30default_config_static_selectorELNS0_4arch9wavefront6targetE0EEEvSQ_
; %bb.0:
	.section	.rodata,"a",@progbits
	.p2align	6, 0x0
	.amdhsa_kernel _ZN7rocprim17ROCPRIM_400000_NS6detail17trampoline_kernelINS0_14default_configENS1_22reduce_config_selectorIbEEZNS1_11reduce_implILb1ES3_N6hipcub16HIPCUB_304000_NS22TransformInputIteratorIbN2at6native12_GLOBAL__N_19NonZeroOpIbEEPKblEEPiiNS8_6detail34convert_binary_result_type_wrapperINS8_3SumESH_iEEEE10hipError_tPvRmT1_T2_T3_mT4_P12ihipStream_tbEUlT_E1_NS1_11comp_targetILNS1_3genE5ELNS1_11target_archE942ELNS1_3gpuE9ELNS1_3repE0EEENS1_30default_config_static_selectorELNS0_4arch9wavefront6targetE0EEEvSQ_
		.amdhsa_group_segment_fixed_size 0
		.amdhsa_private_segment_fixed_size 0
		.amdhsa_kernarg_size 48
		.amdhsa_user_sgpr_count 15
		.amdhsa_user_sgpr_dispatch_ptr 0
		.amdhsa_user_sgpr_queue_ptr 0
		.amdhsa_user_sgpr_kernarg_segment_ptr 1
		.amdhsa_user_sgpr_dispatch_id 0
		.amdhsa_user_sgpr_private_segment_size 0
		.amdhsa_wavefront_size32 1
		.amdhsa_uses_dynamic_stack 0
		.amdhsa_enable_private_segment 0
		.amdhsa_system_sgpr_workgroup_id_x 1
		.amdhsa_system_sgpr_workgroup_id_y 0
		.amdhsa_system_sgpr_workgroup_id_z 0
		.amdhsa_system_sgpr_workgroup_info 0
		.amdhsa_system_vgpr_workitem_id 0
		.amdhsa_next_free_vgpr 1
		.amdhsa_next_free_sgpr 1
		.amdhsa_reserve_vcc 0
		.amdhsa_float_round_mode_32 0
		.amdhsa_float_round_mode_16_64 0
		.amdhsa_float_denorm_mode_32 3
		.amdhsa_float_denorm_mode_16_64 3
		.amdhsa_dx10_clamp 1
		.amdhsa_ieee_mode 1
		.amdhsa_fp16_overflow 0
		.amdhsa_workgroup_processor_mode 1
		.amdhsa_memory_ordered 1
		.amdhsa_forward_progress 0
		.amdhsa_shared_vgpr_count 0
		.amdhsa_exception_fp_ieee_invalid_op 0
		.amdhsa_exception_fp_denorm_src 0
		.amdhsa_exception_fp_ieee_div_zero 0
		.amdhsa_exception_fp_ieee_overflow 0
		.amdhsa_exception_fp_ieee_underflow 0
		.amdhsa_exception_fp_ieee_inexact 0
		.amdhsa_exception_int_div_zero 0
	.end_amdhsa_kernel
	.section	.text._ZN7rocprim17ROCPRIM_400000_NS6detail17trampoline_kernelINS0_14default_configENS1_22reduce_config_selectorIbEEZNS1_11reduce_implILb1ES3_N6hipcub16HIPCUB_304000_NS22TransformInputIteratorIbN2at6native12_GLOBAL__N_19NonZeroOpIbEEPKblEEPiiNS8_6detail34convert_binary_result_type_wrapperINS8_3SumESH_iEEEE10hipError_tPvRmT1_T2_T3_mT4_P12ihipStream_tbEUlT_E1_NS1_11comp_targetILNS1_3genE5ELNS1_11target_archE942ELNS1_3gpuE9ELNS1_3repE0EEENS1_30default_config_static_selectorELNS0_4arch9wavefront6targetE0EEEvSQ_,"axG",@progbits,_ZN7rocprim17ROCPRIM_400000_NS6detail17trampoline_kernelINS0_14default_configENS1_22reduce_config_selectorIbEEZNS1_11reduce_implILb1ES3_N6hipcub16HIPCUB_304000_NS22TransformInputIteratorIbN2at6native12_GLOBAL__N_19NonZeroOpIbEEPKblEEPiiNS8_6detail34convert_binary_result_type_wrapperINS8_3SumESH_iEEEE10hipError_tPvRmT1_T2_T3_mT4_P12ihipStream_tbEUlT_E1_NS1_11comp_targetILNS1_3genE5ELNS1_11target_archE942ELNS1_3gpuE9ELNS1_3repE0EEENS1_30default_config_static_selectorELNS0_4arch9wavefront6targetE0EEEvSQ_,comdat
.Lfunc_end722:
	.size	_ZN7rocprim17ROCPRIM_400000_NS6detail17trampoline_kernelINS0_14default_configENS1_22reduce_config_selectorIbEEZNS1_11reduce_implILb1ES3_N6hipcub16HIPCUB_304000_NS22TransformInputIteratorIbN2at6native12_GLOBAL__N_19NonZeroOpIbEEPKblEEPiiNS8_6detail34convert_binary_result_type_wrapperINS8_3SumESH_iEEEE10hipError_tPvRmT1_T2_T3_mT4_P12ihipStream_tbEUlT_E1_NS1_11comp_targetILNS1_3genE5ELNS1_11target_archE942ELNS1_3gpuE9ELNS1_3repE0EEENS1_30default_config_static_selectorELNS0_4arch9wavefront6targetE0EEEvSQ_, .Lfunc_end722-_ZN7rocprim17ROCPRIM_400000_NS6detail17trampoline_kernelINS0_14default_configENS1_22reduce_config_selectorIbEEZNS1_11reduce_implILb1ES3_N6hipcub16HIPCUB_304000_NS22TransformInputIteratorIbN2at6native12_GLOBAL__N_19NonZeroOpIbEEPKblEEPiiNS8_6detail34convert_binary_result_type_wrapperINS8_3SumESH_iEEEE10hipError_tPvRmT1_T2_T3_mT4_P12ihipStream_tbEUlT_E1_NS1_11comp_targetILNS1_3genE5ELNS1_11target_archE942ELNS1_3gpuE9ELNS1_3repE0EEENS1_30default_config_static_selectorELNS0_4arch9wavefront6targetE0EEEvSQ_
                                        ; -- End function
	.section	.AMDGPU.csdata,"",@progbits
; Kernel info:
; codeLenInByte = 0
; NumSgprs: 0
; NumVgprs: 0
; ScratchSize: 0
; MemoryBound: 0
; FloatMode: 240
; IeeeMode: 1
; LDSByteSize: 0 bytes/workgroup (compile time only)
; SGPRBlocks: 0
; VGPRBlocks: 0
; NumSGPRsForWavesPerEU: 1
; NumVGPRsForWavesPerEU: 1
; Occupancy: 16
; WaveLimiterHint : 0
; COMPUTE_PGM_RSRC2:SCRATCH_EN: 0
; COMPUTE_PGM_RSRC2:USER_SGPR: 15
; COMPUTE_PGM_RSRC2:TRAP_HANDLER: 0
; COMPUTE_PGM_RSRC2:TGID_X_EN: 1
; COMPUTE_PGM_RSRC2:TGID_Y_EN: 0
; COMPUTE_PGM_RSRC2:TGID_Z_EN: 0
; COMPUTE_PGM_RSRC2:TIDIG_COMP_CNT: 0
	.section	.text._ZN7rocprim17ROCPRIM_400000_NS6detail17trampoline_kernelINS0_14default_configENS1_22reduce_config_selectorIbEEZNS1_11reduce_implILb1ES3_N6hipcub16HIPCUB_304000_NS22TransformInputIteratorIbN2at6native12_GLOBAL__N_19NonZeroOpIbEEPKblEEPiiNS8_6detail34convert_binary_result_type_wrapperINS8_3SumESH_iEEEE10hipError_tPvRmT1_T2_T3_mT4_P12ihipStream_tbEUlT_E1_NS1_11comp_targetILNS1_3genE4ELNS1_11target_archE910ELNS1_3gpuE8ELNS1_3repE0EEENS1_30default_config_static_selectorELNS0_4arch9wavefront6targetE0EEEvSQ_,"axG",@progbits,_ZN7rocprim17ROCPRIM_400000_NS6detail17trampoline_kernelINS0_14default_configENS1_22reduce_config_selectorIbEEZNS1_11reduce_implILb1ES3_N6hipcub16HIPCUB_304000_NS22TransformInputIteratorIbN2at6native12_GLOBAL__N_19NonZeroOpIbEEPKblEEPiiNS8_6detail34convert_binary_result_type_wrapperINS8_3SumESH_iEEEE10hipError_tPvRmT1_T2_T3_mT4_P12ihipStream_tbEUlT_E1_NS1_11comp_targetILNS1_3genE4ELNS1_11target_archE910ELNS1_3gpuE8ELNS1_3repE0EEENS1_30default_config_static_selectorELNS0_4arch9wavefront6targetE0EEEvSQ_,comdat
	.globl	_ZN7rocprim17ROCPRIM_400000_NS6detail17trampoline_kernelINS0_14default_configENS1_22reduce_config_selectorIbEEZNS1_11reduce_implILb1ES3_N6hipcub16HIPCUB_304000_NS22TransformInputIteratorIbN2at6native12_GLOBAL__N_19NonZeroOpIbEEPKblEEPiiNS8_6detail34convert_binary_result_type_wrapperINS8_3SumESH_iEEEE10hipError_tPvRmT1_T2_T3_mT4_P12ihipStream_tbEUlT_E1_NS1_11comp_targetILNS1_3genE4ELNS1_11target_archE910ELNS1_3gpuE8ELNS1_3repE0EEENS1_30default_config_static_selectorELNS0_4arch9wavefront6targetE0EEEvSQ_ ; -- Begin function _ZN7rocprim17ROCPRIM_400000_NS6detail17trampoline_kernelINS0_14default_configENS1_22reduce_config_selectorIbEEZNS1_11reduce_implILb1ES3_N6hipcub16HIPCUB_304000_NS22TransformInputIteratorIbN2at6native12_GLOBAL__N_19NonZeroOpIbEEPKblEEPiiNS8_6detail34convert_binary_result_type_wrapperINS8_3SumESH_iEEEE10hipError_tPvRmT1_T2_T3_mT4_P12ihipStream_tbEUlT_E1_NS1_11comp_targetILNS1_3genE4ELNS1_11target_archE910ELNS1_3gpuE8ELNS1_3repE0EEENS1_30default_config_static_selectorELNS0_4arch9wavefront6targetE0EEEvSQ_
	.p2align	8
	.type	_ZN7rocprim17ROCPRIM_400000_NS6detail17trampoline_kernelINS0_14default_configENS1_22reduce_config_selectorIbEEZNS1_11reduce_implILb1ES3_N6hipcub16HIPCUB_304000_NS22TransformInputIteratorIbN2at6native12_GLOBAL__N_19NonZeroOpIbEEPKblEEPiiNS8_6detail34convert_binary_result_type_wrapperINS8_3SumESH_iEEEE10hipError_tPvRmT1_T2_T3_mT4_P12ihipStream_tbEUlT_E1_NS1_11comp_targetILNS1_3genE4ELNS1_11target_archE910ELNS1_3gpuE8ELNS1_3repE0EEENS1_30default_config_static_selectorELNS0_4arch9wavefront6targetE0EEEvSQ_,@function
_ZN7rocprim17ROCPRIM_400000_NS6detail17trampoline_kernelINS0_14default_configENS1_22reduce_config_selectorIbEEZNS1_11reduce_implILb1ES3_N6hipcub16HIPCUB_304000_NS22TransformInputIteratorIbN2at6native12_GLOBAL__N_19NonZeroOpIbEEPKblEEPiiNS8_6detail34convert_binary_result_type_wrapperINS8_3SumESH_iEEEE10hipError_tPvRmT1_T2_T3_mT4_P12ihipStream_tbEUlT_E1_NS1_11comp_targetILNS1_3genE4ELNS1_11target_archE910ELNS1_3gpuE8ELNS1_3repE0EEENS1_30default_config_static_selectorELNS0_4arch9wavefront6targetE0EEEvSQ_: ; @_ZN7rocprim17ROCPRIM_400000_NS6detail17trampoline_kernelINS0_14default_configENS1_22reduce_config_selectorIbEEZNS1_11reduce_implILb1ES3_N6hipcub16HIPCUB_304000_NS22TransformInputIteratorIbN2at6native12_GLOBAL__N_19NonZeroOpIbEEPKblEEPiiNS8_6detail34convert_binary_result_type_wrapperINS8_3SumESH_iEEEE10hipError_tPvRmT1_T2_T3_mT4_P12ihipStream_tbEUlT_E1_NS1_11comp_targetILNS1_3genE4ELNS1_11target_archE910ELNS1_3gpuE8ELNS1_3repE0EEENS1_30default_config_static_selectorELNS0_4arch9wavefront6targetE0EEEvSQ_
; %bb.0:
	.section	.rodata,"a",@progbits
	.p2align	6, 0x0
	.amdhsa_kernel _ZN7rocprim17ROCPRIM_400000_NS6detail17trampoline_kernelINS0_14default_configENS1_22reduce_config_selectorIbEEZNS1_11reduce_implILb1ES3_N6hipcub16HIPCUB_304000_NS22TransformInputIteratorIbN2at6native12_GLOBAL__N_19NonZeroOpIbEEPKblEEPiiNS8_6detail34convert_binary_result_type_wrapperINS8_3SumESH_iEEEE10hipError_tPvRmT1_T2_T3_mT4_P12ihipStream_tbEUlT_E1_NS1_11comp_targetILNS1_3genE4ELNS1_11target_archE910ELNS1_3gpuE8ELNS1_3repE0EEENS1_30default_config_static_selectorELNS0_4arch9wavefront6targetE0EEEvSQ_
		.amdhsa_group_segment_fixed_size 0
		.amdhsa_private_segment_fixed_size 0
		.amdhsa_kernarg_size 48
		.amdhsa_user_sgpr_count 15
		.amdhsa_user_sgpr_dispatch_ptr 0
		.amdhsa_user_sgpr_queue_ptr 0
		.amdhsa_user_sgpr_kernarg_segment_ptr 1
		.amdhsa_user_sgpr_dispatch_id 0
		.amdhsa_user_sgpr_private_segment_size 0
		.amdhsa_wavefront_size32 1
		.amdhsa_uses_dynamic_stack 0
		.amdhsa_enable_private_segment 0
		.amdhsa_system_sgpr_workgroup_id_x 1
		.amdhsa_system_sgpr_workgroup_id_y 0
		.amdhsa_system_sgpr_workgroup_id_z 0
		.amdhsa_system_sgpr_workgroup_info 0
		.amdhsa_system_vgpr_workitem_id 0
		.amdhsa_next_free_vgpr 1
		.amdhsa_next_free_sgpr 1
		.amdhsa_reserve_vcc 0
		.amdhsa_float_round_mode_32 0
		.amdhsa_float_round_mode_16_64 0
		.amdhsa_float_denorm_mode_32 3
		.amdhsa_float_denorm_mode_16_64 3
		.amdhsa_dx10_clamp 1
		.amdhsa_ieee_mode 1
		.amdhsa_fp16_overflow 0
		.amdhsa_workgroup_processor_mode 1
		.amdhsa_memory_ordered 1
		.amdhsa_forward_progress 0
		.amdhsa_shared_vgpr_count 0
		.amdhsa_exception_fp_ieee_invalid_op 0
		.amdhsa_exception_fp_denorm_src 0
		.amdhsa_exception_fp_ieee_div_zero 0
		.amdhsa_exception_fp_ieee_overflow 0
		.amdhsa_exception_fp_ieee_underflow 0
		.amdhsa_exception_fp_ieee_inexact 0
		.amdhsa_exception_int_div_zero 0
	.end_amdhsa_kernel
	.section	.text._ZN7rocprim17ROCPRIM_400000_NS6detail17trampoline_kernelINS0_14default_configENS1_22reduce_config_selectorIbEEZNS1_11reduce_implILb1ES3_N6hipcub16HIPCUB_304000_NS22TransformInputIteratorIbN2at6native12_GLOBAL__N_19NonZeroOpIbEEPKblEEPiiNS8_6detail34convert_binary_result_type_wrapperINS8_3SumESH_iEEEE10hipError_tPvRmT1_T2_T3_mT4_P12ihipStream_tbEUlT_E1_NS1_11comp_targetILNS1_3genE4ELNS1_11target_archE910ELNS1_3gpuE8ELNS1_3repE0EEENS1_30default_config_static_selectorELNS0_4arch9wavefront6targetE0EEEvSQ_,"axG",@progbits,_ZN7rocprim17ROCPRIM_400000_NS6detail17trampoline_kernelINS0_14default_configENS1_22reduce_config_selectorIbEEZNS1_11reduce_implILb1ES3_N6hipcub16HIPCUB_304000_NS22TransformInputIteratorIbN2at6native12_GLOBAL__N_19NonZeroOpIbEEPKblEEPiiNS8_6detail34convert_binary_result_type_wrapperINS8_3SumESH_iEEEE10hipError_tPvRmT1_T2_T3_mT4_P12ihipStream_tbEUlT_E1_NS1_11comp_targetILNS1_3genE4ELNS1_11target_archE910ELNS1_3gpuE8ELNS1_3repE0EEENS1_30default_config_static_selectorELNS0_4arch9wavefront6targetE0EEEvSQ_,comdat
.Lfunc_end723:
	.size	_ZN7rocprim17ROCPRIM_400000_NS6detail17trampoline_kernelINS0_14default_configENS1_22reduce_config_selectorIbEEZNS1_11reduce_implILb1ES3_N6hipcub16HIPCUB_304000_NS22TransformInputIteratorIbN2at6native12_GLOBAL__N_19NonZeroOpIbEEPKblEEPiiNS8_6detail34convert_binary_result_type_wrapperINS8_3SumESH_iEEEE10hipError_tPvRmT1_T2_T3_mT4_P12ihipStream_tbEUlT_E1_NS1_11comp_targetILNS1_3genE4ELNS1_11target_archE910ELNS1_3gpuE8ELNS1_3repE0EEENS1_30default_config_static_selectorELNS0_4arch9wavefront6targetE0EEEvSQ_, .Lfunc_end723-_ZN7rocprim17ROCPRIM_400000_NS6detail17trampoline_kernelINS0_14default_configENS1_22reduce_config_selectorIbEEZNS1_11reduce_implILb1ES3_N6hipcub16HIPCUB_304000_NS22TransformInputIteratorIbN2at6native12_GLOBAL__N_19NonZeroOpIbEEPKblEEPiiNS8_6detail34convert_binary_result_type_wrapperINS8_3SumESH_iEEEE10hipError_tPvRmT1_T2_T3_mT4_P12ihipStream_tbEUlT_E1_NS1_11comp_targetILNS1_3genE4ELNS1_11target_archE910ELNS1_3gpuE8ELNS1_3repE0EEENS1_30default_config_static_selectorELNS0_4arch9wavefront6targetE0EEEvSQ_
                                        ; -- End function
	.section	.AMDGPU.csdata,"",@progbits
; Kernel info:
; codeLenInByte = 0
; NumSgprs: 0
; NumVgprs: 0
; ScratchSize: 0
; MemoryBound: 0
; FloatMode: 240
; IeeeMode: 1
; LDSByteSize: 0 bytes/workgroup (compile time only)
; SGPRBlocks: 0
; VGPRBlocks: 0
; NumSGPRsForWavesPerEU: 1
; NumVGPRsForWavesPerEU: 1
; Occupancy: 16
; WaveLimiterHint : 0
; COMPUTE_PGM_RSRC2:SCRATCH_EN: 0
; COMPUTE_PGM_RSRC2:USER_SGPR: 15
; COMPUTE_PGM_RSRC2:TRAP_HANDLER: 0
; COMPUTE_PGM_RSRC2:TGID_X_EN: 1
; COMPUTE_PGM_RSRC2:TGID_Y_EN: 0
; COMPUTE_PGM_RSRC2:TGID_Z_EN: 0
; COMPUTE_PGM_RSRC2:TIDIG_COMP_CNT: 0
	.section	.text._ZN7rocprim17ROCPRIM_400000_NS6detail17trampoline_kernelINS0_14default_configENS1_22reduce_config_selectorIbEEZNS1_11reduce_implILb1ES3_N6hipcub16HIPCUB_304000_NS22TransformInputIteratorIbN2at6native12_GLOBAL__N_19NonZeroOpIbEEPKblEEPiiNS8_6detail34convert_binary_result_type_wrapperINS8_3SumESH_iEEEE10hipError_tPvRmT1_T2_T3_mT4_P12ihipStream_tbEUlT_E1_NS1_11comp_targetILNS1_3genE3ELNS1_11target_archE908ELNS1_3gpuE7ELNS1_3repE0EEENS1_30default_config_static_selectorELNS0_4arch9wavefront6targetE0EEEvSQ_,"axG",@progbits,_ZN7rocprim17ROCPRIM_400000_NS6detail17trampoline_kernelINS0_14default_configENS1_22reduce_config_selectorIbEEZNS1_11reduce_implILb1ES3_N6hipcub16HIPCUB_304000_NS22TransformInputIteratorIbN2at6native12_GLOBAL__N_19NonZeroOpIbEEPKblEEPiiNS8_6detail34convert_binary_result_type_wrapperINS8_3SumESH_iEEEE10hipError_tPvRmT1_T2_T3_mT4_P12ihipStream_tbEUlT_E1_NS1_11comp_targetILNS1_3genE3ELNS1_11target_archE908ELNS1_3gpuE7ELNS1_3repE0EEENS1_30default_config_static_selectorELNS0_4arch9wavefront6targetE0EEEvSQ_,comdat
	.globl	_ZN7rocprim17ROCPRIM_400000_NS6detail17trampoline_kernelINS0_14default_configENS1_22reduce_config_selectorIbEEZNS1_11reduce_implILb1ES3_N6hipcub16HIPCUB_304000_NS22TransformInputIteratorIbN2at6native12_GLOBAL__N_19NonZeroOpIbEEPKblEEPiiNS8_6detail34convert_binary_result_type_wrapperINS8_3SumESH_iEEEE10hipError_tPvRmT1_T2_T3_mT4_P12ihipStream_tbEUlT_E1_NS1_11comp_targetILNS1_3genE3ELNS1_11target_archE908ELNS1_3gpuE7ELNS1_3repE0EEENS1_30default_config_static_selectorELNS0_4arch9wavefront6targetE0EEEvSQ_ ; -- Begin function _ZN7rocprim17ROCPRIM_400000_NS6detail17trampoline_kernelINS0_14default_configENS1_22reduce_config_selectorIbEEZNS1_11reduce_implILb1ES3_N6hipcub16HIPCUB_304000_NS22TransformInputIteratorIbN2at6native12_GLOBAL__N_19NonZeroOpIbEEPKblEEPiiNS8_6detail34convert_binary_result_type_wrapperINS8_3SumESH_iEEEE10hipError_tPvRmT1_T2_T3_mT4_P12ihipStream_tbEUlT_E1_NS1_11comp_targetILNS1_3genE3ELNS1_11target_archE908ELNS1_3gpuE7ELNS1_3repE0EEENS1_30default_config_static_selectorELNS0_4arch9wavefront6targetE0EEEvSQ_
	.p2align	8
	.type	_ZN7rocprim17ROCPRIM_400000_NS6detail17trampoline_kernelINS0_14default_configENS1_22reduce_config_selectorIbEEZNS1_11reduce_implILb1ES3_N6hipcub16HIPCUB_304000_NS22TransformInputIteratorIbN2at6native12_GLOBAL__N_19NonZeroOpIbEEPKblEEPiiNS8_6detail34convert_binary_result_type_wrapperINS8_3SumESH_iEEEE10hipError_tPvRmT1_T2_T3_mT4_P12ihipStream_tbEUlT_E1_NS1_11comp_targetILNS1_3genE3ELNS1_11target_archE908ELNS1_3gpuE7ELNS1_3repE0EEENS1_30default_config_static_selectorELNS0_4arch9wavefront6targetE0EEEvSQ_,@function
_ZN7rocprim17ROCPRIM_400000_NS6detail17trampoline_kernelINS0_14default_configENS1_22reduce_config_selectorIbEEZNS1_11reduce_implILb1ES3_N6hipcub16HIPCUB_304000_NS22TransformInputIteratorIbN2at6native12_GLOBAL__N_19NonZeroOpIbEEPKblEEPiiNS8_6detail34convert_binary_result_type_wrapperINS8_3SumESH_iEEEE10hipError_tPvRmT1_T2_T3_mT4_P12ihipStream_tbEUlT_E1_NS1_11comp_targetILNS1_3genE3ELNS1_11target_archE908ELNS1_3gpuE7ELNS1_3repE0EEENS1_30default_config_static_selectorELNS0_4arch9wavefront6targetE0EEEvSQ_: ; @_ZN7rocprim17ROCPRIM_400000_NS6detail17trampoline_kernelINS0_14default_configENS1_22reduce_config_selectorIbEEZNS1_11reduce_implILb1ES3_N6hipcub16HIPCUB_304000_NS22TransformInputIteratorIbN2at6native12_GLOBAL__N_19NonZeroOpIbEEPKblEEPiiNS8_6detail34convert_binary_result_type_wrapperINS8_3SumESH_iEEEE10hipError_tPvRmT1_T2_T3_mT4_P12ihipStream_tbEUlT_E1_NS1_11comp_targetILNS1_3genE3ELNS1_11target_archE908ELNS1_3gpuE7ELNS1_3repE0EEENS1_30default_config_static_selectorELNS0_4arch9wavefront6targetE0EEEvSQ_
; %bb.0:
	.section	.rodata,"a",@progbits
	.p2align	6, 0x0
	.amdhsa_kernel _ZN7rocprim17ROCPRIM_400000_NS6detail17trampoline_kernelINS0_14default_configENS1_22reduce_config_selectorIbEEZNS1_11reduce_implILb1ES3_N6hipcub16HIPCUB_304000_NS22TransformInputIteratorIbN2at6native12_GLOBAL__N_19NonZeroOpIbEEPKblEEPiiNS8_6detail34convert_binary_result_type_wrapperINS8_3SumESH_iEEEE10hipError_tPvRmT1_T2_T3_mT4_P12ihipStream_tbEUlT_E1_NS1_11comp_targetILNS1_3genE3ELNS1_11target_archE908ELNS1_3gpuE7ELNS1_3repE0EEENS1_30default_config_static_selectorELNS0_4arch9wavefront6targetE0EEEvSQ_
		.amdhsa_group_segment_fixed_size 0
		.amdhsa_private_segment_fixed_size 0
		.amdhsa_kernarg_size 48
		.amdhsa_user_sgpr_count 15
		.amdhsa_user_sgpr_dispatch_ptr 0
		.amdhsa_user_sgpr_queue_ptr 0
		.amdhsa_user_sgpr_kernarg_segment_ptr 1
		.amdhsa_user_sgpr_dispatch_id 0
		.amdhsa_user_sgpr_private_segment_size 0
		.amdhsa_wavefront_size32 1
		.amdhsa_uses_dynamic_stack 0
		.amdhsa_enable_private_segment 0
		.amdhsa_system_sgpr_workgroup_id_x 1
		.amdhsa_system_sgpr_workgroup_id_y 0
		.amdhsa_system_sgpr_workgroup_id_z 0
		.amdhsa_system_sgpr_workgroup_info 0
		.amdhsa_system_vgpr_workitem_id 0
		.amdhsa_next_free_vgpr 1
		.amdhsa_next_free_sgpr 1
		.amdhsa_reserve_vcc 0
		.amdhsa_float_round_mode_32 0
		.amdhsa_float_round_mode_16_64 0
		.amdhsa_float_denorm_mode_32 3
		.amdhsa_float_denorm_mode_16_64 3
		.amdhsa_dx10_clamp 1
		.amdhsa_ieee_mode 1
		.amdhsa_fp16_overflow 0
		.amdhsa_workgroup_processor_mode 1
		.amdhsa_memory_ordered 1
		.amdhsa_forward_progress 0
		.amdhsa_shared_vgpr_count 0
		.amdhsa_exception_fp_ieee_invalid_op 0
		.amdhsa_exception_fp_denorm_src 0
		.amdhsa_exception_fp_ieee_div_zero 0
		.amdhsa_exception_fp_ieee_overflow 0
		.amdhsa_exception_fp_ieee_underflow 0
		.amdhsa_exception_fp_ieee_inexact 0
		.amdhsa_exception_int_div_zero 0
	.end_amdhsa_kernel
	.section	.text._ZN7rocprim17ROCPRIM_400000_NS6detail17trampoline_kernelINS0_14default_configENS1_22reduce_config_selectorIbEEZNS1_11reduce_implILb1ES3_N6hipcub16HIPCUB_304000_NS22TransformInputIteratorIbN2at6native12_GLOBAL__N_19NonZeroOpIbEEPKblEEPiiNS8_6detail34convert_binary_result_type_wrapperINS8_3SumESH_iEEEE10hipError_tPvRmT1_T2_T3_mT4_P12ihipStream_tbEUlT_E1_NS1_11comp_targetILNS1_3genE3ELNS1_11target_archE908ELNS1_3gpuE7ELNS1_3repE0EEENS1_30default_config_static_selectorELNS0_4arch9wavefront6targetE0EEEvSQ_,"axG",@progbits,_ZN7rocprim17ROCPRIM_400000_NS6detail17trampoline_kernelINS0_14default_configENS1_22reduce_config_selectorIbEEZNS1_11reduce_implILb1ES3_N6hipcub16HIPCUB_304000_NS22TransformInputIteratorIbN2at6native12_GLOBAL__N_19NonZeroOpIbEEPKblEEPiiNS8_6detail34convert_binary_result_type_wrapperINS8_3SumESH_iEEEE10hipError_tPvRmT1_T2_T3_mT4_P12ihipStream_tbEUlT_E1_NS1_11comp_targetILNS1_3genE3ELNS1_11target_archE908ELNS1_3gpuE7ELNS1_3repE0EEENS1_30default_config_static_selectorELNS0_4arch9wavefront6targetE0EEEvSQ_,comdat
.Lfunc_end724:
	.size	_ZN7rocprim17ROCPRIM_400000_NS6detail17trampoline_kernelINS0_14default_configENS1_22reduce_config_selectorIbEEZNS1_11reduce_implILb1ES3_N6hipcub16HIPCUB_304000_NS22TransformInputIteratorIbN2at6native12_GLOBAL__N_19NonZeroOpIbEEPKblEEPiiNS8_6detail34convert_binary_result_type_wrapperINS8_3SumESH_iEEEE10hipError_tPvRmT1_T2_T3_mT4_P12ihipStream_tbEUlT_E1_NS1_11comp_targetILNS1_3genE3ELNS1_11target_archE908ELNS1_3gpuE7ELNS1_3repE0EEENS1_30default_config_static_selectorELNS0_4arch9wavefront6targetE0EEEvSQ_, .Lfunc_end724-_ZN7rocprim17ROCPRIM_400000_NS6detail17trampoline_kernelINS0_14default_configENS1_22reduce_config_selectorIbEEZNS1_11reduce_implILb1ES3_N6hipcub16HIPCUB_304000_NS22TransformInputIteratorIbN2at6native12_GLOBAL__N_19NonZeroOpIbEEPKblEEPiiNS8_6detail34convert_binary_result_type_wrapperINS8_3SumESH_iEEEE10hipError_tPvRmT1_T2_T3_mT4_P12ihipStream_tbEUlT_E1_NS1_11comp_targetILNS1_3genE3ELNS1_11target_archE908ELNS1_3gpuE7ELNS1_3repE0EEENS1_30default_config_static_selectorELNS0_4arch9wavefront6targetE0EEEvSQ_
                                        ; -- End function
	.section	.AMDGPU.csdata,"",@progbits
; Kernel info:
; codeLenInByte = 0
; NumSgprs: 0
; NumVgprs: 0
; ScratchSize: 0
; MemoryBound: 0
; FloatMode: 240
; IeeeMode: 1
; LDSByteSize: 0 bytes/workgroup (compile time only)
; SGPRBlocks: 0
; VGPRBlocks: 0
; NumSGPRsForWavesPerEU: 1
; NumVGPRsForWavesPerEU: 1
; Occupancy: 16
; WaveLimiterHint : 0
; COMPUTE_PGM_RSRC2:SCRATCH_EN: 0
; COMPUTE_PGM_RSRC2:USER_SGPR: 15
; COMPUTE_PGM_RSRC2:TRAP_HANDLER: 0
; COMPUTE_PGM_RSRC2:TGID_X_EN: 1
; COMPUTE_PGM_RSRC2:TGID_Y_EN: 0
; COMPUTE_PGM_RSRC2:TGID_Z_EN: 0
; COMPUTE_PGM_RSRC2:TIDIG_COMP_CNT: 0
	.section	.text._ZN7rocprim17ROCPRIM_400000_NS6detail17trampoline_kernelINS0_14default_configENS1_22reduce_config_selectorIbEEZNS1_11reduce_implILb1ES3_N6hipcub16HIPCUB_304000_NS22TransformInputIteratorIbN2at6native12_GLOBAL__N_19NonZeroOpIbEEPKblEEPiiNS8_6detail34convert_binary_result_type_wrapperINS8_3SumESH_iEEEE10hipError_tPvRmT1_T2_T3_mT4_P12ihipStream_tbEUlT_E1_NS1_11comp_targetILNS1_3genE2ELNS1_11target_archE906ELNS1_3gpuE6ELNS1_3repE0EEENS1_30default_config_static_selectorELNS0_4arch9wavefront6targetE0EEEvSQ_,"axG",@progbits,_ZN7rocprim17ROCPRIM_400000_NS6detail17trampoline_kernelINS0_14default_configENS1_22reduce_config_selectorIbEEZNS1_11reduce_implILb1ES3_N6hipcub16HIPCUB_304000_NS22TransformInputIteratorIbN2at6native12_GLOBAL__N_19NonZeroOpIbEEPKblEEPiiNS8_6detail34convert_binary_result_type_wrapperINS8_3SumESH_iEEEE10hipError_tPvRmT1_T2_T3_mT4_P12ihipStream_tbEUlT_E1_NS1_11comp_targetILNS1_3genE2ELNS1_11target_archE906ELNS1_3gpuE6ELNS1_3repE0EEENS1_30default_config_static_selectorELNS0_4arch9wavefront6targetE0EEEvSQ_,comdat
	.globl	_ZN7rocprim17ROCPRIM_400000_NS6detail17trampoline_kernelINS0_14default_configENS1_22reduce_config_selectorIbEEZNS1_11reduce_implILb1ES3_N6hipcub16HIPCUB_304000_NS22TransformInputIteratorIbN2at6native12_GLOBAL__N_19NonZeroOpIbEEPKblEEPiiNS8_6detail34convert_binary_result_type_wrapperINS8_3SumESH_iEEEE10hipError_tPvRmT1_T2_T3_mT4_P12ihipStream_tbEUlT_E1_NS1_11comp_targetILNS1_3genE2ELNS1_11target_archE906ELNS1_3gpuE6ELNS1_3repE0EEENS1_30default_config_static_selectorELNS0_4arch9wavefront6targetE0EEEvSQ_ ; -- Begin function _ZN7rocprim17ROCPRIM_400000_NS6detail17trampoline_kernelINS0_14default_configENS1_22reduce_config_selectorIbEEZNS1_11reduce_implILb1ES3_N6hipcub16HIPCUB_304000_NS22TransformInputIteratorIbN2at6native12_GLOBAL__N_19NonZeroOpIbEEPKblEEPiiNS8_6detail34convert_binary_result_type_wrapperINS8_3SumESH_iEEEE10hipError_tPvRmT1_T2_T3_mT4_P12ihipStream_tbEUlT_E1_NS1_11comp_targetILNS1_3genE2ELNS1_11target_archE906ELNS1_3gpuE6ELNS1_3repE0EEENS1_30default_config_static_selectorELNS0_4arch9wavefront6targetE0EEEvSQ_
	.p2align	8
	.type	_ZN7rocprim17ROCPRIM_400000_NS6detail17trampoline_kernelINS0_14default_configENS1_22reduce_config_selectorIbEEZNS1_11reduce_implILb1ES3_N6hipcub16HIPCUB_304000_NS22TransformInputIteratorIbN2at6native12_GLOBAL__N_19NonZeroOpIbEEPKblEEPiiNS8_6detail34convert_binary_result_type_wrapperINS8_3SumESH_iEEEE10hipError_tPvRmT1_T2_T3_mT4_P12ihipStream_tbEUlT_E1_NS1_11comp_targetILNS1_3genE2ELNS1_11target_archE906ELNS1_3gpuE6ELNS1_3repE0EEENS1_30default_config_static_selectorELNS0_4arch9wavefront6targetE0EEEvSQ_,@function
_ZN7rocprim17ROCPRIM_400000_NS6detail17trampoline_kernelINS0_14default_configENS1_22reduce_config_selectorIbEEZNS1_11reduce_implILb1ES3_N6hipcub16HIPCUB_304000_NS22TransformInputIteratorIbN2at6native12_GLOBAL__N_19NonZeroOpIbEEPKblEEPiiNS8_6detail34convert_binary_result_type_wrapperINS8_3SumESH_iEEEE10hipError_tPvRmT1_T2_T3_mT4_P12ihipStream_tbEUlT_E1_NS1_11comp_targetILNS1_3genE2ELNS1_11target_archE906ELNS1_3gpuE6ELNS1_3repE0EEENS1_30default_config_static_selectorELNS0_4arch9wavefront6targetE0EEEvSQ_: ; @_ZN7rocprim17ROCPRIM_400000_NS6detail17trampoline_kernelINS0_14default_configENS1_22reduce_config_selectorIbEEZNS1_11reduce_implILb1ES3_N6hipcub16HIPCUB_304000_NS22TransformInputIteratorIbN2at6native12_GLOBAL__N_19NonZeroOpIbEEPKblEEPiiNS8_6detail34convert_binary_result_type_wrapperINS8_3SumESH_iEEEE10hipError_tPvRmT1_T2_T3_mT4_P12ihipStream_tbEUlT_E1_NS1_11comp_targetILNS1_3genE2ELNS1_11target_archE906ELNS1_3gpuE6ELNS1_3repE0EEENS1_30default_config_static_selectorELNS0_4arch9wavefront6targetE0EEEvSQ_
; %bb.0:
	.section	.rodata,"a",@progbits
	.p2align	6, 0x0
	.amdhsa_kernel _ZN7rocprim17ROCPRIM_400000_NS6detail17trampoline_kernelINS0_14default_configENS1_22reduce_config_selectorIbEEZNS1_11reduce_implILb1ES3_N6hipcub16HIPCUB_304000_NS22TransformInputIteratorIbN2at6native12_GLOBAL__N_19NonZeroOpIbEEPKblEEPiiNS8_6detail34convert_binary_result_type_wrapperINS8_3SumESH_iEEEE10hipError_tPvRmT1_T2_T3_mT4_P12ihipStream_tbEUlT_E1_NS1_11comp_targetILNS1_3genE2ELNS1_11target_archE906ELNS1_3gpuE6ELNS1_3repE0EEENS1_30default_config_static_selectorELNS0_4arch9wavefront6targetE0EEEvSQ_
		.amdhsa_group_segment_fixed_size 0
		.amdhsa_private_segment_fixed_size 0
		.amdhsa_kernarg_size 48
		.amdhsa_user_sgpr_count 15
		.amdhsa_user_sgpr_dispatch_ptr 0
		.amdhsa_user_sgpr_queue_ptr 0
		.amdhsa_user_sgpr_kernarg_segment_ptr 1
		.amdhsa_user_sgpr_dispatch_id 0
		.amdhsa_user_sgpr_private_segment_size 0
		.amdhsa_wavefront_size32 1
		.amdhsa_uses_dynamic_stack 0
		.amdhsa_enable_private_segment 0
		.amdhsa_system_sgpr_workgroup_id_x 1
		.amdhsa_system_sgpr_workgroup_id_y 0
		.amdhsa_system_sgpr_workgroup_id_z 0
		.amdhsa_system_sgpr_workgroup_info 0
		.amdhsa_system_vgpr_workitem_id 0
		.amdhsa_next_free_vgpr 1
		.amdhsa_next_free_sgpr 1
		.amdhsa_reserve_vcc 0
		.amdhsa_float_round_mode_32 0
		.amdhsa_float_round_mode_16_64 0
		.amdhsa_float_denorm_mode_32 3
		.amdhsa_float_denorm_mode_16_64 3
		.amdhsa_dx10_clamp 1
		.amdhsa_ieee_mode 1
		.amdhsa_fp16_overflow 0
		.amdhsa_workgroup_processor_mode 1
		.amdhsa_memory_ordered 1
		.amdhsa_forward_progress 0
		.amdhsa_shared_vgpr_count 0
		.amdhsa_exception_fp_ieee_invalid_op 0
		.amdhsa_exception_fp_denorm_src 0
		.amdhsa_exception_fp_ieee_div_zero 0
		.amdhsa_exception_fp_ieee_overflow 0
		.amdhsa_exception_fp_ieee_underflow 0
		.amdhsa_exception_fp_ieee_inexact 0
		.amdhsa_exception_int_div_zero 0
	.end_amdhsa_kernel
	.section	.text._ZN7rocprim17ROCPRIM_400000_NS6detail17trampoline_kernelINS0_14default_configENS1_22reduce_config_selectorIbEEZNS1_11reduce_implILb1ES3_N6hipcub16HIPCUB_304000_NS22TransformInputIteratorIbN2at6native12_GLOBAL__N_19NonZeroOpIbEEPKblEEPiiNS8_6detail34convert_binary_result_type_wrapperINS8_3SumESH_iEEEE10hipError_tPvRmT1_T2_T3_mT4_P12ihipStream_tbEUlT_E1_NS1_11comp_targetILNS1_3genE2ELNS1_11target_archE906ELNS1_3gpuE6ELNS1_3repE0EEENS1_30default_config_static_selectorELNS0_4arch9wavefront6targetE0EEEvSQ_,"axG",@progbits,_ZN7rocprim17ROCPRIM_400000_NS6detail17trampoline_kernelINS0_14default_configENS1_22reduce_config_selectorIbEEZNS1_11reduce_implILb1ES3_N6hipcub16HIPCUB_304000_NS22TransformInputIteratorIbN2at6native12_GLOBAL__N_19NonZeroOpIbEEPKblEEPiiNS8_6detail34convert_binary_result_type_wrapperINS8_3SumESH_iEEEE10hipError_tPvRmT1_T2_T3_mT4_P12ihipStream_tbEUlT_E1_NS1_11comp_targetILNS1_3genE2ELNS1_11target_archE906ELNS1_3gpuE6ELNS1_3repE0EEENS1_30default_config_static_selectorELNS0_4arch9wavefront6targetE0EEEvSQ_,comdat
.Lfunc_end725:
	.size	_ZN7rocprim17ROCPRIM_400000_NS6detail17trampoline_kernelINS0_14default_configENS1_22reduce_config_selectorIbEEZNS1_11reduce_implILb1ES3_N6hipcub16HIPCUB_304000_NS22TransformInputIteratorIbN2at6native12_GLOBAL__N_19NonZeroOpIbEEPKblEEPiiNS8_6detail34convert_binary_result_type_wrapperINS8_3SumESH_iEEEE10hipError_tPvRmT1_T2_T3_mT4_P12ihipStream_tbEUlT_E1_NS1_11comp_targetILNS1_3genE2ELNS1_11target_archE906ELNS1_3gpuE6ELNS1_3repE0EEENS1_30default_config_static_selectorELNS0_4arch9wavefront6targetE0EEEvSQ_, .Lfunc_end725-_ZN7rocprim17ROCPRIM_400000_NS6detail17trampoline_kernelINS0_14default_configENS1_22reduce_config_selectorIbEEZNS1_11reduce_implILb1ES3_N6hipcub16HIPCUB_304000_NS22TransformInputIteratorIbN2at6native12_GLOBAL__N_19NonZeroOpIbEEPKblEEPiiNS8_6detail34convert_binary_result_type_wrapperINS8_3SumESH_iEEEE10hipError_tPvRmT1_T2_T3_mT4_P12ihipStream_tbEUlT_E1_NS1_11comp_targetILNS1_3genE2ELNS1_11target_archE906ELNS1_3gpuE6ELNS1_3repE0EEENS1_30default_config_static_selectorELNS0_4arch9wavefront6targetE0EEEvSQ_
                                        ; -- End function
	.section	.AMDGPU.csdata,"",@progbits
; Kernel info:
; codeLenInByte = 0
; NumSgprs: 0
; NumVgprs: 0
; ScratchSize: 0
; MemoryBound: 0
; FloatMode: 240
; IeeeMode: 1
; LDSByteSize: 0 bytes/workgroup (compile time only)
; SGPRBlocks: 0
; VGPRBlocks: 0
; NumSGPRsForWavesPerEU: 1
; NumVGPRsForWavesPerEU: 1
; Occupancy: 16
; WaveLimiterHint : 0
; COMPUTE_PGM_RSRC2:SCRATCH_EN: 0
; COMPUTE_PGM_RSRC2:USER_SGPR: 15
; COMPUTE_PGM_RSRC2:TRAP_HANDLER: 0
; COMPUTE_PGM_RSRC2:TGID_X_EN: 1
; COMPUTE_PGM_RSRC2:TGID_Y_EN: 0
; COMPUTE_PGM_RSRC2:TGID_Z_EN: 0
; COMPUTE_PGM_RSRC2:TIDIG_COMP_CNT: 0
	.section	.text._ZN7rocprim17ROCPRIM_400000_NS6detail17trampoline_kernelINS0_14default_configENS1_22reduce_config_selectorIbEEZNS1_11reduce_implILb1ES3_N6hipcub16HIPCUB_304000_NS22TransformInputIteratorIbN2at6native12_GLOBAL__N_19NonZeroOpIbEEPKblEEPiiNS8_6detail34convert_binary_result_type_wrapperINS8_3SumESH_iEEEE10hipError_tPvRmT1_T2_T3_mT4_P12ihipStream_tbEUlT_E1_NS1_11comp_targetILNS1_3genE10ELNS1_11target_archE1201ELNS1_3gpuE5ELNS1_3repE0EEENS1_30default_config_static_selectorELNS0_4arch9wavefront6targetE0EEEvSQ_,"axG",@progbits,_ZN7rocprim17ROCPRIM_400000_NS6detail17trampoline_kernelINS0_14default_configENS1_22reduce_config_selectorIbEEZNS1_11reduce_implILb1ES3_N6hipcub16HIPCUB_304000_NS22TransformInputIteratorIbN2at6native12_GLOBAL__N_19NonZeroOpIbEEPKblEEPiiNS8_6detail34convert_binary_result_type_wrapperINS8_3SumESH_iEEEE10hipError_tPvRmT1_T2_T3_mT4_P12ihipStream_tbEUlT_E1_NS1_11comp_targetILNS1_3genE10ELNS1_11target_archE1201ELNS1_3gpuE5ELNS1_3repE0EEENS1_30default_config_static_selectorELNS0_4arch9wavefront6targetE0EEEvSQ_,comdat
	.globl	_ZN7rocprim17ROCPRIM_400000_NS6detail17trampoline_kernelINS0_14default_configENS1_22reduce_config_selectorIbEEZNS1_11reduce_implILb1ES3_N6hipcub16HIPCUB_304000_NS22TransformInputIteratorIbN2at6native12_GLOBAL__N_19NonZeroOpIbEEPKblEEPiiNS8_6detail34convert_binary_result_type_wrapperINS8_3SumESH_iEEEE10hipError_tPvRmT1_T2_T3_mT4_P12ihipStream_tbEUlT_E1_NS1_11comp_targetILNS1_3genE10ELNS1_11target_archE1201ELNS1_3gpuE5ELNS1_3repE0EEENS1_30default_config_static_selectorELNS0_4arch9wavefront6targetE0EEEvSQ_ ; -- Begin function _ZN7rocprim17ROCPRIM_400000_NS6detail17trampoline_kernelINS0_14default_configENS1_22reduce_config_selectorIbEEZNS1_11reduce_implILb1ES3_N6hipcub16HIPCUB_304000_NS22TransformInputIteratorIbN2at6native12_GLOBAL__N_19NonZeroOpIbEEPKblEEPiiNS8_6detail34convert_binary_result_type_wrapperINS8_3SumESH_iEEEE10hipError_tPvRmT1_T2_T3_mT4_P12ihipStream_tbEUlT_E1_NS1_11comp_targetILNS1_3genE10ELNS1_11target_archE1201ELNS1_3gpuE5ELNS1_3repE0EEENS1_30default_config_static_selectorELNS0_4arch9wavefront6targetE0EEEvSQ_
	.p2align	8
	.type	_ZN7rocprim17ROCPRIM_400000_NS6detail17trampoline_kernelINS0_14default_configENS1_22reduce_config_selectorIbEEZNS1_11reduce_implILb1ES3_N6hipcub16HIPCUB_304000_NS22TransformInputIteratorIbN2at6native12_GLOBAL__N_19NonZeroOpIbEEPKblEEPiiNS8_6detail34convert_binary_result_type_wrapperINS8_3SumESH_iEEEE10hipError_tPvRmT1_T2_T3_mT4_P12ihipStream_tbEUlT_E1_NS1_11comp_targetILNS1_3genE10ELNS1_11target_archE1201ELNS1_3gpuE5ELNS1_3repE0EEENS1_30default_config_static_selectorELNS0_4arch9wavefront6targetE0EEEvSQ_,@function
_ZN7rocprim17ROCPRIM_400000_NS6detail17trampoline_kernelINS0_14default_configENS1_22reduce_config_selectorIbEEZNS1_11reduce_implILb1ES3_N6hipcub16HIPCUB_304000_NS22TransformInputIteratorIbN2at6native12_GLOBAL__N_19NonZeroOpIbEEPKblEEPiiNS8_6detail34convert_binary_result_type_wrapperINS8_3SumESH_iEEEE10hipError_tPvRmT1_T2_T3_mT4_P12ihipStream_tbEUlT_E1_NS1_11comp_targetILNS1_3genE10ELNS1_11target_archE1201ELNS1_3gpuE5ELNS1_3repE0EEENS1_30default_config_static_selectorELNS0_4arch9wavefront6targetE0EEEvSQ_: ; @_ZN7rocprim17ROCPRIM_400000_NS6detail17trampoline_kernelINS0_14default_configENS1_22reduce_config_selectorIbEEZNS1_11reduce_implILb1ES3_N6hipcub16HIPCUB_304000_NS22TransformInputIteratorIbN2at6native12_GLOBAL__N_19NonZeroOpIbEEPKblEEPiiNS8_6detail34convert_binary_result_type_wrapperINS8_3SumESH_iEEEE10hipError_tPvRmT1_T2_T3_mT4_P12ihipStream_tbEUlT_E1_NS1_11comp_targetILNS1_3genE10ELNS1_11target_archE1201ELNS1_3gpuE5ELNS1_3repE0EEENS1_30default_config_static_selectorELNS0_4arch9wavefront6targetE0EEEvSQ_
; %bb.0:
	.section	.rodata,"a",@progbits
	.p2align	6, 0x0
	.amdhsa_kernel _ZN7rocprim17ROCPRIM_400000_NS6detail17trampoline_kernelINS0_14default_configENS1_22reduce_config_selectorIbEEZNS1_11reduce_implILb1ES3_N6hipcub16HIPCUB_304000_NS22TransformInputIteratorIbN2at6native12_GLOBAL__N_19NonZeroOpIbEEPKblEEPiiNS8_6detail34convert_binary_result_type_wrapperINS8_3SumESH_iEEEE10hipError_tPvRmT1_T2_T3_mT4_P12ihipStream_tbEUlT_E1_NS1_11comp_targetILNS1_3genE10ELNS1_11target_archE1201ELNS1_3gpuE5ELNS1_3repE0EEENS1_30default_config_static_selectorELNS0_4arch9wavefront6targetE0EEEvSQ_
		.amdhsa_group_segment_fixed_size 0
		.amdhsa_private_segment_fixed_size 0
		.amdhsa_kernarg_size 48
		.amdhsa_user_sgpr_count 15
		.amdhsa_user_sgpr_dispatch_ptr 0
		.amdhsa_user_sgpr_queue_ptr 0
		.amdhsa_user_sgpr_kernarg_segment_ptr 1
		.amdhsa_user_sgpr_dispatch_id 0
		.amdhsa_user_sgpr_private_segment_size 0
		.amdhsa_wavefront_size32 1
		.amdhsa_uses_dynamic_stack 0
		.amdhsa_enable_private_segment 0
		.amdhsa_system_sgpr_workgroup_id_x 1
		.amdhsa_system_sgpr_workgroup_id_y 0
		.amdhsa_system_sgpr_workgroup_id_z 0
		.amdhsa_system_sgpr_workgroup_info 0
		.amdhsa_system_vgpr_workitem_id 0
		.amdhsa_next_free_vgpr 1
		.amdhsa_next_free_sgpr 1
		.amdhsa_reserve_vcc 0
		.amdhsa_float_round_mode_32 0
		.amdhsa_float_round_mode_16_64 0
		.amdhsa_float_denorm_mode_32 3
		.amdhsa_float_denorm_mode_16_64 3
		.amdhsa_dx10_clamp 1
		.amdhsa_ieee_mode 1
		.amdhsa_fp16_overflow 0
		.amdhsa_workgroup_processor_mode 1
		.amdhsa_memory_ordered 1
		.amdhsa_forward_progress 0
		.amdhsa_shared_vgpr_count 0
		.amdhsa_exception_fp_ieee_invalid_op 0
		.amdhsa_exception_fp_denorm_src 0
		.amdhsa_exception_fp_ieee_div_zero 0
		.amdhsa_exception_fp_ieee_overflow 0
		.amdhsa_exception_fp_ieee_underflow 0
		.amdhsa_exception_fp_ieee_inexact 0
		.amdhsa_exception_int_div_zero 0
	.end_amdhsa_kernel
	.section	.text._ZN7rocprim17ROCPRIM_400000_NS6detail17trampoline_kernelINS0_14default_configENS1_22reduce_config_selectorIbEEZNS1_11reduce_implILb1ES3_N6hipcub16HIPCUB_304000_NS22TransformInputIteratorIbN2at6native12_GLOBAL__N_19NonZeroOpIbEEPKblEEPiiNS8_6detail34convert_binary_result_type_wrapperINS8_3SumESH_iEEEE10hipError_tPvRmT1_T2_T3_mT4_P12ihipStream_tbEUlT_E1_NS1_11comp_targetILNS1_3genE10ELNS1_11target_archE1201ELNS1_3gpuE5ELNS1_3repE0EEENS1_30default_config_static_selectorELNS0_4arch9wavefront6targetE0EEEvSQ_,"axG",@progbits,_ZN7rocprim17ROCPRIM_400000_NS6detail17trampoline_kernelINS0_14default_configENS1_22reduce_config_selectorIbEEZNS1_11reduce_implILb1ES3_N6hipcub16HIPCUB_304000_NS22TransformInputIteratorIbN2at6native12_GLOBAL__N_19NonZeroOpIbEEPKblEEPiiNS8_6detail34convert_binary_result_type_wrapperINS8_3SumESH_iEEEE10hipError_tPvRmT1_T2_T3_mT4_P12ihipStream_tbEUlT_E1_NS1_11comp_targetILNS1_3genE10ELNS1_11target_archE1201ELNS1_3gpuE5ELNS1_3repE0EEENS1_30default_config_static_selectorELNS0_4arch9wavefront6targetE0EEEvSQ_,comdat
.Lfunc_end726:
	.size	_ZN7rocprim17ROCPRIM_400000_NS6detail17trampoline_kernelINS0_14default_configENS1_22reduce_config_selectorIbEEZNS1_11reduce_implILb1ES3_N6hipcub16HIPCUB_304000_NS22TransformInputIteratorIbN2at6native12_GLOBAL__N_19NonZeroOpIbEEPKblEEPiiNS8_6detail34convert_binary_result_type_wrapperINS8_3SumESH_iEEEE10hipError_tPvRmT1_T2_T3_mT4_P12ihipStream_tbEUlT_E1_NS1_11comp_targetILNS1_3genE10ELNS1_11target_archE1201ELNS1_3gpuE5ELNS1_3repE0EEENS1_30default_config_static_selectorELNS0_4arch9wavefront6targetE0EEEvSQ_, .Lfunc_end726-_ZN7rocprim17ROCPRIM_400000_NS6detail17trampoline_kernelINS0_14default_configENS1_22reduce_config_selectorIbEEZNS1_11reduce_implILb1ES3_N6hipcub16HIPCUB_304000_NS22TransformInputIteratorIbN2at6native12_GLOBAL__N_19NonZeroOpIbEEPKblEEPiiNS8_6detail34convert_binary_result_type_wrapperINS8_3SumESH_iEEEE10hipError_tPvRmT1_T2_T3_mT4_P12ihipStream_tbEUlT_E1_NS1_11comp_targetILNS1_3genE10ELNS1_11target_archE1201ELNS1_3gpuE5ELNS1_3repE0EEENS1_30default_config_static_selectorELNS0_4arch9wavefront6targetE0EEEvSQ_
                                        ; -- End function
	.section	.AMDGPU.csdata,"",@progbits
; Kernel info:
; codeLenInByte = 0
; NumSgprs: 0
; NumVgprs: 0
; ScratchSize: 0
; MemoryBound: 0
; FloatMode: 240
; IeeeMode: 1
; LDSByteSize: 0 bytes/workgroup (compile time only)
; SGPRBlocks: 0
; VGPRBlocks: 0
; NumSGPRsForWavesPerEU: 1
; NumVGPRsForWavesPerEU: 1
; Occupancy: 16
; WaveLimiterHint : 0
; COMPUTE_PGM_RSRC2:SCRATCH_EN: 0
; COMPUTE_PGM_RSRC2:USER_SGPR: 15
; COMPUTE_PGM_RSRC2:TRAP_HANDLER: 0
; COMPUTE_PGM_RSRC2:TGID_X_EN: 1
; COMPUTE_PGM_RSRC2:TGID_Y_EN: 0
; COMPUTE_PGM_RSRC2:TGID_Z_EN: 0
; COMPUTE_PGM_RSRC2:TIDIG_COMP_CNT: 0
	.section	.text._ZN7rocprim17ROCPRIM_400000_NS6detail17trampoline_kernelINS0_14default_configENS1_22reduce_config_selectorIbEEZNS1_11reduce_implILb1ES3_N6hipcub16HIPCUB_304000_NS22TransformInputIteratorIbN2at6native12_GLOBAL__N_19NonZeroOpIbEEPKblEEPiiNS8_6detail34convert_binary_result_type_wrapperINS8_3SumESH_iEEEE10hipError_tPvRmT1_T2_T3_mT4_P12ihipStream_tbEUlT_E1_NS1_11comp_targetILNS1_3genE10ELNS1_11target_archE1200ELNS1_3gpuE4ELNS1_3repE0EEENS1_30default_config_static_selectorELNS0_4arch9wavefront6targetE0EEEvSQ_,"axG",@progbits,_ZN7rocprim17ROCPRIM_400000_NS6detail17trampoline_kernelINS0_14default_configENS1_22reduce_config_selectorIbEEZNS1_11reduce_implILb1ES3_N6hipcub16HIPCUB_304000_NS22TransformInputIteratorIbN2at6native12_GLOBAL__N_19NonZeroOpIbEEPKblEEPiiNS8_6detail34convert_binary_result_type_wrapperINS8_3SumESH_iEEEE10hipError_tPvRmT1_T2_T3_mT4_P12ihipStream_tbEUlT_E1_NS1_11comp_targetILNS1_3genE10ELNS1_11target_archE1200ELNS1_3gpuE4ELNS1_3repE0EEENS1_30default_config_static_selectorELNS0_4arch9wavefront6targetE0EEEvSQ_,comdat
	.globl	_ZN7rocprim17ROCPRIM_400000_NS6detail17trampoline_kernelINS0_14default_configENS1_22reduce_config_selectorIbEEZNS1_11reduce_implILb1ES3_N6hipcub16HIPCUB_304000_NS22TransformInputIteratorIbN2at6native12_GLOBAL__N_19NonZeroOpIbEEPKblEEPiiNS8_6detail34convert_binary_result_type_wrapperINS8_3SumESH_iEEEE10hipError_tPvRmT1_T2_T3_mT4_P12ihipStream_tbEUlT_E1_NS1_11comp_targetILNS1_3genE10ELNS1_11target_archE1200ELNS1_3gpuE4ELNS1_3repE0EEENS1_30default_config_static_selectorELNS0_4arch9wavefront6targetE0EEEvSQ_ ; -- Begin function _ZN7rocprim17ROCPRIM_400000_NS6detail17trampoline_kernelINS0_14default_configENS1_22reduce_config_selectorIbEEZNS1_11reduce_implILb1ES3_N6hipcub16HIPCUB_304000_NS22TransformInputIteratorIbN2at6native12_GLOBAL__N_19NonZeroOpIbEEPKblEEPiiNS8_6detail34convert_binary_result_type_wrapperINS8_3SumESH_iEEEE10hipError_tPvRmT1_T2_T3_mT4_P12ihipStream_tbEUlT_E1_NS1_11comp_targetILNS1_3genE10ELNS1_11target_archE1200ELNS1_3gpuE4ELNS1_3repE0EEENS1_30default_config_static_selectorELNS0_4arch9wavefront6targetE0EEEvSQ_
	.p2align	8
	.type	_ZN7rocprim17ROCPRIM_400000_NS6detail17trampoline_kernelINS0_14default_configENS1_22reduce_config_selectorIbEEZNS1_11reduce_implILb1ES3_N6hipcub16HIPCUB_304000_NS22TransformInputIteratorIbN2at6native12_GLOBAL__N_19NonZeroOpIbEEPKblEEPiiNS8_6detail34convert_binary_result_type_wrapperINS8_3SumESH_iEEEE10hipError_tPvRmT1_T2_T3_mT4_P12ihipStream_tbEUlT_E1_NS1_11comp_targetILNS1_3genE10ELNS1_11target_archE1200ELNS1_3gpuE4ELNS1_3repE0EEENS1_30default_config_static_selectorELNS0_4arch9wavefront6targetE0EEEvSQ_,@function
_ZN7rocprim17ROCPRIM_400000_NS6detail17trampoline_kernelINS0_14default_configENS1_22reduce_config_selectorIbEEZNS1_11reduce_implILb1ES3_N6hipcub16HIPCUB_304000_NS22TransformInputIteratorIbN2at6native12_GLOBAL__N_19NonZeroOpIbEEPKblEEPiiNS8_6detail34convert_binary_result_type_wrapperINS8_3SumESH_iEEEE10hipError_tPvRmT1_T2_T3_mT4_P12ihipStream_tbEUlT_E1_NS1_11comp_targetILNS1_3genE10ELNS1_11target_archE1200ELNS1_3gpuE4ELNS1_3repE0EEENS1_30default_config_static_selectorELNS0_4arch9wavefront6targetE0EEEvSQ_: ; @_ZN7rocprim17ROCPRIM_400000_NS6detail17trampoline_kernelINS0_14default_configENS1_22reduce_config_selectorIbEEZNS1_11reduce_implILb1ES3_N6hipcub16HIPCUB_304000_NS22TransformInputIteratorIbN2at6native12_GLOBAL__N_19NonZeroOpIbEEPKblEEPiiNS8_6detail34convert_binary_result_type_wrapperINS8_3SumESH_iEEEE10hipError_tPvRmT1_T2_T3_mT4_P12ihipStream_tbEUlT_E1_NS1_11comp_targetILNS1_3genE10ELNS1_11target_archE1200ELNS1_3gpuE4ELNS1_3repE0EEENS1_30default_config_static_selectorELNS0_4arch9wavefront6targetE0EEEvSQ_
; %bb.0:
	.section	.rodata,"a",@progbits
	.p2align	6, 0x0
	.amdhsa_kernel _ZN7rocprim17ROCPRIM_400000_NS6detail17trampoline_kernelINS0_14default_configENS1_22reduce_config_selectorIbEEZNS1_11reduce_implILb1ES3_N6hipcub16HIPCUB_304000_NS22TransformInputIteratorIbN2at6native12_GLOBAL__N_19NonZeroOpIbEEPKblEEPiiNS8_6detail34convert_binary_result_type_wrapperINS8_3SumESH_iEEEE10hipError_tPvRmT1_T2_T3_mT4_P12ihipStream_tbEUlT_E1_NS1_11comp_targetILNS1_3genE10ELNS1_11target_archE1200ELNS1_3gpuE4ELNS1_3repE0EEENS1_30default_config_static_selectorELNS0_4arch9wavefront6targetE0EEEvSQ_
		.amdhsa_group_segment_fixed_size 0
		.amdhsa_private_segment_fixed_size 0
		.amdhsa_kernarg_size 48
		.amdhsa_user_sgpr_count 15
		.amdhsa_user_sgpr_dispatch_ptr 0
		.amdhsa_user_sgpr_queue_ptr 0
		.amdhsa_user_sgpr_kernarg_segment_ptr 1
		.amdhsa_user_sgpr_dispatch_id 0
		.amdhsa_user_sgpr_private_segment_size 0
		.amdhsa_wavefront_size32 1
		.amdhsa_uses_dynamic_stack 0
		.amdhsa_enable_private_segment 0
		.amdhsa_system_sgpr_workgroup_id_x 1
		.amdhsa_system_sgpr_workgroup_id_y 0
		.amdhsa_system_sgpr_workgroup_id_z 0
		.amdhsa_system_sgpr_workgroup_info 0
		.amdhsa_system_vgpr_workitem_id 0
		.amdhsa_next_free_vgpr 1
		.amdhsa_next_free_sgpr 1
		.amdhsa_reserve_vcc 0
		.amdhsa_float_round_mode_32 0
		.amdhsa_float_round_mode_16_64 0
		.amdhsa_float_denorm_mode_32 3
		.amdhsa_float_denorm_mode_16_64 3
		.amdhsa_dx10_clamp 1
		.amdhsa_ieee_mode 1
		.amdhsa_fp16_overflow 0
		.amdhsa_workgroup_processor_mode 1
		.amdhsa_memory_ordered 1
		.amdhsa_forward_progress 0
		.amdhsa_shared_vgpr_count 0
		.amdhsa_exception_fp_ieee_invalid_op 0
		.amdhsa_exception_fp_denorm_src 0
		.amdhsa_exception_fp_ieee_div_zero 0
		.amdhsa_exception_fp_ieee_overflow 0
		.amdhsa_exception_fp_ieee_underflow 0
		.amdhsa_exception_fp_ieee_inexact 0
		.amdhsa_exception_int_div_zero 0
	.end_amdhsa_kernel
	.section	.text._ZN7rocprim17ROCPRIM_400000_NS6detail17trampoline_kernelINS0_14default_configENS1_22reduce_config_selectorIbEEZNS1_11reduce_implILb1ES3_N6hipcub16HIPCUB_304000_NS22TransformInputIteratorIbN2at6native12_GLOBAL__N_19NonZeroOpIbEEPKblEEPiiNS8_6detail34convert_binary_result_type_wrapperINS8_3SumESH_iEEEE10hipError_tPvRmT1_T2_T3_mT4_P12ihipStream_tbEUlT_E1_NS1_11comp_targetILNS1_3genE10ELNS1_11target_archE1200ELNS1_3gpuE4ELNS1_3repE0EEENS1_30default_config_static_selectorELNS0_4arch9wavefront6targetE0EEEvSQ_,"axG",@progbits,_ZN7rocprim17ROCPRIM_400000_NS6detail17trampoline_kernelINS0_14default_configENS1_22reduce_config_selectorIbEEZNS1_11reduce_implILb1ES3_N6hipcub16HIPCUB_304000_NS22TransformInputIteratorIbN2at6native12_GLOBAL__N_19NonZeroOpIbEEPKblEEPiiNS8_6detail34convert_binary_result_type_wrapperINS8_3SumESH_iEEEE10hipError_tPvRmT1_T2_T3_mT4_P12ihipStream_tbEUlT_E1_NS1_11comp_targetILNS1_3genE10ELNS1_11target_archE1200ELNS1_3gpuE4ELNS1_3repE0EEENS1_30default_config_static_selectorELNS0_4arch9wavefront6targetE0EEEvSQ_,comdat
.Lfunc_end727:
	.size	_ZN7rocprim17ROCPRIM_400000_NS6detail17trampoline_kernelINS0_14default_configENS1_22reduce_config_selectorIbEEZNS1_11reduce_implILb1ES3_N6hipcub16HIPCUB_304000_NS22TransformInputIteratorIbN2at6native12_GLOBAL__N_19NonZeroOpIbEEPKblEEPiiNS8_6detail34convert_binary_result_type_wrapperINS8_3SumESH_iEEEE10hipError_tPvRmT1_T2_T3_mT4_P12ihipStream_tbEUlT_E1_NS1_11comp_targetILNS1_3genE10ELNS1_11target_archE1200ELNS1_3gpuE4ELNS1_3repE0EEENS1_30default_config_static_selectorELNS0_4arch9wavefront6targetE0EEEvSQ_, .Lfunc_end727-_ZN7rocprim17ROCPRIM_400000_NS6detail17trampoline_kernelINS0_14default_configENS1_22reduce_config_selectorIbEEZNS1_11reduce_implILb1ES3_N6hipcub16HIPCUB_304000_NS22TransformInputIteratorIbN2at6native12_GLOBAL__N_19NonZeroOpIbEEPKblEEPiiNS8_6detail34convert_binary_result_type_wrapperINS8_3SumESH_iEEEE10hipError_tPvRmT1_T2_T3_mT4_P12ihipStream_tbEUlT_E1_NS1_11comp_targetILNS1_3genE10ELNS1_11target_archE1200ELNS1_3gpuE4ELNS1_3repE0EEENS1_30default_config_static_selectorELNS0_4arch9wavefront6targetE0EEEvSQ_
                                        ; -- End function
	.section	.AMDGPU.csdata,"",@progbits
; Kernel info:
; codeLenInByte = 0
; NumSgprs: 0
; NumVgprs: 0
; ScratchSize: 0
; MemoryBound: 0
; FloatMode: 240
; IeeeMode: 1
; LDSByteSize: 0 bytes/workgroup (compile time only)
; SGPRBlocks: 0
; VGPRBlocks: 0
; NumSGPRsForWavesPerEU: 1
; NumVGPRsForWavesPerEU: 1
; Occupancy: 16
; WaveLimiterHint : 0
; COMPUTE_PGM_RSRC2:SCRATCH_EN: 0
; COMPUTE_PGM_RSRC2:USER_SGPR: 15
; COMPUTE_PGM_RSRC2:TRAP_HANDLER: 0
; COMPUTE_PGM_RSRC2:TGID_X_EN: 1
; COMPUTE_PGM_RSRC2:TGID_Y_EN: 0
; COMPUTE_PGM_RSRC2:TGID_Z_EN: 0
; COMPUTE_PGM_RSRC2:TIDIG_COMP_CNT: 0
	.section	.text._ZN7rocprim17ROCPRIM_400000_NS6detail17trampoline_kernelINS0_14default_configENS1_22reduce_config_selectorIbEEZNS1_11reduce_implILb1ES3_N6hipcub16HIPCUB_304000_NS22TransformInputIteratorIbN2at6native12_GLOBAL__N_19NonZeroOpIbEEPKblEEPiiNS8_6detail34convert_binary_result_type_wrapperINS8_3SumESH_iEEEE10hipError_tPvRmT1_T2_T3_mT4_P12ihipStream_tbEUlT_E1_NS1_11comp_targetILNS1_3genE9ELNS1_11target_archE1100ELNS1_3gpuE3ELNS1_3repE0EEENS1_30default_config_static_selectorELNS0_4arch9wavefront6targetE0EEEvSQ_,"axG",@progbits,_ZN7rocprim17ROCPRIM_400000_NS6detail17trampoline_kernelINS0_14default_configENS1_22reduce_config_selectorIbEEZNS1_11reduce_implILb1ES3_N6hipcub16HIPCUB_304000_NS22TransformInputIteratorIbN2at6native12_GLOBAL__N_19NonZeroOpIbEEPKblEEPiiNS8_6detail34convert_binary_result_type_wrapperINS8_3SumESH_iEEEE10hipError_tPvRmT1_T2_T3_mT4_P12ihipStream_tbEUlT_E1_NS1_11comp_targetILNS1_3genE9ELNS1_11target_archE1100ELNS1_3gpuE3ELNS1_3repE0EEENS1_30default_config_static_selectorELNS0_4arch9wavefront6targetE0EEEvSQ_,comdat
	.globl	_ZN7rocprim17ROCPRIM_400000_NS6detail17trampoline_kernelINS0_14default_configENS1_22reduce_config_selectorIbEEZNS1_11reduce_implILb1ES3_N6hipcub16HIPCUB_304000_NS22TransformInputIteratorIbN2at6native12_GLOBAL__N_19NonZeroOpIbEEPKblEEPiiNS8_6detail34convert_binary_result_type_wrapperINS8_3SumESH_iEEEE10hipError_tPvRmT1_T2_T3_mT4_P12ihipStream_tbEUlT_E1_NS1_11comp_targetILNS1_3genE9ELNS1_11target_archE1100ELNS1_3gpuE3ELNS1_3repE0EEENS1_30default_config_static_selectorELNS0_4arch9wavefront6targetE0EEEvSQ_ ; -- Begin function _ZN7rocprim17ROCPRIM_400000_NS6detail17trampoline_kernelINS0_14default_configENS1_22reduce_config_selectorIbEEZNS1_11reduce_implILb1ES3_N6hipcub16HIPCUB_304000_NS22TransformInputIteratorIbN2at6native12_GLOBAL__N_19NonZeroOpIbEEPKblEEPiiNS8_6detail34convert_binary_result_type_wrapperINS8_3SumESH_iEEEE10hipError_tPvRmT1_T2_T3_mT4_P12ihipStream_tbEUlT_E1_NS1_11comp_targetILNS1_3genE9ELNS1_11target_archE1100ELNS1_3gpuE3ELNS1_3repE0EEENS1_30default_config_static_selectorELNS0_4arch9wavefront6targetE0EEEvSQ_
	.p2align	8
	.type	_ZN7rocprim17ROCPRIM_400000_NS6detail17trampoline_kernelINS0_14default_configENS1_22reduce_config_selectorIbEEZNS1_11reduce_implILb1ES3_N6hipcub16HIPCUB_304000_NS22TransformInputIteratorIbN2at6native12_GLOBAL__N_19NonZeroOpIbEEPKblEEPiiNS8_6detail34convert_binary_result_type_wrapperINS8_3SumESH_iEEEE10hipError_tPvRmT1_T2_T3_mT4_P12ihipStream_tbEUlT_E1_NS1_11comp_targetILNS1_3genE9ELNS1_11target_archE1100ELNS1_3gpuE3ELNS1_3repE0EEENS1_30default_config_static_selectorELNS0_4arch9wavefront6targetE0EEEvSQ_,@function
_ZN7rocprim17ROCPRIM_400000_NS6detail17trampoline_kernelINS0_14default_configENS1_22reduce_config_selectorIbEEZNS1_11reduce_implILb1ES3_N6hipcub16HIPCUB_304000_NS22TransformInputIteratorIbN2at6native12_GLOBAL__N_19NonZeroOpIbEEPKblEEPiiNS8_6detail34convert_binary_result_type_wrapperINS8_3SumESH_iEEEE10hipError_tPvRmT1_T2_T3_mT4_P12ihipStream_tbEUlT_E1_NS1_11comp_targetILNS1_3genE9ELNS1_11target_archE1100ELNS1_3gpuE3ELNS1_3repE0EEENS1_30default_config_static_selectorELNS0_4arch9wavefront6targetE0EEEvSQ_: ; @_ZN7rocprim17ROCPRIM_400000_NS6detail17trampoline_kernelINS0_14default_configENS1_22reduce_config_selectorIbEEZNS1_11reduce_implILb1ES3_N6hipcub16HIPCUB_304000_NS22TransformInputIteratorIbN2at6native12_GLOBAL__N_19NonZeroOpIbEEPKblEEPiiNS8_6detail34convert_binary_result_type_wrapperINS8_3SumESH_iEEEE10hipError_tPvRmT1_T2_T3_mT4_P12ihipStream_tbEUlT_E1_NS1_11comp_targetILNS1_3genE9ELNS1_11target_archE1100ELNS1_3gpuE3ELNS1_3repE0EEENS1_30default_config_static_selectorELNS0_4arch9wavefront6targetE0EEEvSQ_
; %bb.0:
	s_clause 0x2
	s_load_b32 s26, s[0:1], 0x4
	s_load_b64 s[22:23], s[0:1], 0x8
	s_load_b128 s[16:19], s[0:1], 0x18
	s_mov_b32 s20, s15
	s_waitcnt lgkmcnt(0)
	s_cmp_lt_i32 s26, 16
	s_cbranch_scc1 .LBB728_12
; %bb.1:
	s_cmp_gt_i32 s26, 63
	s_cbranch_scc0 .LBB728_13
; %bb.2:
	s_cmpk_gt_i32 s26, 0x7f
	s_cbranch_scc0 .LBB728_22
; %bb.3:
	s_cmpk_eq_i32 s26, 0x80
	s_mov_b32 s4, 0
	s_cbranch_scc0 .LBB728_23
; %bb.4:
	s_lshl_b32 s5, s20, 14
	s_lshr_b64 s[6:7], s[16:17], 14
	s_mov_b32 s21, 0
	s_add_u32 s2, s22, s5
	s_addc_u32 s3, s23, 0
	s_cmp_lg_u64 s[6:7], s[20:21]
	s_cbranch_scc0 .LBB728_34
; %bb.5:
	s_clause 0x17
	global_load_u8 v5, v0, s[2:3]
	global_load_u8 v6, v0, s[2:3] offset:128
	global_load_u8 v7, v0, s[2:3] offset:256
	;; [unrolled: 1-line block ×23, first 2 shown]
	v_add_co_u32 v17, s6, s2, v0
	s_delay_alu instid0(VALU_DEP_1) | instskip(SKIP_1) | instid1(VALU_DEP_2)
	v_add_co_ci_u32_e64 v18, null, s3, 0, s6
	s_mov_b32 s6, exec_lo
	v_add_co_u32 v1, vcc_lo, v17, 0x2000
	s_delay_alu instid0(VALU_DEP_2)
	v_add_co_ci_u32_e32 v2, vcc_lo, 0, v18, vcc_lo
	v_add_co_u32 v3, vcc_lo, 0x1000, v17
	v_add_co_ci_u32_e32 v4, vcc_lo, 0, v18, vcc_lo
	s_clause 0x1f
	global_load_u8 v31, v[1:2], off offset:-4096
	global_load_u8 v32, v0, s[2:3] offset:2560
	global_load_u8 v33, v0, s[2:3] offset:2688
	global_load_u8 v34, v[3:4], off offset:128
	global_load_u8 v35, v0, s[2:3] offset:2816
	global_load_u8 v36, v0, s[2:3] offset:2944
	global_load_u8 v37, v[3:4], off offset:256
	global_load_u8 v38, v0, s[2:3] offset:3072
	global_load_u8 v39, v0, s[2:3] offset:3200
	;; [unrolled: 1-line block ×4, first 2 shown]
	global_load_u8 v42, v[3:4], off offset:384
	global_load_u8 v43, v[3:4], off offset:512
	;; [unrolled: 1-line block ×21, first 2 shown]
	s_clause 0x7
	global_load_u8 v63, v[3:4], off offset:3072
	global_load_u8 v64, v[3:4], off offset:3200
	;; [unrolled: 1-line block ×8, first 2 shown]
	v_add_co_u32 v3, vcc_lo, 0x2000, v17
	v_add_co_ci_u32_e32 v4, vcc_lo, 0, v18, vcc_lo
	s_clause 0x1d
	global_load_u8 v71, v[1:2], off
	global_load_u8 v72, v[3:4], off offset:128
	global_load_u8 v73, v[3:4], off offset:256
	;; [unrolled: 1-line block ×29, first 2 shown]
	v_add_co_u32 v1, vcc_lo, 0x3000, v17
	v_add_co_ci_u32_e32 v2, vcc_lo, 0, v18, vcc_lo
	s_clause 0x1f
	global_load_u8 v17, v[3:4], off offset:3840
	global_load_u8 v3, v[3:4], off offset:3968
	global_load_u8 v4, v[1:2], off
	global_load_u8 v18, v[1:2], off offset:128
	global_load_u8 v101, v[1:2], off offset:256
	;; [unrolled: 1-line block ×29, first 2 shown]
	s_clause 0x1
	global_load_u8 v129, v[1:2], off offset:3840
	global_load_u8 v1, v[1:2], off offset:3968
	s_waitcnt vmcnt(62)
	v_add_nc_u16 v2, v6, v5
	v_add_nc_u16 v5, v24, v23
	s_delay_alu instid0(VALU_DEP_2) | instskip(NEXT) | instid1(VALU_DEP_2)
	v_add_nc_u16 v2, v2, v7
	v_add_nc_u16 v5, v5, v29
	s_delay_alu instid0(VALU_DEP_2) | instskip(NEXT) | instid1(VALU_DEP_2)
	;; [unrolled: 3-line block ×6, first 2 shown]
	v_and_b32_e32 v2, 0xff, v2
	v_and_b32_e32 v5, 0xff, v5
	s_delay_alu instid0(VALU_DEP_2) | instskip(NEXT) | instid1(VALU_DEP_1)
	v_add_nc_u32_e32 v2, v2, v12
	v_add3_u32 v2, v2, v13, v14
	s_delay_alu instid0(VALU_DEP_1) | instskip(NEXT) | instid1(VALU_DEP_1)
	v_add3_u32 v2, v2, v15, v16
	v_add3_u32 v2, v2, v19, v20
	s_delay_alu instid0(VALU_DEP_1) | instskip(NEXT) | instid1(VALU_DEP_1)
	v_add3_u32 v2, v2, v21, v22
	;; [unrolled: 3-line block ×12, first 2 shown]
	v_add3_u32 v2, v2, v69, v70
	s_delay_alu instid0(VALU_DEP_1) | instskip(SKIP_1) | instid1(VALU_DEP_1)
	v_add3_u32 v2, v2, v71, v72
	s_waitcnt vmcnt(60)
	v_add3_u32 v2, v2, v73, v74
	s_waitcnt vmcnt(58)
	s_delay_alu instid0(VALU_DEP_1) | instskip(SKIP_1) | instid1(VALU_DEP_1)
	v_add3_u32 v2, v2, v75, v76
	s_waitcnt vmcnt(56)
	v_add3_u32 v2, v2, v77, v78
	s_waitcnt vmcnt(54)
	;; [unrolled: 5-line block ×7, first 2 shown]
	s_delay_alu instid0(VALU_DEP_1) | instskip(SKIP_1) | instid1(VALU_DEP_1)
	v_add3_u32 v2, v2, v99, v100
	s_waitcnt vmcnt(32)
	v_add3_u32 v2, v2, v17, v3
	v_mov_b32_e32 v3, 0
	s_waitcnt vmcnt(30)
	s_delay_alu instid0(VALU_DEP_2) | instskip(SKIP_1) | instid1(VALU_DEP_1)
	v_add3_u32 v2, v2, v4, v18
	s_waitcnt vmcnt(28)
	v_add3_u32 v2, v2, v101, v102
	s_waitcnt vmcnt(26)
	s_delay_alu instid0(VALU_DEP_1) | instskip(SKIP_1) | instid1(VALU_DEP_1)
	v_add3_u32 v2, v2, v103, v104
	s_waitcnt vmcnt(24)
	v_add3_u32 v2, v2, v105, v106
	s_waitcnt vmcnt(22)
	s_delay_alu instid0(VALU_DEP_1) | instskip(SKIP_1) | instid1(VALU_DEP_1)
	;; [unrolled: 5-line block ×7, first 2 shown]
	v_add3_u32 v2, v2, v127, v128
	s_waitcnt vmcnt(0)
	v_add3_u32 v1, v2, v129, v1
	s_delay_alu instid0(VALU_DEP_1) | instskip(NEXT) | instid1(VALU_DEP_1)
	v_mov_b32_dpp v2, v1 quad_perm:[1,0,3,2] row_mask:0xf bank_mask:0xf
	v_add_nc_u32_e32 v1, v1, v2
	s_delay_alu instid0(VALU_DEP_1) | instskip(NEXT) | instid1(VALU_DEP_1)
	v_mov_b32_dpp v2, v1 quad_perm:[2,3,0,1] row_mask:0xf bank_mask:0xf
	v_add_nc_u32_e32 v1, v1, v2
	s_delay_alu instid0(VALU_DEP_1) | instskip(NEXT) | instid1(VALU_DEP_1)
	v_mov_b32_dpp v2, v1 row_ror:4 row_mask:0xf bank_mask:0xf
	v_add_nc_u32_e32 v1, v1, v2
	s_delay_alu instid0(VALU_DEP_1) | instskip(NEXT) | instid1(VALU_DEP_1)
	v_mov_b32_dpp v2, v1 row_ror:8 row_mask:0xf bank_mask:0xf
	v_add_nc_u32_e32 v1, v1, v2
	ds_swizzle_b32 v2, v1 offset:swizzle(BROADCAST,32,15)
	s_waitcnt lgkmcnt(0)
	v_add_nc_u32_e32 v1, v1, v2
	v_mbcnt_lo_u32_b32 v2, -1, 0
	ds_bpermute_b32 v1, v3, v1 offset:124
	v_cmpx_eq_u32_e32 0, v2
	s_cbranch_execz .LBB728_7
; %bb.6:
	v_lshrrev_b32_e32 v3, 3, v0
	s_delay_alu instid0(VALU_DEP_1)
	v_and_b32_e32 v3, 12, v3
	s_waitcnt lgkmcnt(0)
	ds_store_b32 v3, v1
.LBB728_7:
	s_or_b32 exec_lo, exec_lo, s6
	s_delay_alu instid0(SALU_CYCLE_1)
	s_mov_b32 s6, exec_lo
	s_waitcnt lgkmcnt(0)
	s_barrier
	buffer_gl0_inv
	v_cmpx_gt_u32_e32 32, v0
	s_cbranch_execz .LBB728_9
; %bb.8:
	v_and_b32_e32 v1, 3, v2
	s_delay_alu instid0(VALU_DEP_1) | instskip(SKIP_4) | instid1(VALU_DEP_2)
	v_lshlrev_b32_e32 v3, 2, v1
	v_cmp_ne_u32_e32 vcc_lo, 3, v1
	ds_load_b32 v3, v3
	v_add_co_ci_u32_e32 v4, vcc_lo, 0, v2, vcc_lo
	v_cmp_gt_u32_e32 vcc_lo, 2, v1
	v_lshlrev_b32_e32 v4, 2, v4
	v_cndmask_b32_e64 v1, 0, 1, vcc_lo
	s_delay_alu instid0(VALU_DEP_1) | instskip(NEXT) | instid1(VALU_DEP_1)
	v_lshlrev_b32_e32 v1, 1, v1
	v_add_lshl_u32 v1, v1, v2, 2
	s_waitcnt lgkmcnt(0)
	ds_bpermute_b32 v4, v4, v3
	s_waitcnt lgkmcnt(0)
	v_add_nc_u32_e32 v3, v4, v3
	ds_bpermute_b32 v1, v1, v3
	s_waitcnt lgkmcnt(0)
	v_add_nc_u32_e32 v1, v1, v3
.LBB728_9:
	s_or_b32 exec_lo, exec_lo, s6
.LBB728_10:
	v_cmp_eq_u32_e64 s2, 0, v0
	s_and_b32 vcc_lo, exec_lo, s4
	s_cbranch_vccnz .LBB728_24
.LBB728_11:
	s_branch .LBB728_512
.LBB728_12:
	s_mov_b32 s2, 0
                                        ; implicit-def: $vgpr1
	s_cbranch_execz .LBB728_623
	s_branch .LBB728_513
.LBB728_13:
	s_mov_b32 s2, 0
                                        ; implicit-def: $vgpr1
	s_cbranch_execz .LBB728_512
; %bb.14:
	s_cmp_gt_i32 s26, 31
	s_cbranch_scc0 .LBB728_31
; %bb.15:
	s_cmp_eq_u32 s26, 32
	s_cbranch_scc0 .LBB728_32
; %bb.16:
	s_lshl_b32 s4, s20, 12
	s_lshr_b64 s[6:7], s[16:17], 12
	s_mov_b32 s21, 0
	s_add_u32 s2, s22, s4
	s_addc_u32 s3, s23, 0
	s_cmp_lg_u64 s[6:7], s[20:21]
	s_cbranch_scc0 .LBB728_296
; %bb.17:
	s_clause 0x1f
	global_load_u8 v1, v0, s[2:3]
	global_load_u8 v2, v0, s[2:3] offset:128
	global_load_u8 v3, v0, s[2:3] offset:256
	;; [unrolled: 1-line block ×31, first 2 shown]
	s_mov_b32 s5, exec_lo
	s_waitcnt vmcnt(30)
	v_add_nc_u16 v1, v2, v1
	s_waitcnt vmcnt(29)
	s_delay_alu instid0(VALU_DEP_1) | instskip(SKIP_1) | instid1(VALU_DEP_1)
	v_add_nc_u16 v1, v1, v3
	s_waitcnt vmcnt(28)
	v_add_nc_u16 v1, v1, v4
	s_waitcnt vmcnt(27)
	s_delay_alu instid0(VALU_DEP_1) | instskip(SKIP_1) | instid1(VALU_DEP_1)
	v_add_nc_u16 v1, v1, v5
	s_waitcnt vmcnt(26)
	v_add_nc_u16 v1, v1, v6
	s_waitcnt vmcnt(25)
	s_delay_alu instid0(VALU_DEP_1) | instskip(NEXT) | instid1(VALU_DEP_1)
	v_add_nc_u16 v1, v1, v7
	v_and_b32_e32 v1, 0xff, v1
	s_waitcnt vmcnt(24)
	s_delay_alu instid0(VALU_DEP_1) | instskip(SKIP_1) | instid1(VALU_DEP_1)
	v_add_nc_u32_e32 v1, v1, v8
	s_waitcnt vmcnt(22)
	v_add3_u32 v1, v1, v9, v10
	s_waitcnt vmcnt(20)
	s_delay_alu instid0(VALU_DEP_1) | instskip(SKIP_1) | instid1(VALU_DEP_1)
	v_add3_u32 v1, v1, v11, v12
	s_waitcnt vmcnt(18)
	v_add3_u32 v1, v1, v13, v14
	s_waitcnt vmcnt(16)
	s_delay_alu instid0(VALU_DEP_1) | instskip(SKIP_1) | instid1(VALU_DEP_1)
	v_add3_u32 v1, v1, v15, v16
	;; [unrolled: 5-line block ×5, first 2 shown]
	s_waitcnt vmcnt(2)
	v_add3_u32 v1, v1, v29, v30
	s_waitcnt vmcnt(0)
	s_delay_alu instid0(VALU_DEP_1) | instskip(NEXT) | instid1(VALU_DEP_1)
	v_add3_u32 v1, v1, v31, v32
	v_mov_b32_dpp v2, v1 quad_perm:[1,0,3,2] row_mask:0xf bank_mask:0xf
	s_delay_alu instid0(VALU_DEP_1) | instskip(NEXT) | instid1(VALU_DEP_1)
	v_add_nc_u32_e32 v1, v2, v1
	v_mov_b32_dpp v2, v1 quad_perm:[2,3,0,1] row_mask:0xf bank_mask:0xf
	s_delay_alu instid0(VALU_DEP_1) | instskip(NEXT) | instid1(VALU_DEP_1)
	v_add_nc_u32_e32 v1, v1, v2
	v_mov_b32_dpp v2, v1 row_ror:4 row_mask:0xf bank_mask:0xf
	s_delay_alu instid0(VALU_DEP_1) | instskip(NEXT) | instid1(VALU_DEP_1)
	v_add_nc_u32_e32 v1, v1, v2
	v_mov_b32_dpp v2, v1 row_ror:8 row_mask:0xf bank_mask:0xf
	s_delay_alu instid0(VALU_DEP_1)
	v_add_nc_u32_e32 v1, v1, v2
	ds_swizzle_b32 v2, v1 offset:swizzle(BROADCAST,32,15)
	s_waitcnt lgkmcnt(0)
	v_dual_mov_b32 v2, 0 :: v_dual_add_nc_u32 v1, v1, v2
	ds_bpermute_b32 v1, v2, v1 offset:124
	v_mbcnt_lo_u32_b32 v2, -1, 0
	s_delay_alu instid0(VALU_DEP_1)
	v_cmpx_eq_u32_e32 0, v2
	s_cbranch_execz .LBB728_19
; %bb.18:
	v_lshrrev_b32_e32 v3, 3, v0
	s_delay_alu instid0(VALU_DEP_1)
	v_and_b32_e32 v3, 12, v3
	s_waitcnt lgkmcnt(0)
	ds_store_b32 v3, v1 offset:64
.LBB728_19:
	s_or_b32 exec_lo, exec_lo, s5
	s_delay_alu instid0(SALU_CYCLE_1)
	s_mov_b32 s5, exec_lo
	s_waitcnt lgkmcnt(0)
	s_barrier
	buffer_gl0_inv
	v_cmpx_gt_u32_e32 32, v0
	s_cbranch_execz .LBB728_21
; %bb.20:
	v_and_b32_e32 v1, 3, v2
	s_delay_alu instid0(VALU_DEP_1) | instskip(SKIP_4) | instid1(VALU_DEP_2)
	v_lshlrev_b32_e32 v3, 2, v1
	v_cmp_ne_u32_e32 vcc_lo, 3, v1
	ds_load_b32 v3, v3 offset:64
	v_add_co_ci_u32_e32 v4, vcc_lo, 0, v2, vcc_lo
	v_cmp_gt_u32_e32 vcc_lo, 2, v1
	v_lshlrev_b32_e32 v4, 2, v4
	v_cndmask_b32_e64 v1, 0, 1, vcc_lo
	s_delay_alu instid0(VALU_DEP_1) | instskip(NEXT) | instid1(VALU_DEP_1)
	v_lshlrev_b32_e32 v1, 1, v1
	v_add_lshl_u32 v1, v1, v2, 2
	s_waitcnt lgkmcnt(0)
	ds_bpermute_b32 v4, v4, v3
	s_waitcnt lgkmcnt(0)
	v_add_nc_u32_e32 v3, v4, v3
	ds_bpermute_b32 v1, v1, v3
	s_waitcnt lgkmcnt(0)
	v_add_nc_u32_e32 v1, v1, v3
.LBB728_21:
	s_or_b32 exec_lo, exec_lo, s5
	s_mov_b32 s5, 0
	s_branch .LBB728_297
.LBB728_22:
	s_mov_b32 s4, -1
.LBB728_23:
	s_mov_b32 s2, 0
                                        ; implicit-def: $vgpr1
	s_and_b32 vcc_lo, exec_lo, s4
	s_cbranch_vccz .LBB728_11
.LBB728_24:
	s_cmp_eq_u32 s26, 64
	s_cbranch_scc0 .LBB728_33
; %bb.25:
	s_lshl_b32 s4, s20, 13
	s_lshr_b64 s[6:7], s[16:17], 13
	s_mov_b32 s21, 0
	s_add_u32 s2, s22, s4
	s_addc_u32 s3, s23, 0
	s_cmp_lg_u64 s[6:7], s[20:21]
	s_cbranch_scc0 .LBB728_376
; %bb.26:
	s_clause 0x1d
	global_load_u8 v3, v0, s[2:3]
	global_load_u8 v4, v0, s[2:3] offset:128
	global_load_u8 v5, v0, s[2:3] offset:256
	;; [unrolled: 1-line block ×29, first 2 shown]
	v_add_co_u32 v1, s5, s2, v0
	s_delay_alu instid0(VALU_DEP_1) | instskip(SKIP_1) | instid1(VALU_DEP_2)
	v_add_co_ci_u32_e64 v2, null, s3, 0, s5
	s_mov_b32 s5, exec_lo
	v_add_co_u32 v1, vcc_lo, 0x1000, v1
	s_delay_alu instid0(VALU_DEP_2)
	v_add_co_ci_u32_e32 v2, vcc_lo, 0, v2, vcc_lo
	s_clause 0x1f
	global_load_u8 v33, v0, s[2:3] offset:3840
	global_load_u8 v34, v0, s[2:3] offset:3968
	global_load_u8 v35, v[1:2], off
	global_load_u8 v36, v[1:2], off offset:128
	global_load_u8 v37, v[1:2], off offset:256
	global_load_u8 v38, v[1:2], off offset:384
	global_load_u8 v39, v[1:2], off offset:512
	global_load_u8 v40, v[1:2], off offset:640
	global_load_u8 v41, v[1:2], off offset:768
	global_load_u8 v42, v[1:2], off offset:896
	global_load_u8 v43, v[1:2], off offset:1024
	global_load_u8 v44, v[1:2], off offset:1152
	global_load_u8 v45, v[1:2], off offset:1280
	global_load_u8 v46, v[1:2], off offset:1408
	global_load_u8 v47, v[1:2], off offset:1536
	global_load_u8 v48, v[1:2], off offset:1664
	global_load_u8 v49, v[1:2], off offset:1792
	global_load_u8 v50, v[1:2], off offset:1920
	global_load_u8 v51, v[1:2], off offset:2048
	global_load_u8 v52, v[1:2], off offset:2176
	global_load_u8 v53, v[1:2], off offset:2304
	global_load_u8 v54, v[1:2], off offset:2432
	global_load_u8 v55, v[1:2], off offset:2560
	global_load_u8 v56, v[1:2], off offset:2688
	global_load_u8 v57, v[1:2], off offset:2816
	global_load_u8 v58, v[1:2], off offset:2944
	global_load_u8 v59, v[1:2], off offset:3072
	global_load_u8 v60, v[1:2], off offset:3200
	global_load_u8 v61, v[1:2], off offset:3328
	global_load_u8 v62, v[1:2], off offset:3456
	global_load_u8 v63, v[1:2], off offset:3584
	global_load_u8 v64, v[1:2], off offset:3712
	s_clause 0x1
	global_load_u8 v65, v[1:2], off offset:3840
	global_load_u8 v1, v[1:2], off offset:3968
	s_waitcnt vmcnt(62)
	v_add_nc_u16 v2, v4, v3
	v_mov_b32_e32 v3, 0
	s_waitcnt vmcnt(61)
	s_delay_alu instid0(VALU_DEP_2) | instskip(SKIP_1) | instid1(VALU_DEP_1)
	v_add_nc_u16 v2, v2, v5
	s_waitcnt vmcnt(60)
	v_add_nc_u16 v2, v2, v6
	s_waitcnt vmcnt(59)
	s_delay_alu instid0(VALU_DEP_1) | instskip(SKIP_1) | instid1(VALU_DEP_1)
	v_add_nc_u16 v2, v2, v7
	s_waitcnt vmcnt(58)
	v_add_nc_u16 v2, v2, v8
	s_waitcnt vmcnt(57)
	s_delay_alu instid0(VALU_DEP_1) | instskip(NEXT) | instid1(VALU_DEP_1)
	v_add_nc_u16 v2, v2, v9
	v_and_b32_e32 v2, 0xff, v2
	s_waitcnt vmcnt(56)
	s_delay_alu instid0(VALU_DEP_1) | instskip(SKIP_1) | instid1(VALU_DEP_1)
	v_add_nc_u32_e32 v2, v2, v10
	s_waitcnt vmcnt(54)
	v_add3_u32 v2, v2, v11, v12
	s_waitcnt vmcnt(52)
	s_delay_alu instid0(VALU_DEP_1) | instskip(SKIP_1) | instid1(VALU_DEP_1)
	v_add3_u32 v2, v2, v13, v14
	s_waitcnt vmcnt(50)
	v_add3_u32 v2, v2, v15, v16
	s_waitcnt vmcnt(48)
	s_delay_alu instid0(VALU_DEP_1) | instskip(SKIP_1) | instid1(VALU_DEP_1)
	v_add3_u32 v2, v2, v17, v18
	;; [unrolled: 5-line block ×13, first 2 shown]
	s_waitcnt vmcnt(2)
	v_add3_u32 v2, v2, v63, v64
	s_waitcnt vmcnt(0)
	s_delay_alu instid0(VALU_DEP_1) | instskip(NEXT) | instid1(VALU_DEP_1)
	v_add3_u32 v1, v2, v65, v1
	v_mov_b32_dpp v2, v1 quad_perm:[1,0,3,2] row_mask:0xf bank_mask:0xf
	s_delay_alu instid0(VALU_DEP_1) | instskip(NEXT) | instid1(VALU_DEP_1)
	v_add_nc_u32_e32 v1, v2, v1
	v_mov_b32_dpp v2, v1 quad_perm:[2,3,0,1] row_mask:0xf bank_mask:0xf
	s_delay_alu instid0(VALU_DEP_1) | instskip(NEXT) | instid1(VALU_DEP_1)
	v_add_nc_u32_e32 v1, v1, v2
	v_mov_b32_dpp v2, v1 row_ror:4 row_mask:0xf bank_mask:0xf
	s_delay_alu instid0(VALU_DEP_1) | instskip(NEXT) | instid1(VALU_DEP_1)
	v_add_nc_u32_e32 v1, v1, v2
	v_mov_b32_dpp v2, v1 row_ror:8 row_mask:0xf bank_mask:0xf
	s_delay_alu instid0(VALU_DEP_1)
	v_add_nc_u32_e32 v1, v1, v2
	ds_swizzle_b32 v2, v1 offset:swizzle(BROADCAST,32,15)
	s_waitcnt lgkmcnt(0)
	v_add_nc_u32_e32 v1, v1, v2
	v_mbcnt_lo_u32_b32 v2, -1, 0
	ds_bpermute_b32 v1, v3, v1 offset:124
	v_cmpx_eq_u32_e32 0, v2
	s_cbranch_execz .LBB728_28
; %bb.27:
	v_lshrrev_b32_e32 v3, 3, v0
	s_delay_alu instid0(VALU_DEP_1)
	v_and_b32_e32 v3, 12, v3
	s_waitcnt lgkmcnt(0)
	ds_store_b32 v3, v1 offset:96
.LBB728_28:
	s_or_b32 exec_lo, exec_lo, s5
	s_delay_alu instid0(SALU_CYCLE_1)
	s_mov_b32 s5, exec_lo
	s_waitcnt lgkmcnt(0)
	s_barrier
	buffer_gl0_inv
	v_cmpx_gt_u32_e32 32, v0
	s_cbranch_execz .LBB728_30
; %bb.29:
	v_and_b32_e32 v1, 3, v2
	s_delay_alu instid0(VALU_DEP_1) | instskip(SKIP_4) | instid1(VALU_DEP_2)
	v_lshlrev_b32_e32 v3, 2, v1
	v_cmp_ne_u32_e32 vcc_lo, 3, v1
	ds_load_b32 v3, v3 offset:96
	v_add_co_ci_u32_e32 v4, vcc_lo, 0, v2, vcc_lo
	v_cmp_gt_u32_e32 vcc_lo, 2, v1
	v_lshlrev_b32_e32 v4, 2, v4
	v_cndmask_b32_e64 v1, 0, 1, vcc_lo
	s_delay_alu instid0(VALU_DEP_1) | instskip(NEXT) | instid1(VALU_DEP_1)
	v_lshlrev_b32_e32 v1, 1, v1
	v_add_lshl_u32 v1, v1, v2, 2
	s_waitcnt lgkmcnt(0)
	ds_bpermute_b32 v4, v4, v3
	s_waitcnt lgkmcnt(0)
	v_add_nc_u32_e32 v3, v4, v3
	ds_bpermute_b32 v1, v1, v3
	s_waitcnt lgkmcnt(0)
	v_add_nc_u32_e32 v1, v1, v3
.LBB728_30:
	s_or_b32 exec_lo, exec_lo, s5
	s_mov_b32 s5, 0
	s_branch .LBB728_377
.LBB728_31:
                                        ; implicit-def: $vgpr1
	s_cbranch_execz .LBB728_512
	s_branch .LBB728_368
.LBB728_32:
                                        ; implicit-def: $vgpr1
	s_branch .LBB728_512
.LBB728_33:
                                        ; implicit-def: $vgpr1
	s_branch .LBB728_512
.LBB728_34:
                                        ; implicit-def: $vgpr1
	s_cbranch_execz .LBB728_10
; %bb.35:
	s_sub_i32 s5, s16, s5
	s_mov_b32 s6, exec_lo
                                        ; implicit-def: $vgpr1
	v_cmpx_gt_u32_e64 s5, v0
	s_cbranch_execz .LBB728_37
; %bb.36:
	global_load_u8 v1, v0, s[2:3]
.LBB728_37:
	s_or_b32 exec_lo, exec_lo, s6
	v_or_b32_e32 v3, 0x80, v0
	v_mov_b32_e32 v2, 0
	s_delay_alu instid0(VALU_DEP_2)
	v_cmp_gt_u32_e32 vcc_lo, s5, v3
	v_mov_b32_e32 v3, 0
	s_and_saveexec_b32 s6, vcc_lo
	s_cbranch_execz .LBB728_39
; %bb.38:
	global_load_u8 v3, v0, s[2:3] offset:128
.LBB728_39:
	s_or_b32 exec_lo, exec_lo, s6
	v_or_b32_e32 v4, 0x100, v0
	s_mov_b32 s6, exec_lo
	s_delay_alu instid0(VALU_DEP_1)
	v_cmpx_gt_u32_e64 s5, v4
	s_cbranch_execz .LBB728_41
; %bb.40:
	global_load_u8 v2, v0, s[2:3] offset:256
.LBB728_41:
	s_or_b32 exec_lo, exec_lo, s6
	v_or_b32_e32 v5, 0x180, v0
	v_mov_b32_e32 v4, 0
	s_delay_alu instid0(VALU_DEP_2)
	v_cmp_gt_u32_e32 vcc_lo, s5, v5
	v_mov_b32_e32 v5, 0
	s_and_saveexec_b32 s6, vcc_lo
	s_cbranch_execz .LBB728_43
; %bb.42:
	global_load_u8 v5, v0, s[2:3] offset:384
.LBB728_43:
	s_or_b32 exec_lo, exec_lo, s6
	v_or_b32_e32 v6, 0x200, v0
	s_mov_b32 s6, exec_lo
	s_delay_alu instid0(VALU_DEP_1)
	v_cmpx_gt_u32_e64 s5, v6
	s_cbranch_execz .LBB728_45
; %bb.44:
	global_load_u8 v4, v0, s[2:3] offset:512
.LBB728_45:
	;; [unrolled: 20-line block ×15, first 2 shown]
	s_or_b32 exec_lo, exec_lo, s6
	v_or_b32_e32 v33, 0xf80, v0
	v_mov_b32_e32 v32, 0
	s_delay_alu instid0(VALU_DEP_2)
	v_cmp_gt_u32_e32 vcc_lo, s5, v33
	v_mov_b32_e32 v33, 0
	s_and_saveexec_b32 s6, vcc_lo
	s_cbranch_execz .LBB728_99
; %bb.98:
	global_load_u8 v33, v0, s[2:3] offset:3968
.LBB728_99:
	s_or_b32 exec_lo, exec_lo, s6
	v_or_b32_e32 v34, 0x1000, v0
	s_mov_b32 s6, exec_lo
	s_delay_alu instid0(VALU_DEP_1)
	v_cmpx_gt_u32_e64 s5, v34
	s_cbranch_execz .LBB728_101
; %bb.100:
	global_load_u8 v32, v34, s[2:3]
.LBB728_101:
	s_or_b32 exec_lo, exec_lo, s6
	v_or_b32_e32 v36, 0x1080, v0
	v_dual_mov_b32 v34, 0 :: v_dual_mov_b32 v35, 0
	s_mov_b32 s6, exec_lo
	s_delay_alu instid0(VALU_DEP_2)
	v_cmpx_gt_u32_e64 s5, v36
	s_cbranch_execz .LBB728_103
; %bb.102:
	global_load_u8 v35, v36, s[2:3]
.LBB728_103:
	s_or_b32 exec_lo, exec_lo, s6
	v_or_b32_e32 v36, 0x1100, v0
	s_mov_b32 s6, exec_lo
	s_delay_alu instid0(VALU_DEP_1)
	v_cmpx_gt_u32_e64 s5, v36
	s_cbranch_execz .LBB728_105
; %bb.104:
	global_load_u8 v34, v36, s[2:3]
.LBB728_105:
	s_or_b32 exec_lo, exec_lo, s6
	v_or_b32_e32 v38, 0x1180, v0
	v_dual_mov_b32 v36, 0 :: v_dual_mov_b32 v37, 0
	s_mov_b32 s6, exec_lo
	s_delay_alu instid0(VALU_DEP_2)
	v_cmpx_gt_u32_e64 s5, v38
	s_cbranch_execz .LBB728_107
; %bb.106:
	global_load_u8 v37, v38, s[2:3]
.LBB728_107:
	;; [unrolled: 19-line block ×47, first 2 shown]
	s_or_b32 exec_lo, exec_lo, s6
	v_or_b32_e32 v128, 0x3f00, v0
	s_mov_b32 s6, exec_lo
	s_delay_alu instid0(VALU_DEP_1)
	v_cmpx_gt_u32_e64 s5, v128
	s_cbranch_execz .LBB728_289
; %bb.288:
	global_load_u8 v126, v128, s[2:3]
.LBB728_289:
	s_or_b32 exec_lo, exec_lo, s6
	v_or_b32_e32 v129, 0x3f80, v0
	v_mov_b32_e32 v128, 0
	s_mov_b32 s6, exec_lo
	s_delay_alu instid0(VALU_DEP_2)
	v_cmpx_gt_u32_e64 s5, v129
	s_cbranch_execz .LBB728_291
; %bb.290:
	global_load_u8 v128, v129, s[2:3]
.LBB728_291:
	s_or_b32 exec_lo, exec_lo, s6
	s_waitcnt vmcnt(0)
	v_add_nc_u32_e32 v1, v3, v1
	s_min_u32 s2, s5, 0x80
	s_mov_b32 s3, exec_lo
	s_delay_alu instid0(VALU_DEP_1) | instskip(SKIP_1) | instid1(VALU_DEP_2)
	v_add3_u32 v1, v1, v2, v5
	v_mbcnt_lo_u32_b32 v2, -1, 0
	v_add3_u32 v1, v1, v4, v7
	s_delay_alu instid0(VALU_DEP_2) | instskip(NEXT) | instid1(VALU_DEP_2)
	v_cmp_ne_u32_e32 vcc_lo, 31, v2
	v_add3_u32 v1, v1, v6, v9
	v_add_co_ci_u32_e32 v3, vcc_lo, 0, v2, vcc_lo
	v_cmp_gt_u32_e32 vcc_lo, 30, v2
	v_add_nc_u32_e32 v6, 1, v2
	s_delay_alu instid0(VALU_DEP_4) | instskip(NEXT) | instid1(VALU_DEP_4)
	v_add3_u32 v1, v1, v8, v11
	v_lshlrev_b32_e32 v3, 2, v3
	v_cndmask_b32_e64 v5, 0, 1, vcc_lo
	s_delay_alu instid0(VALU_DEP_3) | instskip(NEXT) | instid1(VALU_DEP_2)
	v_add3_u32 v1, v1, v10, v13
	v_lshlrev_b32_e32 v5, 1, v5
	s_delay_alu instid0(VALU_DEP_2) | instskip(NEXT) | instid1(VALU_DEP_2)
	v_add3_u32 v1, v1, v12, v15
	v_add_lshl_u32 v5, v5, v2, 2
	s_delay_alu instid0(VALU_DEP_2) | instskip(NEXT) | instid1(VALU_DEP_1)
	v_add3_u32 v1, v1, v14, v17
	v_add3_u32 v1, v1, v16, v19
	s_delay_alu instid0(VALU_DEP_1) | instskip(NEXT) | instid1(VALU_DEP_1)
	v_add3_u32 v1, v1, v18, v21
	v_add3_u32 v1, v1, v20, v23
	s_delay_alu instid0(VALU_DEP_1) | instskip(NEXT) | instid1(VALU_DEP_1)
	;; [unrolled: 3-line block ×27, first 2 shown]
	v_add3_u32 v1, v1, v122, v125
	v_add3_u32 v1, v1, v124, v127
	s_delay_alu instid0(VALU_DEP_1) | instskip(SKIP_2) | instid1(VALU_DEP_1)
	v_add3_u32 v1, v1, v126, v128
	ds_bpermute_b32 v3, v3, v1
	v_and_b32_e32 v4, 0x60, v0
	v_sub_nc_u32_e64 v4, s2, v4 clamp
	s_delay_alu instid0(VALU_DEP_1) | instskip(SKIP_3) | instid1(VALU_DEP_2)
	v_cmp_lt_u32_e32 vcc_lo, v6, v4
	s_waitcnt lgkmcnt(0)
	v_dual_cndmask_b32 v3, 0, v3 :: v_dual_add_nc_u32 v6, 2, v2
	v_cmp_gt_u32_e32 vcc_lo, 28, v2
	v_add_nc_u32_e32 v1, v3, v1
	ds_bpermute_b32 v3, v5, v1
	v_cndmask_b32_e64 v5, 0, 1, vcc_lo
	v_cmp_lt_u32_e32 vcc_lo, v6, v4
	v_add_nc_u32_e32 v6, 4, v2
	s_delay_alu instid0(VALU_DEP_3) | instskip(NEXT) | instid1(VALU_DEP_1)
	v_lshlrev_b32_e32 v5, 2, v5
	v_add_lshl_u32 v5, v5, v2, 2
	s_waitcnt lgkmcnt(0)
	v_cndmask_b32_e32 v3, 0, v3, vcc_lo
	v_cmp_gt_u32_e32 vcc_lo, 24, v2
	s_delay_alu instid0(VALU_DEP_2) | instskip(SKIP_4) | instid1(VALU_DEP_3)
	v_add_nc_u32_e32 v1, v1, v3
	ds_bpermute_b32 v3, v5, v1
	v_cndmask_b32_e64 v5, 0, 1, vcc_lo
	v_cmp_lt_u32_e32 vcc_lo, v6, v4
	v_add_nc_u32_e32 v6, 8, v2
	v_lshlrev_b32_e32 v5, 3, v5
	s_delay_alu instid0(VALU_DEP_1) | instskip(SKIP_3) | instid1(VALU_DEP_2)
	v_add_lshl_u32 v5, v5, v2, 2
	s_waitcnt lgkmcnt(0)
	v_cndmask_b32_e32 v3, 0, v3, vcc_lo
	v_cmp_gt_u32_e32 vcc_lo, 16, v2
	v_add_nc_u32_e32 v1, v1, v3
	ds_bpermute_b32 v3, v5, v1
	v_cndmask_b32_e64 v5, 0, 1, vcc_lo
	v_cmp_lt_u32_e32 vcc_lo, v6, v4
	s_delay_alu instid0(VALU_DEP_2) | instskip(NEXT) | instid1(VALU_DEP_1)
	v_lshlrev_b32_e32 v5, 4, v5
	v_add_lshl_u32 v5, v5, v2, 2
	s_waitcnt lgkmcnt(0)
	v_cndmask_b32_e32 v3, 0, v3, vcc_lo
	s_delay_alu instid0(VALU_DEP_1) | instskip(SKIP_2) | instid1(VALU_DEP_1)
	v_add_nc_u32_e32 v1, v1, v3
	ds_bpermute_b32 v3, v5, v1
	v_add_nc_u32_e32 v5, 16, v2
	v_cmp_lt_u32_e32 vcc_lo, v5, v4
	s_waitcnt lgkmcnt(0)
	v_cndmask_b32_e32 v3, 0, v3, vcc_lo
	s_delay_alu instid0(VALU_DEP_1)
	v_add_nc_u32_e32 v1, v1, v3
	v_cmpx_eq_u32_e32 0, v2
	s_cbranch_execz .LBB728_293
; %bb.292:
	v_lshrrev_b32_e32 v3, 3, v0
	s_delay_alu instid0(VALU_DEP_1)
	v_and_b32_e32 v3, 12, v3
	ds_store_b32 v3, v1 offset:128
.LBB728_293:
	s_or_b32 exec_lo, exec_lo, s3
	s_delay_alu instid0(SALU_CYCLE_1)
	s_mov_b32 s3, exec_lo
	s_waitcnt lgkmcnt(0)
	s_barrier
	buffer_gl0_inv
	v_cmpx_gt_u32_e32 4, v0
	s_cbranch_execz .LBB728_295
; %bb.294:
	v_and_b32_e32 v3, 3, v2
	s_add_i32 s2, s2, 31
	s_delay_alu instid0(SALU_CYCLE_1) | instskip(NEXT) | instid1(VALU_DEP_1)
	s_lshr_b32 s2, s2, 5
	v_cmp_ne_u32_e32 vcc_lo, 3, v3
	v_add_nc_u32_e32 v5, 1, v3
	v_add_co_ci_u32_e32 v4, vcc_lo, 0, v2, vcc_lo
	v_cmp_gt_u32_e32 vcc_lo, 2, v3
	v_add_nc_u32_e32 v3, 2, v3
	s_delay_alu instid0(VALU_DEP_3) | instskip(SKIP_3) | instid1(VALU_DEP_3)
	v_lshlrev_b32_e32 v4, 2, v4
	v_cndmask_b32_e64 v6, 0, 1, vcc_lo
	v_cmp_gt_u32_e32 vcc_lo, s2, v5
	v_lshlrev_b32_e32 v1, 2, v2
	v_lshlrev_b32_e32 v5, 1, v6
	ds_load_b32 v1, v1 offset:128
	v_add_lshl_u32 v2, v5, v2, 2
	s_waitcnt lgkmcnt(0)
	ds_bpermute_b32 v4, v4, v1
	s_waitcnt lgkmcnt(0)
	v_cndmask_b32_e32 v4, 0, v4, vcc_lo
	v_cmp_gt_u32_e32 vcc_lo, s2, v3
	s_delay_alu instid0(VALU_DEP_2) | instskip(SKIP_3) | instid1(VALU_DEP_1)
	v_add_nc_u32_e32 v1, v4, v1
	ds_bpermute_b32 v2, v2, v1
	s_waitcnt lgkmcnt(0)
	v_cndmask_b32_e32 v2, 0, v2, vcc_lo
	v_add_nc_u32_e32 v1, v1, v2
.LBB728_295:
	s_or_b32 exec_lo, exec_lo, s3
	v_cmp_eq_u32_e64 s2, 0, v0
	s_and_b32 vcc_lo, exec_lo, s4
	s_cbranch_vccnz .LBB728_24
	s_branch .LBB728_11
.LBB728_296:
	s_mov_b32 s5, -1
                                        ; implicit-def: $vgpr1
.LBB728_297:
	s_delay_alu instid0(SALU_CYCLE_1)
	s_and_b32 vcc_lo, exec_lo, s5
	s_cbranch_vccz .LBB728_367
; %bb.298:
	s_sub_i32 s4, s16, s4
	s_mov_b32 s5, exec_lo
                                        ; implicit-def: $vgpr1
	v_cmpx_gt_u32_e64 s4, v0
	s_cbranch_execz .LBB728_300
; %bb.299:
	global_load_u8 v1, v0, s[2:3]
.LBB728_300:
	s_or_b32 exec_lo, exec_lo, s5
	v_or_b32_e32 v3, 0x80, v0
	v_mov_b32_e32 v2, 0
	s_delay_alu instid0(VALU_DEP_2)
	v_cmp_gt_u32_e32 vcc_lo, s4, v3
	v_mov_b32_e32 v3, 0
	s_and_saveexec_b32 s5, vcc_lo
	s_cbranch_execz .LBB728_302
; %bb.301:
	global_load_u8 v3, v0, s[2:3] offset:128
.LBB728_302:
	s_or_b32 exec_lo, exec_lo, s5
	v_or_b32_e32 v4, 0x100, v0
	s_mov_b32 s5, exec_lo
	s_delay_alu instid0(VALU_DEP_1)
	v_cmpx_gt_u32_e64 s4, v4
	s_cbranch_execz .LBB728_304
; %bb.303:
	global_load_u8 v2, v0, s[2:3] offset:256
.LBB728_304:
	s_or_b32 exec_lo, exec_lo, s5
	v_or_b32_e32 v5, 0x180, v0
	v_mov_b32_e32 v4, 0
	s_delay_alu instid0(VALU_DEP_2)
	v_cmp_gt_u32_e32 vcc_lo, s4, v5
	v_mov_b32_e32 v5, 0
	s_and_saveexec_b32 s5, vcc_lo
	s_cbranch_execz .LBB728_306
; %bb.305:
	global_load_u8 v5, v0, s[2:3] offset:384
.LBB728_306:
	s_or_b32 exec_lo, exec_lo, s5
	v_or_b32_e32 v6, 0x200, v0
	s_mov_b32 s5, exec_lo
	s_delay_alu instid0(VALU_DEP_1)
	v_cmpx_gt_u32_e64 s4, v6
	s_cbranch_execz .LBB728_308
; %bb.307:
	global_load_u8 v4, v0, s[2:3] offset:512
.LBB728_308:
	s_or_b32 exec_lo, exec_lo, s5
	v_or_b32_e32 v7, 0x280, v0
	v_mov_b32_e32 v6, 0
	s_delay_alu instid0(VALU_DEP_2)
	v_cmp_gt_u32_e32 vcc_lo, s4, v7
	v_mov_b32_e32 v7, 0
	s_and_saveexec_b32 s5, vcc_lo
	s_cbranch_execz .LBB728_310
; %bb.309:
	global_load_u8 v7, v0, s[2:3] offset:640
.LBB728_310:
	s_or_b32 exec_lo, exec_lo, s5
	v_or_b32_e32 v8, 0x300, v0
	s_mov_b32 s5, exec_lo
	s_delay_alu instid0(VALU_DEP_1)
	v_cmpx_gt_u32_e64 s4, v8
	s_cbranch_execz .LBB728_312
; %bb.311:
	global_load_u8 v6, v0, s[2:3] offset:768
.LBB728_312:
	s_or_b32 exec_lo, exec_lo, s5
	v_or_b32_e32 v9, 0x380, v0
	v_mov_b32_e32 v8, 0
	s_delay_alu instid0(VALU_DEP_2)
	v_cmp_gt_u32_e32 vcc_lo, s4, v9
	v_mov_b32_e32 v9, 0
	s_and_saveexec_b32 s5, vcc_lo
	s_cbranch_execz .LBB728_314
; %bb.313:
	global_load_u8 v9, v0, s[2:3] offset:896
.LBB728_314:
	s_or_b32 exec_lo, exec_lo, s5
	v_or_b32_e32 v10, 0x400, v0
	s_mov_b32 s5, exec_lo
	s_delay_alu instid0(VALU_DEP_1)
	v_cmpx_gt_u32_e64 s4, v10
	s_cbranch_execz .LBB728_316
; %bb.315:
	global_load_u8 v8, v0, s[2:3] offset:1024
.LBB728_316:
	s_or_b32 exec_lo, exec_lo, s5
	v_or_b32_e32 v11, 0x480, v0
	v_mov_b32_e32 v10, 0
	s_delay_alu instid0(VALU_DEP_2)
	v_cmp_gt_u32_e32 vcc_lo, s4, v11
	v_mov_b32_e32 v11, 0
	s_and_saveexec_b32 s5, vcc_lo
	s_cbranch_execz .LBB728_318
; %bb.317:
	global_load_u8 v11, v0, s[2:3] offset:1152
.LBB728_318:
	s_or_b32 exec_lo, exec_lo, s5
	v_or_b32_e32 v12, 0x500, v0
	s_mov_b32 s5, exec_lo
	s_delay_alu instid0(VALU_DEP_1)
	v_cmpx_gt_u32_e64 s4, v12
	s_cbranch_execz .LBB728_320
; %bb.319:
	global_load_u8 v10, v0, s[2:3] offset:1280
.LBB728_320:
	s_or_b32 exec_lo, exec_lo, s5
	v_or_b32_e32 v13, 0x580, v0
	v_mov_b32_e32 v12, 0
	s_delay_alu instid0(VALU_DEP_2)
	v_cmp_gt_u32_e32 vcc_lo, s4, v13
	v_mov_b32_e32 v13, 0
	s_and_saveexec_b32 s5, vcc_lo
	s_cbranch_execz .LBB728_322
; %bb.321:
	global_load_u8 v13, v0, s[2:3] offset:1408
.LBB728_322:
	s_or_b32 exec_lo, exec_lo, s5
	v_or_b32_e32 v14, 0x600, v0
	s_mov_b32 s5, exec_lo
	s_delay_alu instid0(VALU_DEP_1)
	v_cmpx_gt_u32_e64 s4, v14
	s_cbranch_execz .LBB728_324
; %bb.323:
	global_load_u8 v12, v0, s[2:3] offset:1536
.LBB728_324:
	s_or_b32 exec_lo, exec_lo, s5
	v_or_b32_e32 v15, 0x680, v0
	v_mov_b32_e32 v14, 0
	s_delay_alu instid0(VALU_DEP_2)
	v_cmp_gt_u32_e32 vcc_lo, s4, v15
	v_mov_b32_e32 v15, 0
	s_and_saveexec_b32 s5, vcc_lo
	s_cbranch_execz .LBB728_326
; %bb.325:
	global_load_u8 v15, v0, s[2:3] offset:1664
.LBB728_326:
	s_or_b32 exec_lo, exec_lo, s5
	v_or_b32_e32 v16, 0x700, v0
	s_mov_b32 s5, exec_lo
	s_delay_alu instid0(VALU_DEP_1)
	v_cmpx_gt_u32_e64 s4, v16
	s_cbranch_execz .LBB728_328
; %bb.327:
	global_load_u8 v14, v0, s[2:3] offset:1792
.LBB728_328:
	s_or_b32 exec_lo, exec_lo, s5
	v_or_b32_e32 v17, 0x780, v0
	v_mov_b32_e32 v16, 0
	s_delay_alu instid0(VALU_DEP_2)
	v_cmp_gt_u32_e32 vcc_lo, s4, v17
	v_mov_b32_e32 v17, 0
	s_and_saveexec_b32 s5, vcc_lo
	s_cbranch_execz .LBB728_330
; %bb.329:
	global_load_u8 v17, v0, s[2:3] offset:1920
.LBB728_330:
	s_or_b32 exec_lo, exec_lo, s5
	v_or_b32_e32 v18, 0x800, v0
	s_mov_b32 s5, exec_lo
	s_delay_alu instid0(VALU_DEP_1)
	v_cmpx_gt_u32_e64 s4, v18
	s_cbranch_execz .LBB728_332
; %bb.331:
	global_load_u8 v16, v0, s[2:3] offset:2048
.LBB728_332:
	s_or_b32 exec_lo, exec_lo, s5
	v_or_b32_e32 v19, 0x880, v0
	v_mov_b32_e32 v18, 0
	s_delay_alu instid0(VALU_DEP_2)
	v_cmp_gt_u32_e32 vcc_lo, s4, v19
	v_mov_b32_e32 v19, 0
	s_and_saveexec_b32 s5, vcc_lo
	s_cbranch_execz .LBB728_334
; %bb.333:
	global_load_u8 v19, v0, s[2:3] offset:2176
.LBB728_334:
	s_or_b32 exec_lo, exec_lo, s5
	v_or_b32_e32 v20, 0x900, v0
	s_mov_b32 s5, exec_lo
	s_delay_alu instid0(VALU_DEP_1)
	v_cmpx_gt_u32_e64 s4, v20
	s_cbranch_execz .LBB728_336
; %bb.335:
	global_load_u8 v18, v0, s[2:3] offset:2304
.LBB728_336:
	s_or_b32 exec_lo, exec_lo, s5
	v_or_b32_e32 v21, 0x980, v0
	v_mov_b32_e32 v20, 0
	s_delay_alu instid0(VALU_DEP_2)
	v_cmp_gt_u32_e32 vcc_lo, s4, v21
	v_mov_b32_e32 v21, 0
	s_and_saveexec_b32 s5, vcc_lo
	s_cbranch_execz .LBB728_338
; %bb.337:
	global_load_u8 v21, v0, s[2:3] offset:2432
.LBB728_338:
	s_or_b32 exec_lo, exec_lo, s5
	v_or_b32_e32 v22, 0xa00, v0
	s_mov_b32 s5, exec_lo
	s_delay_alu instid0(VALU_DEP_1)
	v_cmpx_gt_u32_e64 s4, v22
	s_cbranch_execz .LBB728_340
; %bb.339:
	global_load_u8 v20, v0, s[2:3] offset:2560
.LBB728_340:
	s_or_b32 exec_lo, exec_lo, s5
	v_or_b32_e32 v23, 0xa80, v0
	v_mov_b32_e32 v22, 0
	s_delay_alu instid0(VALU_DEP_2)
	v_cmp_gt_u32_e32 vcc_lo, s4, v23
	v_mov_b32_e32 v23, 0
	s_and_saveexec_b32 s5, vcc_lo
	s_cbranch_execz .LBB728_342
; %bb.341:
	global_load_u8 v23, v0, s[2:3] offset:2688
.LBB728_342:
	s_or_b32 exec_lo, exec_lo, s5
	v_or_b32_e32 v24, 0xb00, v0
	s_mov_b32 s5, exec_lo
	s_delay_alu instid0(VALU_DEP_1)
	v_cmpx_gt_u32_e64 s4, v24
	s_cbranch_execz .LBB728_344
; %bb.343:
	global_load_u8 v22, v0, s[2:3] offset:2816
.LBB728_344:
	s_or_b32 exec_lo, exec_lo, s5
	v_or_b32_e32 v25, 0xb80, v0
	v_mov_b32_e32 v24, 0
	s_delay_alu instid0(VALU_DEP_2)
	v_cmp_gt_u32_e32 vcc_lo, s4, v25
	v_mov_b32_e32 v25, 0
	s_and_saveexec_b32 s5, vcc_lo
	s_cbranch_execz .LBB728_346
; %bb.345:
	global_load_u8 v25, v0, s[2:3] offset:2944
.LBB728_346:
	s_or_b32 exec_lo, exec_lo, s5
	v_or_b32_e32 v26, 0xc00, v0
	s_mov_b32 s5, exec_lo
	s_delay_alu instid0(VALU_DEP_1)
	v_cmpx_gt_u32_e64 s4, v26
	s_cbranch_execz .LBB728_348
; %bb.347:
	global_load_u8 v24, v0, s[2:3] offset:3072
.LBB728_348:
	s_or_b32 exec_lo, exec_lo, s5
	v_or_b32_e32 v27, 0xc80, v0
	v_mov_b32_e32 v26, 0
	s_delay_alu instid0(VALU_DEP_2)
	v_cmp_gt_u32_e32 vcc_lo, s4, v27
	v_mov_b32_e32 v27, 0
	s_and_saveexec_b32 s5, vcc_lo
	s_cbranch_execz .LBB728_350
; %bb.349:
	global_load_u8 v27, v0, s[2:3] offset:3200
.LBB728_350:
	s_or_b32 exec_lo, exec_lo, s5
	v_or_b32_e32 v28, 0xd00, v0
	s_mov_b32 s5, exec_lo
	s_delay_alu instid0(VALU_DEP_1)
	v_cmpx_gt_u32_e64 s4, v28
	s_cbranch_execz .LBB728_352
; %bb.351:
	global_load_u8 v26, v0, s[2:3] offset:3328
.LBB728_352:
	s_or_b32 exec_lo, exec_lo, s5
	v_or_b32_e32 v29, 0xd80, v0
	v_mov_b32_e32 v28, 0
	s_delay_alu instid0(VALU_DEP_2)
	v_cmp_gt_u32_e32 vcc_lo, s4, v29
	v_mov_b32_e32 v29, 0
	s_and_saveexec_b32 s5, vcc_lo
	s_cbranch_execz .LBB728_354
; %bb.353:
	global_load_u8 v29, v0, s[2:3] offset:3456
.LBB728_354:
	s_or_b32 exec_lo, exec_lo, s5
	v_or_b32_e32 v30, 0xe00, v0
	s_mov_b32 s5, exec_lo
	s_delay_alu instid0(VALU_DEP_1)
	v_cmpx_gt_u32_e64 s4, v30
	s_cbranch_execz .LBB728_356
; %bb.355:
	global_load_u8 v28, v0, s[2:3] offset:3584
.LBB728_356:
	s_or_b32 exec_lo, exec_lo, s5
	v_or_b32_e32 v31, 0xe80, v0
	v_mov_b32_e32 v30, 0
	s_delay_alu instid0(VALU_DEP_2)
	v_cmp_gt_u32_e32 vcc_lo, s4, v31
	v_mov_b32_e32 v31, 0
	s_and_saveexec_b32 s5, vcc_lo
	s_cbranch_execz .LBB728_358
; %bb.357:
	global_load_u8 v31, v0, s[2:3] offset:3712
.LBB728_358:
	s_or_b32 exec_lo, exec_lo, s5
	v_or_b32_e32 v32, 0xf00, v0
	s_mov_b32 s5, exec_lo
	s_delay_alu instid0(VALU_DEP_1)
	v_cmpx_gt_u32_e64 s4, v32
	s_cbranch_execz .LBB728_360
; %bb.359:
	global_load_u8 v30, v0, s[2:3] offset:3840
.LBB728_360:
	s_or_b32 exec_lo, exec_lo, s5
	v_or_b32_e32 v32, 0xf80, v0
	s_delay_alu instid0(VALU_DEP_1)
	v_cmp_gt_u32_e32 vcc_lo, s4, v32
	v_mov_b32_e32 v32, 0
	s_and_saveexec_b32 s5, vcc_lo
	s_cbranch_execz .LBB728_362
; %bb.361:
	global_load_u8 v32, v0, s[2:3] offset:3968
.LBB728_362:
	s_or_b32 exec_lo, exec_lo, s5
	s_waitcnt vmcnt(0)
	v_add_nc_u32_e32 v1, v3, v1
	s_min_u32 s2, s4, 0x80
	s_mov_b32 s3, exec_lo
	s_delay_alu instid0(VALU_DEP_1) | instskip(SKIP_1) | instid1(VALU_DEP_2)
	v_add3_u32 v1, v1, v2, v5
	v_mbcnt_lo_u32_b32 v2, -1, 0
	v_add3_u32 v1, v1, v4, v7
	s_delay_alu instid0(VALU_DEP_2) | instskip(NEXT) | instid1(VALU_DEP_2)
	v_cmp_ne_u32_e32 vcc_lo, 31, v2
	v_add3_u32 v1, v1, v6, v9
	v_add_co_ci_u32_e32 v3, vcc_lo, 0, v2, vcc_lo
	v_cmp_gt_u32_e32 vcc_lo, 30, v2
	v_add_nc_u32_e32 v6, 1, v2
	s_delay_alu instid0(VALU_DEP_4) | instskip(NEXT) | instid1(VALU_DEP_4)
	v_add3_u32 v1, v1, v8, v11
	v_lshlrev_b32_e32 v3, 2, v3
	v_cndmask_b32_e64 v5, 0, 1, vcc_lo
	s_delay_alu instid0(VALU_DEP_3) | instskip(NEXT) | instid1(VALU_DEP_2)
	v_add3_u32 v1, v1, v10, v13
	v_lshlrev_b32_e32 v5, 1, v5
	s_delay_alu instid0(VALU_DEP_2) | instskip(NEXT) | instid1(VALU_DEP_2)
	v_add3_u32 v1, v1, v12, v15
	v_add_lshl_u32 v5, v5, v2, 2
	s_delay_alu instid0(VALU_DEP_2) | instskip(NEXT) | instid1(VALU_DEP_1)
	v_add3_u32 v1, v1, v14, v17
	v_add3_u32 v1, v1, v16, v19
	s_delay_alu instid0(VALU_DEP_1) | instskip(NEXT) | instid1(VALU_DEP_1)
	v_add3_u32 v1, v1, v18, v21
	v_add3_u32 v1, v1, v20, v23
	s_delay_alu instid0(VALU_DEP_1) | instskip(NEXT) | instid1(VALU_DEP_1)
	;; [unrolled: 3-line block ×3, first 2 shown]
	v_add3_u32 v1, v1, v26, v29
	v_add3_u32 v1, v1, v28, v31
	s_delay_alu instid0(VALU_DEP_1) | instskip(SKIP_2) | instid1(VALU_DEP_1)
	v_add3_u32 v1, v1, v30, v32
	ds_bpermute_b32 v3, v3, v1
	v_and_b32_e32 v4, 0x60, v0
	v_sub_nc_u32_e64 v4, s2, v4 clamp
	s_delay_alu instid0(VALU_DEP_1) | instskip(SKIP_3) | instid1(VALU_DEP_2)
	v_cmp_lt_u32_e32 vcc_lo, v6, v4
	s_waitcnt lgkmcnt(0)
	v_dual_cndmask_b32 v3, 0, v3 :: v_dual_add_nc_u32 v6, 2, v2
	v_cmp_gt_u32_e32 vcc_lo, 28, v2
	v_add_nc_u32_e32 v1, v3, v1
	ds_bpermute_b32 v3, v5, v1
	v_cndmask_b32_e64 v5, 0, 1, vcc_lo
	v_cmp_lt_u32_e32 vcc_lo, v6, v4
	v_add_nc_u32_e32 v6, 4, v2
	s_delay_alu instid0(VALU_DEP_3) | instskip(NEXT) | instid1(VALU_DEP_1)
	v_lshlrev_b32_e32 v5, 2, v5
	v_add_lshl_u32 v5, v5, v2, 2
	s_waitcnt lgkmcnt(0)
	v_cndmask_b32_e32 v3, 0, v3, vcc_lo
	v_cmp_gt_u32_e32 vcc_lo, 24, v2
	s_delay_alu instid0(VALU_DEP_2) | instskip(SKIP_4) | instid1(VALU_DEP_3)
	v_add_nc_u32_e32 v1, v1, v3
	ds_bpermute_b32 v3, v5, v1
	v_cndmask_b32_e64 v5, 0, 1, vcc_lo
	v_cmp_lt_u32_e32 vcc_lo, v6, v4
	v_add_nc_u32_e32 v6, 8, v2
	v_lshlrev_b32_e32 v5, 3, v5
	s_delay_alu instid0(VALU_DEP_1) | instskip(SKIP_3) | instid1(VALU_DEP_2)
	v_add_lshl_u32 v5, v5, v2, 2
	s_waitcnt lgkmcnt(0)
	v_cndmask_b32_e32 v3, 0, v3, vcc_lo
	v_cmp_gt_u32_e32 vcc_lo, 16, v2
	v_add_nc_u32_e32 v1, v1, v3
	ds_bpermute_b32 v3, v5, v1
	v_cndmask_b32_e64 v5, 0, 1, vcc_lo
	v_cmp_lt_u32_e32 vcc_lo, v6, v4
	s_delay_alu instid0(VALU_DEP_2) | instskip(NEXT) | instid1(VALU_DEP_1)
	v_lshlrev_b32_e32 v5, 4, v5
	v_add_lshl_u32 v5, v5, v2, 2
	s_waitcnt lgkmcnt(0)
	v_cndmask_b32_e32 v3, 0, v3, vcc_lo
	s_delay_alu instid0(VALU_DEP_1) | instskip(SKIP_2) | instid1(VALU_DEP_1)
	v_add_nc_u32_e32 v1, v1, v3
	ds_bpermute_b32 v3, v5, v1
	v_add_nc_u32_e32 v5, 16, v2
	v_cmp_lt_u32_e32 vcc_lo, v5, v4
	s_waitcnt lgkmcnt(0)
	v_cndmask_b32_e32 v3, 0, v3, vcc_lo
	s_delay_alu instid0(VALU_DEP_1)
	v_add_nc_u32_e32 v1, v1, v3
	v_cmpx_eq_u32_e32 0, v2
	s_cbranch_execz .LBB728_364
; %bb.363:
	v_lshrrev_b32_e32 v3, 3, v0
	s_delay_alu instid0(VALU_DEP_1)
	v_and_b32_e32 v3, 12, v3
	ds_store_b32 v3, v1 offset:128
.LBB728_364:
	s_or_b32 exec_lo, exec_lo, s3
	s_delay_alu instid0(SALU_CYCLE_1)
	s_mov_b32 s3, exec_lo
	s_waitcnt lgkmcnt(0)
	s_barrier
	buffer_gl0_inv
	v_cmpx_gt_u32_e32 4, v0
	s_cbranch_execz .LBB728_366
; %bb.365:
	v_and_b32_e32 v3, 3, v2
	s_add_i32 s2, s2, 31
	s_delay_alu instid0(SALU_CYCLE_1) | instskip(NEXT) | instid1(VALU_DEP_1)
	s_lshr_b32 s2, s2, 5
	v_cmp_ne_u32_e32 vcc_lo, 3, v3
	v_add_nc_u32_e32 v5, 1, v3
	v_add_co_ci_u32_e32 v4, vcc_lo, 0, v2, vcc_lo
	v_cmp_gt_u32_e32 vcc_lo, 2, v3
	v_add_nc_u32_e32 v3, 2, v3
	s_delay_alu instid0(VALU_DEP_3) | instskip(SKIP_3) | instid1(VALU_DEP_3)
	v_lshlrev_b32_e32 v4, 2, v4
	v_cndmask_b32_e64 v6, 0, 1, vcc_lo
	v_cmp_gt_u32_e32 vcc_lo, s2, v5
	v_lshlrev_b32_e32 v1, 2, v2
	v_lshlrev_b32_e32 v5, 1, v6
	ds_load_b32 v1, v1 offset:128
	v_add_lshl_u32 v2, v5, v2, 2
	s_waitcnt lgkmcnt(0)
	ds_bpermute_b32 v4, v4, v1
	s_waitcnt lgkmcnt(0)
	v_cndmask_b32_e32 v4, 0, v4, vcc_lo
	v_cmp_gt_u32_e32 vcc_lo, s2, v3
	s_delay_alu instid0(VALU_DEP_2) | instskip(SKIP_3) | instid1(VALU_DEP_1)
	v_add_nc_u32_e32 v1, v4, v1
	ds_bpermute_b32 v2, v2, v1
	s_waitcnt lgkmcnt(0)
	v_cndmask_b32_e32 v2, 0, v2, vcc_lo
	v_add_nc_u32_e32 v1, v1, v2
.LBB728_366:
	s_or_b32 exec_lo, exec_lo, s3
.LBB728_367:
	v_cmp_eq_u32_e64 s2, 0, v0
	s_branch .LBB728_512
.LBB728_368:
	s_cmp_eq_u32 s26, 16
	s_cbranch_scc0 .LBB728_375
; %bb.369:
	s_lshl_b32 s2, s20, 11
	s_lshr_b64 s[4:5], s[16:17], 11
	s_mov_b32 s21, 0
	s_add_u32 s24, s22, s2
	s_addc_u32 s25, s23, 0
	s_cmp_lg_u64 s[4:5], s[20:21]
	s_cbranch_scc0 .LBB728_533
; %bb.370:
	s_clause 0xf
	global_load_u8 v1, v0, s[24:25]
	global_load_u8 v2, v0, s[24:25] offset:128
	global_load_u8 v3, v0, s[24:25] offset:256
	;; [unrolled: 1-line block ×15, first 2 shown]
	s_mov_b32 s3, exec_lo
	s_waitcnt vmcnt(14)
	v_add_nc_u16 v1, v2, v1
	s_waitcnt vmcnt(13)
	s_delay_alu instid0(VALU_DEP_1) | instskip(SKIP_1) | instid1(VALU_DEP_1)
	v_add_nc_u16 v1, v1, v3
	s_waitcnt vmcnt(12)
	v_add_nc_u16 v1, v1, v4
	s_waitcnt vmcnt(11)
	s_delay_alu instid0(VALU_DEP_1) | instskip(SKIP_1) | instid1(VALU_DEP_1)
	v_add_nc_u16 v1, v1, v5
	s_waitcnt vmcnt(10)
	v_add_nc_u16 v1, v1, v6
	s_waitcnt vmcnt(9)
	s_delay_alu instid0(VALU_DEP_1) | instskip(NEXT) | instid1(VALU_DEP_1)
	v_add_nc_u16 v1, v1, v7
	v_and_b32_e32 v1, 0xff, v1
	s_waitcnt vmcnt(8)
	s_delay_alu instid0(VALU_DEP_1) | instskip(SKIP_1) | instid1(VALU_DEP_1)
	v_add_nc_u32_e32 v1, v1, v8
	s_waitcnt vmcnt(6)
	v_add3_u32 v1, v1, v9, v10
	s_waitcnt vmcnt(4)
	s_delay_alu instid0(VALU_DEP_1) | instskip(SKIP_1) | instid1(VALU_DEP_1)
	v_add3_u32 v1, v1, v11, v12
	s_waitcnt vmcnt(2)
	v_add3_u32 v1, v1, v13, v14
	s_waitcnt vmcnt(0)
	s_delay_alu instid0(VALU_DEP_1) | instskip(NEXT) | instid1(VALU_DEP_1)
	v_add3_u32 v1, v1, v15, v16
	v_mov_b32_dpp v2, v1 quad_perm:[1,0,3,2] row_mask:0xf bank_mask:0xf
	s_delay_alu instid0(VALU_DEP_1) | instskip(NEXT) | instid1(VALU_DEP_1)
	v_add_nc_u32_e32 v1, v2, v1
	v_mov_b32_dpp v2, v1 quad_perm:[2,3,0,1] row_mask:0xf bank_mask:0xf
	s_delay_alu instid0(VALU_DEP_1) | instskip(NEXT) | instid1(VALU_DEP_1)
	v_add_nc_u32_e32 v1, v1, v2
	v_mov_b32_dpp v2, v1 row_ror:4 row_mask:0xf bank_mask:0xf
	s_delay_alu instid0(VALU_DEP_1) | instskip(NEXT) | instid1(VALU_DEP_1)
	v_add_nc_u32_e32 v1, v1, v2
	v_mov_b32_dpp v2, v1 row_ror:8 row_mask:0xf bank_mask:0xf
	s_delay_alu instid0(VALU_DEP_1)
	v_add_nc_u32_e32 v1, v1, v2
	ds_swizzle_b32 v2, v1 offset:swizzle(BROADCAST,32,15)
	s_waitcnt lgkmcnt(0)
	v_dual_mov_b32 v2, 0 :: v_dual_add_nc_u32 v1, v1, v2
	ds_bpermute_b32 v1, v2, v1 offset:124
	v_mbcnt_lo_u32_b32 v2, -1, 0
	s_delay_alu instid0(VALU_DEP_1)
	v_cmpx_eq_u32_e32 0, v2
	s_cbranch_execz .LBB728_372
; %bb.371:
	v_lshrrev_b32_e32 v3, 3, v0
	s_delay_alu instid0(VALU_DEP_1)
	v_and_b32_e32 v3, 12, v3
	s_waitcnt lgkmcnt(0)
	ds_store_b32 v3, v1 offset:16
.LBB728_372:
	s_or_b32 exec_lo, exec_lo, s3
	s_delay_alu instid0(SALU_CYCLE_1)
	s_mov_b32 s3, exec_lo
	s_waitcnt lgkmcnt(0)
	s_barrier
	buffer_gl0_inv
	v_cmpx_gt_u32_e32 32, v0
	s_cbranch_execz .LBB728_374
; %bb.373:
	v_and_b32_e32 v1, 3, v2
	s_delay_alu instid0(VALU_DEP_1) | instskip(SKIP_4) | instid1(VALU_DEP_2)
	v_lshlrev_b32_e32 v3, 2, v1
	v_cmp_ne_u32_e32 vcc_lo, 3, v1
	ds_load_b32 v3, v3 offset:16
	v_add_co_ci_u32_e32 v4, vcc_lo, 0, v2, vcc_lo
	v_cmp_gt_u32_e32 vcc_lo, 2, v1
	v_lshlrev_b32_e32 v4, 2, v4
	v_cndmask_b32_e64 v1, 0, 1, vcc_lo
	s_delay_alu instid0(VALU_DEP_1) | instskip(NEXT) | instid1(VALU_DEP_1)
	v_lshlrev_b32_e32 v1, 1, v1
	v_add_lshl_u32 v1, v1, v2, 2
	s_waitcnt lgkmcnt(0)
	ds_bpermute_b32 v4, v4, v3
	s_waitcnt lgkmcnt(0)
	v_add_nc_u32_e32 v3, v4, v3
	ds_bpermute_b32 v1, v1, v3
	s_waitcnt lgkmcnt(0)
	v_add_nc_u32_e32 v1, v1, v3
.LBB728_374:
	s_or_b32 exec_lo, exec_lo, s3
	s_mov_b32 s3, 0
	s_branch .LBB728_534
.LBB728_375:
                                        ; implicit-def: $vgpr1
	s_branch .LBB728_623
.LBB728_376:
	s_mov_b32 s5, -1
                                        ; implicit-def: $vgpr1
.LBB728_377:
	s_delay_alu instid0(SALU_CYCLE_1)
	s_and_b32 vcc_lo, exec_lo, s5
	s_cbranch_vccz .LBB728_511
; %bb.378:
	s_sub_i32 s4, s16, s4
	s_mov_b32 s5, exec_lo
                                        ; implicit-def: $vgpr1
	v_cmpx_gt_u32_e64 s4, v0
	s_cbranch_execz .LBB728_380
; %bb.379:
	global_load_u8 v1, v0, s[2:3]
.LBB728_380:
	s_or_b32 exec_lo, exec_lo, s5
	v_or_b32_e32 v3, 0x80, v0
	v_mov_b32_e32 v2, 0
	s_delay_alu instid0(VALU_DEP_2)
	v_cmp_gt_u32_e32 vcc_lo, s4, v3
	v_mov_b32_e32 v3, 0
	s_and_saveexec_b32 s5, vcc_lo
	s_cbranch_execz .LBB728_382
; %bb.381:
	global_load_u8 v3, v0, s[2:3] offset:128
.LBB728_382:
	s_or_b32 exec_lo, exec_lo, s5
	v_or_b32_e32 v4, 0x100, v0
	s_mov_b32 s5, exec_lo
	s_delay_alu instid0(VALU_DEP_1)
	v_cmpx_gt_u32_e64 s4, v4
	s_cbranch_execz .LBB728_384
; %bb.383:
	global_load_u8 v2, v0, s[2:3] offset:256
.LBB728_384:
	s_or_b32 exec_lo, exec_lo, s5
	v_or_b32_e32 v5, 0x180, v0
	v_mov_b32_e32 v4, 0
	s_delay_alu instid0(VALU_DEP_2)
	v_cmp_gt_u32_e32 vcc_lo, s4, v5
	v_mov_b32_e32 v5, 0
	s_and_saveexec_b32 s5, vcc_lo
	s_cbranch_execz .LBB728_386
; %bb.385:
	global_load_u8 v5, v0, s[2:3] offset:384
.LBB728_386:
	s_or_b32 exec_lo, exec_lo, s5
	v_or_b32_e32 v6, 0x200, v0
	s_mov_b32 s5, exec_lo
	s_delay_alu instid0(VALU_DEP_1)
	v_cmpx_gt_u32_e64 s4, v6
	s_cbranch_execz .LBB728_388
; %bb.387:
	global_load_u8 v4, v0, s[2:3] offset:512
.LBB728_388:
	;; [unrolled: 20-line block ×15, first 2 shown]
	s_or_b32 exec_lo, exec_lo, s5
	v_or_b32_e32 v33, 0xf80, v0
	v_mov_b32_e32 v32, 0
	s_delay_alu instid0(VALU_DEP_2)
	v_cmp_gt_u32_e32 vcc_lo, s4, v33
	v_mov_b32_e32 v33, 0
	s_and_saveexec_b32 s5, vcc_lo
	s_cbranch_execz .LBB728_442
; %bb.441:
	global_load_u8 v33, v0, s[2:3] offset:3968
.LBB728_442:
	s_or_b32 exec_lo, exec_lo, s5
	v_or_b32_e32 v34, 0x1000, v0
	s_mov_b32 s5, exec_lo
	s_delay_alu instid0(VALU_DEP_1)
	v_cmpx_gt_u32_e64 s4, v34
	s_cbranch_execz .LBB728_444
; %bb.443:
	global_load_u8 v32, v34, s[2:3]
.LBB728_444:
	s_or_b32 exec_lo, exec_lo, s5
	v_or_b32_e32 v36, 0x1080, v0
	v_dual_mov_b32 v34, 0 :: v_dual_mov_b32 v35, 0
	s_mov_b32 s5, exec_lo
	s_delay_alu instid0(VALU_DEP_2)
	v_cmpx_gt_u32_e64 s4, v36
	s_cbranch_execz .LBB728_446
; %bb.445:
	global_load_u8 v35, v36, s[2:3]
.LBB728_446:
	s_or_b32 exec_lo, exec_lo, s5
	v_or_b32_e32 v36, 0x1100, v0
	s_mov_b32 s5, exec_lo
	s_delay_alu instid0(VALU_DEP_1)
	v_cmpx_gt_u32_e64 s4, v36
	s_cbranch_execz .LBB728_448
; %bb.447:
	global_load_u8 v34, v36, s[2:3]
.LBB728_448:
	s_or_b32 exec_lo, exec_lo, s5
	v_or_b32_e32 v38, 0x1180, v0
	v_dual_mov_b32 v36, 0 :: v_dual_mov_b32 v37, 0
	s_mov_b32 s5, exec_lo
	s_delay_alu instid0(VALU_DEP_2)
	v_cmpx_gt_u32_e64 s4, v38
	s_cbranch_execz .LBB728_450
; %bb.449:
	global_load_u8 v37, v38, s[2:3]
.LBB728_450:
	;; [unrolled: 19-line block ×15, first 2 shown]
	s_or_b32 exec_lo, exec_lo, s5
	v_or_b32_e32 v64, 0x1f00, v0
	s_mov_b32 s5, exec_lo
	s_delay_alu instid0(VALU_DEP_1)
	v_cmpx_gt_u32_e64 s4, v64
	s_cbranch_execz .LBB728_504
; %bb.503:
	global_load_u8 v62, v64, s[2:3]
.LBB728_504:
	s_or_b32 exec_lo, exec_lo, s5
	v_or_b32_e32 v65, 0x1f80, v0
	v_mov_b32_e32 v64, 0
	s_mov_b32 s5, exec_lo
	s_delay_alu instid0(VALU_DEP_2)
	v_cmpx_gt_u32_e64 s4, v65
	s_cbranch_execz .LBB728_506
; %bb.505:
	global_load_u8 v64, v65, s[2:3]
.LBB728_506:
	s_or_b32 exec_lo, exec_lo, s5
	s_waitcnt vmcnt(0)
	v_add_nc_u32_e32 v1, v3, v1
	s_min_u32 s2, s4, 0x80
	s_mov_b32 s3, exec_lo
	s_delay_alu instid0(VALU_DEP_1) | instskip(SKIP_1) | instid1(VALU_DEP_2)
	v_add3_u32 v1, v1, v2, v5
	v_mbcnt_lo_u32_b32 v2, -1, 0
	v_add3_u32 v1, v1, v4, v7
	s_delay_alu instid0(VALU_DEP_2) | instskip(NEXT) | instid1(VALU_DEP_2)
	v_cmp_ne_u32_e32 vcc_lo, 31, v2
	v_add3_u32 v1, v1, v6, v9
	v_add_co_ci_u32_e32 v3, vcc_lo, 0, v2, vcc_lo
	v_cmp_gt_u32_e32 vcc_lo, 30, v2
	v_add_nc_u32_e32 v6, 1, v2
	s_delay_alu instid0(VALU_DEP_4) | instskip(NEXT) | instid1(VALU_DEP_4)
	v_add3_u32 v1, v1, v8, v11
	v_lshlrev_b32_e32 v3, 2, v3
	v_cndmask_b32_e64 v5, 0, 1, vcc_lo
	s_delay_alu instid0(VALU_DEP_3) | instskip(NEXT) | instid1(VALU_DEP_2)
	v_add3_u32 v1, v1, v10, v13
	v_lshlrev_b32_e32 v5, 1, v5
	s_delay_alu instid0(VALU_DEP_2) | instskip(NEXT) | instid1(VALU_DEP_2)
	v_add3_u32 v1, v1, v12, v15
	v_add_lshl_u32 v5, v5, v2, 2
	s_delay_alu instid0(VALU_DEP_2) | instskip(NEXT) | instid1(VALU_DEP_1)
	v_add3_u32 v1, v1, v14, v17
	v_add3_u32 v1, v1, v16, v19
	s_delay_alu instid0(VALU_DEP_1) | instskip(NEXT) | instid1(VALU_DEP_1)
	v_add3_u32 v1, v1, v18, v21
	v_add3_u32 v1, v1, v20, v23
	s_delay_alu instid0(VALU_DEP_1) | instskip(NEXT) | instid1(VALU_DEP_1)
	;; [unrolled: 3-line block ×11, first 2 shown]
	v_add3_u32 v1, v1, v58, v61
	v_add3_u32 v1, v1, v60, v63
	s_delay_alu instid0(VALU_DEP_1) | instskip(SKIP_2) | instid1(VALU_DEP_1)
	v_add3_u32 v1, v1, v62, v64
	ds_bpermute_b32 v3, v3, v1
	v_and_b32_e32 v4, 0x60, v0
	v_sub_nc_u32_e64 v4, s2, v4 clamp
	s_delay_alu instid0(VALU_DEP_1) | instskip(SKIP_3) | instid1(VALU_DEP_2)
	v_cmp_lt_u32_e32 vcc_lo, v6, v4
	s_waitcnt lgkmcnt(0)
	v_dual_cndmask_b32 v3, 0, v3 :: v_dual_add_nc_u32 v6, 2, v2
	v_cmp_gt_u32_e32 vcc_lo, 28, v2
	v_add_nc_u32_e32 v1, v3, v1
	ds_bpermute_b32 v3, v5, v1
	v_cndmask_b32_e64 v5, 0, 1, vcc_lo
	v_cmp_lt_u32_e32 vcc_lo, v6, v4
	v_add_nc_u32_e32 v6, 4, v2
	s_delay_alu instid0(VALU_DEP_3) | instskip(NEXT) | instid1(VALU_DEP_1)
	v_lshlrev_b32_e32 v5, 2, v5
	v_add_lshl_u32 v5, v5, v2, 2
	s_waitcnt lgkmcnt(0)
	v_cndmask_b32_e32 v3, 0, v3, vcc_lo
	v_cmp_gt_u32_e32 vcc_lo, 24, v2
	s_delay_alu instid0(VALU_DEP_2) | instskip(SKIP_4) | instid1(VALU_DEP_3)
	v_add_nc_u32_e32 v1, v1, v3
	ds_bpermute_b32 v3, v5, v1
	v_cndmask_b32_e64 v5, 0, 1, vcc_lo
	v_cmp_lt_u32_e32 vcc_lo, v6, v4
	v_add_nc_u32_e32 v6, 8, v2
	v_lshlrev_b32_e32 v5, 3, v5
	s_delay_alu instid0(VALU_DEP_1) | instskip(SKIP_3) | instid1(VALU_DEP_2)
	v_add_lshl_u32 v5, v5, v2, 2
	s_waitcnt lgkmcnt(0)
	v_cndmask_b32_e32 v3, 0, v3, vcc_lo
	v_cmp_gt_u32_e32 vcc_lo, 16, v2
	v_add_nc_u32_e32 v1, v1, v3
	ds_bpermute_b32 v3, v5, v1
	v_cndmask_b32_e64 v5, 0, 1, vcc_lo
	v_cmp_lt_u32_e32 vcc_lo, v6, v4
	s_delay_alu instid0(VALU_DEP_2) | instskip(NEXT) | instid1(VALU_DEP_1)
	v_lshlrev_b32_e32 v5, 4, v5
	v_add_lshl_u32 v5, v5, v2, 2
	s_waitcnt lgkmcnt(0)
	v_cndmask_b32_e32 v3, 0, v3, vcc_lo
	s_delay_alu instid0(VALU_DEP_1) | instskip(SKIP_2) | instid1(VALU_DEP_1)
	v_add_nc_u32_e32 v1, v1, v3
	ds_bpermute_b32 v3, v5, v1
	v_add_nc_u32_e32 v5, 16, v2
	v_cmp_lt_u32_e32 vcc_lo, v5, v4
	s_waitcnt lgkmcnt(0)
	v_cndmask_b32_e32 v3, 0, v3, vcc_lo
	s_delay_alu instid0(VALU_DEP_1)
	v_add_nc_u32_e32 v1, v1, v3
	v_cmpx_eq_u32_e32 0, v2
	s_cbranch_execz .LBB728_508
; %bb.507:
	v_lshrrev_b32_e32 v3, 3, v0
	s_delay_alu instid0(VALU_DEP_1)
	v_and_b32_e32 v3, 12, v3
	ds_store_b32 v3, v1 offset:128
.LBB728_508:
	s_or_b32 exec_lo, exec_lo, s3
	s_delay_alu instid0(SALU_CYCLE_1)
	s_mov_b32 s3, exec_lo
	s_waitcnt lgkmcnt(0)
	s_barrier
	buffer_gl0_inv
	v_cmpx_gt_u32_e32 4, v0
	s_cbranch_execz .LBB728_510
; %bb.509:
	v_and_b32_e32 v3, 3, v2
	s_add_i32 s2, s2, 31
	s_delay_alu instid0(SALU_CYCLE_1) | instskip(NEXT) | instid1(VALU_DEP_1)
	s_lshr_b32 s2, s2, 5
	v_cmp_ne_u32_e32 vcc_lo, 3, v3
	v_add_nc_u32_e32 v5, 1, v3
	v_add_co_ci_u32_e32 v4, vcc_lo, 0, v2, vcc_lo
	v_cmp_gt_u32_e32 vcc_lo, 2, v3
	v_add_nc_u32_e32 v3, 2, v3
	s_delay_alu instid0(VALU_DEP_3) | instskip(SKIP_3) | instid1(VALU_DEP_3)
	v_lshlrev_b32_e32 v4, 2, v4
	v_cndmask_b32_e64 v6, 0, 1, vcc_lo
	v_cmp_gt_u32_e32 vcc_lo, s2, v5
	v_lshlrev_b32_e32 v1, 2, v2
	v_lshlrev_b32_e32 v5, 1, v6
	ds_load_b32 v1, v1 offset:128
	v_add_lshl_u32 v2, v5, v2, 2
	s_waitcnt lgkmcnt(0)
	ds_bpermute_b32 v4, v4, v1
	s_waitcnt lgkmcnt(0)
	v_cndmask_b32_e32 v4, 0, v4, vcc_lo
	v_cmp_gt_u32_e32 vcc_lo, s2, v3
	s_delay_alu instid0(VALU_DEP_2) | instskip(SKIP_3) | instid1(VALU_DEP_1)
	v_add_nc_u32_e32 v1, v4, v1
	ds_bpermute_b32 v2, v2, v1
	s_waitcnt lgkmcnt(0)
	v_cndmask_b32_e32 v2, 0, v2, vcc_lo
	v_add_nc_u32_e32 v1, v1, v2
.LBB728_510:
	s_or_b32 exec_lo, exec_lo, s3
.LBB728_511:
	v_cmp_eq_u32_e64 s2, 0, v0
.LBB728_512:
	s_branch .LBB728_623
.LBB728_513:
	s_cmp_gt_i32 s26, 3
	s_cbranch_scc0 .LBB728_522
; %bb.514:
	s_cmp_gt_i32 s26, 7
	s_cbranch_scc0 .LBB728_523
; %bb.515:
	s_cmp_eq_u32 s26, 8
	s_cbranch_scc0 .LBB728_531
; %bb.516:
	s_lshl_b32 s2, s20, 10
	s_lshr_b64 s[4:5], s[16:17], 10
	s_mov_b32 s21, 0
	s_add_u32 s8, s22, s2
	s_addc_u32 s9, s23, 0
	s_cmp_lg_u64 s[4:5], s[20:21]
	s_cbranch_scc0 .LBB728_573
; %bb.517:
	s_clause 0x7
	global_load_u8 v1, v0, s[8:9]
	global_load_u8 v2, v0, s[8:9] offset:128
	global_load_u8 v3, v0, s[8:9] offset:256
	;; [unrolled: 1-line block ×7, first 2 shown]
	s_mov_b32 s3, exec_lo
	s_waitcnt vmcnt(6)
	v_add_nc_u16 v1, v2, v1
	s_waitcnt vmcnt(5)
	s_delay_alu instid0(VALU_DEP_1) | instskip(SKIP_1) | instid1(VALU_DEP_1)
	v_add_nc_u16 v1, v1, v3
	s_waitcnt vmcnt(4)
	v_add_nc_u16 v1, v1, v4
	s_waitcnt vmcnt(3)
	s_delay_alu instid0(VALU_DEP_1) | instskip(SKIP_1) | instid1(VALU_DEP_1)
	v_add_nc_u16 v1, v1, v5
	s_waitcnt vmcnt(2)
	v_add_nc_u16 v1, v1, v6
	s_waitcnt vmcnt(1)
	s_delay_alu instid0(VALU_DEP_1) | instskip(NEXT) | instid1(VALU_DEP_1)
	v_add_nc_u16 v1, v1, v7
	v_and_b32_e32 v1, 0xff, v1
	s_waitcnt vmcnt(0)
	s_delay_alu instid0(VALU_DEP_1) | instskip(NEXT) | instid1(VALU_DEP_1)
	v_add_nc_u32_e32 v1, v1, v8
	v_mov_b32_dpp v2, v1 quad_perm:[1,0,3,2] row_mask:0xf bank_mask:0xf
	s_delay_alu instid0(VALU_DEP_1) | instskip(NEXT) | instid1(VALU_DEP_1)
	v_add_nc_u32_e32 v1, v2, v1
	v_mov_b32_dpp v2, v1 quad_perm:[2,3,0,1] row_mask:0xf bank_mask:0xf
	s_delay_alu instid0(VALU_DEP_1) | instskip(NEXT) | instid1(VALU_DEP_1)
	v_add_nc_u32_e32 v1, v1, v2
	v_mov_b32_dpp v2, v1 row_ror:4 row_mask:0xf bank_mask:0xf
	s_delay_alu instid0(VALU_DEP_1) | instskip(NEXT) | instid1(VALU_DEP_1)
	v_add_nc_u32_e32 v1, v1, v2
	v_mov_b32_dpp v2, v1 row_ror:8 row_mask:0xf bank_mask:0xf
	s_delay_alu instid0(VALU_DEP_1)
	v_add_nc_u32_e32 v1, v1, v2
	ds_swizzle_b32 v2, v1 offset:swizzle(BROADCAST,32,15)
	s_waitcnt lgkmcnt(0)
	v_dual_mov_b32 v2, 0 :: v_dual_add_nc_u32 v1, v1, v2
	ds_bpermute_b32 v1, v2, v1 offset:124
	v_mbcnt_lo_u32_b32 v2, -1, 0
	s_delay_alu instid0(VALU_DEP_1)
	v_cmpx_eq_u32_e32 0, v2
	s_cbranch_execz .LBB728_519
; %bb.518:
	v_lshrrev_b32_e32 v3, 3, v0
	s_delay_alu instid0(VALU_DEP_1)
	v_and_b32_e32 v3, 12, v3
	s_waitcnt lgkmcnt(0)
	ds_store_b32 v3, v1 offset:112
.LBB728_519:
	s_or_b32 exec_lo, exec_lo, s3
	s_delay_alu instid0(SALU_CYCLE_1)
	s_mov_b32 s3, exec_lo
	s_waitcnt lgkmcnt(0)
	s_barrier
	buffer_gl0_inv
	v_cmpx_gt_u32_e32 32, v0
	s_cbranch_execz .LBB728_521
; %bb.520:
	v_lshl_or_b32 v1, v2, 2, 0x70
	v_and_b32_e32 v3, 3, v2
	ds_load_b32 v1, v1
	v_cmp_ne_u32_e32 vcc_lo, 3, v3
	v_add_co_ci_u32_e32 v4, vcc_lo, 0, v2, vcc_lo
	v_cmp_gt_u32_e32 vcc_lo, 2, v3
	s_delay_alu instid0(VALU_DEP_2) | instskip(SKIP_1) | instid1(VALU_DEP_1)
	v_lshlrev_b32_e32 v4, 2, v4
	v_cndmask_b32_e64 v3, 0, 1, vcc_lo
	v_lshlrev_b32_e32 v3, 1, v3
	s_waitcnt lgkmcnt(0)
	ds_bpermute_b32 v4, v4, v1
	v_add_lshl_u32 v2, v3, v2, 2
	s_waitcnt lgkmcnt(0)
	v_add_nc_u32_e32 v1, v4, v1
	ds_bpermute_b32 v2, v2, v1
	s_waitcnt lgkmcnt(0)
	v_add_nc_u32_e32 v1, v2, v1
.LBB728_521:
	s_or_b32 exec_lo, exec_lo, s3
	s_mov_b32 s3, 0
	s_branch .LBB728_574
.LBB728_522:
                                        ; implicit-def: $vgpr1
	s_cbranch_execnz .LBB728_614
	s_branch .LBB728_623
.LBB728_523:
                                        ; implicit-def: $vgpr1
	s_cbranch_execz .LBB728_597
; %bb.524:
	s_cmp_eq_u32 s26, 4
	s_cbranch_scc0 .LBB728_532
; %bb.525:
	s_lshl_b32 s2, s20, 9
	s_lshr_b64 s[6:7], s[16:17], 9
	s_mov_b32 s21, 0
	s_add_u32 s4, s22, s2
	s_addc_u32 s5, s23, 0
	s_cmp_lg_u64 s[6:7], s[20:21]
	s_cbranch_scc0 .LBB728_598
; %bb.526:
	s_clause 0x3
	global_load_u8 v1, v0, s[4:5]
	global_load_u8 v2, v0, s[4:5] offset:128
	global_load_u8 v3, v0, s[4:5] offset:256
	global_load_u8 v4, v0, s[4:5] offset:384
	s_mov_b32 s3, exec_lo
	s_waitcnt vmcnt(2)
	v_add_nc_u16 v1, v2, v1
	s_waitcnt vmcnt(1)
	s_delay_alu instid0(VALU_DEP_1) | instskip(SKIP_1) | instid1(VALU_DEP_1)
	v_add_nc_u16 v1, v1, v3
	s_waitcnt vmcnt(0)
	v_add_nc_u16 v1, v1, v4
	s_delay_alu instid0(VALU_DEP_1) | instskip(NEXT) | instid1(VALU_DEP_1)
	v_and_b32_e32 v1, 15, v1
	v_mov_b32_dpp v2, v1 quad_perm:[1,0,3,2] row_mask:0xf bank_mask:0xf
	s_delay_alu instid0(VALU_DEP_1) | instskip(NEXT) | instid1(VALU_DEP_1)
	v_add_nc_u32_e32 v1, v2, v1
	v_mov_b32_dpp v2, v1 quad_perm:[2,3,0,1] row_mask:0xf bank_mask:0xf
	s_delay_alu instid0(VALU_DEP_1) | instskip(NEXT) | instid1(VALU_DEP_1)
	v_add_nc_u32_e32 v1, v1, v2
	v_mov_b32_dpp v2, v1 row_ror:4 row_mask:0xf bank_mask:0xf
	s_delay_alu instid0(VALU_DEP_1) | instskip(NEXT) | instid1(VALU_DEP_1)
	v_add_nc_u32_e32 v1, v1, v2
	v_mov_b32_dpp v2, v1 row_ror:8 row_mask:0xf bank_mask:0xf
	s_delay_alu instid0(VALU_DEP_1)
	v_add_nc_u32_e32 v1, v1, v2
	ds_swizzle_b32 v2, v1 offset:swizzle(BROADCAST,32,15)
	s_waitcnt lgkmcnt(0)
	v_dual_mov_b32 v2, 0 :: v_dual_add_nc_u32 v1, v1, v2
	ds_bpermute_b32 v1, v2, v1 offset:124
	v_mbcnt_lo_u32_b32 v2, -1, 0
	s_delay_alu instid0(VALU_DEP_1)
	v_cmpx_eq_u32_e32 0, v2
	s_cbranch_execz .LBB728_528
; %bb.527:
	v_lshrrev_b32_e32 v3, 3, v0
	s_delay_alu instid0(VALU_DEP_1)
	v_and_b32_e32 v3, 12, v3
	s_waitcnt lgkmcnt(0)
	ds_store_b32 v3, v1 offset:80
.LBB728_528:
	s_or_b32 exec_lo, exec_lo, s3
	s_delay_alu instid0(SALU_CYCLE_1)
	s_mov_b32 s3, exec_lo
	s_waitcnt lgkmcnt(0)
	s_barrier
	buffer_gl0_inv
	v_cmpx_gt_u32_e32 32, v0
	s_cbranch_execz .LBB728_530
; %bb.529:
	v_and_b32_e32 v1, 3, v2
	s_delay_alu instid0(VALU_DEP_1) | instskip(SKIP_4) | instid1(VALU_DEP_2)
	v_lshlrev_b32_e32 v3, 2, v1
	v_cmp_ne_u32_e32 vcc_lo, 3, v1
	ds_load_b32 v3, v3 offset:80
	v_add_co_ci_u32_e32 v4, vcc_lo, 0, v2, vcc_lo
	v_cmp_gt_u32_e32 vcc_lo, 2, v1
	v_lshlrev_b32_e32 v4, 2, v4
	v_cndmask_b32_e64 v1, 0, 1, vcc_lo
	s_delay_alu instid0(VALU_DEP_1) | instskip(NEXT) | instid1(VALU_DEP_1)
	v_lshlrev_b32_e32 v1, 1, v1
	v_add_lshl_u32 v1, v1, v2, 2
	s_waitcnt lgkmcnt(0)
	ds_bpermute_b32 v4, v4, v3
	s_waitcnt lgkmcnt(0)
	v_add_nc_u32_e32 v3, v4, v3
	ds_bpermute_b32 v1, v1, v3
	s_waitcnt lgkmcnt(0)
	v_add_nc_u32_e32 v1, v1, v3
.LBB728_530:
	s_or_b32 exec_lo, exec_lo, s3
	s_mov_b32 s3, 0
	s_branch .LBB728_599
.LBB728_531:
                                        ; implicit-def: $vgpr1
	s_branch .LBB728_597
.LBB728_532:
                                        ; implicit-def: $vgpr1
	s_branch .LBB728_623
.LBB728_533:
	s_mov_b32 s3, -1
                                        ; implicit-def: $vgpr1
.LBB728_534:
	s_delay_alu instid0(SALU_CYCLE_1)
	s_and_b32 vcc_lo, exec_lo, s3
	s_cbranch_vccz .LBB728_572
; %bb.535:
	s_sub_i32 s27, s16, s2
	s_mov_b32 s2, exec_lo
                                        ; implicit-def: $vgpr1_vgpr2_vgpr3_vgpr4_vgpr5_vgpr6_vgpr7_vgpr8_vgpr9_vgpr10_vgpr11_vgpr12_vgpr13_vgpr14_vgpr15_vgpr16
	v_cmpx_gt_u32_e64 s27, v0
	s_cbranch_execz .LBB728_537
; %bb.536:
	global_load_u8 v1, v0, s[24:25]
.LBB728_537:
	s_or_b32 exec_lo, exec_lo, s2
	v_or_b32_e32 v17, 0x80, v0
	s_delay_alu instid0(VALU_DEP_1)
	v_cmp_gt_u32_e32 vcc_lo, s27, v17
	s_and_saveexec_b32 s2, vcc_lo
	s_cbranch_execz .LBB728_539
; %bb.538:
	global_load_u8 v2, v0, s[24:25] offset:128
.LBB728_539:
	s_or_b32 exec_lo, exec_lo, s2
	v_or_b32_e32 v17, 0x100, v0
	s_delay_alu instid0(VALU_DEP_1) | instskip(NEXT) | instid1(VALU_DEP_1)
	v_cmp_gt_u32_e64 s2, s27, v17
	s_and_saveexec_b32 s3, s2
	s_cbranch_execz .LBB728_541
; %bb.540:
	global_load_u8 v3, v0, s[24:25] offset:256
.LBB728_541:
	s_or_b32 exec_lo, exec_lo, s3
	v_or_b32_e32 v17, 0x180, v0
	s_delay_alu instid0(VALU_DEP_1) | instskip(NEXT) | instid1(VALU_DEP_1)
	v_cmp_gt_u32_e64 s3, s27, v17
	s_and_saveexec_b32 s4, s3
	;; [unrolled: 9-line block ×14, first 2 shown]
	s_cbranch_execz .LBB728_567
; %bb.566:
	global_load_u8 v16, v0, s[24:25] offset:1920
.LBB728_567:
	s_or_b32 exec_lo, exec_lo, s28
	s_waitcnt vmcnt(0)
	v_cndmask_b32_e32 v2, 0, v2, vcc_lo
	v_cndmask_b32_e64 v3, 0, v3, s2
	v_cndmask_b32_e64 v4, 0, v4, s3
	s_min_u32 s2, s27, 0x80
	s_mov_b32 s3, exec_lo
	v_add_nc_u32_e32 v1, v2, v1
	v_cndmask_b32_e64 v2, 0, v5, s4
	v_cndmask_b32_e64 v5, 0, v6, s5
	;; [unrolled: 1-line block ×3, first 2 shown]
	s_delay_alu instid0(VALU_DEP_4) | instskip(SKIP_3) | instid1(VALU_DEP_4)
	v_add3_u32 v1, v1, v3, v4
	v_cndmask_b32_e64 v3, 0, v7, s6
	v_cndmask_b32_e64 v4, 0, v8, s7
	;; [unrolled: 1-line block ×3, first 2 shown]
	v_add3_u32 v1, v1, v2, v5
	v_cndmask_b32_e64 v2, 0, v9, s8
	v_cndmask_b32_e64 v5, 0, v10, s9
	s_delay_alu instid0(VALU_DEP_3) | instskip(SKIP_2) | instid1(VALU_DEP_3)
	v_add3_u32 v1, v1, v3, v4
	v_cndmask_b32_e64 v3, 0, v11, s10
	v_cndmask_b32_e64 v4, 0, v12, s11
	v_add3_u32 v1, v1, v2, v5
	v_mbcnt_lo_u32_b32 v2, -1, 0
	v_cndmask_b32_e64 v5, 0, v13, s12
	s_delay_alu instid0(VALU_DEP_3) | instskip(NEXT) | instid1(VALU_DEP_3)
	v_add3_u32 v1, v1, v3, v4
	v_cmp_ne_u32_e32 vcc_lo, 31, v2
	v_cndmask_b32_e64 v3, 0, v16, s15
	s_delay_alu instid0(VALU_DEP_3) | instskip(SKIP_3) | instid1(VALU_DEP_4)
	v_add3_u32 v1, v1, v5, v6
	v_add_co_ci_u32_e32 v4, vcc_lo, 0, v2, vcc_lo
	v_cmp_gt_u32_e32 vcc_lo, 30, v2
	v_add_nc_u32_e32 v6, 1, v2
	v_add3_u32 v1, v1, v7, v3
	s_delay_alu instid0(VALU_DEP_4) | instskip(SKIP_4) | instid1(VALU_DEP_2)
	v_lshlrev_b32_e32 v4, 2, v4
	v_cndmask_b32_e64 v5, 0, 1, vcc_lo
	ds_bpermute_b32 v3, v4, v1
	v_and_b32_e32 v4, 0x60, v0
	v_lshlrev_b32_e32 v5, 1, v5
	v_sub_nc_u32_e64 v4, s2, v4 clamp
	s_delay_alu instid0(VALU_DEP_2) | instskip(NEXT) | instid1(VALU_DEP_2)
	v_add_lshl_u32 v5, v5, v2, 2
	v_cmp_lt_u32_e32 vcc_lo, v6, v4
	s_waitcnt lgkmcnt(0)
	v_dual_cndmask_b32 v3, 0, v3 :: v_dual_add_nc_u32 v6, 2, v2
	v_cmp_gt_u32_e32 vcc_lo, 28, v2
	s_delay_alu instid0(VALU_DEP_2) | instskip(SKIP_4) | instid1(VALU_DEP_3)
	v_add_nc_u32_e32 v1, v1, v3
	ds_bpermute_b32 v3, v5, v1
	v_cndmask_b32_e64 v5, 0, 1, vcc_lo
	v_cmp_lt_u32_e32 vcc_lo, v6, v4
	v_add_nc_u32_e32 v6, 4, v2
	v_lshlrev_b32_e32 v5, 2, v5
	s_delay_alu instid0(VALU_DEP_1) | instskip(SKIP_3) | instid1(VALU_DEP_2)
	v_add_lshl_u32 v5, v5, v2, 2
	s_waitcnt lgkmcnt(0)
	v_cndmask_b32_e32 v3, 0, v3, vcc_lo
	v_cmp_gt_u32_e32 vcc_lo, 24, v2
	v_add_nc_u32_e32 v1, v1, v3
	ds_bpermute_b32 v3, v5, v1
	v_cndmask_b32_e64 v5, 0, 1, vcc_lo
	v_cmp_lt_u32_e32 vcc_lo, v6, v4
	v_add_nc_u32_e32 v6, 8, v2
	s_delay_alu instid0(VALU_DEP_3) | instskip(NEXT) | instid1(VALU_DEP_1)
	v_lshlrev_b32_e32 v5, 3, v5
	v_add_lshl_u32 v5, v5, v2, 2
	s_waitcnt lgkmcnt(0)
	v_cndmask_b32_e32 v3, 0, v3, vcc_lo
	v_cmp_gt_u32_e32 vcc_lo, 16, v2
	s_delay_alu instid0(VALU_DEP_2) | instskip(SKIP_3) | instid1(VALU_DEP_2)
	v_add_nc_u32_e32 v1, v1, v3
	ds_bpermute_b32 v3, v5, v1
	v_cndmask_b32_e64 v5, 0, 1, vcc_lo
	v_cmp_lt_u32_e32 vcc_lo, v6, v4
	v_lshlrev_b32_e32 v5, 4, v5
	s_delay_alu instid0(VALU_DEP_1) | instskip(SKIP_2) | instid1(VALU_DEP_1)
	v_add_lshl_u32 v5, v5, v2, 2
	s_waitcnt lgkmcnt(0)
	v_cndmask_b32_e32 v3, 0, v3, vcc_lo
	v_add_nc_u32_e32 v1, v1, v3
	ds_bpermute_b32 v3, v5, v1
	v_add_nc_u32_e32 v5, 16, v2
	s_delay_alu instid0(VALU_DEP_1) | instskip(SKIP_2) | instid1(VALU_DEP_1)
	v_cmp_lt_u32_e32 vcc_lo, v5, v4
	s_waitcnt lgkmcnt(0)
	v_cndmask_b32_e32 v3, 0, v3, vcc_lo
	v_add_nc_u32_e32 v1, v1, v3
	v_cmpx_eq_u32_e32 0, v2
	s_cbranch_execz .LBB728_569
; %bb.568:
	v_lshrrev_b32_e32 v3, 3, v0
	s_delay_alu instid0(VALU_DEP_1)
	v_and_b32_e32 v3, 12, v3
	ds_store_b32 v3, v1 offset:128
.LBB728_569:
	s_or_b32 exec_lo, exec_lo, s3
	s_delay_alu instid0(SALU_CYCLE_1)
	s_mov_b32 s3, exec_lo
	s_waitcnt lgkmcnt(0)
	s_barrier
	buffer_gl0_inv
	v_cmpx_gt_u32_e32 4, v0
	s_cbranch_execz .LBB728_571
; %bb.570:
	v_and_b32_e32 v3, 3, v2
	s_add_i32 s2, s2, 31
	s_delay_alu instid0(SALU_CYCLE_1) | instskip(NEXT) | instid1(VALU_DEP_1)
	s_lshr_b32 s2, s2, 5
	v_cmp_ne_u32_e32 vcc_lo, 3, v3
	v_add_nc_u32_e32 v5, 1, v3
	v_add_co_ci_u32_e32 v4, vcc_lo, 0, v2, vcc_lo
	v_cmp_gt_u32_e32 vcc_lo, 2, v3
	v_add_nc_u32_e32 v3, 2, v3
	s_delay_alu instid0(VALU_DEP_3) | instskip(SKIP_3) | instid1(VALU_DEP_3)
	v_lshlrev_b32_e32 v4, 2, v4
	v_cndmask_b32_e64 v6, 0, 1, vcc_lo
	v_cmp_gt_u32_e32 vcc_lo, s2, v5
	v_lshlrev_b32_e32 v1, 2, v2
	v_lshlrev_b32_e32 v5, 1, v6
	ds_load_b32 v1, v1 offset:128
	v_add_lshl_u32 v2, v5, v2, 2
	s_waitcnt lgkmcnt(0)
	ds_bpermute_b32 v4, v4, v1
	s_waitcnt lgkmcnt(0)
	v_cndmask_b32_e32 v4, 0, v4, vcc_lo
	v_cmp_gt_u32_e32 vcc_lo, s2, v3
	s_delay_alu instid0(VALU_DEP_2) | instskip(SKIP_3) | instid1(VALU_DEP_1)
	v_add_nc_u32_e32 v1, v4, v1
	ds_bpermute_b32 v2, v2, v1
	s_waitcnt lgkmcnt(0)
	v_cndmask_b32_e32 v2, 0, v2, vcc_lo
	v_add_nc_u32_e32 v1, v1, v2
.LBB728_571:
	s_or_b32 exec_lo, exec_lo, s3
.LBB728_572:
	v_cmp_eq_u32_e64 s2, 0, v0
	s_branch .LBB728_623
.LBB728_573:
	s_mov_b32 s3, -1
                                        ; implicit-def: $vgpr1
.LBB728_574:
	s_delay_alu instid0(SALU_CYCLE_1)
	s_and_b32 vcc_lo, exec_lo, s3
	s_cbranch_vccz .LBB728_596
; %bb.575:
	s_sub_i32 s10, s16, s2
	s_mov_b32 s2, exec_lo
                                        ; implicit-def: $vgpr1_vgpr2_vgpr3_vgpr4_vgpr5_vgpr6_vgpr7_vgpr8
	v_cmpx_gt_u32_e64 s10, v0
	s_cbranch_execz .LBB728_577
; %bb.576:
	global_load_u8 v1, v0, s[8:9]
.LBB728_577:
	s_or_b32 exec_lo, exec_lo, s2
	v_or_b32_e32 v9, 0x80, v0
	s_delay_alu instid0(VALU_DEP_1)
	v_cmp_gt_u32_e32 vcc_lo, s10, v9
	s_and_saveexec_b32 s2, vcc_lo
	s_cbranch_execz .LBB728_579
; %bb.578:
	global_load_u8 v2, v0, s[8:9] offset:128
.LBB728_579:
	s_or_b32 exec_lo, exec_lo, s2
	v_or_b32_e32 v9, 0x100, v0
	s_delay_alu instid0(VALU_DEP_1) | instskip(NEXT) | instid1(VALU_DEP_1)
	v_cmp_gt_u32_e64 s2, s10, v9
	s_and_saveexec_b32 s3, s2
	s_cbranch_execz .LBB728_581
; %bb.580:
	global_load_u8 v3, v0, s[8:9] offset:256
.LBB728_581:
	s_or_b32 exec_lo, exec_lo, s3
	v_or_b32_e32 v9, 0x180, v0
	s_delay_alu instid0(VALU_DEP_1) | instskip(NEXT) | instid1(VALU_DEP_1)
	v_cmp_gt_u32_e64 s3, s10, v9
	s_and_saveexec_b32 s4, s3
	;; [unrolled: 9-line block ×6, first 2 shown]
	s_cbranch_execz .LBB728_591
; %bb.590:
	global_load_u8 v8, v0, s[8:9] offset:896
.LBB728_591:
	s_or_b32 exec_lo, exec_lo, s11
	s_waitcnt vmcnt(0)
	v_cndmask_b32_e32 v2, 0, v2, vcc_lo
	v_cndmask_b32_e64 v3, 0, v3, s2
	v_cndmask_b32_e64 v4, 0, v4, s3
	;; [unrolled: 1-line block ×4, first 2 shown]
	v_add_nc_u32_e32 v1, v2, v1
	v_mbcnt_lo_u32_b32 v2, -1, 0
	v_cndmask_b32_e64 v7, 0, v7, s6
	s_min_u32 s2, s10, 0x80
	s_mov_b32 s3, exec_lo
	v_add3_u32 v1, v1, v3, v4
	v_cmp_ne_u32_e32 vcc_lo, 31, v2
	v_cndmask_b32_e64 v3, 0, v8, s7
	s_delay_alu instid0(VALU_DEP_3) | instskip(SKIP_3) | instid1(VALU_DEP_4)
	v_add3_u32 v1, v1, v5, v6
	v_add_co_ci_u32_e32 v4, vcc_lo, 0, v2, vcc_lo
	v_cmp_gt_u32_e32 vcc_lo, 30, v2
	v_add_nc_u32_e32 v6, 1, v2
	v_add3_u32 v1, v1, v7, v3
	s_delay_alu instid0(VALU_DEP_4) | instskip(SKIP_4) | instid1(VALU_DEP_2)
	v_lshlrev_b32_e32 v4, 2, v4
	v_cndmask_b32_e64 v5, 0, 1, vcc_lo
	ds_bpermute_b32 v3, v4, v1
	v_and_b32_e32 v4, 0x60, v0
	v_lshlrev_b32_e32 v5, 1, v5
	v_sub_nc_u32_e64 v4, s2, v4 clamp
	s_delay_alu instid0(VALU_DEP_2) | instskip(NEXT) | instid1(VALU_DEP_2)
	v_add_lshl_u32 v5, v5, v2, 2
	v_cmp_lt_u32_e32 vcc_lo, v6, v4
	s_waitcnt lgkmcnt(0)
	v_dual_cndmask_b32 v3, 0, v3 :: v_dual_add_nc_u32 v6, 2, v2
	v_cmp_gt_u32_e32 vcc_lo, 28, v2
	s_delay_alu instid0(VALU_DEP_2) | instskip(SKIP_4) | instid1(VALU_DEP_3)
	v_add_nc_u32_e32 v1, v1, v3
	ds_bpermute_b32 v3, v5, v1
	v_cndmask_b32_e64 v5, 0, 1, vcc_lo
	v_cmp_lt_u32_e32 vcc_lo, v6, v4
	v_add_nc_u32_e32 v6, 4, v2
	v_lshlrev_b32_e32 v5, 2, v5
	s_delay_alu instid0(VALU_DEP_1) | instskip(SKIP_3) | instid1(VALU_DEP_2)
	v_add_lshl_u32 v5, v5, v2, 2
	s_waitcnt lgkmcnt(0)
	v_cndmask_b32_e32 v3, 0, v3, vcc_lo
	v_cmp_gt_u32_e32 vcc_lo, 24, v2
	v_add_nc_u32_e32 v1, v1, v3
	ds_bpermute_b32 v3, v5, v1
	v_cndmask_b32_e64 v5, 0, 1, vcc_lo
	v_cmp_lt_u32_e32 vcc_lo, v6, v4
	v_add_nc_u32_e32 v6, 8, v2
	s_delay_alu instid0(VALU_DEP_3) | instskip(NEXT) | instid1(VALU_DEP_1)
	v_lshlrev_b32_e32 v5, 3, v5
	v_add_lshl_u32 v5, v5, v2, 2
	s_waitcnt lgkmcnt(0)
	v_cndmask_b32_e32 v3, 0, v3, vcc_lo
	v_cmp_gt_u32_e32 vcc_lo, 16, v2
	s_delay_alu instid0(VALU_DEP_2) | instskip(SKIP_3) | instid1(VALU_DEP_2)
	v_add_nc_u32_e32 v1, v1, v3
	ds_bpermute_b32 v3, v5, v1
	v_cndmask_b32_e64 v5, 0, 1, vcc_lo
	v_cmp_lt_u32_e32 vcc_lo, v6, v4
	v_lshlrev_b32_e32 v5, 4, v5
	s_delay_alu instid0(VALU_DEP_1) | instskip(SKIP_2) | instid1(VALU_DEP_1)
	v_add_lshl_u32 v5, v5, v2, 2
	s_waitcnt lgkmcnt(0)
	v_cndmask_b32_e32 v3, 0, v3, vcc_lo
	v_add_nc_u32_e32 v1, v1, v3
	ds_bpermute_b32 v3, v5, v1
	v_add_nc_u32_e32 v5, 16, v2
	s_delay_alu instid0(VALU_DEP_1) | instskip(SKIP_2) | instid1(VALU_DEP_1)
	v_cmp_lt_u32_e32 vcc_lo, v5, v4
	s_waitcnt lgkmcnt(0)
	v_cndmask_b32_e32 v3, 0, v3, vcc_lo
	v_add_nc_u32_e32 v1, v1, v3
	v_cmpx_eq_u32_e32 0, v2
	s_cbranch_execz .LBB728_593
; %bb.592:
	v_lshrrev_b32_e32 v3, 3, v0
	s_delay_alu instid0(VALU_DEP_1)
	v_and_b32_e32 v3, 12, v3
	ds_store_b32 v3, v1 offset:128
.LBB728_593:
	s_or_b32 exec_lo, exec_lo, s3
	s_delay_alu instid0(SALU_CYCLE_1)
	s_mov_b32 s3, exec_lo
	s_waitcnt lgkmcnt(0)
	s_barrier
	buffer_gl0_inv
	v_cmpx_gt_u32_e32 4, v0
	s_cbranch_execz .LBB728_595
; %bb.594:
	v_and_b32_e32 v3, 3, v2
	s_add_i32 s2, s2, 31
	s_delay_alu instid0(SALU_CYCLE_1) | instskip(NEXT) | instid1(VALU_DEP_1)
	s_lshr_b32 s2, s2, 5
	v_cmp_ne_u32_e32 vcc_lo, 3, v3
	v_add_nc_u32_e32 v5, 1, v3
	v_add_co_ci_u32_e32 v4, vcc_lo, 0, v2, vcc_lo
	v_cmp_gt_u32_e32 vcc_lo, 2, v3
	v_add_nc_u32_e32 v3, 2, v3
	s_delay_alu instid0(VALU_DEP_3) | instskip(SKIP_3) | instid1(VALU_DEP_3)
	v_lshlrev_b32_e32 v4, 2, v4
	v_cndmask_b32_e64 v6, 0, 1, vcc_lo
	v_cmp_gt_u32_e32 vcc_lo, s2, v5
	v_lshlrev_b32_e32 v1, 2, v2
	v_lshlrev_b32_e32 v5, 1, v6
	ds_load_b32 v1, v1 offset:128
	v_add_lshl_u32 v2, v5, v2, 2
	s_waitcnt lgkmcnt(0)
	ds_bpermute_b32 v4, v4, v1
	s_waitcnt lgkmcnt(0)
	v_cndmask_b32_e32 v4, 0, v4, vcc_lo
	v_cmp_gt_u32_e32 vcc_lo, s2, v3
	s_delay_alu instid0(VALU_DEP_2) | instskip(SKIP_3) | instid1(VALU_DEP_1)
	v_add_nc_u32_e32 v1, v4, v1
	ds_bpermute_b32 v2, v2, v1
	s_waitcnt lgkmcnt(0)
	v_cndmask_b32_e32 v2, 0, v2, vcc_lo
	v_add_nc_u32_e32 v1, v1, v2
.LBB728_595:
	s_or_b32 exec_lo, exec_lo, s3
.LBB728_596:
	v_cmp_eq_u32_e64 s2, 0, v0
.LBB728_597:
	s_branch .LBB728_623
.LBB728_598:
	s_mov_b32 s3, -1
                                        ; implicit-def: $vgpr1
.LBB728_599:
	s_delay_alu instid0(SALU_CYCLE_1)
	s_and_b32 vcc_lo, exec_lo, s3
	s_cbranch_vccz .LBB728_613
; %bb.600:
	s_sub_i32 s6, s16, s2
	s_mov_b32 s2, exec_lo
                                        ; implicit-def: $vgpr1_vgpr2_vgpr3_vgpr4
	v_cmpx_gt_u32_e64 s6, v0
	s_cbranch_execz .LBB728_602
; %bb.601:
	global_load_u8 v1, v0, s[4:5]
.LBB728_602:
	s_or_b32 exec_lo, exec_lo, s2
	v_or_b32_e32 v5, 0x80, v0
	s_delay_alu instid0(VALU_DEP_1)
	v_cmp_gt_u32_e32 vcc_lo, s6, v5
	s_and_saveexec_b32 s2, vcc_lo
	s_cbranch_execz .LBB728_604
; %bb.603:
	global_load_u8 v2, v0, s[4:5] offset:128
.LBB728_604:
	s_or_b32 exec_lo, exec_lo, s2
	v_or_b32_e32 v5, 0x100, v0
	s_delay_alu instid0(VALU_DEP_1) | instskip(NEXT) | instid1(VALU_DEP_1)
	v_cmp_gt_u32_e64 s2, s6, v5
	s_and_saveexec_b32 s3, s2
	s_cbranch_execz .LBB728_606
; %bb.605:
	global_load_u8 v3, v0, s[4:5] offset:256
.LBB728_606:
	s_or_b32 exec_lo, exec_lo, s3
	v_or_b32_e32 v5, 0x180, v0
	s_delay_alu instid0(VALU_DEP_1) | instskip(NEXT) | instid1(VALU_DEP_1)
	v_cmp_gt_u32_e64 s3, s6, v5
	s_and_saveexec_b32 s7, s3
	s_cbranch_execz .LBB728_608
; %bb.607:
	global_load_u8 v4, v0, s[4:5] offset:384
.LBB728_608:
	s_or_b32 exec_lo, exec_lo, s7
	s_waitcnt vmcnt(0)
	v_cndmask_b32_e32 v5, 0, v2, vcc_lo
	v_mbcnt_lo_u32_b32 v2, -1, 0
	v_cndmask_b32_e64 v3, 0, v3, s2
	v_cndmask_b32_e64 v4, 0, v4, s3
	s_min_u32 s2, s6, 0x80
	v_add_nc_u32_e32 v1, v5, v1
	v_cmp_ne_u32_e32 vcc_lo, 31, v2
	s_mov_b32 s3, exec_lo
	s_delay_alu instid0(VALU_DEP_2) | instskip(SKIP_3) | instid1(VALU_DEP_3)
	v_add3_u32 v1, v1, v3, v4
	v_and_b32_e32 v4, 0x60, v0
	v_add_co_ci_u32_e32 v5, vcc_lo, 0, v2, vcc_lo
	v_cmp_gt_u32_e32 vcc_lo, 30, v2
	v_sub_nc_u32_e64 v4, s2, v4 clamp
	s_delay_alu instid0(VALU_DEP_3) | instskip(SKIP_4) | instid1(VALU_DEP_2)
	v_lshlrev_b32_e32 v3, 2, v5
	v_cndmask_b32_e64 v5, 0, 1, vcc_lo
	ds_bpermute_b32 v3, v3, v1
	v_add_nc_u32_e32 v6, 1, v2
	v_lshlrev_b32_e32 v5, 1, v5
	v_cmp_lt_u32_e32 vcc_lo, v6, v4
	s_delay_alu instid0(VALU_DEP_2) | instskip(SKIP_3) | instid1(VALU_DEP_2)
	v_add_lshl_u32 v5, v5, v2, 2
	s_waitcnt lgkmcnt(0)
	v_cndmask_b32_e32 v3, 0, v3, vcc_lo
	v_cmp_gt_u32_e32 vcc_lo, 28, v2
	v_add_nc_u32_e32 v1, v3, v1
	ds_bpermute_b32 v3, v5, v1
	v_add_nc_u32_e32 v6, 2, v2
	v_cndmask_b32_e64 v5, 0, 1, vcc_lo
	s_delay_alu instid0(VALU_DEP_2) | instskip(NEXT) | instid1(VALU_DEP_2)
	v_cmp_lt_u32_e32 vcc_lo, v6, v4
	v_lshlrev_b32_e32 v5, 2, v5
	s_delay_alu instid0(VALU_DEP_1) | instskip(SKIP_3) | instid1(VALU_DEP_2)
	v_add_lshl_u32 v5, v5, v2, 2
	s_waitcnt lgkmcnt(0)
	v_cndmask_b32_e32 v3, 0, v3, vcc_lo
	v_cmp_gt_u32_e32 vcc_lo, 24, v2
	v_add_nc_u32_e32 v1, v1, v3
	ds_bpermute_b32 v3, v5, v1
	v_add_nc_u32_e32 v6, 4, v2
	v_cndmask_b32_e64 v5, 0, 1, vcc_lo
	s_delay_alu instid0(VALU_DEP_2) | instskip(NEXT) | instid1(VALU_DEP_2)
	v_cmp_lt_u32_e32 vcc_lo, v6, v4
	v_lshlrev_b32_e32 v5, 3, v5
	s_delay_alu instid0(VALU_DEP_1) | instskip(SKIP_3) | instid1(VALU_DEP_2)
	v_add_lshl_u32 v5, v5, v2, 2
	s_waitcnt lgkmcnt(0)
	v_cndmask_b32_e32 v3, 0, v3, vcc_lo
	v_cmp_gt_u32_e32 vcc_lo, 16, v2
	v_add_nc_u32_e32 v1, v1, v3
	ds_bpermute_b32 v3, v5, v1
	v_add_nc_u32_e32 v6, 8, v2
	v_cndmask_b32_e64 v5, 0, 1, vcc_lo
	s_delay_alu instid0(VALU_DEP_2) | instskip(NEXT) | instid1(VALU_DEP_2)
	v_cmp_lt_u32_e32 vcc_lo, v6, v4
	v_lshlrev_b32_e32 v5, 4, v5
	s_delay_alu instid0(VALU_DEP_1) | instskip(SKIP_2) | instid1(VALU_DEP_1)
	v_add_lshl_u32 v5, v5, v2, 2
	s_waitcnt lgkmcnt(0)
	v_cndmask_b32_e32 v3, 0, v3, vcc_lo
	v_add_nc_u32_e32 v1, v1, v3
	ds_bpermute_b32 v3, v5, v1
	v_add_nc_u32_e32 v5, 16, v2
	s_delay_alu instid0(VALU_DEP_1) | instskip(SKIP_2) | instid1(VALU_DEP_1)
	v_cmp_lt_u32_e32 vcc_lo, v5, v4
	s_waitcnt lgkmcnt(0)
	v_cndmask_b32_e32 v3, 0, v3, vcc_lo
	v_add_nc_u32_e32 v1, v1, v3
	v_cmpx_eq_u32_e32 0, v2
	s_cbranch_execz .LBB728_610
; %bb.609:
	v_lshrrev_b32_e32 v3, 3, v0
	s_delay_alu instid0(VALU_DEP_1)
	v_and_b32_e32 v3, 12, v3
	ds_store_b32 v3, v1 offset:128
.LBB728_610:
	s_or_b32 exec_lo, exec_lo, s3
	s_delay_alu instid0(SALU_CYCLE_1)
	s_mov_b32 s3, exec_lo
	s_waitcnt lgkmcnt(0)
	s_barrier
	buffer_gl0_inv
	v_cmpx_gt_u32_e32 4, v0
	s_cbranch_execz .LBB728_612
; %bb.611:
	v_and_b32_e32 v3, 3, v2
	s_add_i32 s2, s2, 31
	s_delay_alu instid0(SALU_CYCLE_1) | instskip(NEXT) | instid1(VALU_DEP_1)
	s_lshr_b32 s2, s2, 5
	v_cmp_ne_u32_e32 vcc_lo, 3, v3
	v_add_nc_u32_e32 v5, 1, v3
	v_add_co_ci_u32_e32 v4, vcc_lo, 0, v2, vcc_lo
	v_cmp_gt_u32_e32 vcc_lo, 2, v3
	v_add_nc_u32_e32 v3, 2, v3
	s_delay_alu instid0(VALU_DEP_3) | instskip(SKIP_3) | instid1(VALU_DEP_3)
	v_lshlrev_b32_e32 v4, 2, v4
	v_cndmask_b32_e64 v6, 0, 1, vcc_lo
	v_cmp_gt_u32_e32 vcc_lo, s2, v5
	v_lshlrev_b32_e32 v1, 2, v2
	v_lshlrev_b32_e32 v5, 1, v6
	ds_load_b32 v1, v1 offset:128
	v_add_lshl_u32 v2, v5, v2, 2
	s_waitcnt lgkmcnt(0)
	ds_bpermute_b32 v4, v4, v1
	s_waitcnt lgkmcnt(0)
	v_cndmask_b32_e32 v4, 0, v4, vcc_lo
	v_cmp_gt_u32_e32 vcc_lo, s2, v3
	s_delay_alu instid0(VALU_DEP_2) | instskip(SKIP_3) | instid1(VALU_DEP_1)
	v_add_nc_u32_e32 v1, v4, v1
	ds_bpermute_b32 v2, v2, v1
	s_waitcnt lgkmcnt(0)
	v_cndmask_b32_e32 v2, 0, v2, vcc_lo
	v_add_nc_u32_e32 v1, v1, v2
.LBB728_612:
	s_or_b32 exec_lo, exec_lo, s3
.LBB728_613:
	v_cmp_eq_u32_e64 s2, 0, v0
	s_branch .LBB728_623
.LBB728_614:
	s_cmp_gt_i32 s26, 1
	s_cbranch_scc0 .LBB728_622
; %bb.615:
	s_cmp_eq_u32 s26, 2
	s_cbranch_scc0 .LBB728_626
; %bb.616:
	s_lshl_b32 s4, s20, 8
	s_lshr_b64 s[6:7], s[16:17], 8
	s_mov_b32 s21, 0
	s_add_u32 s2, s22, s4
	s_addc_u32 s3, s23, 0
	s_cmp_lg_u64 s[6:7], s[20:21]
	s_cbranch_scc0 .LBB728_627
; %bb.617:
	s_clause 0x1
	global_load_u8 v1, v0, s[2:3]
	global_load_u8 v2, v0, s[2:3] offset:128
	s_mov_b32 s5, exec_lo
	s_waitcnt vmcnt(0)
	v_add_nc_u16 v1, v2, v1
	s_delay_alu instid0(VALU_DEP_1) | instskip(NEXT) | instid1(VALU_DEP_1)
	v_and_b32_e32 v1, 3, v1
	v_mov_b32_dpp v2, v1 quad_perm:[1,0,3,2] row_mask:0xf bank_mask:0xf
	s_delay_alu instid0(VALU_DEP_1) | instskip(NEXT) | instid1(VALU_DEP_1)
	v_add_nc_u32_e32 v1, v2, v1
	v_mov_b32_dpp v2, v1 quad_perm:[2,3,0,1] row_mask:0xf bank_mask:0xf
	s_delay_alu instid0(VALU_DEP_1) | instskip(NEXT) | instid1(VALU_DEP_1)
	v_add_nc_u32_e32 v1, v1, v2
	v_mov_b32_dpp v2, v1 row_ror:4 row_mask:0xf bank_mask:0xf
	s_delay_alu instid0(VALU_DEP_1) | instskip(NEXT) | instid1(VALU_DEP_1)
	v_add_nc_u32_e32 v1, v1, v2
	v_mov_b32_dpp v2, v1 row_ror:8 row_mask:0xf bank_mask:0xf
	s_delay_alu instid0(VALU_DEP_1)
	v_add_nc_u32_e32 v1, v1, v2
	ds_swizzle_b32 v2, v1 offset:swizzle(BROADCAST,32,15)
	s_waitcnt lgkmcnt(0)
	v_dual_mov_b32 v2, 0 :: v_dual_add_nc_u32 v1, v1, v2
	ds_bpermute_b32 v1, v2, v1 offset:124
	v_mbcnt_lo_u32_b32 v2, -1, 0
	s_delay_alu instid0(VALU_DEP_1)
	v_cmpx_eq_u32_e32 0, v2
	s_cbranch_execz .LBB728_619
; %bb.618:
	v_lshrrev_b32_e32 v3, 3, v0
	s_delay_alu instid0(VALU_DEP_1)
	v_and_b32_e32 v3, 12, v3
	s_waitcnt lgkmcnt(0)
	ds_store_b32 v3, v1 offset:48
.LBB728_619:
	s_or_b32 exec_lo, exec_lo, s5
	s_delay_alu instid0(SALU_CYCLE_1)
	s_mov_b32 s5, exec_lo
	s_waitcnt lgkmcnt(0)
	s_barrier
	buffer_gl0_inv
	v_cmpx_gt_u32_e32 32, v0
	s_cbranch_execz .LBB728_621
; %bb.620:
	v_and_b32_e32 v1, 3, v2
	s_delay_alu instid0(VALU_DEP_1) | instskip(SKIP_4) | instid1(VALU_DEP_2)
	v_lshlrev_b32_e32 v3, 2, v1
	v_cmp_ne_u32_e32 vcc_lo, 3, v1
	ds_load_b32 v3, v3 offset:48
	v_add_co_ci_u32_e32 v4, vcc_lo, 0, v2, vcc_lo
	v_cmp_gt_u32_e32 vcc_lo, 2, v1
	v_lshlrev_b32_e32 v4, 2, v4
	v_cndmask_b32_e64 v1, 0, 1, vcc_lo
	s_delay_alu instid0(VALU_DEP_1) | instskip(NEXT) | instid1(VALU_DEP_1)
	v_lshlrev_b32_e32 v1, 1, v1
	v_add_lshl_u32 v1, v1, v2, 2
	s_waitcnt lgkmcnt(0)
	ds_bpermute_b32 v4, v4, v3
	s_waitcnt lgkmcnt(0)
	v_add_nc_u32_e32 v3, v4, v3
	ds_bpermute_b32 v1, v1, v3
	s_waitcnt lgkmcnt(0)
	v_add_nc_u32_e32 v1, v1, v3
.LBB728_621:
	s_or_b32 exec_lo, exec_lo, s5
	s_mov_b32 s5, 0
	s_branch .LBB728_628
.LBB728_622:
                                        ; implicit-def: $vgpr1
	s_cbranch_execnz .LBB728_639
.LBB728_623:
	s_delay_alu instid0(VALU_DEP_1)
	s_and_saveexec_b32 s3, s2
	s_cbranch_execz .LBB728_625
.LBB728_624:
	s_load_b32 s2, s[0:1], 0x28
	s_lshl_b64 s[0:1], s[20:21], 2
	s_delay_alu instid0(SALU_CYCLE_1)
	s_add_u32 s0, s18, s0
	s_addc_u32 s1, s19, s1
	s_cmp_lg_u64 s[16:17], 0
	s_cselect_b32 vcc_lo, -1, 0
	v_dual_cndmask_b32 v0, 0, v1 :: v_dual_mov_b32 v1, 0
	s_waitcnt lgkmcnt(0)
	s_delay_alu instid0(VALU_DEP_1)
	v_add_nc_u32_e32 v0, s2, v0
	global_store_b32 v1, v0, s[0:1]
.LBB728_625:
	s_nop 0
	s_sendmsg sendmsg(MSG_DEALLOC_VGPRS)
	s_endpgm
.LBB728_626:
                                        ; implicit-def: $vgpr1
	s_branch .LBB728_623
.LBB728_627:
	s_mov_b32 s5, -1
                                        ; implicit-def: $vgpr1
.LBB728_628:
	s_delay_alu instid0(SALU_CYCLE_1)
	s_and_b32 vcc_lo, exec_lo, s5
	s_cbranch_vccz .LBB728_638
; %bb.629:
	s_sub_i32 s4, s16, s4
	s_mov_b32 s5, exec_lo
                                        ; implicit-def: $vgpr1_vgpr2
	v_cmpx_gt_u32_e64 s4, v0
	s_cbranch_execz .LBB728_631
; %bb.630:
	global_load_u8 v1, v0, s[2:3]
.LBB728_631:
	s_or_b32 exec_lo, exec_lo, s5
	v_or_b32_e32 v3, 0x80, v0
	s_delay_alu instid0(VALU_DEP_1)
	v_cmp_gt_u32_e32 vcc_lo, s4, v3
	s_and_saveexec_b32 s5, vcc_lo
	s_cbranch_execz .LBB728_633
; %bb.632:
	global_load_u8 v2, v0, s[2:3] offset:128
.LBB728_633:
	s_or_b32 exec_lo, exec_lo, s5
	v_mbcnt_lo_u32_b32 v3, -1, 0
	s_waitcnt vmcnt(0)
	v_cndmask_b32_e32 v2, 0, v2, vcc_lo
	s_min_u32 s2, s4, 0x80
	s_mov_b32 s3, exec_lo
	v_cmp_ne_u32_e32 vcc_lo, 31, v3
	v_add_nc_u32_e32 v6, 1, v3
	v_add_co_ci_u32_e32 v4, vcc_lo, 0, v3, vcc_lo
	v_cmp_gt_u32_e32 vcc_lo, 30, v3
	v_cndmask_b32_e64 v5, 0, 1, vcc_lo
	s_delay_alu instid0(VALU_DEP_1) | instskip(SKIP_3) | instid1(VALU_DEP_4)
	v_lshlrev_b32_e32 v5, 1, v5
	v_add_nc_u32_e32 v1, v2, v1
	v_lshlrev_b32_e32 v2, 2, v4
	v_and_b32_e32 v4, 0x60, v0
	v_add_lshl_u32 v5, v5, v3, 2
	ds_bpermute_b32 v2, v2, v1
	v_sub_nc_u32_e64 v4, s2, v4 clamp
	s_delay_alu instid0(VALU_DEP_1) | instskip(SKIP_4) | instid1(VALU_DEP_2)
	v_cmp_lt_u32_e32 vcc_lo, v6, v4
	v_add_nc_u32_e32 v6, 2, v3
	s_waitcnt lgkmcnt(0)
	v_cndmask_b32_e32 v2, 0, v2, vcc_lo
	v_cmp_gt_u32_e32 vcc_lo, 28, v3
	v_add_nc_u32_e32 v1, v2, v1
	ds_bpermute_b32 v2, v5, v1
	v_cndmask_b32_e64 v5, 0, 1, vcc_lo
	v_cmp_lt_u32_e32 vcc_lo, v6, v4
	v_add_nc_u32_e32 v6, 4, v3
	s_delay_alu instid0(VALU_DEP_3) | instskip(NEXT) | instid1(VALU_DEP_1)
	v_lshlrev_b32_e32 v5, 2, v5
	v_add_lshl_u32 v5, v5, v3, 2
	s_waitcnt lgkmcnt(0)
	v_cndmask_b32_e32 v2, 0, v2, vcc_lo
	v_cmp_gt_u32_e32 vcc_lo, 24, v3
	s_delay_alu instid0(VALU_DEP_2) | instskip(SKIP_4) | instid1(VALU_DEP_3)
	v_add_nc_u32_e32 v1, v1, v2
	ds_bpermute_b32 v2, v5, v1
	v_cndmask_b32_e64 v5, 0, 1, vcc_lo
	v_cmp_lt_u32_e32 vcc_lo, v6, v4
	v_add_nc_u32_e32 v6, 8, v3
	v_lshlrev_b32_e32 v5, 3, v5
	s_delay_alu instid0(VALU_DEP_1) | instskip(SKIP_3) | instid1(VALU_DEP_2)
	v_add_lshl_u32 v5, v5, v3, 2
	s_waitcnt lgkmcnt(0)
	v_cndmask_b32_e32 v2, 0, v2, vcc_lo
	v_cmp_gt_u32_e32 vcc_lo, 16, v3
	v_add_nc_u32_e32 v1, v1, v2
	ds_bpermute_b32 v2, v5, v1
	v_cndmask_b32_e64 v5, 0, 1, vcc_lo
	v_cmp_lt_u32_e32 vcc_lo, v6, v4
	s_delay_alu instid0(VALU_DEP_2) | instskip(NEXT) | instid1(VALU_DEP_1)
	v_lshlrev_b32_e32 v5, 4, v5
	v_add_lshl_u32 v5, v5, v3, 2
	s_waitcnt lgkmcnt(0)
	v_cndmask_b32_e32 v2, 0, v2, vcc_lo
	s_delay_alu instid0(VALU_DEP_1) | instskip(SKIP_2) | instid1(VALU_DEP_1)
	v_add_nc_u32_e32 v1, v1, v2
	ds_bpermute_b32 v2, v5, v1
	v_add_nc_u32_e32 v5, 16, v3
	v_cmp_lt_u32_e32 vcc_lo, v5, v4
	s_waitcnt lgkmcnt(0)
	v_cndmask_b32_e32 v2, 0, v2, vcc_lo
	s_delay_alu instid0(VALU_DEP_1)
	v_add_nc_u32_e32 v1, v1, v2
	v_cmpx_eq_u32_e32 0, v3
	s_cbranch_execz .LBB728_635
; %bb.634:
	v_lshrrev_b32_e32 v2, 3, v0
	s_delay_alu instid0(VALU_DEP_1)
	v_and_b32_e32 v2, 12, v2
	ds_store_b32 v2, v1 offset:128
.LBB728_635:
	s_or_b32 exec_lo, exec_lo, s3
	s_delay_alu instid0(SALU_CYCLE_1)
	s_mov_b32 s3, exec_lo
	s_waitcnt lgkmcnt(0)
	s_barrier
	buffer_gl0_inv
	v_cmpx_gt_u32_e32 4, v0
	s_cbranch_execz .LBB728_637
; %bb.636:
	v_and_b32_e32 v2, 3, v3
	s_add_i32 s2, s2, 31
	s_delay_alu instid0(SALU_CYCLE_1) | instskip(NEXT) | instid1(VALU_DEP_1)
	s_lshr_b32 s2, s2, 5
	v_cmp_ne_u32_e32 vcc_lo, 3, v2
	v_add_nc_u32_e32 v5, 1, v2
	v_add_co_ci_u32_e32 v4, vcc_lo, 0, v3, vcc_lo
	v_cmp_gt_u32_e32 vcc_lo, 2, v2
	v_add_nc_u32_e32 v2, 2, v2
	s_delay_alu instid0(VALU_DEP_3) | instskip(SKIP_3) | instid1(VALU_DEP_3)
	v_lshlrev_b32_e32 v4, 2, v4
	v_cndmask_b32_e64 v6, 0, 1, vcc_lo
	v_cmp_gt_u32_e32 vcc_lo, s2, v5
	v_lshlrev_b32_e32 v1, 2, v3
	v_lshlrev_b32_e32 v5, 1, v6
	ds_load_b32 v1, v1 offset:128
	v_add_lshl_u32 v3, v5, v3, 2
	s_waitcnt lgkmcnt(0)
	ds_bpermute_b32 v4, v4, v1
	s_waitcnt lgkmcnt(0)
	v_cndmask_b32_e32 v4, 0, v4, vcc_lo
	v_cmp_gt_u32_e32 vcc_lo, s2, v2
	s_delay_alu instid0(VALU_DEP_2) | instskip(SKIP_3) | instid1(VALU_DEP_1)
	v_add_nc_u32_e32 v1, v4, v1
	ds_bpermute_b32 v3, v3, v1
	s_waitcnt lgkmcnt(0)
	v_cndmask_b32_e32 v2, 0, v3, vcc_lo
	v_add_nc_u32_e32 v1, v1, v2
.LBB728_637:
	s_or_b32 exec_lo, exec_lo, s3
.LBB728_638:
	v_cmp_eq_u32_e64 s2, 0, v0
	s_branch .LBB728_623
.LBB728_639:
	s_cmp_eq_u32 s26, 1
	s_cbranch_scc0 .LBB728_647
; %bb.640:
	v_mbcnt_lo_u32_b32 v2, -1, 0
	s_mov_b32 s21, 0
	s_lshr_b64 s[4:5], s[16:17], 7
	s_lshl_b32 s2, s20, 7
	s_cmp_lg_u64 s[4:5], s[20:21]
	s_cbranch_scc0 .LBB728_648
; %bb.641:
	s_add_u32 s4, s22, s2
	s_addc_u32 s5, s23, 0
	s_mov_b32 s3, exec_lo
	global_load_u8 v1, v0, s[4:5]
	s_waitcnt vmcnt(0)
	v_mov_b32_dpp v3, v1 quad_perm:[1,0,3,2] row_mask:0xf bank_mask:0xf
	s_delay_alu instid0(VALU_DEP_1) | instskip(NEXT) | instid1(VALU_DEP_1)
	v_add_nc_u32_e32 v1, v3, v1
	v_mov_b32_dpp v3, v1 quad_perm:[2,3,0,1] row_mask:0xf bank_mask:0xf
	s_delay_alu instid0(VALU_DEP_1) | instskip(NEXT) | instid1(VALU_DEP_1)
	v_add_nc_u32_e32 v1, v1, v3
	v_mov_b32_dpp v3, v1 row_ror:4 row_mask:0xf bank_mask:0xf
	s_delay_alu instid0(VALU_DEP_1) | instskip(NEXT) | instid1(VALU_DEP_1)
	v_add_nc_u32_e32 v1, v1, v3
	v_mov_b32_dpp v3, v1 row_ror:8 row_mask:0xf bank_mask:0xf
	s_delay_alu instid0(VALU_DEP_1)
	v_add_nc_u32_e32 v1, v1, v3
	ds_swizzle_b32 v3, v1 offset:swizzle(BROADCAST,32,15)
	s_waitcnt lgkmcnt(0)
	v_add_nc_u32_e32 v1, v1, v3
	v_mov_b32_e32 v3, 0
	ds_bpermute_b32 v1, v3, v1 offset:124
	v_cmpx_eq_u32_e32 0, v2
	s_cbranch_execz .LBB728_643
; %bb.642:
	v_lshrrev_b32_e32 v3, 3, v0
	s_delay_alu instid0(VALU_DEP_1)
	v_and_b32_e32 v3, 12, v3
	s_waitcnt lgkmcnt(0)
	ds_store_b32 v3, v1 offset:32
.LBB728_643:
	s_or_b32 exec_lo, exec_lo, s3
	s_delay_alu instid0(SALU_CYCLE_1)
	s_mov_b32 s3, exec_lo
	s_waitcnt lgkmcnt(0)
	s_barrier
	buffer_gl0_inv
	v_cmpx_gt_u32_e32 32, v0
	s_cbranch_execz .LBB728_645
; %bb.644:
	v_and_b32_e32 v1, 3, v2
	s_delay_alu instid0(VALU_DEP_1) | instskip(SKIP_4) | instid1(VALU_DEP_2)
	v_lshlrev_b32_e32 v3, 2, v1
	v_cmp_ne_u32_e32 vcc_lo, 3, v1
	ds_load_b32 v3, v3 offset:32
	v_add_co_ci_u32_e32 v4, vcc_lo, 0, v2, vcc_lo
	v_cmp_gt_u32_e32 vcc_lo, 2, v1
	v_lshlrev_b32_e32 v4, 2, v4
	v_cndmask_b32_e64 v1, 0, 1, vcc_lo
	s_delay_alu instid0(VALU_DEP_1) | instskip(NEXT) | instid1(VALU_DEP_1)
	v_lshlrev_b32_e32 v1, 1, v1
	v_add_lshl_u32 v1, v1, v2, 2
	s_waitcnt lgkmcnt(0)
	ds_bpermute_b32 v4, v4, v3
	s_waitcnt lgkmcnt(0)
	v_add_nc_u32_e32 v3, v4, v3
	ds_bpermute_b32 v1, v1, v3
	s_waitcnt lgkmcnt(0)
	v_add_nc_u32_e32 v1, v1, v3
.LBB728_645:
	s_or_b32 exec_lo, exec_lo, s3
.LBB728_646:
	v_cmp_eq_u32_e64 s2, 0, v0
	s_delay_alu instid0(VALU_DEP_1)
	s_and_saveexec_b32 s3, s2
	s_cbranch_execnz .LBB728_624
	s_branch .LBB728_625
.LBB728_647:
                                        ; implicit-def: $vgpr1
                                        ; implicit-def: $sgpr20_sgpr21
	s_and_saveexec_b32 s3, s2
	s_cbranch_execz .LBB728_625
	s_branch .LBB728_624
.LBB728_648:
                                        ; implicit-def: $vgpr1
	s_cbranch_execz .LBB728_646
; %bb.649:
	s_sub_i32 s3, s16, s2
	s_mov_b32 s4, exec_lo
                                        ; implicit-def: $vgpr1
	v_cmpx_gt_u32_e64 s3, v0
	s_cbranch_execz .LBB728_651
; %bb.650:
	s_add_u32 s6, s22, s2
	s_addc_u32 s7, s23, 0
	global_load_u8 v1, v0, s[6:7]
.LBB728_651:
	s_or_b32 exec_lo, exec_lo, s4
	v_cmp_ne_u32_e32 vcc_lo, 31, v2
	s_min_u32 s2, s3, 0x80
	v_add_nc_u32_e32 v5, 1, v2
	s_mov_b32 s3, exec_lo
	v_add_co_ci_u32_e32 v3, vcc_lo, 0, v2, vcc_lo
	v_cmp_gt_u32_e32 vcc_lo, 30, v2
	s_delay_alu instid0(VALU_DEP_2)
	v_lshlrev_b32_e32 v3, 2, v3
	v_cndmask_b32_e64 v6, 0, 1, vcc_lo
	s_waitcnt vmcnt(0)
	ds_bpermute_b32 v3, v3, v1
	v_and_b32_e32 v4, 0x60, v0
	v_lshlrev_b32_e32 v6, 1, v6
	s_delay_alu instid0(VALU_DEP_2) | instskip(NEXT) | instid1(VALU_DEP_1)
	v_sub_nc_u32_e64 v4, s2, v4 clamp
	v_cmp_lt_u32_e32 vcc_lo, v5, v4
	s_delay_alu instid0(VALU_DEP_3) | instskip(SKIP_3) | instid1(VALU_DEP_2)
	v_add_lshl_u32 v5, v6, v2, 2
	s_waitcnt lgkmcnt(0)
	v_dual_cndmask_b32 v3, 0, v3 :: v_dual_add_nc_u32 v6, 2, v2
	v_cmp_gt_u32_e32 vcc_lo, 28, v2
	v_add_nc_u32_e32 v1, v3, v1
	ds_bpermute_b32 v3, v5, v1
	v_cndmask_b32_e64 v5, 0, 1, vcc_lo
	v_cmp_lt_u32_e32 vcc_lo, v6, v4
	v_add_nc_u32_e32 v6, 4, v2
	s_delay_alu instid0(VALU_DEP_3) | instskip(NEXT) | instid1(VALU_DEP_1)
	v_lshlrev_b32_e32 v5, 2, v5
	v_add_lshl_u32 v5, v5, v2, 2
	s_waitcnt lgkmcnt(0)
	v_cndmask_b32_e32 v3, 0, v3, vcc_lo
	v_cmp_gt_u32_e32 vcc_lo, 24, v2
	s_delay_alu instid0(VALU_DEP_2) | instskip(SKIP_4) | instid1(VALU_DEP_3)
	v_add_nc_u32_e32 v1, v1, v3
	ds_bpermute_b32 v3, v5, v1
	v_cndmask_b32_e64 v5, 0, 1, vcc_lo
	v_cmp_lt_u32_e32 vcc_lo, v6, v4
	v_add_nc_u32_e32 v6, 8, v2
	v_lshlrev_b32_e32 v5, 3, v5
	s_delay_alu instid0(VALU_DEP_1) | instskip(SKIP_3) | instid1(VALU_DEP_2)
	v_add_lshl_u32 v5, v5, v2, 2
	s_waitcnt lgkmcnt(0)
	v_cndmask_b32_e32 v3, 0, v3, vcc_lo
	v_cmp_gt_u32_e32 vcc_lo, 16, v2
	v_add_nc_u32_e32 v1, v1, v3
	ds_bpermute_b32 v3, v5, v1
	v_cndmask_b32_e64 v5, 0, 1, vcc_lo
	v_cmp_lt_u32_e32 vcc_lo, v6, v4
	s_delay_alu instid0(VALU_DEP_2) | instskip(NEXT) | instid1(VALU_DEP_1)
	v_lshlrev_b32_e32 v5, 4, v5
	v_add_lshl_u32 v5, v5, v2, 2
	s_waitcnt lgkmcnt(0)
	v_cndmask_b32_e32 v3, 0, v3, vcc_lo
	s_delay_alu instid0(VALU_DEP_1) | instskip(SKIP_2) | instid1(VALU_DEP_1)
	v_add_nc_u32_e32 v1, v1, v3
	ds_bpermute_b32 v3, v5, v1
	v_add_nc_u32_e32 v5, 16, v2
	v_cmp_lt_u32_e32 vcc_lo, v5, v4
	s_waitcnt lgkmcnt(0)
	v_cndmask_b32_e32 v3, 0, v3, vcc_lo
	s_delay_alu instid0(VALU_DEP_1)
	v_add_nc_u32_e32 v1, v1, v3
	v_cmpx_eq_u32_e32 0, v2
	s_cbranch_execz .LBB728_653
; %bb.652:
	v_lshrrev_b32_e32 v3, 3, v0
	s_delay_alu instid0(VALU_DEP_1)
	v_and_b32_e32 v3, 12, v3
	ds_store_b32 v3, v1 offset:128
.LBB728_653:
	s_or_b32 exec_lo, exec_lo, s3
	s_delay_alu instid0(SALU_CYCLE_1)
	s_mov_b32 s3, exec_lo
	s_waitcnt lgkmcnt(0)
	s_barrier
	buffer_gl0_inv
	v_cmpx_gt_u32_e32 4, v0
	s_cbranch_execz .LBB728_655
; %bb.654:
	v_and_b32_e32 v3, 3, v2
	s_add_i32 s2, s2, 31
	s_delay_alu instid0(SALU_CYCLE_1) | instskip(NEXT) | instid1(VALU_DEP_1)
	s_lshr_b32 s2, s2, 5
	v_cmp_ne_u32_e32 vcc_lo, 3, v3
	v_add_nc_u32_e32 v5, 1, v3
	v_add_co_ci_u32_e32 v4, vcc_lo, 0, v2, vcc_lo
	v_cmp_gt_u32_e32 vcc_lo, 2, v3
	v_add_nc_u32_e32 v3, 2, v3
	s_delay_alu instid0(VALU_DEP_3) | instskip(SKIP_3) | instid1(VALU_DEP_3)
	v_lshlrev_b32_e32 v4, 2, v4
	v_cndmask_b32_e64 v6, 0, 1, vcc_lo
	v_cmp_gt_u32_e32 vcc_lo, s2, v5
	v_lshlrev_b32_e32 v1, 2, v2
	v_lshlrev_b32_e32 v5, 1, v6
	ds_load_b32 v1, v1 offset:128
	v_add_lshl_u32 v2, v5, v2, 2
	s_waitcnt lgkmcnt(0)
	ds_bpermute_b32 v4, v4, v1
	s_waitcnt lgkmcnt(0)
	v_cndmask_b32_e32 v4, 0, v4, vcc_lo
	v_cmp_gt_u32_e32 vcc_lo, s2, v3
	s_delay_alu instid0(VALU_DEP_2) | instskip(SKIP_3) | instid1(VALU_DEP_1)
	v_add_nc_u32_e32 v1, v4, v1
	ds_bpermute_b32 v2, v2, v1
	s_waitcnt lgkmcnt(0)
	v_cndmask_b32_e32 v2, 0, v2, vcc_lo
	v_add_nc_u32_e32 v1, v1, v2
.LBB728_655:
	s_or_b32 exec_lo, exec_lo, s3
	v_cmp_eq_u32_e64 s2, 0, v0
	s_delay_alu instid0(VALU_DEP_1)
	s_and_saveexec_b32 s3, s2
	s_cbranch_execnz .LBB728_624
	s_branch .LBB728_625
	.section	.rodata,"a",@progbits
	.p2align	6, 0x0
	.amdhsa_kernel _ZN7rocprim17ROCPRIM_400000_NS6detail17trampoline_kernelINS0_14default_configENS1_22reduce_config_selectorIbEEZNS1_11reduce_implILb1ES3_N6hipcub16HIPCUB_304000_NS22TransformInputIteratorIbN2at6native12_GLOBAL__N_19NonZeroOpIbEEPKblEEPiiNS8_6detail34convert_binary_result_type_wrapperINS8_3SumESH_iEEEE10hipError_tPvRmT1_T2_T3_mT4_P12ihipStream_tbEUlT_E1_NS1_11comp_targetILNS1_3genE9ELNS1_11target_archE1100ELNS1_3gpuE3ELNS1_3repE0EEENS1_30default_config_static_selectorELNS0_4arch9wavefront6targetE0EEEvSQ_
		.amdhsa_group_segment_fixed_size 144
		.amdhsa_private_segment_fixed_size 0
		.amdhsa_kernarg_size 48
		.amdhsa_user_sgpr_count 15
		.amdhsa_user_sgpr_dispatch_ptr 0
		.amdhsa_user_sgpr_queue_ptr 0
		.amdhsa_user_sgpr_kernarg_segment_ptr 1
		.amdhsa_user_sgpr_dispatch_id 0
		.amdhsa_user_sgpr_private_segment_size 0
		.amdhsa_wavefront_size32 1
		.amdhsa_uses_dynamic_stack 0
		.amdhsa_enable_private_segment 0
		.amdhsa_system_sgpr_workgroup_id_x 1
		.amdhsa_system_sgpr_workgroup_id_y 0
		.amdhsa_system_sgpr_workgroup_id_z 0
		.amdhsa_system_sgpr_workgroup_info 0
		.amdhsa_system_vgpr_workitem_id 0
		.amdhsa_next_free_vgpr 130
		.amdhsa_next_free_sgpr 29
		.amdhsa_reserve_vcc 1
		.amdhsa_float_round_mode_32 0
		.amdhsa_float_round_mode_16_64 0
		.amdhsa_float_denorm_mode_32 3
		.amdhsa_float_denorm_mode_16_64 3
		.amdhsa_dx10_clamp 1
		.amdhsa_ieee_mode 1
		.amdhsa_fp16_overflow 0
		.amdhsa_workgroup_processor_mode 1
		.amdhsa_memory_ordered 1
		.amdhsa_forward_progress 0
		.amdhsa_shared_vgpr_count 0
		.amdhsa_exception_fp_ieee_invalid_op 0
		.amdhsa_exception_fp_denorm_src 0
		.amdhsa_exception_fp_ieee_div_zero 0
		.amdhsa_exception_fp_ieee_overflow 0
		.amdhsa_exception_fp_ieee_underflow 0
		.amdhsa_exception_fp_ieee_inexact 0
		.amdhsa_exception_int_div_zero 0
	.end_amdhsa_kernel
	.section	.text._ZN7rocprim17ROCPRIM_400000_NS6detail17trampoline_kernelINS0_14default_configENS1_22reduce_config_selectorIbEEZNS1_11reduce_implILb1ES3_N6hipcub16HIPCUB_304000_NS22TransformInputIteratorIbN2at6native12_GLOBAL__N_19NonZeroOpIbEEPKblEEPiiNS8_6detail34convert_binary_result_type_wrapperINS8_3SumESH_iEEEE10hipError_tPvRmT1_T2_T3_mT4_P12ihipStream_tbEUlT_E1_NS1_11comp_targetILNS1_3genE9ELNS1_11target_archE1100ELNS1_3gpuE3ELNS1_3repE0EEENS1_30default_config_static_selectorELNS0_4arch9wavefront6targetE0EEEvSQ_,"axG",@progbits,_ZN7rocprim17ROCPRIM_400000_NS6detail17trampoline_kernelINS0_14default_configENS1_22reduce_config_selectorIbEEZNS1_11reduce_implILb1ES3_N6hipcub16HIPCUB_304000_NS22TransformInputIteratorIbN2at6native12_GLOBAL__N_19NonZeroOpIbEEPKblEEPiiNS8_6detail34convert_binary_result_type_wrapperINS8_3SumESH_iEEEE10hipError_tPvRmT1_T2_T3_mT4_P12ihipStream_tbEUlT_E1_NS1_11comp_targetILNS1_3genE9ELNS1_11target_archE1100ELNS1_3gpuE3ELNS1_3repE0EEENS1_30default_config_static_selectorELNS0_4arch9wavefront6targetE0EEEvSQ_,comdat
.Lfunc_end728:
	.size	_ZN7rocprim17ROCPRIM_400000_NS6detail17trampoline_kernelINS0_14default_configENS1_22reduce_config_selectorIbEEZNS1_11reduce_implILb1ES3_N6hipcub16HIPCUB_304000_NS22TransformInputIteratorIbN2at6native12_GLOBAL__N_19NonZeroOpIbEEPKblEEPiiNS8_6detail34convert_binary_result_type_wrapperINS8_3SumESH_iEEEE10hipError_tPvRmT1_T2_T3_mT4_P12ihipStream_tbEUlT_E1_NS1_11comp_targetILNS1_3genE9ELNS1_11target_archE1100ELNS1_3gpuE3ELNS1_3repE0EEENS1_30default_config_static_selectorELNS0_4arch9wavefront6targetE0EEEvSQ_, .Lfunc_end728-_ZN7rocprim17ROCPRIM_400000_NS6detail17trampoline_kernelINS0_14default_configENS1_22reduce_config_selectorIbEEZNS1_11reduce_implILb1ES3_N6hipcub16HIPCUB_304000_NS22TransformInputIteratorIbN2at6native12_GLOBAL__N_19NonZeroOpIbEEPKblEEPiiNS8_6detail34convert_binary_result_type_wrapperINS8_3SumESH_iEEEE10hipError_tPvRmT1_T2_T3_mT4_P12ihipStream_tbEUlT_E1_NS1_11comp_targetILNS1_3genE9ELNS1_11target_archE1100ELNS1_3gpuE3ELNS1_3repE0EEENS1_30default_config_static_selectorELNS0_4arch9wavefront6targetE0EEEvSQ_
                                        ; -- End function
	.section	.AMDGPU.csdata,"",@progbits
; Kernel info:
; codeLenInByte = 23664
; NumSgprs: 31
; NumVgprs: 130
; ScratchSize: 0
; MemoryBound: 0
; FloatMode: 240
; IeeeMode: 1
; LDSByteSize: 144 bytes/workgroup (compile time only)
; SGPRBlocks: 3
; VGPRBlocks: 16
; NumSGPRsForWavesPerEU: 31
; NumVGPRsForWavesPerEU: 130
; Occupancy: 10
; WaveLimiterHint : 1
; COMPUTE_PGM_RSRC2:SCRATCH_EN: 0
; COMPUTE_PGM_RSRC2:USER_SGPR: 15
; COMPUTE_PGM_RSRC2:TRAP_HANDLER: 0
; COMPUTE_PGM_RSRC2:TGID_X_EN: 1
; COMPUTE_PGM_RSRC2:TGID_Y_EN: 0
; COMPUTE_PGM_RSRC2:TGID_Z_EN: 0
; COMPUTE_PGM_RSRC2:TIDIG_COMP_CNT: 0
	.section	.text._ZN7rocprim17ROCPRIM_400000_NS6detail17trampoline_kernelINS0_14default_configENS1_22reduce_config_selectorIbEEZNS1_11reduce_implILb1ES3_N6hipcub16HIPCUB_304000_NS22TransformInputIteratorIbN2at6native12_GLOBAL__N_19NonZeroOpIbEEPKblEEPiiNS8_6detail34convert_binary_result_type_wrapperINS8_3SumESH_iEEEE10hipError_tPvRmT1_T2_T3_mT4_P12ihipStream_tbEUlT_E1_NS1_11comp_targetILNS1_3genE8ELNS1_11target_archE1030ELNS1_3gpuE2ELNS1_3repE0EEENS1_30default_config_static_selectorELNS0_4arch9wavefront6targetE0EEEvSQ_,"axG",@progbits,_ZN7rocprim17ROCPRIM_400000_NS6detail17trampoline_kernelINS0_14default_configENS1_22reduce_config_selectorIbEEZNS1_11reduce_implILb1ES3_N6hipcub16HIPCUB_304000_NS22TransformInputIteratorIbN2at6native12_GLOBAL__N_19NonZeroOpIbEEPKblEEPiiNS8_6detail34convert_binary_result_type_wrapperINS8_3SumESH_iEEEE10hipError_tPvRmT1_T2_T3_mT4_P12ihipStream_tbEUlT_E1_NS1_11comp_targetILNS1_3genE8ELNS1_11target_archE1030ELNS1_3gpuE2ELNS1_3repE0EEENS1_30default_config_static_selectorELNS0_4arch9wavefront6targetE0EEEvSQ_,comdat
	.globl	_ZN7rocprim17ROCPRIM_400000_NS6detail17trampoline_kernelINS0_14default_configENS1_22reduce_config_selectorIbEEZNS1_11reduce_implILb1ES3_N6hipcub16HIPCUB_304000_NS22TransformInputIteratorIbN2at6native12_GLOBAL__N_19NonZeroOpIbEEPKblEEPiiNS8_6detail34convert_binary_result_type_wrapperINS8_3SumESH_iEEEE10hipError_tPvRmT1_T2_T3_mT4_P12ihipStream_tbEUlT_E1_NS1_11comp_targetILNS1_3genE8ELNS1_11target_archE1030ELNS1_3gpuE2ELNS1_3repE0EEENS1_30default_config_static_selectorELNS0_4arch9wavefront6targetE0EEEvSQ_ ; -- Begin function _ZN7rocprim17ROCPRIM_400000_NS6detail17trampoline_kernelINS0_14default_configENS1_22reduce_config_selectorIbEEZNS1_11reduce_implILb1ES3_N6hipcub16HIPCUB_304000_NS22TransformInputIteratorIbN2at6native12_GLOBAL__N_19NonZeroOpIbEEPKblEEPiiNS8_6detail34convert_binary_result_type_wrapperINS8_3SumESH_iEEEE10hipError_tPvRmT1_T2_T3_mT4_P12ihipStream_tbEUlT_E1_NS1_11comp_targetILNS1_3genE8ELNS1_11target_archE1030ELNS1_3gpuE2ELNS1_3repE0EEENS1_30default_config_static_selectorELNS0_4arch9wavefront6targetE0EEEvSQ_
	.p2align	8
	.type	_ZN7rocprim17ROCPRIM_400000_NS6detail17trampoline_kernelINS0_14default_configENS1_22reduce_config_selectorIbEEZNS1_11reduce_implILb1ES3_N6hipcub16HIPCUB_304000_NS22TransformInputIteratorIbN2at6native12_GLOBAL__N_19NonZeroOpIbEEPKblEEPiiNS8_6detail34convert_binary_result_type_wrapperINS8_3SumESH_iEEEE10hipError_tPvRmT1_T2_T3_mT4_P12ihipStream_tbEUlT_E1_NS1_11comp_targetILNS1_3genE8ELNS1_11target_archE1030ELNS1_3gpuE2ELNS1_3repE0EEENS1_30default_config_static_selectorELNS0_4arch9wavefront6targetE0EEEvSQ_,@function
_ZN7rocprim17ROCPRIM_400000_NS6detail17trampoline_kernelINS0_14default_configENS1_22reduce_config_selectorIbEEZNS1_11reduce_implILb1ES3_N6hipcub16HIPCUB_304000_NS22TransformInputIteratorIbN2at6native12_GLOBAL__N_19NonZeroOpIbEEPKblEEPiiNS8_6detail34convert_binary_result_type_wrapperINS8_3SumESH_iEEEE10hipError_tPvRmT1_T2_T3_mT4_P12ihipStream_tbEUlT_E1_NS1_11comp_targetILNS1_3genE8ELNS1_11target_archE1030ELNS1_3gpuE2ELNS1_3repE0EEENS1_30default_config_static_selectorELNS0_4arch9wavefront6targetE0EEEvSQ_: ; @_ZN7rocprim17ROCPRIM_400000_NS6detail17trampoline_kernelINS0_14default_configENS1_22reduce_config_selectorIbEEZNS1_11reduce_implILb1ES3_N6hipcub16HIPCUB_304000_NS22TransformInputIteratorIbN2at6native12_GLOBAL__N_19NonZeroOpIbEEPKblEEPiiNS8_6detail34convert_binary_result_type_wrapperINS8_3SumESH_iEEEE10hipError_tPvRmT1_T2_T3_mT4_P12ihipStream_tbEUlT_E1_NS1_11comp_targetILNS1_3genE8ELNS1_11target_archE1030ELNS1_3gpuE2ELNS1_3repE0EEENS1_30default_config_static_selectorELNS0_4arch9wavefront6targetE0EEEvSQ_
; %bb.0:
	.section	.rodata,"a",@progbits
	.p2align	6, 0x0
	.amdhsa_kernel _ZN7rocprim17ROCPRIM_400000_NS6detail17trampoline_kernelINS0_14default_configENS1_22reduce_config_selectorIbEEZNS1_11reduce_implILb1ES3_N6hipcub16HIPCUB_304000_NS22TransformInputIteratorIbN2at6native12_GLOBAL__N_19NonZeroOpIbEEPKblEEPiiNS8_6detail34convert_binary_result_type_wrapperINS8_3SumESH_iEEEE10hipError_tPvRmT1_T2_T3_mT4_P12ihipStream_tbEUlT_E1_NS1_11comp_targetILNS1_3genE8ELNS1_11target_archE1030ELNS1_3gpuE2ELNS1_3repE0EEENS1_30default_config_static_selectorELNS0_4arch9wavefront6targetE0EEEvSQ_
		.amdhsa_group_segment_fixed_size 0
		.amdhsa_private_segment_fixed_size 0
		.amdhsa_kernarg_size 48
		.amdhsa_user_sgpr_count 15
		.amdhsa_user_sgpr_dispatch_ptr 0
		.amdhsa_user_sgpr_queue_ptr 0
		.amdhsa_user_sgpr_kernarg_segment_ptr 1
		.amdhsa_user_sgpr_dispatch_id 0
		.amdhsa_user_sgpr_private_segment_size 0
		.amdhsa_wavefront_size32 1
		.amdhsa_uses_dynamic_stack 0
		.amdhsa_enable_private_segment 0
		.amdhsa_system_sgpr_workgroup_id_x 1
		.amdhsa_system_sgpr_workgroup_id_y 0
		.amdhsa_system_sgpr_workgroup_id_z 0
		.amdhsa_system_sgpr_workgroup_info 0
		.amdhsa_system_vgpr_workitem_id 0
		.amdhsa_next_free_vgpr 1
		.amdhsa_next_free_sgpr 1
		.amdhsa_reserve_vcc 0
		.amdhsa_float_round_mode_32 0
		.amdhsa_float_round_mode_16_64 0
		.amdhsa_float_denorm_mode_32 3
		.amdhsa_float_denorm_mode_16_64 3
		.amdhsa_dx10_clamp 1
		.amdhsa_ieee_mode 1
		.amdhsa_fp16_overflow 0
		.amdhsa_workgroup_processor_mode 1
		.amdhsa_memory_ordered 1
		.amdhsa_forward_progress 0
		.amdhsa_shared_vgpr_count 0
		.amdhsa_exception_fp_ieee_invalid_op 0
		.amdhsa_exception_fp_denorm_src 0
		.amdhsa_exception_fp_ieee_div_zero 0
		.amdhsa_exception_fp_ieee_overflow 0
		.amdhsa_exception_fp_ieee_underflow 0
		.amdhsa_exception_fp_ieee_inexact 0
		.amdhsa_exception_int_div_zero 0
	.end_amdhsa_kernel
	.section	.text._ZN7rocprim17ROCPRIM_400000_NS6detail17trampoline_kernelINS0_14default_configENS1_22reduce_config_selectorIbEEZNS1_11reduce_implILb1ES3_N6hipcub16HIPCUB_304000_NS22TransformInputIteratorIbN2at6native12_GLOBAL__N_19NonZeroOpIbEEPKblEEPiiNS8_6detail34convert_binary_result_type_wrapperINS8_3SumESH_iEEEE10hipError_tPvRmT1_T2_T3_mT4_P12ihipStream_tbEUlT_E1_NS1_11comp_targetILNS1_3genE8ELNS1_11target_archE1030ELNS1_3gpuE2ELNS1_3repE0EEENS1_30default_config_static_selectorELNS0_4arch9wavefront6targetE0EEEvSQ_,"axG",@progbits,_ZN7rocprim17ROCPRIM_400000_NS6detail17trampoline_kernelINS0_14default_configENS1_22reduce_config_selectorIbEEZNS1_11reduce_implILb1ES3_N6hipcub16HIPCUB_304000_NS22TransformInputIteratorIbN2at6native12_GLOBAL__N_19NonZeroOpIbEEPKblEEPiiNS8_6detail34convert_binary_result_type_wrapperINS8_3SumESH_iEEEE10hipError_tPvRmT1_T2_T3_mT4_P12ihipStream_tbEUlT_E1_NS1_11comp_targetILNS1_3genE8ELNS1_11target_archE1030ELNS1_3gpuE2ELNS1_3repE0EEENS1_30default_config_static_selectorELNS0_4arch9wavefront6targetE0EEEvSQ_,comdat
.Lfunc_end729:
	.size	_ZN7rocprim17ROCPRIM_400000_NS6detail17trampoline_kernelINS0_14default_configENS1_22reduce_config_selectorIbEEZNS1_11reduce_implILb1ES3_N6hipcub16HIPCUB_304000_NS22TransformInputIteratorIbN2at6native12_GLOBAL__N_19NonZeroOpIbEEPKblEEPiiNS8_6detail34convert_binary_result_type_wrapperINS8_3SumESH_iEEEE10hipError_tPvRmT1_T2_T3_mT4_P12ihipStream_tbEUlT_E1_NS1_11comp_targetILNS1_3genE8ELNS1_11target_archE1030ELNS1_3gpuE2ELNS1_3repE0EEENS1_30default_config_static_selectorELNS0_4arch9wavefront6targetE0EEEvSQ_, .Lfunc_end729-_ZN7rocprim17ROCPRIM_400000_NS6detail17trampoline_kernelINS0_14default_configENS1_22reduce_config_selectorIbEEZNS1_11reduce_implILb1ES3_N6hipcub16HIPCUB_304000_NS22TransformInputIteratorIbN2at6native12_GLOBAL__N_19NonZeroOpIbEEPKblEEPiiNS8_6detail34convert_binary_result_type_wrapperINS8_3SumESH_iEEEE10hipError_tPvRmT1_T2_T3_mT4_P12ihipStream_tbEUlT_E1_NS1_11comp_targetILNS1_3genE8ELNS1_11target_archE1030ELNS1_3gpuE2ELNS1_3repE0EEENS1_30default_config_static_selectorELNS0_4arch9wavefront6targetE0EEEvSQ_
                                        ; -- End function
	.section	.AMDGPU.csdata,"",@progbits
; Kernel info:
; codeLenInByte = 0
; NumSgprs: 0
; NumVgprs: 0
; ScratchSize: 0
; MemoryBound: 0
; FloatMode: 240
; IeeeMode: 1
; LDSByteSize: 0 bytes/workgroup (compile time only)
; SGPRBlocks: 0
; VGPRBlocks: 0
; NumSGPRsForWavesPerEU: 1
; NumVGPRsForWavesPerEU: 1
; Occupancy: 16
; WaveLimiterHint : 0
; COMPUTE_PGM_RSRC2:SCRATCH_EN: 0
; COMPUTE_PGM_RSRC2:USER_SGPR: 15
; COMPUTE_PGM_RSRC2:TRAP_HANDLER: 0
; COMPUTE_PGM_RSRC2:TGID_X_EN: 1
; COMPUTE_PGM_RSRC2:TGID_Y_EN: 0
; COMPUTE_PGM_RSRC2:TGID_Z_EN: 0
; COMPUTE_PGM_RSRC2:TIDIG_COMP_CNT: 0
	.section	.text._ZN7rocprim17ROCPRIM_400000_NS6detail17trampoline_kernelINS0_14default_configENS1_25partition_config_selectorILNS1_17partition_subalgoE5ElNS0_10empty_typeEbEEZZNS1_14partition_implILS5_5ELb0ES3_mN6hipcub16HIPCUB_304000_NS21CountingInputIteratorIllEEPS6_NSA_22TransformInputIteratorIbN2at6native12_GLOBAL__N_19NonZeroOpIbEEPKblEENS0_5tupleIJPlS6_EEENSN_IJSD_SD_EEES6_PiJS6_EEE10hipError_tPvRmT3_T4_T5_T6_T7_T9_mT8_P12ihipStream_tbDpT10_ENKUlT_T0_E_clISt17integral_constantIbLb0EES1B_EEDaS16_S17_EUlS16_E_NS1_11comp_targetILNS1_3genE0ELNS1_11target_archE4294967295ELNS1_3gpuE0ELNS1_3repE0EEENS1_30default_config_static_selectorELNS0_4arch9wavefront6targetE0EEEvT1_,"axG",@progbits,_ZN7rocprim17ROCPRIM_400000_NS6detail17trampoline_kernelINS0_14default_configENS1_25partition_config_selectorILNS1_17partition_subalgoE5ElNS0_10empty_typeEbEEZZNS1_14partition_implILS5_5ELb0ES3_mN6hipcub16HIPCUB_304000_NS21CountingInputIteratorIllEEPS6_NSA_22TransformInputIteratorIbN2at6native12_GLOBAL__N_19NonZeroOpIbEEPKblEENS0_5tupleIJPlS6_EEENSN_IJSD_SD_EEES6_PiJS6_EEE10hipError_tPvRmT3_T4_T5_T6_T7_T9_mT8_P12ihipStream_tbDpT10_ENKUlT_T0_E_clISt17integral_constantIbLb0EES1B_EEDaS16_S17_EUlS16_E_NS1_11comp_targetILNS1_3genE0ELNS1_11target_archE4294967295ELNS1_3gpuE0ELNS1_3repE0EEENS1_30default_config_static_selectorELNS0_4arch9wavefront6targetE0EEEvT1_,comdat
	.globl	_ZN7rocprim17ROCPRIM_400000_NS6detail17trampoline_kernelINS0_14default_configENS1_25partition_config_selectorILNS1_17partition_subalgoE5ElNS0_10empty_typeEbEEZZNS1_14partition_implILS5_5ELb0ES3_mN6hipcub16HIPCUB_304000_NS21CountingInputIteratorIllEEPS6_NSA_22TransformInputIteratorIbN2at6native12_GLOBAL__N_19NonZeroOpIbEEPKblEENS0_5tupleIJPlS6_EEENSN_IJSD_SD_EEES6_PiJS6_EEE10hipError_tPvRmT3_T4_T5_T6_T7_T9_mT8_P12ihipStream_tbDpT10_ENKUlT_T0_E_clISt17integral_constantIbLb0EES1B_EEDaS16_S17_EUlS16_E_NS1_11comp_targetILNS1_3genE0ELNS1_11target_archE4294967295ELNS1_3gpuE0ELNS1_3repE0EEENS1_30default_config_static_selectorELNS0_4arch9wavefront6targetE0EEEvT1_ ; -- Begin function _ZN7rocprim17ROCPRIM_400000_NS6detail17trampoline_kernelINS0_14default_configENS1_25partition_config_selectorILNS1_17partition_subalgoE5ElNS0_10empty_typeEbEEZZNS1_14partition_implILS5_5ELb0ES3_mN6hipcub16HIPCUB_304000_NS21CountingInputIteratorIllEEPS6_NSA_22TransformInputIteratorIbN2at6native12_GLOBAL__N_19NonZeroOpIbEEPKblEENS0_5tupleIJPlS6_EEENSN_IJSD_SD_EEES6_PiJS6_EEE10hipError_tPvRmT3_T4_T5_T6_T7_T9_mT8_P12ihipStream_tbDpT10_ENKUlT_T0_E_clISt17integral_constantIbLb0EES1B_EEDaS16_S17_EUlS16_E_NS1_11comp_targetILNS1_3genE0ELNS1_11target_archE4294967295ELNS1_3gpuE0ELNS1_3repE0EEENS1_30default_config_static_selectorELNS0_4arch9wavefront6targetE0EEEvT1_
	.p2align	8
	.type	_ZN7rocprim17ROCPRIM_400000_NS6detail17trampoline_kernelINS0_14default_configENS1_25partition_config_selectorILNS1_17partition_subalgoE5ElNS0_10empty_typeEbEEZZNS1_14partition_implILS5_5ELb0ES3_mN6hipcub16HIPCUB_304000_NS21CountingInputIteratorIllEEPS6_NSA_22TransformInputIteratorIbN2at6native12_GLOBAL__N_19NonZeroOpIbEEPKblEENS0_5tupleIJPlS6_EEENSN_IJSD_SD_EEES6_PiJS6_EEE10hipError_tPvRmT3_T4_T5_T6_T7_T9_mT8_P12ihipStream_tbDpT10_ENKUlT_T0_E_clISt17integral_constantIbLb0EES1B_EEDaS16_S17_EUlS16_E_NS1_11comp_targetILNS1_3genE0ELNS1_11target_archE4294967295ELNS1_3gpuE0ELNS1_3repE0EEENS1_30default_config_static_selectorELNS0_4arch9wavefront6targetE0EEEvT1_,@function
_ZN7rocprim17ROCPRIM_400000_NS6detail17trampoline_kernelINS0_14default_configENS1_25partition_config_selectorILNS1_17partition_subalgoE5ElNS0_10empty_typeEbEEZZNS1_14partition_implILS5_5ELb0ES3_mN6hipcub16HIPCUB_304000_NS21CountingInputIteratorIllEEPS6_NSA_22TransformInputIteratorIbN2at6native12_GLOBAL__N_19NonZeroOpIbEEPKblEENS0_5tupleIJPlS6_EEENSN_IJSD_SD_EEES6_PiJS6_EEE10hipError_tPvRmT3_T4_T5_T6_T7_T9_mT8_P12ihipStream_tbDpT10_ENKUlT_T0_E_clISt17integral_constantIbLb0EES1B_EEDaS16_S17_EUlS16_E_NS1_11comp_targetILNS1_3genE0ELNS1_11target_archE4294967295ELNS1_3gpuE0ELNS1_3repE0EEENS1_30default_config_static_selectorELNS0_4arch9wavefront6targetE0EEEvT1_: ; @_ZN7rocprim17ROCPRIM_400000_NS6detail17trampoline_kernelINS0_14default_configENS1_25partition_config_selectorILNS1_17partition_subalgoE5ElNS0_10empty_typeEbEEZZNS1_14partition_implILS5_5ELb0ES3_mN6hipcub16HIPCUB_304000_NS21CountingInputIteratorIllEEPS6_NSA_22TransformInputIteratorIbN2at6native12_GLOBAL__N_19NonZeroOpIbEEPKblEENS0_5tupleIJPlS6_EEENSN_IJSD_SD_EEES6_PiJS6_EEE10hipError_tPvRmT3_T4_T5_T6_T7_T9_mT8_P12ihipStream_tbDpT10_ENKUlT_T0_E_clISt17integral_constantIbLb0EES1B_EEDaS16_S17_EUlS16_E_NS1_11comp_targetILNS1_3genE0ELNS1_11target_archE4294967295ELNS1_3gpuE0ELNS1_3repE0EEENS1_30default_config_static_selectorELNS0_4arch9wavefront6targetE0EEEvT1_
; %bb.0:
	.section	.rodata,"a",@progbits
	.p2align	6, 0x0
	.amdhsa_kernel _ZN7rocprim17ROCPRIM_400000_NS6detail17trampoline_kernelINS0_14default_configENS1_25partition_config_selectorILNS1_17partition_subalgoE5ElNS0_10empty_typeEbEEZZNS1_14partition_implILS5_5ELb0ES3_mN6hipcub16HIPCUB_304000_NS21CountingInputIteratorIllEEPS6_NSA_22TransformInputIteratorIbN2at6native12_GLOBAL__N_19NonZeroOpIbEEPKblEENS0_5tupleIJPlS6_EEENSN_IJSD_SD_EEES6_PiJS6_EEE10hipError_tPvRmT3_T4_T5_T6_T7_T9_mT8_P12ihipStream_tbDpT10_ENKUlT_T0_E_clISt17integral_constantIbLb0EES1B_EEDaS16_S17_EUlS16_E_NS1_11comp_targetILNS1_3genE0ELNS1_11target_archE4294967295ELNS1_3gpuE0ELNS1_3repE0EEENS1_30default_config_static_selectorELNS0_4arch9wavefront6targetE0EEEvT1_
		.amdhsa_group_segment_fixed_size 0
		.amdhsa_private_segment_fixed_size 0
		.amdhsa_kernarg_size 120
		.amdhsa_user_sgpr_count 15
		.amdhsa_user_sgpr_dispatch_ptr 0
		.amdhsa_user_sgpr_queue_ptr 0
		.amdhsa_user_sgpr_kernarg_segment_ptr 1
		.amdhsa_user_sgpr_dispatch_id 0
		.amdhsa_user_sgpr_private_segment_size 0
		.amdhsa_wavefront_size32 1
		.amdhsa_uses_dynamic_stack 0
		.amdhsa_enable_private_segment 0
		.amdhsa_system_sgpr_workgroup_id_x 1
		.amdhsa_system_sgpr_workgroup_id_y 0
		.amdhsa_system_sgpr_workgroup_id_z 0
		.amdhsa_system_sgpr_workgroup_info 0
		.amdhsa_system_vgpr_workitem_id 0
		.amdhsa_next_free_vgpr 1
		.amdhsa_next_free_sgpr 1
		.amdhsa_reserve_vcc 0
		.amdhsa_float_round_mode_32 0
		.amdhsa_float_round_mode_16_64 0
		.amdhsa_float_denorm_mode_32 3
		.amdhsa_float_denorm_mode_16_64 3
		.amdhsa_dx10_clamp 1
		.amdhsa_ieee_mode 1
		.amdhsa_fp16_overflow 0
		.amdhsa_workgroup_processor_mode 1
		.amdhsa_memory_ordered 1
		.amdhsa_forward_progress 0
		.amdhsa_shared_vgpr_count 0
		.amdhsa_exception_fp_ieee_invalid_op 0
		.amdhsa_exception_fp_denorm_src 0
		.amdhsa_exception_fp_ieee_div_zero 0
		.amdhsa_exception_fp_ieee_overflow 0
		.amdhsa_exception_fp_ieee_underflow 0
		.amdhsa_exception_fp_ieee_inexact 0
		.amdhsa_exception_int_div_zero 0
	.end_amdhsa_kernel
	.section	.text._ZN7rocprim17ROCPRIM_400000_NS6detail17trampoline_kernelINS0_14default_configENS1_25partition_config_selectorILNS1_17partition_subalgoE5ElNS0_10empty_typeEbEEZZNS1_14partition_implILS5_5ELb0ES3_mN6hipcub16HIPCUB_304000_NS21CountingInputIteratorIllEEPS6_NSA_22TransformInputIteratorIbN2at6native12_GLOBAL__N_19NonZeroOpIbEEPKblEENS0_5tupleIJPlS6_EEENSN_IJSD_SD_EEES6_PiJS6_EEE10hipError_tPvRmT3_T4_T5_T6_T7_T9_mT8_P12ihipStream_tbDpT10_ENKUlT_T0_E_clISt17integral_constantIbLb0EES1B_EEDaS16_S17_EUlS16_E_NS1_11comp_targetILNS1_3genE0ELNS1_11target_archE4294967295ELNS1_3gpuE0ELNS1_3repE0EEENS1_30default_config_static_selectorELNS0_4arch9wavefront6targetE0EEEvT1_,"axG",@progbits,_ZN7rocprim17ROCPRIM_400000_NS6detail17trampoline_kernelINS0_14default_configENS1_25partition_config_selectorILNS1_17partition_subalgoE5ElNS0_10empty_typeEbEEZZNS1_14partition_implILS5_5ELb0ES3_mN6hipcub16HIPCUB_304000_NS21CountingInputIteratorIllEEPS6_NSA_22TransformInputIteratorIbN2at6native12_GLOBAL__N_19NonZeroOpIbEEPKblEENS0_5tupleIJPlS6_EEENSN_IJSD_SD_EEES6_PiJS6_EEE10hipError_tPvRmT3_T4_T5_T6_T7_T9_mT8_P12ihipStream_tbDpT10_ENKUlT_T0_E_clISt17integral_constantIbLb0EES1B_EEDaS16_S17_EUlS16_E_NS1_11comp_targetILNS1_3genE0ELNS1_11target_archE4294967295ELNS1_3gpuE0ELNS1_3repE0EEENS1_30default_config_static_selectorELNS0_4arch9wavefront6targetE0EEEvT1_,comdat
.Lfunc_end730:
	.size	_ZN7rocprim17ROCPRIM_400000_NS6detail17trampoline_kernelINS0_14default_configENS1_25partition_config_selectorILNS1_17partition_subalgoE5ElNS0_10empty_typeEbEEZZNS1_14partition_implILS5_5ELb0ES3_mN6hipcub16HIPCUB_304000_NS21CountingInputIteratorIllEEPS6_NSA_22TransformInputIteratorIbN2at6native12_GLOBAL__N_19NonZeroOpIbEEPKblEENS0_5tupleIJPlS6_EEENSN_IJSD_SD_EEES6_PiJS6_EEE10hipError_tPvRmT3_T4_T5_T6_T7_T9_mT8_P12ihipStream_tbDpT10_ENKUlT_T0_E_clISt17integral_constantIbLb0EES1B_EEDaS16_S17_EUlS16_E_NS1_11comp_targetILNS1_3genE0ELNS1_11target_archE4294967295ELNS1_3gpuE0ELNS1_3repE0EEENS1_30default_config_static_selectorELNS0_4arch9wavefront6targetE0EEEvT1_, .Lfunc_end730-_ZN7rocprim17ROCPRIM_400000_NS6detail17trampoline_kernelINS0_14default_configENS1_25partition_config_selectorILNS1_17partition_subalgoE5ElNS0_10empty_typeEbEEZZNS1_14partition_implILS5_5ELb0ES3_mN6hipcub16HIPCUB_304000_NS21CountingInputIteratorIllEEPS6_NSA_22TransformInputIteratorIbN2at6native12_GLOBAL__N_19NonZeroOpIbEEPKblEENS0_5tupleIJPlS6_EEENSN_IJSD_SD_EEES6_PiJS6_EEE10hipError_tPvRmT3_T4_T5_T6_T7_T9_mT8_P12ihipStream_tbDpT10_ENKUlT_T0_E_clISt17integral_constantIbLb0EES1B_EEDaS16_S17_EUlS16_E_NS1_11comp_targetILNS1_3genE0ELNS1_11target_archE4294967295ELNS1_3gpuE0ELNS1_3repE0EEENS1_30default_config_static_selectorELNS0_4arch9wavefront6targetE0EEEvT1_
                                        ; -- End function
	.section	.AMDGPU.csdata,"",@progbits
; Kernel info:
; codeLenInByte = 0
; NumSgprs: 0
; NumVgprs: 0
; ScratchSize: 0
; MemoryBound: 0
; FloatMode: 240
; IeeeMode: 1
; LDSByteSize: 0 bytes/workgroup (compile time only)
; SGPRBlocks: 0
; VGPRBlocks: 0
; NumSGPRsForWavesPerEU: 1
; NumVGPRsForWavesPerEU: 1
; Occupancy: 16
; WaveLimiterHint : 0
; COMPUTE_PGM_RSRC2:SCRATCH_EN: 0
; COMPUTE_PGM_RSRC2:USER_SGPR: 15
; COMPUTE_PGM_RSRC2:TRAP_HANDLER: 0
; COMPUTE_PGM_RSRC2:TGID_X_EN: 1
; COMPUTE_PGM_RSRC2:TGID_Y_EN: 0
; COMPUTE_PGM_RSRC2:TGID_Z_EN: 0
; COMPUTE_PGM_RSRC2:TIDIG_COMP_CNT: 0
	.section	.text._ZN7rocprim17ROCPRIM_400000_NS6detail17trampoline_kernelINS0_14default_configENS1_25partition_config_selectorILNS1_17partition_subalgoE5ElNS0_10empty_typeEbEEZZNS1_14partition_implILS5_5ELb0ES3_mN6hipcub16HIPCUB_304000_NS21CountingInputIteratorIllEEPS6_NSA_22TransformInputIteratorIbN2at6native12_GLOBAL__N_19NonZeroOpIbEEPKblEENS0_5tupleIJPlS6_EEENSN_IJSD_SD_EEES6_PiJS6_EEE10hipError_tPvRmT3_T4_T5_T6_T7_T9_mT8_P12ihipStream_tbDpT10_ENKUlT_T0_E_clISt17integral_constantIbLb0EES1B_EEDaS16_S17_EUlS16_E_NS1_11comp_targetILNS1_3genE5ELNS1_11target_archE942ELNS1_3gpuE9ELNS1_3repE0EEENS1_30default_config_static_selectorELNS0_4arch9wavefront6targetE0EEEvT1_,"axG",@progbits,_ZN7rocprim17ROCPRIM_400000_NS6detail17trampoline_kernelINS0_14default_configENS1_25partition_config_selectorILNS1_17partition_subalgoE5ElNS0_10empty_typeEbEEZZNS1_14partition_implILS5_5ELb0ES3_mN6hipcub16HIPCUB_304000_NS21CountingInputIteratorIllEEPS6_NSA_22TransformInputIteratorIbN2at6native12_GLOBAL__N_19NonZeroOpIbEEPKblEENS0_5tupleIJPlS6_EEENSN_IJSD_SD_EEES6_PiJS6_EEE10hipError_tPvRmT3_T4_T5_T6_T7_T9_mT8_P12ihipStream_tbDpT10_ENKUlT_T0_E_clISt17integral_constantIbLb0EES1B_EEDaS16_S17_EUlS16_E_NS1_11comp_targetILNS1_3genE5ELNS1_11target_archE942ELNS1_3gpuE9ELNS1_3repE0EEENS1_30default_config_static_selectorELNS0_4arch9wavefront6targetE0EEEvT1_,comdat
	.globl	_ZN7rocprim17ROCPRIM_400000_NS6detail17trampoline_kernelINS0_14default_configENS1_25partition_config_selectorILNS1_17partition_subalgoE5ElNS0_10empty_typeEbEEZZNS1_14partition_implILS5_5ELb0ES3_mN6hipcub16HIPCUB_304000_NS21CountingInputIteratorIllEEPS6_NSA_22TransformInputIteratorIbN2at6native12_GLOBAL__N_19NonZeroOpIbEEPKblEENS0_5tupleIJPlS6_EEENSN_IJSD_SD_EEES6_PiJS6_EEE10hipError_tPvRmT3_T4_T5_T6_T7_T9_mT8_P12ihipStream_tbDpT10_ENKUlT_T0_E_clISt17integral_constantIbLb0EES1B_EEDaS16_S17_EUlS16_E_NS1_11comp_targetILNS1_3genE5ELNS1_11target_archE942ELNS1_3gpuE9ELNS1_3repE0EEENS1_30default_config_static_selectorELNS0_4arch9wavefront6targetE0EEEvT1_ ; -- Begin function _ZN7rocprim17ROCPRIM_400000_NS6detail17trampoline_kernelINS0_14default_configENS1_25partition_config_selectorILNS1_17partition_subalgoE5ElNS0_10empty_typeEbEEZZNS1_14partition_implILS5_5ELb0ES3_mN6hipcub16HIPCUB_304000_NS21CountingInputIteratorIllEEPS6_NSA_22TransformInputIteratorIbN2at6native12_GLOBAL__N_19NonZeroOpIbEEPKblEENS0_5tupleIJPlS6_EEENSN_IJSD_SD_EEES6_PiJS6_EEE10hipError_tPvRmT3_T4_T5_T6_T7_T9_mT8_P12ihipStream_tbDpT10_ENKUlT_T0_E_clISt17integral_constantIbLb0EES1B_EEDaS16_S17_EUlS16_E_NS1_11comp_targetILNS1_3genE5ELNS1_11target_archE942ELNS1_3gpuE9ELNS1_3repE0EEENS1_30default_config_static_selectorELNS0_4arch9wavefront6targetE0EEEvT1_
	.p2align	8
	.type	_ZN7rocprim17ROCPRIM_400000_NS6detail17trampoline_kernelINS0_14default_configENS1_25partition_config_selectorILNS1_17partition_subalgoE5ElNS0_10empty_typeEbEEZZNS1_14partition_implILS5_5ELb0ES3_mN6hipcub16HIPCUB_304000_NS21CountingInputIteratorIllEEPS6_NSA_22TransformInputIteratorIbN2at6native12_GLOBAL__N_19NonZeroOpIbEEPKblEENS0_5tupleIJPlS6_EEENSN_IJSD_SD_EEES6_PiJS6_EEE10hipError_tPvRmT3_T4_T5_T6_T7_T9_mT8_P12ihipStream_tbDpT10_ENKUlT_T0_E_clISt17integral_constantIbLb0EES1B_EEDaS16_S17_EUlS16_E_NS1_11comp_targetILNS1_3genE5ELNS1_11target_archE942ELNS1_3gpuE9ELNS1_3repE0EEENS1_30default_config_static_selectorELNS0_4arch9wavefront6targetE0EEEvT1_,@function
_ZN7rocprim17ROCPRIM_400000_NS6detail17trampoline_kernelINS0_14default_configENS1_25partition_config_selectorILNS1_17partition_subalgoE5ElNS0_10empty_typeEbEEZZNS1_14partition_implILS5_5ELb0ES3_mN6hipcub16HIPCUB_304000_NS21CountingInputIteratorIllEEPS6_NSA_22TransformInputIteratorIbN2at6native12_GLOBAL__N_19NonZeroOpIbEEPKblEENS0_5tupleIJPlS6_EEENSN_IJSD_SD_EEES6_PiJS6_EEE10hipError_tPvRmT3_T4_T5_T6_T7_T9_mT8_P12ihipStream_tbDpT10_ENKUlT_T0_E_clISt17integral_constantIbLb0EES1B_EEDaS16_S17_EUlS16_E_NS1_11comp_targetILNS1_3genE5ELNS1_11target_archE942ELNS1_3gpuE9ELNS1_3repE0EEENS1_30default_config_static_selectorELNS0_4arch9wavefront6targetE0EEEvT1_: ; @_ZN7rocprim17ROCPRIM_400000_NS6detail17trampoline_kernelINS0_14default_configENS1_25partition_config_selectorILNS1_17partition_subalgoE5ElNS0_10empty_typeEbEEZZNS1_14partition_implILS5_5ELb0ES3_mN6hipcub16HIPCUB_304000_NS21CountingInputIteratorIllEEPS6_NSA_22TransformInputIteratorIbN2at6native12_GLOBAL__N_19NonZeroOpIbEEPKblEENS0_5tupleIJPlS6_EEENSN_IJSD_SD_EEES6_PiJS6_EEE10hipError_tPvRmT3_T4_T5_T6_T7_T9_mT8_P12ihipStream_tbDpT10_ENKUlT_T0_E_clISt17integral_constantIbLb0EES1B_EEDaS16_S17_EUlS16_E_NS1_11comp_targetILNS1_3genE5ELNS1_11target_archE942ELNS1_3gpuE9ELNS1_3repE0EEENS1_30default_config_static_selectorELNS0_4arch9wavefront6targetE0EEEvT1_
; %bb.0:
	.section	.rodata,"a",@progbits
	.p2align	6, 0x0
	.amdhsa_kernel _ZN7rocprim17ROCPRIM_400000_NS6detail17trampoline_kernelINS0_14default_configENS1_25partition_config_selectorILNS1_17partition_subalgoE5ElNS0_10empty_typeEbEEZZNS1_14partition_implILS5_5ELb0ES3_mN6hipcub16HIPCUB_304000_NS21CountingInputIteratorIllEEPS6_NSA_22TransformInputIteratorIbN2at6native12_GLOBAL__N_19NonZeroOpIbEEPKblEENS0_5tupleIJPlS6_EEENSN_IJSD_SD_EEES6_PiJS6_EEE10hipError_tPvRmT3_T4_T5_T6_T7_T9_mT8_P12ihipStream_tbDpT10_ENKUlT_T0_E_clISt17integral_constantIbLb0EES1B_EEDaS16_S17_EUlS16_E_NS1_11comp_targetILNS1_3genE5ELNS1_11target_archE942ELNS1_3gpuE9ELNS1_3repE0EEENS1_30default_config_static_selectorELNS0_4arch9wavefront6targetE0EEEvT1_
		.amdhsa_group_segment_fixed_size 0
		.amdhsa_private_segment_fixed_size 0
		.amdhsa_kernarg_size 120
		.amdhsa_user_sgpr_count 15
		.amdhsa_user_sgpr_dispatch_ptr 0
		.amdhsa_user_sgpr_queue_ptr 0
		.amdhsa_user_sgpr_kernarg_segment_ptr 1
		.amdhsa_user_sgpr_dispatch_id 0
		.amdhsa_user_sgpr_private_segment_size 0
		.amdhsa_wavefront_size32 1
		.amdhsa_uses_dynamic_stack 0
		.amdhsa_enable_private_segment 0
		.amdhsa_system_sgpr_workgroup_id_x 1
		.amdhsa_system_sgpr_workgroup_id_y 0
		.amdhsa_system_sgpr_workgroup_id_z 0
		.amdhsa_system_sgpr_workgroup_info 0
		.amdhsa_system_vgpr_workitem_id 0
		.amdhsa_next_free_vgpr 1
		.amdhsa_next_free_sgpr 1
		.amdhsa_reserve_vcc 0
		.amdhsa_float_round_mode_32 0
		.amdhsa_float_round_mode_16_64 0
		.amdhsa_float_denorm_mode_32 3
		.amdhsa_float_denorm_mode_16_64 3
		.amdhsa_dx10_clamp 1
		.amdhsa_ieee_mode 1
		.amdhsa_fp16_overflow 0
		.amdhsa_workgroup_processor_mode 1
		.amdhsa_memory_ordered 1
		.amdhsa_forward_progress 0
		.amdhsa_shared_vgpr_count 0
		.amdhsa_exception_fp_ieee_invalid_op 0
		.amdhsa_exception_fp_denorm_src 0
		.amdhsa_exception_fp_ieee_div_zero 0
		.amdhsa_exception_fp_ieee_overflow 0
		.amdhsa_exception_fp_ieee_underflow 0
		.amdhsa_exception_fp_ieee_inexact 0
		.amdhsa_exception_int_div_zero 0
	.end_amdhsa_kernel
	.section	.text._ZN7rocprim17ROCPRIM_400000_NS6detail17trampoline_kernelINS0_14default_configENS1_25partition_config_selectorILNS1_17partition_subalgoE5ElNS0_10empty_typeEbEEZZNS1_14partition_implILS5_5ELb0ES3_mN6hipcub16HIPCUB_304000_NS21CountingInputIteratorIllEEPS6_NSA_22TransformInputIteratorIbN2at6native12_GLOBAL__N_19NonZeroOpIbEEPKblEENS0_5tupleIJPlS6_EEENSN_IJSD_SD_EEES6_PiJS6_EEE10hipError_tPvRmT3_T4_T5_T6_T7_T9_mT8_P12ihipStream_tbDpT10_ENKUlT_T0_E_clISt17integral_constantIbLb0EES1B_EEDaS16_S17_EUlS16_E_NS1_11comp_targetILNS1_3genE5ELNS1_11target_archE942ELNS1_3gpuE9ELNS1_3repE0EEENS1_30default_config_static_selectorELNS0_4arch9wavefront6targetE0EEEvT1_,"axG",@progbits,_ZN7rocprim17ROCPRIM_400000_NS6detail17trampoline_kernelINS0_14default_configENS1_25partition_config_selectorILNS1_17partition_subalgoE5ElNS0_10empty_typeEbEEZZNS1_14partition_implILS5_5ELb0ES3_mN6hipcub16HIPCUB_304000_NS21CountingInputIteratorIllEEPS6_NSA_22TransformInputIteratorIbN2at6native12_GLOBAL__N_19NonZeroOpIbEEPKblEENS0_5tupleIJPlS6_EEENSN_IJSD_SD_EEES6_PiJS6_EEE10hipError_tPvRmT3_T4_T5_T6_T7_T9_mT8_P12ihipStream_tbDpT10_ENKUlT_T0_E_clISt17integral_constantIbLb0EES1B_EEDaS16_S17_EUlS16_E_NS1_11comp_targetILNS1_3genE5ELNS1_11target_archE942ELNS1_3gpuE9ELNS1_3repE0EEENS1_30default_config_static_selectorELNS0_4arch9wavefront6targetE0EEEvT1_,comdat
.Lfunc_end731:
	.size	_ZN7rocprim17ROCPRIM_400000_NS6detail17trampoline_kernelINS0_14default_configENS1_25partition_config_selectorILNS1_17partition_subalgoE5ElNS0_10empty_typeEbEEZZNS1_14partition_implILS5_5ELb0ES3_mN6hipcub16HIPCUB_304000_NS21CountingInputIteratorIllEEPS6_NSA_22TransformInputIteratorIbN2at6native12_GLOBAL__N_19NonZeroOpIbEEPKblEENS0_5tupleIJPlS6_EEENSN_IJSD_SD_EEES6_PiJS6_EEE10hipError_tPvRmT3_T4_T5_T6_T7_T9_mT8_P12ihipStream_tbDpT10_ENKUlT_T0_E_clISt17integral_constantIbLb0EES1B_EEDaS16_S17_EUlS16_E_NS1_11comp_targetILNS1_3genE5ELNS1_11target_archE942ELNS1_3gpuE9ELNS1_3repE0EEENS1_30default_config_static_selectorELNS0_4arch9wavefront6targetE0EEEvT1_, .Lfunc_end731-_ZN7rocprim17ROCPRIM_400000_NS6detail17trampoline_kernelINS0_14default_configENS1_25partition_config_selectorILNS1_17partition_subalgoE5ElNS0_10empty_typeEbEEZZNS1_14partition_implILS5_5ELb0ES3_mN6hipcub16HIPCUB_304000_NS21CountingInputIteratorIllEEPS6_NSA_22TransformInputIteratorIbN2at6native12_GLOBAL__N_19NonZeroOpIbEEPKblEENS0_5tupleIJPlS6_EEENSN_IJSD_SD_EEES6_PiJS6_EEE10hipError_tPvRmT3_T4_T5_T6_T7_T9_mT8_P12ihipStream_tbDpT10_ENKUlT_T0_E_clISt17integral_constantIbLb0EES1B_EEDaS16_S17_EUlS16_E_NS1_11comp_targetILNS1_3genE5ELNS1_11target_archE942ELNS1_3gpuE9ELNS1_3repE0EEENS1_30default_config_static_selectorELNS0_4arch9wavefront6targetE0EEEvT1_
                                        ; -- End function
	.section	.AMDGPU.csdata,"",@progbits
; Kernel info:
; codeLenInByte = 0
; NumSgprs: 0
; NumVgprs: 0
; ScratchSize: 0
; MemoryBound: 0
; FloatMode: 240
; IeeeMode: 1
; LDSByteSize: 0 bytes/workgroup (compile time only)
; SGPRBlocks: 0
; VGPRBlocks: 0
; NumSGPRsForWavesPerEU: 1
; NumVGPRsForWavesPerEU: 1
; Occupancy: 16
; WaveLimiterHint : 0
; COMPUTE_PGM_RSRC2:SCRATCH_EN: 0
; COMPUTE_PGM_RSRC2:USER_SGPR: 15
; COMPUTE_PGM_RSRC2:TRAP_HANDLER: 0
; COMPUTE_PGM_RSRC2:TGID_X_EN: 1
; COMPUTE_PGM_RSRC2:TGID_Y_EN: 0
; COMPUTE_PGM_RSRC2:TGID_Z_EN: 0
; COMPUTE_PGM_RSRC2:TIDIG_COMP_CNT: 0
	.section	.text._ZN7rocprim17ROCPRIM_400000_NS6detail17trampoline_kernelINS0_14default_configENS1_25partition_config_selectorILNS1_17partition_subalgoE5ElNS0_10empty_typeEbEEZZNS1_14partition_implILS5_5ELb0ES3_mN6hipcub16HIPCUB_304000_NS21CountingInputIteratorIllEEPS6_NSA_22TransformInputIteratorIbN2at6native12_GLOBAL__N_19NonZeroOpIbEEPKblEENS0_5tupleIJPlS6_EEENSN_IJSD_SD_EEES6_PiJS6_EEE10hipError_tPvRmT3_T4_T5_T6_T7_T9_mT8_P12ihipStream_tbDpT10_ENKUlT_T0_E_clISt17integral_constantIbLb0EES1B_EEDaS16_S17_EUlS16_E_NS1_11comp_targetILNS1_3genE4ELNS1_11target_archE910ELNS1_3gpuE8ELNS1_3repE0EEENS1_30default_config_static_selectorELNS0_4arch9wavefront6targetE0EEEvT1_,"axG",@progbits,_ZN7rocprim17ROCPRIM_400000_NS6detail17trampoline_kernelINS0_14default_configENS1_25partition_config_selectorILNS1_17partition_subalgoE5ElNS0_10empty_typeEbEEZZNS1_14partition_implILS5_5ELb0ES3_mN6hipcub16HIPCUB_304000_NS21CountingInputIteratorIllEEPS6_NSA_22TransformInputIteratorIbN2at6native12_GLOBAL__N_19NonZeroOpIbEEPKblEENS0_5tupleIJPlS6_EEENSN_IJSD_SD_EEES6_PiJS6_EEE10hipError_tPvRmT3_T4_T5_T6_T7_T9_mT8_P12ihipStream_tbDpT10_ENKUlT_T0_E_clISt17integral_constantIbLb0EES1B_EEDaS16_S17_EUlS16_E_NS1_11comp_targetILNS1_3genE4ELNS1_11target_archE910ELNS1_3gpuE8ELNS1_3repE0EEENS1_30default_config_static_selectorELNS0_4arch9wavefront6targetE0EEEvT1_,comdat
	.globl	_ZN7rocprim17ROCPRIM_400000_NS6detail17trampoline_kernelINS0_14default_configENS1_25partition_config_selectorILNS1_17partition_subalgoE5ElNS0_10empty_typeEbEEZZNS1_14partition_implILS5_5ELb0ES3_mN6hipcub16HIPCUB_304000_NS21CountingInputIteratorIllEEPS6_NSA_22TransformInputIteratorIbN2at6native12_GLOBAL__N_19NonZeroOpIbEEPKblEENS0_5tupleIJPlS6_EEENSN_IJSD_SD_EEES6_PiJS6_EEE10hipError_tPvRmT3_T4_T5_T6_T7_T9_mT8_P12ihipStream_tbDpT10_ENKUlT_T0_E_clISt17integral_constantIbLb0EES1B_EEDaS16_S17_EUlS16_E_NS1_11comp_targetILNS1_3genE4ELNS1_11target_archE910ELNS1_3gpuE8ELNS1_3repE0EEENS1_30default_config_static_selectorELNS0_4arch9wavefront6targetE0EEEvT1_ ; -- Begin function _ZN7rocprim17ROCPRIM_400000_NS6detail17trampoline_kernelINS0_14default_configENS1_25partition_config_selectorILNS1_17partition_subalgoE5ElNS0_10empty_typeEbEEZZNS1_14partition_implILS5_5ELb0ES3_mN6hipcub16HIPCUB_304000_NS21CountingInputIteratorIllEEPS6_NSA_22TransformInputIteratorIbN2at6native12_GLOBAL__N_19NonZeroOpIbEEPKblEENS0_5tupleIJPlS6_EEENSN_IJSD_SD_EEES6_PiJS6_EEE10hipError_tPvRmT3_T4_T5_T6_T7_T9_mT8_P12ihipStream_tbDpT10_ENKUlT_T0_E_clISt17integral_constantIbLb0EES1B_EEDaS16_S17_EUlS16_E_NS1_11comp_targetILNS1_3genE4ELNS1_11target_archE910ELNS1_3gpuE8ELNS1_3repE0EEENS1_30default_config_static_selectorELNS0_4arch9wavefront6targetE0EEEvT1_
	.p2align	8
	.type	_ZN7rocprim17ROCPRIM_400000_NS6detail17trampoline_kernelINS0_14default_configENS1_25partition_config_selectorILNS1_17partition_subalgoE5ElNS0_10empty_typeEbEEZZNS1_14partition_implILS5_5ELb0ES3_mN6hipcub16HIPCUB_304000_NS21CountingInputIteratorIllEEPS6_NSA_22TransformInputIteratorIbN2at6native12_GLOBAL__N_19NonZeroOpIbEEPKblEENS0_5tupleIJPlS6_EEENSN_IJSD_SD_EEES6_PiJS6_EEE10hipError_tPvRmT3_T4_T5_T6_T7_T9_mT8_P12ihipStream_tbDpT10_ENKUlT_T0_E_clISt17integral_constantIbLb0EES1B_EEDaS16_S17_EUlS16_E_NS1_11comp_targetILNS1_3genE4ELNS1_11target_archE910ELNS1_3gpuE8ELNS1_3repE0EEENS1_30default_config_static_selectorELNS0_4arch9wavefront6targetE0EEEvT1_,@function
_ZN7rocprim17ROCPRIM_400000_NS6detail17trampoline_kernelINS0_14default_configENS1_25partition_config_selectorILNS1_17partition_subalgoE5ElNS0_10empty_typeEbEEZZNS1_14partition_implILS5_5ELb0ES3_mN6hipcub16HIPCUB_304000_NS21CountingInputIteratorIllEEPS6_NSA_22TransformInputIteratorIbN2at6native12_GLOBAL__N_19NonZeroOpIbEEPKblEENS0_5tupleIJPlS6_EEENSN_IJSD_SD_EEES6_PiJS6_EEE10hipError_tPvRmT3_T4_T5_T6_T7_T9_mT8_P12ihipStream_tbDpT10_ENKUlT_T0_E_clISt17integral_constantIbLb0EES1B_EEDaS16_S17_EUlS16_E_NS1_11comp_targetILNS1_3genE4ELNS1_11target_archE910ELNS1_3gpuE8ELNS1_3repE0EEENS1_30default_config_static_selectorELNS0_4arch9wavefront6targetE0EEEvT1_: ; @_ZN7rocprim17ROCPRIM_400000_NS6detail17trampoline_kernelINS0_14default_configENS1_25partition_config_selectorILNS1_17partition_subalgoE5ElNS0_10empty_typeEbEEZZNS1_14partition_implILS5_5ELb0ES3_mN6hipcub16HIPCUB_304000_NS21CountingInputIteratorIllEEPS6_NSA_22TransformInputIteratorIbN2at6native12_GLOBAL__N_19NonZeroOpIbEEPKblEENS0_5tupleIJPlS6_EEENSN_IJSD_SD_EEES6_PiJS6_EEE10hipError_tPvRmT3_T4_T5_T6_T7_T9_mT8_P12ihipStream_tbDpT10_ENKUlT_T0_E_clISt17integral_constantIbLb0EES1B_EEDaS16_S17_EUlS16_E_NS1_11comp_targetILNS1_3genE4ELNS1_11target_archE910ELNS1_3gpuE8ELNS1_3repE0EEENS1_30default_config_static_selectorELNS0_4arch9wavefront6targetE0EEEvT1_
; %bb.0:
	.section	.rodata,"a",@progbits
	.p2align	6, 0x0
	.amdhsa_kernel _ZN7rocprim17ROCPRIM_400000_NS6detail17trampoline_kernelINS0_14default_configENS1_25partition_config_selectorILNS1_17partition_subalgoE5ElNS0_10empty_typeEbEEZZNS1_14partition_implILS5_5ELb0ES3_mN6hipcub16HIPCUB_304000_NS21CountingInputIteratorIllEEPS6_NSA_22TransformInputIteratorIbN2at6native12_GLOBAL__N_19NonZeroOpIbEEPKblEENS0_5tupleIJPlS6_EEENSN_IJSD_SD_EEES6_PiJS6_EEE10hipError_tPvRmT3_T4_T5_T6_T7_T9_mT8_P12ihipStream_tbDpT10_ENKUlT_T0_E_clISt17integral_constantIbLb0EES1B_EEDaS16_S17_EUlS16_E_NS1_11comp_targetILNS1_3genE4ELNS1_11target_archE910ELNS1_3gpuE8ELNS1_3repE0EEENS1_30default_config_static_selectorELNS0_4arch9wavefront6targetE0EEEvT1_
		.amdhsa_group_segment_fixed_size 0
		.amdhsa_private_segment_fixed_size 0
		.amdhsa_kernarg_size 120
		.amdhsa_user_sgpr_count 15
		.amdhsa_user_sgpr_dispatch_ptr 0
		.amdhsa_user_sgpr_queue_ptr 0
		.amdhsa_user_sgpr_kernarg_segment_ptr 1
		.amdhsa_user_sgpr_dispatch_id 0
		.amdhsa_user_sgpr_private_segment_size 0
		.amdhsa_wavefront_size32 1
		.amdhsa_uses_dynamic_stack 0
		.amdhsa_enable_private_segment 0
		.amdhsa_system_sgpr_workgroup_id_x 1
		.amdhsa_system_sgpr_workgroup_id_y 0
		.amdhsa_system_sgpr_workgroup_id_z 0
		.amdhsa_system_sgpr_workgroup_info 0
		.amdhsa_system_vgpr_workitem_id 0
		.amdhsa_next_free_vgpr 1
		.amdhsa_next_free_sgpr 1
		.amdhsa_reserve_vcc 0
		.amdhsa_float_round_mode_32 0
		.amdhsa_float_round_mode_16_64 0
		.amdhsa_float_denorm_mode_32 3
		.amdhsa_float_denorm_mode_16_64 3
		.amdhsa_dx10_clamp 1
		.amdhsa_ieee_mode 1
		.amdhsa_fp16_overflow 0
		.amdhsa_workgroup_processor_mode 1
		.amdhsa_memory_ordered 1
		.amdhsa_forward_progress 0
		.amdhsa_shared_vgpr_count 0
		.amdhsa_exception_fp_ieee_invalid_op 0
		.amdhsa_exception_fp_denorm_src 0
		.amdhsa_exception_fp_ieee_div_zero 0
		.amdhsa_exception_fp_ieee_overflow 0
		.amdhsa_exception_fp_ieee_underflow 0
		.amdhsa_exception_fp_ieee_inexact 0
		.amdhsa_exception_int_div_zero 0
	.end_amdhsa_kernel
	.section	.text._ZN7rocprim17ROCPRIM_400000_NS6detail17trampoline_kernelINS0_14default_configENS1_25partition_config_selectorILNS1_17partition_subalgoE5ElNS0_10empty_typeEbEEZZNS1_14partition_implILS5_5ELb0ES3_mN6hipcub16HIPCUB_304000_NS21CountingInputIteratorIllEEPS6_NSA_22TransformInputIteratorIbN2at6native12_GLOBAL__N_19NonZeroOpIbEEPKblEENS0_5tupleIJPlS6_EEENSN_IJSD_SD_EEES6_PiJS6_EEE10hipError_tPvRmT3_T4_T5_T6_T7_T9_mT8_P12ihipStream_tbDpT10_ENKUlT_T0_E_clISt17integral_constantIbLb0EES1B_EEDaS16_S17_EUlS16_E_NS1_11comp_targetILNS1_3genE4ELNS1_11target_archE910ELNS1_3gpuE8ELNS1_3repE0EEENS1_30default_config_static_selectorELNS0_4arch9wavefront6targetE0EEEvT1_,"axG",@progbits,_ZN7rocprim17ROCPRIM_400000_NS6detail17trampoline_kernelINS0_14default_configENS1_25partition_config_selectorILNS1_17partition_subalgoE5ElNS0_10empty_typeEbEEZZNS1_14partition_implILS5_5ELb0ES3_mN6hipcub16HIPCUB_304000_NS21CountingInputIteratorIllEEPS6_NSA_22TransformInputIteratorIbN2at6native12_GLOBAL__N_19NonZeroOpIbEEPKblEENS0_5tupleIJPlS6_EEENSN_IJSD_SD_EEES6_PiJS6_EEE10hipError_tPvRmT3_T4_T5_T6_T7_T9_mT8_P12ihipStream_tbDpT10_ENKUlT_T0_E_clISt17integral_constantIbLb0EES1B_EEDaS16_S17_EUlS16_E_NS1_11comp_targetILNS1_3genE4ELNS1_11target_archE910ELNS1_3gpuE8ELNS1_3repE0EEENS1_30default_config_static_selectorELNS0_4arch9wavefront6targetE0EEEvT1_,comdat
.Lfunc_end732:
	.size	_ZN7rocprim17ROCPRIM_400000_NS6detail17trampoline_kernelINS0_14default_configENS1_25partition_config_selectorILNS1_17partition_subalgoE5ElNS0_10empty_typeEbEEZZNS1_14partition_implILS5_5ELb0ES3_mN6hipcub16HIPCUB_304000_NS21CountingInputIteratorIllEEPS6_NSA_22TransformInputIteratorIbN2at6native12_GLOBAL__N_19NonZeroOpIbEEPKblEENS0_5tupleIJPlS6_EEENSN_IJSD_SD_EEES6_PiJS6_EEE10hipError_tPvRmT3_T4_T5_T6_T7_T9_mT8_P12ihipStream_tbDpT10_ENKUlT_T0_E_clISt17integral_constantIbLb0EES1B_EEDaS16_S17_EUlS16_E_NS1_11comp_targetILNS1_3genE4ELNS1_11target_archE910ELNS1_3gpuE8ELNS1_3repE0EEENS1_30default_config_static_selectorELNS0_4arch9wavefront6targetE0EEEvT1_, .Lfunc_end732-_ZN7rocprim17ROCPRIM_400000_NS6detail17trampoline_kernelINS0_14default_configENS1_25partition_config_selectorILNS1_17partition_subalgoE5ElNS0_10empty_typeEbEEZZNS1_14partition_implILS5_5ELb0ES3_mN6hipcub16HIPCUB_304000_NS21CountingInputIteratorIllEEPS6_NSA_22TransformInputIteratorIbN2at6native12_GLOBAL__N_19NonZeroOpIbEEPKblEENS0_5tupleIJPlS6_EEENSN_IJSD_SD_EEES6_PiJS6_EEE10hipError_tPvRmT3_T4_T5_T6_T7_T9_mT8_P12ihipStream_tbDpT10_ENKUlT_T0_E_clISt17integral_constantIbLb0EES1B_EEDaS16_S17_EUlS16_E_NS1_11comp_targetILNS1_3genE4ELNS1_11target_archE910ELNS1_3gpuE8ELNS1_3repE0EEENS1_30default_config_static_selectorELNS0_4arch9wavefront6targetE0EEEvT1_
                                        ; -- End function
	.section	.AMDGPU.csdata,"",@progbits
; Kernel info:
; codeLenInByte = 0
; NumSgprs: 0
; NumVgprs: 0
; ScratchSize: 0
; MemoryBound: 0
; FloatMode: 240
; IeeeMode: 1
; LDSByteSize: 0 bytes/workgroup (compile time only)
; SGPRBlocks: 0
; VGPRBlocks: 0
; NumSGPRsForWavesPerEU: 1
; NumVGPRsForWavesPerEU: 1
; Occupancy: 15
; WaveLimiterHint : 0
; COMPUTE_PGM_RSRC2:SCRATCH_EN: 0
; COMPUTE_PGM_RSRC2:USER_SGPR: 15
; COMPUTE_PGM_RSRC2:TRAP_HANDLER: 0
; COMPUTE_PGM_RSRC2:TGID_X_EN: 1
; COMPUTE_PGM_RSRC2:TGID_Y_EN: 0
; COMPUTE_PGM_RSRC2:TGID_Z_EN: 0
; COMPUTE_PGM_RSRC2:TIDIG_COMP_CNT: 0
	.section	.text._ZN7rocprim17ROCPRIM_400000_NS6detail17trampoline_kernelINS0_14default_configENS1_25partition_config_selectorILNS1_17partition_subalgoE5ElNS0_10empty_typeEbEEZZNS1_14partition_implILS5_5ELb0ES3_mN6hipcub16HIPCUB_304000_NS21CountingInputIteratorIllEEPS6_NSA_22TransformInputIteratorIbN2at6native12_GLOBAL__N_19NonZeroOpIbEEPKblEENS0_5tupleIJPlS6_EEENSN_IJSD_SD_EEES6_PiJS6_EEE10hipError_tPvRmT3_T4_T5_T6_T7_T9_mT8_P12ihipStream_tbDpT10_ENKUlT_T0_E_clISt17integral_constantIbLb0EES1B_EEDaS16_S17_EUlS16_E_NS1_11comp_targetILNS1_3genE3ELNS1_11target_archE908ELNS1_3gpuE7ELNS1_3repE0EEENS1_30default_config_static_selectorELNS0_4arch9wavefront6targetE0EEEvT1_,"axG",@progbits,_ZN7rocprim17ROCPRIM_400000_NS6detail17trampoline_kernelINS0_14default_configENS1_25partition_config_selectorILNS1_17partition_subalgoE5ElNS0_10empty_typeEbEEZZNS1_14partition_implILS5_5ELb0ES3_mN6hipcub16HIPCUB_304000_NS21CountingInputIteratorIllEEPS6_NSA_22TransformInputIteratorIbN2at6native12_GLOBAL__N_19NonZeroOpIbEEPKblEENS0_5tupleIJPlS6_EEENSN_IJSD_SD_EEES6_PiJS6_EEE10hipError_tPvRmT3_T4_T5_T6_T7_T9_mT8_P12ihipStream_tbDpT10_ENKUlT_T0_E_clISt17integral_constantIbLb0EES1B_EEDaS16_S17_EUlS16_E_NS1_11comp_targetILNS1_3genE3ELNS1_11target_archE908ELNS1_3gpuE7ELNS1_3repE0EEENS1_30default_config_static_selectorELNS0_4arch9wavefront6targetE0EEEvT1_,comdat
	.globl	_ZN7rocprim17ROCPRIM_400000_NS6detail17trampoline_kernelINS0_14default_configENS1_25partition_config_selectorILNS1_17partition_subalgoE5ElNS0_10empty_typeEbEEZZNS1_14partition_implILS5_5ELb0ES3_mN6hipcub16HIPCUB_304000_NS21CountingInputIteratorIllEEPS6_NSA_22TransformInputIteratorIbN2at6native12_GLOBAL__N_19NonZeroOpIbEEPKblEENS0_5tupleIJPlS6_EEENSN_IJSD_SD_EEES6_PiJS6_EEE10hipError_tPvRmT3_T4_T5_T6_T7_T9_mT8_P12ihipStream_tbDpT10_ENKUlT_T0_E_clISt17integral_constantIbLb0EES1B_EEDaS16_S17_EUlS16_E_NS1_11comp_targetILNS1_3genE3ELNS1_11target_archE908ELNS1_3gpuE7ELNS1_3repE0EEENS1_30default_config_static_selectorELNS0_4arch9wavefront6targetE0EEEvT1_ ; -- Begin function _ZN7rocprim17ROCPRIM_400000_NS6detail17trampoline_kernelINS0_14default_configENS1_25partition_config_selectorILNS1_17partition_subalgoE5ElNS0_10empty_typeEbEEZZNS1_14partition_implILS5_5ELb0ES3_mN6hipcub16HIPCUB_304000_NS21CountingInputIteratorIllEEPS6_NSA_22TransformInputIteratorIbN2at6native12_GLOBAL__N_19NonZeroOpIbEEPKblEENS0_5tupleIJPlS6_EEENSN_IJSD_SD_EEES6_PiJS6_EEE10hipError_tPvRmT3_T4_T5_T6_T7_T9_mT8_P12ihipStream_tbDpT10_ENKUlT_T0_E_clISt17integral_constantIbLb0EES1B_EEDaS16_S17_EUlS16_E_NS1_11comp_targetILNS1_3genE3ELNS1_11target_archE908ELNS1_3gpuE7ELNS1_3repE0EEENS1_30default_config_static_selectorELNS0_4arch9wavefront6targetE0EEEvT1_
	.p2align	8
	.type	_ZN7rocprim17ROCPRIM_400000_NS6detail17trampoline_kernelINS0_14default_configENS1_25partition_config_selectorILNS1_17partition_subalgoE5ElNS0_10empty_typeEbEEZZNS1_14partition_implILS5_5ELb0ES3_mN6hipcub16HIPCUB_304000_NS21CountingInputIteratorIllEEPS6_NSA_22TransformInputIteratorIbN2at6native12_GLOBAL__N_19NonZeroOpIbEEPKblEENS0_5tupleIJPlS6_EEENSN_IJSD_SD_EEES6_PiJS6_EEE10hipError_tPvRmT3_T4_T5_T6_T7_T9_mT8_P12ihipStream_tbDpT10_ENKUlT_T0_E_clISt17integral_constantIbLb0EES1B_EEDaS16_S17_EUlS16_E_NS1_11comp_targetILNS1_3genE3ELNS1_11target_archE908ELNS1_3gpuE7ELNS1_3repE0EEENS1_30default_config_static_selectorELNS0_4arch9wavefront6targetE0EEEvT1_,@function
_ZN7rocprim17ROCPRIM_400000_NS6detail17trampoline_kernelINS0_14default_configENS1_25partition_config_selectorILNS1_17partition_subalgoE5ElNS0_10empty_typeEbEEZZNS1_14partition_implILS5_5ELb0ES3_mN6hipcub16HIPCUB_304000_NS21CountingInputIteratorIllEEPS6_NSA_22TransformInputIteratorIbN2at6native12_GLOBAL__N_19NonZeroOpIbEEPKblEENS0_5tupleIJPlS6_EEENSN_IJSD_SD_EEES6_PiJS6_EEE10hipError_tPvRmT3_T4_T5_T6_T7_T9_mT8_P12ihipStream_tbDpT10_ENKUlT_T0_E_clISt17integral_constantIbLb0EES1B_EEDaS16_S17_EUlS16_E_NS1_11comp_targetILNS1_3genE3ELNS1_11target_archE908ELNS1_3gpuE7ELNS1_3repE0EEENS1_30default_config_static_selectorELNS0_4arch9wavefront6targetE0EEEvT1_: ; @_ZN7rocprim17ROCPRIM_400000_NS6detail17trampoline_kernelINS0_14default_configENS1_25partition_config_selectorILNS1_17partition_subalgoE5ElNS0_10empty_typeEbEEZZNS1_14partition_implILS5_5ELb0ES3_mN6hipcub16HIPCUB_304000_NS21CountingInputIteratorIllEEPS6_NSA_22TransformInputIteratorIbN2at6native12_GLOBAL__N_19NonZeroOpIbEEPKblEENS0_5tupleIJPlS6_EEENSN_IJSD_SD_EEES6_PiJS6_EEE10hipError_tPvRmT3_T4_T5_T6_T7_T9_mT8_P12ihipStream_tbDpT10_ENKUlT_T0_E_clISt17integral_constantIbLb0EES1B_EEDaS16_S17_EUlS16_E_NS1_11comp_targetILNS1_3genE3ELNS1_11target_archE908ELNS1_3gpuE7ELNS1_3repE0EEENS1_30default_config_static_selectorELNS0_4arch9wavefront6targetE0EEEvT1_
; %bb.0:
	.section	.rodata,"a",@progbits
	.p2align	6, 0x0
	.amdhsa_kernel _ZN7rocprim17ROCPRIM_400000_NS6detail17trampoline_kernelINS0_14default_configENS1_25partition_config_selectorILNS1_17partition_subalgoE5ElNS0_10empty_typeEbEEZZNS1_14partition_implILS5_5ELb0ES3_mN6hipcub16HIPCUB_304000_NS21CountingInputIteratorIllEEPS6_NSA_22TransformInputIteratorIbN2at6native12_GLOBAL__N_19NonZeroOpIbEEPKblEENS0_5tupleIJPlS6_EEENSN_IJSD_SD_EEES6_PiJS6_EEE10hipError_tPvRmT3_T4_T5_T6_T7_T9_mT8_P12ihipStream_tbDpT10_ENKUlT_T0_E_clISt17integral_constantIbLb0EES1B_EEDaS16_S17_EUlS16_E_NS1_11comp_targetILNS1_3genE3ELNS1_11target_archE908ELNS1_3gpuE7ELNS1_3repE0EEENS1_30default_config_static_selectorELNS0_4arch9wavefront6targetE0EEEvT1_
		.amdhsa_group_segment_fixed_size 0
		.amdhsa_private_segment_fixed_size 0
		.amdhsa_kernarg_size 120
		.amdhsa_user_sgpr_count 15
		.amdhsa_user_sgpr_dispatch_ptr 0
		.amdhsa_user_sgpr_queue_ptr 0
		.amdhsa_user_sgpr_kernarg_segment_ptr 1
		.amdhsa_user_sgpr_dispatch_id 0
		.amdhsa_user_sgpr_private_segment_size 0
		.amdhsa_wavefront_size32 1
		.amdhsa_uses_dynamic_stack 0
		.amdhsa_enable_private_segment 0
		.amdhsa_system_sgpr_workgroup_id_x 1
		.amdhsa_system_sgpr_workgroup_id_y 0
		.amdhsa_system_sgpr_workgroup_id_z 0
		.amdhsa_system_sgpr_workgroup_info 0
		.amdhsa_system_vgpr_workitem_id 0
		.amdhsa_next_free_vgpr 1
		.amdhsa_next_free_sgpr 1
		.amdhsa_reserve_vcc 0
		.amdhsa_float_round_mode_32 0
		.amdhsa_float_round_mode_16_64 0
		.amdhsa_float_denorm_mode_32 3
		.amdhsa_float_denorm_mode_16_64 3
		.amdhsa_dx10_clamp 1
		.amdhsa_ieee_mode 1
		.amdhsa_fp16_overflow 0
		.amdhsa_workgroup_processor_mode 1
		.amdhsa_memory_ordered 1
		.amdhsa_forward_progress 0
		.amdhsa_shared_vgpr_count 0
		.amdhsa_exception_fp_ieee_invalid_op 0
		.amdhsa_exception_fp_denorm_src 0
		.amdhsa_exception_fp_ieee_div_zero 0
		.amdhsa_exception_fp_ieee_overflow 0
		.amdhsa_exception_fp_ieee_underflow 0
		.amdhsa_exception_fp_ieee_inexact 0
		.amdhsa_exception_int_div_zero 0
	.end_amdhsa_kernel
	.section	.text._ZN7rocprim17ROCPRIM_400000_NS6detail17trampoline_kernelINS0_14default_configENS1_25partition_config_selectorILNS1_17partition_subalgoE5ElNS0_10empty_typeEbEEZZNS1_14partition_implILS5_5ELb0ES3_mN6hipcub16HIPCUB_304000_NS21CountingInputIteratorIllEEPS6_NSA_22TransformInputIteratorIbN2at6native12_GLOBAL__N_19NonZeroOpIbEEPKblEENS0_5tupleIJPlS6_EEENSN_IJSD_SD_EEES6_PiJS6_EEE10hipError_tPvRmT3_T4_T5_T6_T7_T9_mT8_P12ihipStream_tbDpT10_ENKUlT_T0_E_clISt17integral_constantIbLb0EES1B_EEDaS16_S17_EUlS16_E_NS1_11comp_targetILNS1_3genE3ELNS1_11target_archE908ELNS1_3gpuE7ELNS1_3repE0EEENS1_30default_config_static_selectorELNS0_4arch9wavefront6targetE0EEEvT1_,"axG",@progbits,_ZN7rocprim17ROCPRIM_400000_NS6detail17trampoline_kernelINS0_14default_configENS1_25partition_config_selectorILNS1_17partition_subalgoE5ElNS0_10empty_typeEbEEZZNS1_14partition_implILS5_5ELb0ES3_mN6hipcub16HIPCUB_304000_NS21CountingInputIteratorIllEEPS6_NSA_22TransformInputIteratorIbN2at6native12_GLOBAL__N_19NonZeroOpIbEEPKblEENS0_5tupleIJPlS6_EEENSN_IJSD_SD_EEES6_PiJS6_EEE10hipError_tPvRmT3_T4_T5_T6_T7_T9_mT8_P12ihipStream_tbDpT10_ENKUlT_T0_E_clISt17integral_constantIbLb0EES1B_EEDaS16_S17_EUlS16_E_NS1_11comp_targetILNS1_3genE3ELNS1_11target_archE908ELNS1_3gpuE7ELNS1_3repE0EEENS1_30default_config_static_selectorELNS0_4arch9wavefront6targetE0EEEvT1_,comdat
.Lfunc_end733:
	.size	_ZN7rocprim17ROCPRIM_400000_NS6detail17trampoline_kernelINS0_14default_configENS1_25partition_config_selectorILNS1_17partition_subalgoE5ElNS0_10empty_typeEbEEZZNS1_14partition_implILS5_5ELb0ES3_mN6hipcub16HIPCUB_304000_NS21CountingInputIteratorIllEEPS6_NSA_22TransformInputIteratorIbN2at6native12_GLOBAL__N_19NonZeroOpIbEEPKblEENS0_5tupleIJPlS6_EEENSN_IJSD_SD_EEES6_PiJS6_EEE10hipError_tPvRmT3_T4_T5_T6_T7_T9_mT8_P12ihipStream_tbDpT10_ENKUlT_T0_E_clISt17integral_constantIbLb0EES1B_EEDaS16_S17_EUlS16_E_NS1_11comp_targetILNS1_3genE3ELNS1_11target_archE908ELNS1_3gpuE7ELNS1_3repE0EEENS1_30default_config_static_selectorELNS0_4arch9wavefront6targetE0EEEvT1_, .Lfunc_end733-_ZN7rocprim17ROCPRIM_400000_NS6detail17trampoline_kernelINS0_14default_configENS1_25partition_config_selectorILNS1_17partition_subalgoE5ElNS0_10empty_typeEbEEZZNS1_14partition_implILS5_5ELb0ES3_mN6hipcub16HIPCUB_304000_NS21CountingInputIteratorIllEEPS6_NSA_22TransformInputIteratorIbN2at6native12_GLOBAL__N_19NonZeroOpIbEEPKblEENS0_5tupleIJPlS6_EEENSN_IJSD_SD_EEES6_PiJS6_EEE10hipError_tPvRmT3_T4_T5_T6_T7_T9_mT8_P12ihipStream_tbDpT10_ENKUlT_T0_E_clISt17integral_constantIbLb0EES1B_EEDaS16_S17_EUlS16_E_NS1_11comp_targetILNS1_3genE3ELNS1_11target_archE908ELNS1_3gpuE7ELNS1_3repE0EEENS1_30default_config_static_selectorELNS0_4arch9wavefront6targetE0EEEvT1_
                                        ; -- End function
	.section	.AMDGPU.csdata,"",@progbits
; Kernel info:
; codeLenInByte = 0
; NumSgprs: 0
; NumVgprs: 0
; ScratchSize: 0
; MemoryBound: 0
; FloatMode: 240
; IeeeMode: 1
; LDSByteSize: 0 bytes/workgroup (compile time only)
; SGPRBlocks: 0
; VGPRBlocks: 0
; NumSGPRsForWavesPerEU: 1
; NumVGPRsForWavesPerEU: 1
; Occupancy: 16
; WaveLimiterHint : 0
; COMPUTE_PGM_RSRC2:SCRATCH_EN: 0
; COMPUTE_PGM_RSRC2:USER_SGPR: 15
; COMPUTE_PGM_RSRC2:TRAP_HANDLER: 0
; COMPUTE_PGM_RSRC2:TGID_X_EN: 1
; COMPUTE_PGM_RSRC2:TGID_Y_EN: 0
; COMPUTE_PGM_RSRC2:TGID_Z_EN: 0
; COMPUTE_PGM_RSRC2:TIDIG_COMP_CNT: 0
	.section	.text._ZN7rocprim17ROCPRIM_400000_NS6detail17trampoline_kernelINS0_14default_configENS1_25partition_config_selectorILNS1_17partition_subalgoE5ElNS0_10empty_typeEbEEZZNS1_14partition_implILS5_5ELb0ES3_mN6hipcub16HIPCUB_304000_NS21CountingInputIteratorIllEEPS6_NSA_22TransformInputIteratorIbN2at6native12_GLOBAL__N_19NonZeroOpIbEEPKblEENS0_5tupleIJPlS6_EEENSN_IJSD_SD_EEES6_PiJS6_EEE10hipError_tPvRmT3_T4_T5_T6_T7_T9_mT8_P12ihipStream_tbDpT10_ENKUlT_T0_E_clISt17integral_constantIbLb0EES1B_EEDaS16_S17_EUlS16_E_NS1_11comp_targetILNS1_3genE2ELNS1_11target_archE906ELNS1_3gpuE6ELNS1_3repE0EEENS1_30default_config_static_selectorELNS0_4arch9wavefront6targetE0EEEvT1_,"axG",@progbits,_ZN7rocprim17ROCPRIM_400000_NS6detail17trampoline_kernelINS0_14default_configENS1_25partition_config_selectorILNS1_17partition_subalgoE5ElNS0_10empty_typeEbEEZZNS1_14partition_implILS5_5ELb0ES3_mN6hipcub16HIPCUB_304000_NS21CountingInputIteratorIllEEPS6_NSA_22TransformInputIteratorIbN2at6native12_GLOBAL__N_19NonZeroOpIbEEPKblEENS0_5tupleIJPlS6_EEENSN_IJSD_SD_EEES6_PiJS6_EEE10hipError_tPvRmT3_T4_T5_T6_T7_T9_mT8_P12ihipStream_tbDpT10_ENKUlT_T0_E_clISt17integral_constantIbLb0EES1B_EEDaS16_S17_EUlS16_E_NS1_11comp_targetILNS1_3genE2ELNS1_11target_archE906ELNS1_3gpuE6ELNS1_3repE0EEENS1_30default_config_static_selectorELNS0_4arch9wavefront6targetE0EEEvT1_,comdat
	.globl	_ZN7rocprim17ROCPRIM_400000_NS6detail17trampoline_kernelINS0_14default_configENS1_25partition_config_selectorILNS1_17partition_subalgoE5ElNS0_10empty_typeEbEEZZNS1_14partition_implILS5_5ELb0ES3_mN6hipcub16HIPCUB_304000_NS21CountingInputIteratorIllEEPS6_NSA_22TransformInputIteratorIbN2at6native12_GLOBAL__N_19NonZeroOpIbEEPKblEENS0_5tupleIJPlS6_EEENSN_IJSD_SD_EEES6_PiJS6_EEE10hipError_tPvRmT3_T4_T5_T6_T7_T9_mT8_P12ihipStream_tbDpT10_ENKUlT_T0_E_clISt17integral_constantIbLb0EES1B_EEDaS16_S17_EUlS16_E_NS1_11comp_targetILNS1_3genE2ELNS1_11target_archE906ELNS1_3gpuE6ELNS1_3repE0EEENS1_30default_config_static_selectorELNS0_4arch9wavefront6targetE0EEEvT1_ ; -- Begin function _ZN7rocprim17ROCPRIM_400000_NS6detail17trampoline_kernelINS0_14default_configENS1_25partition_config_selectorILNS1_17partition_subalgoE5ElNS0_10empty_typeEbEEZZNS1_14partition_implILS5_5ELb0ES3_mN6hipcub16HIPCUB_304000_NS21CountingInputIteratorIllEEPS6_NSA_22TransformInputIteratorIbN2at6native12_GLOBAL__N_19NonZeroOpIbEEPKblEENS0_5tupleIJPlS6_EEENSN_IJSD_SD_EEES6_PiJS6_EEE10hipError_tPvRmT3_T4_T5_T6_T7_T9_mT8_P12ihipStream_tbDpT10_ENKUlT_T0_E_clISt17integral_constantIbLb0EES1B_EEDaS16_S17_EUlS16_E_NS1_11comp_targetILNS1_3genE2ELNS1_11target_archE906ELNS1_3gpuE6ELNS1_3repE0EEENS1_30default_config_static_selectorELNS0_4arch9wavefront6targetE0EEEvT1_
	.p2align	8
	.type	_ZN7rocprim17ROCPRIM_400000_NS6detail17trampoline_kernelINS0_14default_configENS1_25partition_config_selectorILNS1_17partition_subalgoE5ElNS0_10empty_typeEbEEZZNS1_14partition_implILS5_5ELb0ES3_mN6hipcub16HIPCUB_304000_NS21CountingInputIteratorIllEEPS6_NSA_22TransformInputIteratorIbN2at6native12_GLOBAL__N_19NonZeroOpIbEEPKblEENS0_5tupleIJPlS6_EEENSN_IJSD_SD_EEES6_PiJS6_EEE10hipError_tPvRmT3_T4_T5_T6_T7_T9_mT8_P12ihipStream_tbDpT10_ENKUlT_T0_E_clISt17integral_constantIbLb0EES1B_EEDaS16_S17_EUlS16_E_NS1_11comp_targetILNS1_3genE2ELNS1_11target_archE906ELNS1_3gpuE6ELNS1_3repE0EEENS1_30default_config_static_selectorELNS0_4arch9wavefront6targetE0EEEvT1_,@function
_ZN7rocprim17ROCPRIM_400000_NS6detail17trampoline_kernelINS0_14default_configENS1_25partition_config_selectorILNS1_17partition_subalgoE5ElNS0_10empty_typeEbEEZZNS1_14partition_implILS5_5ELb0ES3_mN6hipcub16HIPCUB_304000_NS21CountingInputIteratorIllEEPS6_NSA_22TransformInputIteratorIbN2at6native12_GLOBAL__N_19NonZeroOpIbEEPKblEENS0_5tupleIJPlS6_EEENSN_IJSD_SD_EEES6_PiJS6_EEE10hipError_tPvRmT3_T4_T5_T6_T7_T9_mT8_P12ihipStream_tbDpT10_ENKUlT_T0_E_clISt17integral_constantIbLb0EES1B_EEDaS16_S17_EUlS16_E_NS1_11comp_targetILNS1_3genE2ELNS1_11target_archE906ELNS1_3gpuE6ELNS1_3repE0EEENS1_30default_config_static_selectorELNS0_4arch9wavefront6targetE0EEEvT1_: ; @_ZN7rocprim17ROCPRIM_400000_NS6detail17trampoline_kernelINS0_14default_configENS1_25partition_config_selectorILNS1_17partition_subalgoE5ElNS0_10empty_typeEbEEZZNS1_14partition_implILS5_5ELb0ES3_mN6hipcub16HIPCUB_304000_NS21CountingInputIteratorIllEEPS6_NSA_22TransformInputIteratorIbN2at6native12_GLOBAL__N_19NonZeroOpIbEEPKblEENS0_5tupleIJPlS6_EEENSN_IJSD_SD_EEES6_PiJS6_EEE10hipError_tPvRmT3_T4_T5_T6_T7_T9_mT8_P12ihipStream_tbDpT10_ENKUlT_T0_E_clISt17integral_constantIbLb0EES1B_EEDaS16_S17_EUlS16_E_NS1_11comp_targetILNS1_3genE2ELNS1_11target_archE906ELNS1_3gpuE6ELNS1_3repE0EEENS1_30default_config_static_selectorELNS0_4arch9wavefront6targetE0EEEvT1_
; %bb.0:
	.section	.rodata,"a",@progbits
	.p2align	6, 0x0
	.amdhsa_kernel _ZN7rocprim17ROCPRIM_400000_NS6detail17trampoline_kernelINS0_14default_configENS1_25partition_config_selectorILNS1_17partition_subalgoE5ElNS0_10empty_typeEbEEZZNS1_14partition_implILS5_5ELb0ES3_mN6hipcub16HIPCUB_304000_NS21CountingInputIteratorIllEEPS6_NSA_22TransformInputIteratorIbN2at6native12_GLOBAL__N_19NonZeroOpIbEEPKblEENS0_5tupleIJPlS6_EEENSN_IJSD_SD_EEES6_PiJS6_EEE10hipError_tPvRmT3_T4_T5_T6_T7_T9_mT8_P12ihipStream_tbDpT10_ENKUlT_T0_E_clISt17integral_constantIbLb0EES1B_EEDaS16_S17_EUlS16_E_NS1_11comp_targetILNS1_3genE2ELNS1_11target_archE906ELNS1_3gpuE6ELNS1_3repE0EEENS1_30default_config_static_selectorELNS0_4arch9wavefront6targetE0EEEvT1_
		.amdhsa_group_segment_fixed_size 0
		.amdhsa_private_segment_fixed_size 0
		.amdhsa_kernarg_size 120
		.amdhsa_user_sgpr_count 15
		.amdhsa_user_sgpr_dispatch_ptr 0
		.amdhsa_user_sgpr_queue_ptr 0
		.amdhsa_user_sgpr_kernarg_segment_ptr 1
		.amdhsa_user_sgpr_dispatch_id 0
		.amdhsa_user_sgpr_private_segment_size 0
		.amdhsa_wavefront_size32 1
		.amdhsa_uses_dynamic_stack 0
		.amdhsa_enable_private_segment 0
		.amdhsa_system_sgpr_workgroup_id_x 1
		.amdhsa_system_sgpr_workgroup_id_y 0
		.amdhsa_system_sgpr_workgroup_id_z 0
		.amdhsa_system_sgpr_workgroup_info 0
		.amdhsa_system_vgpr_workitem_id 0
		.amdhsa_next_free_vgpr 1
		.amdhsa_next_free_sgpr 1
		.amdhsa_reserve_vcc 0
		.amdhsa_float_round_mode_32 0
		.amdhsa_float_round_mode_16_64 0
		.amdhsa_float_denorm_mode_32 3
		.amdhsa_float_denorm_mode_16_64 3
		.amdhsa_dx10_clamp 1
		.amdhsa_ieee_mode 1
		.amdhsa_fp16_overflow 0
		.amdhsa_workgroup_processor_mode 1
		.amdhsa_memory_ordered 1
		.amdhsa_forward_progress 0
		.amdhsa_shared_vgpr_count 0
		.amdhsa_exception_fp_ieee_invalid_op 0
		.amdhsa_exception_fp_denorm_src 0
		.amdhsa_exception_fp_ieee_div_zero 0
		.amdhsa_exception_fp_ieee_overflow 0
		.amdhsa_exception_fp_ieee_underflow 0
		.amdhsa_exception_fp_ieee_inexact 0
		.amdhsa_exception_int_div_zero 0
	.end_amdhsa_kernel
	.section	.text._ZN7rocprim17ROCPRIM_400000_NS6detail17trampoline_kernelINS0_14default_configENS1_25partition_config_selectorILNS1_17partition_subalgoE5ElNS0_10empty_typeEbEEZZNS1_14partition_implILS5_5ELb0ES3_mN6hipcub16HIPCUB_304000_NS21CountingInputIteratorIllEEPS6_NSA_22TransformInputIteratorIbN2at6native12_GLOBAL__N_19NonZeroOpIbEEPKblEENS0_5tupleIJPlS6_EEENSN_IJSD_SD_EEES6_PiJS6_EEE10hipError_tPvRmT3_T4_T5_T6_T7_T9_mT8_P12ihipStream_tbDpT10_ENKUlT_T0_E_clISt17integral_constantIbLb0EES1B_EEDaS16_S17_EUlS16_E_NS1_11comp_targetILNS1_3genE2ELNS1_11target_archE906ELNS1_3gpuE6ELNS1_3repE0EEENS1_30default_config_static_selectorELNS0_4arch9wavefront6targetE0EEEvT1_,"axG",@progbits,_ZN7rocprim17ROCPRIM_400000_NS6detail17trampoline_kernelINS0_14default_configENS1_25partition_config_selectorILNS1_17partition_subalgoE5ElNS0_10empty_typeEbEEZZNS1_14partition_implILS5_5ELb0ES3_mN6hipcub16HIPCUB_304000_NS21CountingInputIteratorIllEEPS6_NSA_22TransformInputIteratorIbN2at6native12_GLOBAL__N_19NonZeroOpIbEEPKblEENS0_5tupleIJPlS6_EEENSN_IJSD_SD_EEES6_PiJS6_EEE10hipError_tPvRmT3_T4_T5_T6_T7_T9_mT8_P12ihipStream_tbDpT10_ENKUlT_T0_E_clISt17integral_constantIbLb0EES1B_EEDaS16_S17_EUlS16_E_NS1_11comp_targetILNS1_3genE2ELNS1_11target_archE906ELNS1_3gpuE6ELNS1_3repE0EEENS1_30default_config_static_selectorELNS0_4arch9wavefront6targetE0EEEvT1_,comdat
.Lfunc_end734:
	.size	_ZN7rocprim17ROCPRIM_400000_NS6detail17trampoline_kernelINS0_14default_configENS1_25partition_config_selectorILNS1_17partition_subalgoE5ElNS0_10empty_typeEbEEZZNS1_14partition_implILS5_5ELb0ES3_mN6hipcub16HIPCUB_304000_NS21CountingInputIteratorIllEEPS6_NSA_22TransformInputIteratorIbN2at6native12_GLOBAL__N_19NonZeroOpIbEEPKblEENS0_5tupleIJPlS6_EEENSN_IJSD_SD_EEES6_PiJS6_EEE10hipError_tPvRmT3_T4_T5_T6_T7_T9_mT8_P12ihipStream_tbDpT10_ENKUlT_T0_E_clISt17integral_constantIbLb0EES1B_EEDaS16_S17_EUlS16_E_NS1_11comp_targetILNS1_3genE2ELNS1_11target_archE906ELNS1_3gpuE6ELNS1_3repE0EEENS1_30default_config_static_selectorELNS0_4arch9wavefront6targetE0EEEvT1_, .Lfunc_end734-_ZN7rocprim17ROCPRIM_400000_NS6detail17trampoline_kernelINS0_14default_configENS1_25partition_config_selectorILNS1_17partition_subalgoE5ElNS0_10empty_typeEbEEZZNS1_14partition_implILS5_5ELb0ES3_mN6hipcub16HIPCUB_304000_NS21CountingInputIteratorIllEEPS6_NSA_22TransformInputIteratorIbN2at6native12_GLOBAL__N_19NonZeroOpIbEEPKblEENS0_5tupleIJPlS6_EEENSN_IJSD_SD_EEES6_PiJS6_EEE10hipError_tPvRmT3_T4_T5_T6_T7_T9_mT8_P12ihipStream_tbDpT10_ENKUlT_T0_E_clISt17integral_constantIbLb0EES1B_EEDaS16_S17_EUlS16_E_NS1_11comp_targetILNS1_3genE2ELNS1_11target_archE906ELNS1_3gpuE6ELNS1_3repE0EEENS1_30default_config_static_selectorELNS0_4arch9wavefront6targetE0EEEvT1_
                                        ; -- End function
	.section	.AMDGPU.csdata,"",@progbits
; Kernel info:
; codeLenInByte = 0
; NumSgprs: 0
; NumVgprs: 0
; ScratchSize: 0
; MemoryBound: 0
; FloatMode: 240
; IeeeMode: 1
; LDSByteSize: 0 bytes/workgroup (compile time only)
; SGPRBlocks: 0
; VGPRBlocks: 0
; NumSGPRsForWavesPerEU: 1
; NumVGPRsForWavesPerEU: 1
; Occupancy: 16
; WaveLimiterHint : 0
; COMPUTE_PGM_RSRC2:SCRATCH_EN: 0
; COMPUTE_PGM_RSRC2:USER_SGPR: 15
; COMPUTE_PGM_RSRC2:TRAP_HANDLER: 0
; COMPUTE_PGM_RSRC2:TGID_X_EN: 1
; COMPUTE_PGM_RSRC2:TGID_Y_EN: 0
; COMPUTE_PGM_RSRC2:TGID_Z_EN: 0
; COMPUTE_PGM_RSRC2:TIDIG_COMP_CNT: 0
	.section	.text._ZN7rocprim17ROCPRIM_400000_NS6detail17trampoline_kernelINS0_14default_configENS1_25partition_config_selectorILNS1_17partition_subalgoE5ElNS0_10empty_typeEbEEZZNS1_14partition_implILS5_5ELb0ES3_mN6hipcub16HIPCUB_304000_NS21CountingInputIteratorIllEEPS6_NSA_22TransformInputIteratorIbN2at6native12_GLOBAL__N_19NonZeroOpIbEEPKblEENS0_5tupleIJPlS6_EEENSN_IJSD_SD_EEES6_PiJS6_EEE10hipError_tPvRmT3_T4_T5_T6_T7_T9_mT8_P12ihipStream_tbDpT10_ENKUlT_T0_E_clISt17integral_constantIbLb0EES1B_EEDaS16_S17_EUlS16_E_NS1_11comp_targetILNS1_3genE10ELNS1_11target_archE1200ELNS1_3gpuE4ELNS1_3repE0EEENS1_30default_config_static_selectorELNS0_4arch9wavefront6targetE0EEEvT1_,"axG",@progbits,_ZN7rocprim17ROCPRIM_400000_NS6detail17trampoline_kernelINS0_14default_configENS1_25partition_config_selectorILNS1_17partition_subalgoE5ElNS0_10empty_typeEbEEZZNS1_14partition_implILS5_5ELb0ES3_mN6hipcub16HIPCUB_304000_NS21CountingInputIteratorIllEEPS6_NSA_22TransformInputIteratorIbN2at6native12_GLOBAL__N_19NonZeroOpIbEEPKblEENS0_5tupleIJPlS6_EEENSN_IJSD_SD_EEES6_PiJS6_EEE10hipError_tPvRmT3_T4_T5_T6_T7_T9_mT8_P12ihipStream_tbDpT10_ENKUlT_T0_E_clISt17integral_constantIbLb0EES1B_EEDaS16_S17_EUlS16_E_NS1_11comp_targetILNS1_3genE10ELNS1_11target_archE1200ELNS1_3gpuE4ELNS1_3repE0EEENS1_30default_config_static_selectorELNS0_4arch9wavefront6targetE0EEEvT1_,comdat
	.globl	_ZN7rocprim17ROCPRIM_400000_NS6detail17trampoline_kernelINS0_14default_configENS1_25partition_config_selectorILNS1_17partition_subalgoE5ElNS0_10empty_typeEbEEZZNS1_14partition_implILS5_5ELb0ES3_mN6hipcub16HIPCUB_304000_NS21CountingInputIteratorIllEEPS6_NSA_22TransformInputIteratorIbN2at6native12_GLOBAL__N_19NonZeroOpIbEEPKblEENS0_5tupleIJPlS6_EEENSN_IJSD_SD_EEES6_PiJS6_EEE10hipError_tPvRmT3_T4_T5_T6_T7_T9_mT8_P12ihipStream_tbDpT10_ENKUlT_T0_E_clISt17integral_constantIbLb0EES1B_EEDaS16_S17_EUlS16_E_NS1_11comp_targetILNS1_3genE10ELNS1_11target_archE1200ELNS1_3gpuE4ELNS1_3repE0EEENS1_30default_config_static_selectorELNS0_4arch9wavefront6targetE0EEEvT1_ ; -- Begin function _ZN7rocprim17ROCPRIM_400000_NS6detail17trampoline_kernelINS0_14default_configENS1_25partition_config_selectorILNS1_17partition_subalgoE5ElNS0_10empty_typeEbEEZZNS1_14partition_implILS5_5ELb0ES3_mN6hipcub16HIPCUB_304000_NS21CountingInputIteratorIllEEPS6_NSA_22TransformInputIteratorIbN2at6native12_GLOBAL__N_19NonZeroOpIbEEPKblEENS0_5tupleIJPlS6_EEENSN_IJSD_SD_EEES6_PiJS6_EEE10hipError_tPvRmT3_T4_T5_T6_T7_T9_mT8_P12ihipStream_tbDpT10_ENKUlT_T0_E_clISt17integral_constantIbLb0EES1B_EEDaS16_S17_EUlS16_E_NS1_11comp_targetILNS1_3genE10ELNS1_11target_archE1200ELNS1_3gpuE4ELNS1_3repE0EEENS1_30default_config_static_selectorELNS0_4arch9wavefront6targetE0EEEvT1_
	.p2align	8
	.type	_ZN7rocprim17ROCPRIM_400000_NS6detail17trampoline_kernelINS0_14default_configENS1_25partition_config_selectorILNS1_17partition_subalgoE5ElNS0_10empty_typeEbEEZZNS1_14partition_implILS5_5ELb0ES3_mN6hipcub16HIPCUB_304000_NS21CountingInputIteratorIllEEPS6_NSA_22TransformInputIteratorIbN2at6native12_GLOBAL__N_19NonZeroOpIbEEPKblEENS0_5tupleIJPlS6_EEENSN_IJSD_SD_EEES6_PiJS6_EEE10hipError_tPvRmT3_T4_T5_T6_T7_T9_mT8_P12ihipStream_tbDpT10_ENKUlT_T0_E_clISt17integral_constantIbLb0EES1B_EEDaS16_S17_EUlS16_E_NS1_11comp_targetILNS1_3genE10ELNS1_11target_archE1200ELNS1_3gpuE4ELNS1_3repE0EEENS1_30default_config_static_selectorELNS0_4arch9wavefront6targetE0EEEvT1_,@function
_ZN7rocprim17ROCPRIM_400000_NS6detail17trampoline_kernelINS0_14default_configENS1_25partition_config_selectorILNS1_17partition_subalgoE5ElNS0_10empty_typeEbEEZZNS1_14partition_implILS5_5ELb0ES3_mN6hipcub16HIPCUB_304000_NS21CountingInputIteratorIllEEPS6_NSA_22TransformInputIteratorIbN2at6native12_GLOBAL__N_19NonZeroOpIbEEPKblEENS0_5tupleIJPlS6_EEENSN_IJSD_SD_EEES6_PiJS6_EEE10hipError_tPvRmT3_T4_T5_T6_T7_T9_mT8_P12ihipStream_tbDpT10_ENKUlT_T0_E_clISt17integral_constantIbLb0EES1B_EEDaS16_S17_EUlS16_E_NS1_11comp_targetILNS1_3genE10ELNS1_11target_archE1200ELNS1_3gpuE4ELNS1_3repE0EEENS1_30default_config_static_selectorELNS0_4arch9wavefront6targetE0EEEvT1_: ; @_ZN7rocprim17ROCPRIM_400000_NS6detail17trampoline_kernelINS0_14default_configENS1_25partition_config_selectorILNS1_17partition_subalgoE5ElNS0_10empty_typeEbEEZZNS1_14partition_implILS5_5ELb0ES3_mN6hipcub16HIPCUB_304000_NS21CountingInputIteratorIllEEPS6_NSA_22TransformInputIteratorIbN2at6native12_GLOBAL__N_19NonZeroOpIbEEPKblEENS0_5tupleIJPlS6_EEENSN_IJSD_SD_EEES6_PiJS6_EEE10hipError_tPvRmT3_T4_T5_T6_T7_T9_mT8_P12ihipStream_tbDpT10_ENKUlT_T0_E_clISt17integral_constantIbLb0EES1B_EEDaS16_S17_EUlS16_E_NS1_11comp_targetILNS1_3genE10ELNS1_11target_archE1200ELNS1_3gpuE4ELNS1_3repE0EEENS1_30default_config_static_selectorELNS0_4arch9wavefront6targetE0EEEvT1_
; %bb.0:
	.section	.rodata,"a",@progbits
	.p2align	6, 0x0
	.amdhsa_kernel _ZN7rocprim17ROCPRIM_400000_NS6detail17trampoline_kernelINS0_14default_configENS1_25partition_config_selectorILNS1_17partition_subalgoE5ElNS0_10empty_typeEbEEZZNS1_14partition_implILS5_5ELb0ES3_mN6hipcub16HIPCUB_304000_NS21CountingInputIteratorIllEEPS6_NSA_22TransformInputIteratorIbN2at6native12_GLOBAL__N_19NonZeroOpIbEEPKblEENS0_5tupleIJPlS6_EEENSN_IJSD_SD_EEES6_PiJS6_EEE10hipError_tPvRmT3_T4_T5_T6_T7_T9_mT8_P12ihipStream_tbDpT10_ENKUlT_T0_E_clISt17integral_constantIbLb0EES1B_EEDaS16_S17_EUlS16_E_NS1_11comp_targetILNS1_3genE10ELNS1_11target_archE1200ELNS1_3gpuE4ELNS1_3repE0EEENS1_30default_config_static_selectorELNS0_4arch9wavefront6targetE0EEEvT1_
		.amdhsa_group_segment_fixed_size 0
		.amdhsa_private_segment_fixed_size 0
		.amdhsa_kernarg_size 120
		.amdhsa_user_sgpr_count 15
		.amdhsa_user_sgpr_dispatch_ptr 0
		.amdhsa_user_sgpr_queue_ptr 0
		.amdhsa_user_sgpr_kernarg_segment_ptr 1
		.amdhsa_user_sgpr_dispatch_id 0
		.amdhsa_user_sgpr_private_segment_size 0
		.amdhsa_wavefront_size32 1
		.amdhsa_uses_dynamic_stack 0
		.amdhsa_enable_private_segment 0
		.amdhsa_system_sgpr_workgroup_id_x 1
		.amdhsa_system_sgpr_workgroup_id_y 0
		.amdhsa_system_sgpr_workgroup_id_z 0
		.amdhsa_system_sgpr_workgroup_info 0
		.amdhsa_system_vgpr_workitem_id 0
		.amdhsa_next_free_vgpr 1
		.amdhsa_next_free_sgpr 1
		.amdhsa_reserve_vcc 0
		.amdhsa_float_round_mode_32 0
		.amdhsa_float_round_mode_16_64 0
		.amdhsa_float_denorm_mode_32 3
		.amdhsa_float_denorm_mode_16_64 3
		.amdhsa_dx10_clamp 1
		.amdhsa_ieee_mode 1
		.amdhsa_fp16_overflow 0
		.amdhsa_workgroup_processor_mode 1
		.amdhsa_memory_ordered 1
		.amdhsa_forward_progress 0
		.amdhsa_shared_vgpr_count 0
		.amdhsa_exception_fp_ieee_invalid_op 0
		.amdhsa_exception_fp_denorm_src 0
		.amdhsa_exception_fp_ieee_div_zero 0
		.amdhsa_exception_fp_ieee_overflow 0
		.amdhsa_exception_fp_ieee_underflow 0
		.amdhsa_exception_fp_ieee_inexact 0
		.amdhsa_exception_int_div_zero 0
	.end_amdhsa_kernel
	.section	.text._ZN7rocprim17ROCPRIM_400000_NS6detail17trampoline_kernelINS0_14default_configENS1_25partition_config_selectorILNS1_17partition_subalgoE5ElNS0_10empty_typeEbEEZZNS1_14partition_implILS5_5ELb0ES3_mN6hipcub16HIPCUB_304000_NS21CountingInputIteratorIllEEPS6_NSA_22TransformInputIteratorIbN2at6native12_GLOBAL__N_19NonZeroOpIbEEPKblEENS0_5tupleIJPlS6_EEENSN_IJSD_SD_EEES6_PiJS6_EEE10hipError_tPvRmT3_T4_T5_T6_T7_T9_mT8_P12ihipStream_tbDpT10_ENKUlT_T0_E_clISt17integral_constantIbLb0EES1B_EEDaS16_S17_EUlS16_E_NS1_11comp_targetILNS1_3genE10ELNS1_11target_archE1200ELNS1_3gpuE4ELNS1_3repE0EEENS1_30default_config_static_selectorELNS0_4arch9wavefront6targetE0EEEvT1_,"axG",@progbits,_ZN7rocprim17ROCPRIM_400000_NS6detail17trampoline_kernelINS0_14default_configENS1_25partition_config_selectorILNS1_17partition_subalgoE5ElNS0_10empty_typeEbEEZZNS1_14partition_implILS5_5ELb0ES3_mN6hipcub16HIPCUB_304000_NS21CountingInputIteratorIllEEPS6_NSA_22TransformInputIteratorIbN2at6native12_GLOBAL__N_19NonZeroOpIbEEPKblEENS0_5tupleIJPlS6_EEENSN_IJSD_SD_EEES6_PiJS6_EEE10hipError_tPvRmT3_T4_T5_T6_T7_T9_mT8_P12ihipStream_tbDpT10_ENKUlT_T0_E_clISt17integral_constantIbLb0EES1B_EEDaS16_S17_EUlS16_E_NS1_11comp_targetILNS1_3genE10ELNS1_11target_archE1200ELNS1_3gpuE4ELNS1_3repE0EEENS1_30default_config_static_selectorELNS0_4arch9wavefront6targetE0EEEvT1_,comdat
.Lfunc_end735:
	.size	_ZN7rocprim17ROCPRIM_400000_NS6detail17trampoline_kernelINS0_14default_configENS1_25partition_config_selectorILNS1_17partition_subalgoE5ElNS0_10empty_typeEbEEZZNS1_14partition_implILS5_5ELb0ES3_mN6hipcub16HIPCUB_304000_NS21CountingInputIteratorIllEEPS6_NSA_22TransformInputIteratorIbN2at6native12_GLOBAL__N_19NonZeroOpIbEEPKblEENS0_5tupleIJPlS6_EEENSN_IJSD_SD_EEES6_PiJS6_EEE10hipError_tPvRmT3_T4_T5_T6_T7_T9_mT8_P12ihipStream_tbDpT10_ENKUlT_T0_E_clISt17integral_constantIbLb0EES1B_EEDaS16_S17_EUlS16_E_NS1_11comp_targetILNS1_3genE10ELNS1_11target_archE1200ELNS1_3gpuE4ELNS1_3repE0EEENS1_30default_config_static_selectorELNS0_4arch9wavefront6targetE0EEEvT1_, .Lfunc_end735-_ZN7rocprim17ROCPRIM_400000_NS6detail17trampoline_kernelINS0_14default_configENS1_25partition_config_selectorILNS1_17partition_subalgoE5ElNS0_10empty_typeEbEEZZNS1_14partition_implILS5_5ELb0ES3_mN6hipcub16HIPCUB_304000_NS21CountingInputIteratorIllEEPS6_NSA_22TransformInputIteratorIbN2at6native12_GLOBAL__N_19NonZeroOpIbEEPKblEENS0_5tupleIJPlS6_EEENSN_IJSD_SD_EEES6_PiJS6_EEE10hipError_tPvRmT3_T4_T5_T6_T7_T9_mT8_P12ihipStream_tbDpT10_ENKUlT_T0_E_clISt17integral_constantIbLb0EES1B_EEDaS16_S17_EUlS16_E_NS1_11comp_targetILNS1_3genE10ELNS1_11target_archE1200ELNS1_3gpuE4ELNS1_3repE0EEENS1_30default_config_static_selectorELNS0_4arch9wavefront6targetE0EEEvT1_
                                        ; -- End function
	.section	.AMDGPU.csdata,"",@progbits
; Kernel info:
; codeLenInByte = 0
; NumSgprs: 0
; NumVgprs: 0
; ScratchSize: 0
; MemoryBound: 0
; FloatMode: 240
; IeeeMode: 1
; LDSByteSize: 0 bytes/workgroup (compile time only)
; SGPRBlocks: 0
; VGPRBlocks: 0
; NumSGPRsForWavesPerEU: 1
; NumVGPRsForWavesPerEU: 1
; Occupancy: 16
; WaveLimiterHint : 0
; COMPUTE_PGM_RSRC2:SCRATCH_EN: 0
; COMPUTE_PGM_RSRC2:USER_SGPR: 15
; COMPUTE_PGM_RSRC2:TRAP_HANDLER: 0
; COMPUTE_PGM_RSRC2:TGID_X_EN: 1
; COMPUTE_PGM_RSRC2:TGID_Y_EN: 0
; COMPUTE_PGM_RSRC2:TGID_Z_EN: 0
; COMPUTE_PGM_RSRC2:TIDIG_COMP_CNT: 0
	.section	.text._ZN7rocprim17ROCPRIM_400000_NS6detail17trampoline_kernelINS0_14default_configENS1_25partition_config_selectorILNS1_17partition_subalgoE5ElNS0_10empty_typeEbEEZZNS1_14partition_implILS5_5ELb0ES3_mN6hipcub16HIPCUB_304000_NS21CountingInputIteratorIllEEPS6_NSA_22TransformInputIteratorIbN2at6native12_GLOBAL__N_19NonZeroOpIbEEPKblEENS0_5tupleIJPlS6_EEENSN_IJSD_SD_EEES6_PiJS6_EEE10hipError_tPvRmT3_T4_T5_T6_T7_T9_mT8_P12ihipStream_tbDpT10_ENKUlT_T0_E_clISt17integral_constantIbLb0EES1B_EEDaS16_S17_EUlS16_E_NS1_11comp_targetILNS1_3genE9ELNS1_11target_archE1100ELNS1_3gpuE3ELNS1_3repE0EEENS1_30default_config_static_selectorELNS0_4arch9wavefront6targetE0EEEvT1_,"axG",@progbits,_ZN7rocprim17ROCPRIM_400000_NS6detail17trampoline_kernelINS0_14default_configENS1_25partition_config_selectorILNS1_17partition_subalgoE5ElNS0_10empty_typeEbEEZZNS1_14partition_implILS5_5ELb0ES3_mN6hipcub16HIPCUB_304000_NS21CountingInputIteratorIllEEPS6_NSA_22TransformInputIteratorIbN2at6native12_GLOBAL__N_19NonZeroOpIbEEPKblEENS0_5tupleIJPlS6_EEENSN_IJSD_SD_EEES6_PiJS6_EEE10hipError_tPvRmT3_T4_T5_T6_T7_T9_mT8_P12ihipStream_tbDpT10_ENKUlT_T0_E_clISt17integral_constantIbLb0EES1B_EEDaS16_S17_EUlS16_E_NS1_11comp_targetILNS1_3genE9ELNS1_11target_archE1100ELNS1_3gpuE3ELNS1_3repE0EEENS1_30default_config_static_selectorELNS0_4arch9wavefront6targetE0EEEvT1_,comdat
	.globl	_ZN7rocprim17ROCPRIM_400000_NS6detail17trampoline_kernelINS0_14default_configENS1_25partition_config_selectorILNS1_17partition_subalgoE5ElNS0_10empty_typeEbEEZZNS1_14partition_implILS5_5ELb0ES3_mN6hipcub16HIPCUB_304000_NS21CountingInputIteratorIllEEPS6_NSA_22TransformInputIteratorIbN2at6native12_GLOBAL__N_19NonZeroOpIbEEPKblEENS0_5tupleIJPlS6_EEENSN_IJSD_SD_EEES6_PiJS6_EEE10hipError_tPvRmT3_T4_T5_T6_T7_T9_mT8_P12ihipStream_tbDpT10_ENKUlT_T0_E_clISt17integral_constantIbLb0EES1B_EEDaS16_S17_EUlS16_E_NS1_11comp_targetILNS1_3genE9ELNS1_11target_archE1100ELNS1_3gpuE3ELNS1_3repE0EEENS1_30default_config_static_selectorELNS0_4arch9wavefront6targetE0EEEvT1_ ; -- Begin function _ZN7rocprim17ROCPRIM_400000_NS6detail17trampoline_kernelINS0_14default_configENS1_25partition_config_selectorILNS1_17partition_subalgoE5ElNS0_10empty_typeEbEEZZNS1_14partition_implILS5_5ELb0ES3_mN6hipcub16HIPCUB_304000_NS21CountingInputIteratorIllEEPS6_NSA_22TransformInputIteratorIbN2at6native12_GLOBAL__N_19NonZeroOpIbEEPKblEENS0_5tupleIJPlS6_EEENSN_IJSD_SD_EEES6_PiJS6_EEE10hipError_tPvRmT3_T4_T5_T6_T7_T9_mT8_P12ihipStream_tbDpT10_ENKUlT_T0_E_clISt17integral_constantIbLb0EES1B_EEDaS16_S17_EUlS16_E_NS1_11comp_targetILNS1_3genE9ELNS1_11target_archE1100ELNS1_3gpuE3ELNS1_3repE0EEENS1_30default_config_static_selectorELNS0_4arch9wavefront6targetE0EEEvT1_
	.p2align	8
	.type	_ZN7rocprim17ROCPRIM_400000_NS6detail17trampoline_kernelINS0_14default_configENS1_25partition_config_selectorILNS1_17partition_subalgoE5ElNS0_10empty_typeEbEEZZNS1_14partition_implILS5_5ELb0ES3_mN6hipcub16HIPCUB_304000_NS21CountingInputIteratorIllEEPS6_NSA_22TransformInputIteratorIbN2at6native12_GLOBAL__N_19NonZeroOpIbEEPKblEENS0_5tupleIJPlS6_EEENSN_IJSD_SD_EEES6_PiJS6_EEE10hipError_tPvRmT3_T4_T5_T6_T7_T9_mT8_P12ihipStream_tbDpT10_ENKUlT_T0_E_clISt17integral_constantIbLb0EES1B_EEDaS16_S17_EUlS16_E_NS1_11comp_targetILNS1_3genE9ELNS1_11target_archE1100ELNS1_3gpuE3ELNS1_3repE0EEENS1_30default_config_static_selectorELNS0_4arch9wavefront6targetE0EEEvT1_,@function
_ZN7rocprim17ROCPRIM_400000_NS6detail17trampoline_kernelINS0_14default_configENS1_25partition_config_selectorILNS1_17partition_subalgoE5ElNS0_10empty_typeEbEEZZNS1_14partition_implILS5_5ELb0ES3_mN6hipcub16HIPCUB_304000_NS21CountingInputIteratorIllEEPS6_NSA_22TransformInputIteratorIbN2at6native12_GLOBAL__N_19NonZeroOpIbEEPKblEENS0_5tupleIJPlS6_EEENSN_IJSD_SD_EEES6_PiJS6_EEE10hipError_tPvRmT3_T4_T5_T6_T7_T9_mT8_P12ihipStream_tbDpT10_ENKUlT_T0_E_clISt17integral_constantIbLb0EES1B_EEDaS16_S17_EUlS16_E_NS1_11comp_targetILNS1_3genE9ELNS1_11target_archE1100ELNS1_3gpuE3ELNS1_3repE0EEENS1_30default_config_static_selectorELNS0_4arch9wavefront6targetE0EEEvT1_: ; @_ZN7rocprim17ROCPRIM_400000_NS6detail17trampoline_kernelINS0_14default_configENS1_25partition_config_selectorILNS1_17partition_subalgoE5ElNS0_10empty_typeEbEEZZNS1_14partition_implILS5_5ELb0ES3_mN6hipcub16HIPCUB_304000_NS21CountingInputIteratorIllEEPS6_NSA_22TransformInputIteratorIbN2at6native12_GLOBAL__N_19NonZeroOpIbEEPKblEENS0_5tupleIJPlS6_EEENSN_IJSD_SD_EEES6_PiJS6_EEE10hipError_tPvRmT3_T4_T5_T6_T7_T9_mT8_P12ihipStream_tbDpT10_ENKUlT_T0_E_clISt17integral_constantIbLb0EES1B_EEDaS16_S17_EUlS16_E_NS1_11comp_targetILNS1_3genE9ELNS1_11target_archE1100ELNS1_3gpuE3ELNS1_3repE0EEENS1_30default_config_static_selectorELNS0_4arch9wavefront6targetE0EEEvT1_
; %bb.0:
	s_clause 0x4
	s_load_b128 s[8:11], s[0:1], 0x8
	s_load_b128 s[4:7], s[0:1], 0x48
	s_load_b32 s14, s[0:1], 0x70
	s_load_b64 s[2:3], s[0:1], 0x58
	s_load_b64 s[12:13], s[0:1], 0x20
	s_waitcnt lgkmcnt(0)
	s_add_u32 s8, s10, s8
	s_load_b64 s[6:7], s[6:7], 0x0
	s_mul_i32 s17, s14, 0x300
	s_addc_u32 s9, s11, s9
	s_add_i32 s14, s14, -1
	s_add_u32 s18, s10, s17
	s_addc_u32 s19, s11, 0
	s_cmp_eq_u32 s15, s14
	v_cmp_ge_u64_e64 s3, s[18:19], s[2:3]
	s_cselect_b32 s14, -1, 0
	s_mov_b32 s18, -1
	s_delay_alu instid0(VALU_DEP_1) | instskip(NEXT) | instid1(SALU_CYCLE_1)
	s_and_b32 s3, s14, s3
	s_xor_b32 s16, s3, -1
	s_mul_i32 s3, s15, 0x300
	s_and_b32 vcc_lo, exec_lo, s16
	s_cbranch_vccz .LBB736_2
; %bb.1:
	s_add_u32 s18, s8, s3
	s_addc_u32 s19, s9, 0
	v_add_co_u32 v1, s18, s18, v0
	s_delay_alu instid0(VALU_DEP_1) | instskip(SKIP_1) | instid1(VALU_DEP_3)
	v_add_co_ci_u32_e64 v2, null, s19, 0, s18
	v_lshlrev_b32_e32 v13, 3, v0
	v_add_co_u32 v3, vcc_lo, 0x80, v1
	s_delay_alu instid0(VALU_DEP_3)
	v_add_co_ci_u32_e32 v4, vcc_lo, 0, v2, vcc_lo
	v_add_co_u32 v5, vcc_lo, 0x100, v1
	v_add_co_ci_u32_e32 v6, vcc_lo, 0, v2, vcc_lo
	v_add_co_u32 v7, vcc_lo, 0x180, v1
	;; [unrolled: 2-line block ×4, first 2 shown]
	v_add_co_ci_u32_e32 v12, vcc_lo, 0, v2, vcc_lo
	ds_store_2addr_stride64_b64 v13, v[1:2], v[3:4] offset1:2
	ds_store_2addr_stride64_b64 v13, v[5:6], v[7:8] offset0:4 offset1:6
	ds_store_2addr_stride64_b64 v13, v[9:10], v[11:12] offset0:8 offset1:10
	s_waitcnt lgkmcnt(0)
	s_mov_b32 s18, 0
	s_barrier
.LBB736_2:
	v_or_b32_e32 v17, 0x100, v0
	v_or_b32_e32 v16, 0x180, v0
	;; [unrolled: 1-line block ×4, first 2 shown]
	s_and_not1_b32 vcc_lo, exec_lo, s18
	s_cbranch_vccnz .LBB736_4
; %bb.3:
	v_or_b32_e32 v3, 0x80, v0
	s_add_u32 s8, s8, s3
	s_addc_u32 s9, s9, 0
	v_add_co_u32 v1, s18, s8, v0
	s_delay_alu instid0(VALU_DEP_1) | instskip(SKIP_1) | instid1(VALU_DEP_1)
	v_add_co_ci_u32_e64 v2, null, s9, 0, s18
	v_add_co_u32 v3, s18, s8, v3
	v_add_co_ci_u32_e64 v4, null, s9, 0, s18
	v_add_co_u32 v5, s18, s8, v17
	s_delay_alu instid0(VALU_DEP_1) | instskip(SKIP_1) | instid1(VALU_DEP_1)
	v_add_co_ci_u32_e64 v6, null, s9, 0, s18
	v_add_co_u32 v7, s18, s8, v16
	v_add_co_ci_u32_e64 v8, null, s9, 0, s18
	v_add_co_u32 v9, s18, s8, v14
	v_lshlrev_b32_e32 v15, 3, v0
	v_add_co_u32 v11, s8, s8, v13
	v_add_co_ci_u32_e64 v10, null, s9, 0, s18
	v_add_co_ci_u32_e64 v12, null, s9, 0, s8
	ds_store_2addr_stride64_b64 v15, v[1:2], v[3:4] offset1:2
	ds_store_2addr_stride64_b64 v15, v[5:6], v[7:8] offset0:4 offset1:6
	ds_store_2addr_stride64_b64 v15, v[9:10], v[11:12] offset0:8 offset1:10
	s_waitcnt lgkmcnt(0)
	s_barrier
.LBB736_4:
	v_mul_u32_u24_e32 v1, 6, v0
	s_waitcnt lgkmcnt(0)
	buffer_gl0_inv
	s_add_u32 s8, s12, s10
	s_addc_u32 s9, s13, s11
	s_add_u32 s12, s8, s3
	v_lshlrev_b32_e32 v15, 3, v1
	s_addc_u32 s13, s9, 0
	s_and_b32 vcc_lo, exec_lo, s16
	s_mov_b32 s3, -1
	ds_load_b128 v[9:12], v15
	ds_load_b128 v[5:8], v15 offset:16
	ds_load_b128 v[1:4], v15 offset:32
	s_waitcnt lgkmcnt(0)
	s_barrier
	buffer_gl0_inv
	s_cbranch_vccz .LBB736_6
; %bb.5:
	s_clause 0x5
	global_load_u8 v18, v0, s[12:13]
	global_load_u8 v19, v0, s[12:13] offset:128
	global_load_u8 v20, v0, s[12:13] offset:256
	;; [unrolled: 1-line block ×5, first 2 shown]
	s_mov_b32 s3, 0
	s_waitcnt vmcnt(5)
	ds_store_b8 v0, v18
	s_waitcnt vmcnt(4)
	ds_store_b8 v0, v19 offset:128
	s_waitcnt vmcnt(3)
	ds_store_b8 v0, v20 offset:256
	;; [unrolled: 2-line block ×5, first 2 shown]
	s_waitcnt lgkmcnt(0)
	s_barrier
.LBB736_6:
	s_load_b64 s[8:9], s[0:1], 0x68
	s_and_not1_b32 vcc_lo, exec_lo, s3
	s_cbranch_vccnz .LBB736_20
; %bb.7:
	s_add_i32 s17, s17, s10
	v_dual_mov_b32 v18, 0 :: v_dual_mov_b32 v19, 0
	s_sub_i32 s2, s2, s17
	s_mov_b32 s3, exec_lo
	s_addk_i32 s2, 0x300
	s_delay_alu instid0(SALU_CYCLE_1)
	v_cmpx_gt_u32_e64 s2, v0
	s_cbranch_execz .LBB736_9
; %bb.8:
	global_load_u8 v19, v0, s[12:13]
.LBB736_9:
	s_or_b32 exec_lo, exec_lo, s3
	v_or_b32_e32 v20, 0x80, v0
	s_mov_b32 s3, exec_lo
	s_delay_alu instid0(VALU_DEP_1)
	v_cmpx_gt_u32_e64 s2, v20
	s_cbranch_execz .LBB736_11
; %bb.10:
	global_load_u8 v18, v0, s[12:13] offset:128
.LBB736_11:
	s_or_b32 exec_lo, exec_lo, s3
	v_cmp_gt_u32_e32 vcc_lo, s2, v17
	v_dual_mov_b32 v17, 0 :: v_dual_mov_b32 v20, 0
	s_and_saveexec_b32 s3, vcc_lo
	s_cbranch_execz .LBB736_13
; %bb.12:
	global_load_u8 v20, v0, s[12:13] offset:256
.LBB736_13:
	s_or_b32 exec_lo, exec_lo, s3
	s_delay_alu instid0(SALU_CYCLE_1)
	s_mov_b32 s3, exec_lo
	v_cmpx_gt_u32_e64 s2, v16
	s_cbranch_execz .LBB736_15
; %bb.14:
	global_load_u8 v17, v0, s[12:13] offset:384
.LBB736_15:
	s_or_b32 exec_lo, exec_lo, s3
	v_cmp_gt_u32_e32 vcc_lo, s2, v14
	v_mov_b32_e32 v14, 0
	v_mov_b32_e32 v16, 0
	s_and_saveexec_b32 s3, vcc_lo
	s_cbranch_execz .LBB736_17
; %bb.16:
	global_load_u8 v16, v0, s[12:13] offset:512
.LBB736_17:
	s_or_b32 exec_lo, exec_lo, s3
	v_cmp_gt_u32_e32 vcc_lo, s2, v13
	s_and_saveexec_b32 s2, vcc_lo
	s_cbranch_execz .LBB736_19
; %bb.18:
	global_load_u8 v14, v0, s[12:13] offset:640
.LBB736_19:
	s_or_b32 exec_lo, exec_lo, s2
	s_waitcnt vmcnt(0)
	ds_store_b8 v0, v19
	ds_store_b8 v0, v18 offset:128
	ds_store_b8 v0, v20 offset:256
	;; [unrolled: 1-line block ×5, first 2 shown]
	s_waitcnt lgkmcnt(0)
	s_barrier
.LBB736_20:
	v_mad_i32_i24 v43, 0xffffffd6, v0, v15
	s_waitcnt lgkmcnt(0)
	buffer_gl0_inv
	v_mbcnt_lo_u32_b32 v42, -1, 0
	s_cmp_lg_u32 s15, 0
	s_mov_b32 s3, -1
	ds_load_u16 v36, v43
	ds_load_u16 v33, v43 offset:2
	ds_load_u16 v31, v43 offset:4
	v_mov_b32_e32 v14, 0
	v_and_b32_e32 v44, 15, v42
	s_waitcnt lgkmcnt(0)
	s_barrier
	buffer_gl0_inv
	v_and_b32_e32 v41, 0xff, v36
	v_lshrrev_b16 v34, 8, v36
	v_lshrrev_b16 v35, 8, v33
	v_and_b32_e32 v39, 0xff, v33
	v_lshrrev_b16 v32, 8, v31
	v_and_b32_e32 v37, 0xff, v31
	v_and_b32_e32 v40, 0xffff, v34
	;; [unrolled: 1-line block ×3, first 2 shown]
	s_delay_alu instid0(VALU_DEP_4) | instskip(NEXT) | instid1(VALU_DEP_3)
	v_and_b32_e32 v16, 0xffff, v32
	v_add_co_u32 v13, s2, v40, v41
	s_delay_alu instid0(VALU_DEP_1) | instskip(SKIP_1) | instid1(VALU_DEP_3)
	v_add_co_ci_u32_e64 v15, null, 0, 0, s2
	v_cmp_ne_u32_e64 s2, 0, v44
	v_add_co_u32 v13, vcc_lo, v13, v39
	s_delay_alu instid0(VALU_DEP_3) | instskip(NEXT) | instid1(VALU_DEP_2)
	v_add_co_ci_u32_e32 v15, vcc_lo, 0, v15, vcc_lo
	v_add_co_u32 v13, vcc_lo, v13, v38
	s_delay_alu instid0(VALU_DEP_2) | instskip(NEXT) | instid1(VALU_DEP_2)
	v_add_co_ci_u32_e32 v15, vcc_lo, 0, v15, vcc_lo
	v_add_co_u32 v13, vcc_lo, v13, v37
	s_delay_alu instid0(VALU_DEP_2) | instskip(NEXT) | instid1(VALU_DEP_2)
	v_add_co_ci_u32_e32 v15, vcc_lo, 0, v15, vcc_lo
	v_add_co_u32 v21, vcc_lo, v13, v16
	s_delay_alu instid0(VALU_DEP_2)
	v_add_co_ci_u32_e32 v22, vcc_lo, 0, v15, vcc_lo
	s_cbranch_scc0 .LBB736_84
; %bb.21:
	s_delay_alu instid0(VALU_DEP_2)
	v_mov_b32_e32 v15, v21
	v_mov_b32_dpp v13, v21 row_shr:1 row_mask:0xf bank_mask:0xf
	v_mov_b32_dpp v18, v14 row_shr:1 row_mask:0xf bank_mask:0xf
	v_dual_mov_b32 v17, v21 :: v_dual_mov_b32 v16, v22
	s_and_saveexec_b32 s3, s2
; %bb.22:
	s_delay_alu instid0(VALU_DEP_3) | instskip(SKIP_1) | instid1(VALU_DEP_2)
	v_add_co_u32 v17, vcc_lo, v21, v13
	v_add_co_ci_u32_e32 v14, vcc_lo, 0, v22, vcc_lo
	v_add_co_u32 v13, vcc_lo, 0, v17
	s_delay_alu instid0(VALU_DEP_2) | instskip(NEXT) | instid1(VALU_DEP_1)
	v_add_co_ci_u32_e32 v14, vcc_lo, v18, v14, vcc_lo
	v_dual_mov_b32 v16, v14 :: v_dual_mov_b32 v15, v13
; %bb.23:
	s_or_b32 exec_lo, exec_lo, s3
	v_mov_b32_dpp v13, v17 row_shr:2 row_mask:0xf bank_mask:0xf
	v_mov_b32_dpp v18, v14 row_shr:2 row_mask:0xf bank_mask:0xf
	s_mov_b32 s3, exec_lo
	v_cmpx_lt_u32_e32 1, v44
; %bb.24:
	s_delay_alu instid0(VALU_DEP_3) | instskip(SKIP_1) | instid1(VALU_DEP_2)
	v_add_co_u32 v17, vcc_lo, v15, v13
	v_add_co_ci_u32_e32 v14, vcc_lo, 0, v16, vcc_lo
	v_add_co_u32 v13, vcc_lo, 0, v17
	s_delay_alu instid0(VALU_DEP_2) | instskip(NEXT) | instid1(VALU_DEP_1)
	v_add_co_ci_u32_e32 v14, vcc_lo, v18, v14, vcc_lo
	v_dual_mov_b32 v16, v14 :: v_dual_mov_b32 v15, v13
; %bb.25:
	s_or_b32 exec_lo, exec_lo, s3
	v_mov_b32_dpp v13, v17 row_shr:4 row_mask:0xf bank_mask:0xf
	v_mov_b32_dpp v18, v14 row_shr:4 row_mask:0xf bank_mask:0xf
	s_mov_b32 s3, exec_lo
	v_cmpx_lt_u32_e32 3, v44
	;; [unrolled: 14-line block ×3, first 2 shown]
; %bb.28:
	s_delay_alu instid0(VALU_DEP_3) | instskip(SKIP_1) | instid1(VALU_DEP_2)
	v_add_co_u32 v17, vcc_lo, v15, v18
	v_add_co_ci_u32_e32 v14, vcc_lo, 0, v16, vcc_lo
	v_add_co_u32 v15, vcc_lo, 0, v17
	s_delay_alu instid0(VALU_DEP_2) | instskip(NEXT) | instid1(VALU_DEP_1)
	v_add_co_ci_u32_e32 v16, vcc_lo, v13, v14, vcc_lo
	v_mov_b32_e32 v14, v16
; %bb.29:
	s_or_b32 exec_lo, exec_lo, s3
	ds_swizzle_b32 v13, v17 offset:swizzle(BROADCAST,32,15)
	ds_swizzle_b32 v18, v14 offset:swizzle(BROADCAST,32,15)
	v_and_b32_e32 v19, 16, v42
	s_mov_b32 s3, exec_lo
	s_delay_alu instid0(VALU_DEP_1)
	v_cmpx_ne_u32_e32 0, v19
	s_cbranch_execz .LBB736_31
; %bb.30:
	s_waitcnt lgkmcnt(1)
	v_add_co_u32 v17, vcc_lo, v15, v13
	v_add_co_ci_u32_e32 v14, vcc_lo, 0, v16, vcc_lo
	s_delay_alu instid0(VALU_DEP_2) | instskip(SKIP_1) | instid1(VALU_DEP_2)
	v_add_co_u32 v13, vcc_lo, 0, v17
	s_waitcnt lgkmcnt(0)
	v_add_co_ci_u32_e32 v14, vcc_lo, v18, v14, vcc_lo
	s_delay_alu instid0(VALU_DEP_1)
	v_dual_mov_b32 v16, v14 :: v_dual_mov_b32 v15, v13
.LBB736_31:
	s_or_b32 exec_lo, exec_lo, s3
	s_waitcnt lgkmcnt(0)
	v_or_b32_e32 v18, 31, v0
	v_lshrrev_b32_e32 v13, 5, v0
	s_mov_b32 s3, exec_lo
	s_delay_alu instid0(VALU_DEP_2)
	v_cmpx_eq_u32_e64 v18, v0
	s_cbranch_execz .LBB736_33
; %bb.32:
	s_delay_alu instid0(VALU_DEP_2)
	v_lshlrev_b32_e32 v18, 3, v13
	ds_store_b64 v18, v[15:16]
.LBB736_33:
	s_or_b32 exec_lo, exec_lo, s3
	s_delay_alu instid0(SALU_CYCLE_1)
	s_mov_b32 s3, exec_lo
	s_waitcnt lgkmcnt(0)
	s_barrier
	buffer_gl0_inv
	v_cmpx_gt_u32_e32 4, v0
	s_cbranch_execz .LBB736_39
; %bb.34:
	v_lshlrev_b32_e32 v18, 3, v0
	s_mov_b32 s10, exec_lo
	ds_load_b64 v[15:16], v18
	s_waitcnt lgkmcnt(0)
	v_dual_mov_b32 v20, v15 :: v_dual_and_b32 v19, 3, v42
	v_mov_b32_dpp v24, v15 row_shr:1 row_mask:0xf bank_mask:0xf
	v_mov_b32_dpp v23, v16 row_shr:1 row_mask:0xf bank_mask:0xf
	s_delay_alu instid0(VALU_DEP_3)
	v_cmpx_ne_u32_e32 0, v19
; %bb.35:
	s_delay_alu instid0(VALU_DEP_3) | instskip(SKIP_1) | instid1(VALU_DEP_2)
	v_add_co_u32 v20, vcc_lo, v15, v24
	v_add_co_ci_u32_e32 v16, vcc_lo, 0, v16, vcc_lo
	v_add_co_u32 v15, vcc_lo, 0, v20
	s_delay_alu instid0(VALU_DEP_2)
	v_add_co_ci_u32_e32 v16, vcc_lo, v23, v16, vcc_lo
; %bb.36:
	s_or_b32 exec_lo, exec_lo, s10
	v_mov_b32_dpp v23, v20 row_shr:2 row_mask:0xf bank_mask:0xf
	s_delay_alu instid0(VALU_DEP_2)
	v_mov_b32_dpp v20, v16 row_shr:2 row_mask:0xf bank_mask:0xf
	s_mov_b32 s10, exec_lo
	v_cmpx_lt_u32_e32 1, v19
; %bb.37:
	s_delay_alu instid0(VALU_DEP_3) | instskip(SKIP_1) | instid1(VALU_DEP_2)
	v_add_co_u32 v15, vcc_lo, v15, v23
	v_add_co_ci_u32_e32 v16, vcc_lo, 0, v16, vcc_lo
	v_add_co_u32 v15, vcc_lo, v15, 0
	s_delay_alu instid0(VALU_DEP_2)
	v_add_co_ci_u32_e32 v16, vcc_lo, v16, v20, vcc_lo
; %bb.38:
	s_or_b32 exec_lo, exec_lo, s10
	ds_store_b64 v18, v[15:16]
.LBB736_39:
	s_or_b32 exec_lo, exec_lo, s3
	v_cmp_gt_u32_e32 vcc_lo, 32, v0
	s_mov_b32 s10, exec_lo
	s_waitcnt lgkmcnt(0)
	s_barrier
	buffer_gl0_inv
                                        ; implicit-def: $vgpr23_vgpr24
	v_cmpx_lt_u32_e32 31, v0
	s_cbranch_execz .LBB736_41
; %bb.40:
	v_lshl_add_u32 v13, v13, 3, -8
	ds_load_b64 v[23:24], v13
	s_waitcnt lgkmcnt(0)
	v_add_co_u32 v17, s3, v17, v23
	s_delay_alu instid0(VALU_DEP_1)
	v_add_co_ci_u32_e64 v14, s3, v14, v24, s3
.LBB736_41:
	s_or_b32 exec_lo, exec_lo, s10
	v_add_nc_u32_e32 v13, -1, v42
	s_delay_alu instid0(VALU_DEP_1) | instskip(NEXT) | instid1(VALU_DEP_1)
	v_cmp_gt_i32_e64 s3, 0, v13
	v_cndmask_b32_e64 v13, v13, v42, s3
	v_cmp_eq_u32_e64 s3, 0, v42
	s_delay_alu instid0(VALU_DEP_2)
	v_lshlrev_b32_e32 v13, 2, v13
	ds_bpermute_b32 v29, v13, v17
	ds_bpermute_b32 v30, v13, v14
	s_and_saveexec_b32 s10, vcc_lo
	s_cbranch_execz .LBB736_79
; %bb.42:
	v_mov_b32_e32 v16, 0
	ds_load_b64 v[13:14], v16 offset:24
	s_and_saveexec_b32 s11, s3
	s_cbranch_execz .LBB736_44
; %bb.43:
	s_add_i32 s12, s15, 32
	s_mov_b32 s13, 0
	s_delay_alu instid0(SALU_CYCLE_1) | instskip(NEXT) | instid1(SALU_CYCLE_1)
	s_lshl_b64 s[12:13], s[12:13], 4
	s_add_u32 s12, s8, s12
	s_addc_u32 s13, s9, s13
	s_delay_alu instid0(SALU_CYCLE_1)
	v_dual_mov_b32 v15, 1 :: v_dual_mov_b32 v18, s13
	v_mov_b32_e32 v17, s12
	s_waitcnt lgkmcnt(0)
	;;#ASMSTART
	global_store_dwordx4 v[17:18], v[13:16] off	
s_waitcnt vmcnt(0)
	;;#ASMEND
.LBB736_44:
	s_or_b32 exec_lo, exec_lo, s11
	v_xad_u32 v25, v42, -1, s15
	s_mov_b32 s12, 0
	s_mov_b32 s11, exec_lo
	s_delay_alu instid0(VALU_DEP_1) | instskip(NEXT) | instid1(VALU_DEP_1)
	v_add_nc_u32_e32 v15, 32, v25
	v_lshlrev_b64 v[15:16], 4, v[15:16]
	s_delay_alu instid0(VALU_DEP_1) | instskip(NEXT) | instid1(VALU_DEP_2)
	v_add_co_u32 v15, vcc_lo, s8, v15
	v_add_co_ci_u32_e32 v16, vcc_lo, s9, v16, vcc_lo
	;;#ASMSTART
	global_load_dwordx4 v[17:20], v[15:16] off glc	
s_waitcnt vmcnt(0)
	;;#ASMEND
	v_and_b32_e32 v20, 0xff, v18
	v_and_b32_e32 v26, 0xff00, v18
	v_or3_b32 v17, v17, 0, 0
	v_and_b32_e32 v27, 0xff000000, v18
	v_and_b32_e32 v18, 0xff0000, v18
	s_delay_alu instid0(VALU_DEP_4) | instskip(SKIP_2) | instid1(VALU_DEP_3)
	v_or3_b32 v20, 0, v20, v26
	v_and_b32_e32 v26, 0xff, v19
	v_or3_b32 v17, v17, 0, 0
	v_or3_b32 v18, v20, v18, v27
	s_delay_alu instid0(VALU_DEP_3)
	v_cmpx_eq_u16_e32 0, v26
	s_cbranch_execz .LBB736_47
.LBB736_45:                             ; =>This Inner Loop Header: Depth=1
	;;#ASMSTART
	global_load_dwordx4 v[17:20], v[15:16] off glc	
s_waitcnt vmcnt(0)
	;;#ASMEND
	v_and_b32_e32 v20, 0xff, v19
	s_delay_alu instid0(VALU_DEP_1) | instskip(SKIP_1) | instid1(SALU_CYCLE_1)
	v_cmp_ne_u16_e32 vcc_lo, 0, v20
	s_or_b32 s12, vcc_lo, s12
	s_and_not1_b32 exec_lo, exec_lo, s12
	s_cbranch_execnz .LBB736_45
; %bb.46:
	s_or_b32 exec_lo, exec_lo, s12
.LBB736_47:
	s_delay_alu instid0(SALU_CYCLE_1)
	s_or_b32 exec_lo, exec_lo, s11
	v_cmp_ne_u32_e32 vcc_lo, 31, v42
	v_and_b32_e32 v16, 0xff, v19
	v_lshlrev_b32_e64 v46, v42, -1
	s_mov_b32 s11, exec_lo
	v_add_co_ci_u32_e32 v15, vcc_lo, 0, v42, vcc_lo
	s_delay_alu instid0(VALU_DEP_3) | instskip(NEXT) | instid1(VALU_DEP_2)
	v_cmp_eq_u16_e32 vcc_lo, 2, v16
	v_dual_mov_b32 v16, v17 :: v_dual_lshlrev_b32 v45, 2, v15
	v_and_or_b32 v15, vcc_lo, v46, 0x80000000
	ds_bpermute_b32 v26, v45, v17
	ds_bpermute_b32 v20, v45, v18
	v_ctz_i32_b32_e32 v15, v15
	s_delay_alu instid0(VALU_DEP_1)
	v_cmpx_lt_u32_e64 v42, v15
	s_cbranch_execz .LBB736_49
; %bb.48:
	s_waitcnt lgkmcnt(1)
	v_add_co_u32 v16, vcc_lo, v17, v26
	v_add_co_ci_u32_e32 v18, vcc_lo, 0, v18, vcc_lo
	s_delay_alu instid0(VALU_DEP_2) | instskip(SKIP_1) | instid1(VALU_DEP_2)
	v_add_co_u32 v17, vcc_lo, 0, v16
	s_waitcnt lgkmcnt(0)
	v_add_co_ci_u32_e32 v18, vcc_lo, v20, v18, vcc_lo
.LBB736_49:
	s_or_b32 exec_lo, exec_lo, s11
	v_cmp_gt_u32_e32 vcc_lo, 30, v42
	v_add_nc_u32_e32 v48, 2, v42
	s_mov_b32 s11, exec_lo
	s_waitcnt lgkmcnt(0)
	v_cndmask_b32_e64 v20, 0, 1, vcc_lo
	s_delay_alu instid0(VALU_DEP_1) | instskip(NEXT) | instid1(VALU_DEP_1)
	v_lshlrev_b32_e32 v20, 1, v20
	v_add_lshl_u32 v47, v20, v42, 2
	ds_bpermute_b32 v26, v47, v16
	ds_bpermute_b32 v20, v47, v18
	v_cmpx_le_u32_e64 v48, v15
	s_cbranch_execz .LBB736_51
; %bb.50:
	s_waitcnt lgkmcnt(1)
	v_add_co_u32 v16, vcc_lo, v17, v26
	v_add_co_ci_u32_e32 v18, vcc_lo, 0, v18, vcc_lo
	s_delay_alu instid0(VALU_DEP_2) | instskip(SKIP_1) | instid1(VALU_DEP_2)
	v_add_co_u32 v17, vcc_lo, 0, v16
	s_waitcnt lgkmcnt(0)
	v_add_co_ci_u32_e32 v18, vcc_lo, v20, v18, vcc_lo
.LBB736_51:
	s_or_b32 exec_lo, exec_lo, s11
	v_cmp_gt_u32_e32 vcc_lo, 28, v42
	v_add_nc_u32_e32 v50, 4, v42
	s_mov_b32 s11, exec_lo
	s_waitcnt lgkmcnt(0)
	v_cndmask_b32_e64 v20, 0, 1, vcc_lo
	s_delay_alu instid0(VALU_DEP_1) | instskip(NEXT) | instid1(VALU_DEP_1)
	v_lshlrev_b32_e32 v20, 2, v20
	v_add_lshl_u32 v49, v20, v42, 2
	ds_bpermute_b32 v26, v49, v16
	ds_bpermute_b32 v20, v49, v18
	v_cmpx_le_u32_e64 v50, v15
	;; [unrolled: 22-line block ×4, first 2 shown]
	s_cbranch_execz .LBB736_57
; %bb.56:
	s_waitcnt lgkmcnt(1)
	v_add_co_u32 v15, vcc_lo, v17, v20
	v_add_co_ci_u32_e32 v18, vcc_lo, 0, v18, vcc_lo
	s_delay_alu instid0(VALU_DEP_2) | instskip(SKIP_1) | instid1(VALU_DEP_2)
	v_add_co_u32 v17, vcc_lo, v15, 0
	s_waitcnt lgkmcnt(0)
	v_add_co_ci_u32_e32 v18, vcc_lo, v18, v16, vcc_lo
.LBB736_57:
	s_or_b32 exec_lo, exec_lo, s11
	v_mov_b32_e32 v26, 0
	s_branch .LBB736_59
.LBB736_58:                             ;   in Loop: Header=BB736_59 Depth=1
	s_or_b32 exec_lo, exec_lo, s11
	v_add_co_u32 v17, vcc_lo, v17, v15
	v_subrev_nc_u32_e32 v25, 32, v25
	v_add_co_ci_u32_e32 v18, vcc_lo, v18, v16, vcc_lo
.LBB736_59:                             ; =>This Loop Header: Depth=1
                                        ;     Child Loop BB736_62 Depth 2
	v_and_b32_e32 v15, 0xff, v19
	s_delay_alu instid0(VALU_DEP_1) | instskip(SKIP_2) | instid1(VALU_DEP_1)
	v_cmp_ne_u16_e32 vcc_lo, 2, v15
	v_cndmask_b32_e64 v15, 0, 1, vcc_lo
	;;#ASMSTART
	;;#ASMEND
	v_cmp_ne_u32_e32 vcc_lo, 0, v15
	s_waitcnt lgkmcnt(0)
	v_dual_mov_b32 v15, v17 :: v_dual_mov_b32 v16, v18
	s_cmp_lg_u32 vcc_lo, exec_lo
	s_cbranch_scc1 .LBB736_74
; %bb.60:                               ;   in Loop: Header=BB736_59 Depth=1
	v_lshlrev_b64 v[17:18], 4, v[25:26]
	s_mov_b32 s11, exec_lo
	s_delay_alu instid0(VALU_DEP_1) | instskip(NEXT) | instid1(VALU_DEP_2)
	v_add_co_u32 v27, vcc_lo, s8, v17
	v_add_co_ci_u32_e32 v28, vcc_lo, s9, v18, vcc_lo
	;;#ASMSTART
	global_load_dwordx4 v[17:20], v[27:28] off glc	
s_waitcnt vmcnt(0)
	;;#ASMEND
	v_and_b32_e32 v20, 0xff, v18
	v_and_b32_e32 v55, 0xff00, v18
	v_or3_b32 v17, v17, 0, 0
	v_and_b32_e32 v56, 0xff000000, v18
	v_and_b32_e32 v18, 0xff0000, v18
	s_delay_alu instid0(VALU_DEP_4) | instskip(SKIP_2) | instid1(VALU_DEP_3)
	v_or3_b32 v20, 0, v20, v55
	v_and_b32_e32 v55, 0xff, v19
	v_or3_b32 v17, v17, 0, 0
	v_or3_b32 v18, v20, v18, v56
	s_delay_alu instid0(VALU_DEP_3)
	v_cmpx_eq_u16_e32 0, v55
	s_cbranch_execz .LBB736_64
; %bb.61:                               ;   in Loop: Header=BB736_59 Depth=1
	s_mov_b32 s12, 0
.LBB736_62:                             ;   Parent Loop BB736_59 Depth=1
                                        ; =>  This Inner Loop Header: Depth=2
	;;#ASMSTART
	global_load_dwordx4 v[17:20], v[27:28] off glc	
s_waitcnt vmcnt(0)
	;;#ASMEND
	v_and_b32_e32 v20, 0xff, v19
	s_delay_alu instid0(VALU_DEP_1) | instskip(SKIP_1) | instid1(SALU_CYCLE_1)
	v_cmp_ne_u16_e32 vcc_lo, 0, v20
	s_or_b32 s12, vcc_lo, s12
	s_and_not1_b32 exec_lo, exec_lo, s12
	s_cbranch_execnz .LBB736_62
; %bb.63:                               ;   in Loop: Header=BB736_59 Depth=1
	s_or_b32 exec_lo, exec_lo, s12
.LBB736_64:                             ;   in Loop: Header=BB736_59 Depth=1
	s_delay_alu instid0(SALU_CYCLE_1)
	s_or_b32 exec_lo, exec_lo, s11
	v_dual_mov_b32 v27, v17 :: v_dual_and_b32 v20, 0xff, v19
	ds_bpermute_b32 v55, v45, v17
	ds_bpermute_b32 v28, v45, v18
	s_mov_b32 s11, exec_lo
	v_cmp_eq_u16_e32 vcc_lo, 2, v20
	v_and_or_b32 v20, vcc_lo, v46, 0x80000000
	s_delay_alu instid0(VALU_DEP_1) | instskip(NEXT) | instid1(VALU_DEP_1)
	v_ctz_i32_b32_e32 v20, v20
	v_cmpx_lt_u32_e64 v42, v20
	s_cbranch_execz .LBB736_66
; %bb.65:                               ;   in Loop: Header=BB736_59 Depth=1
	s_waitcnt lgkmcnt(1)
	v_add_co_u32 v27, vcc_lo, v17, v55
	v_add_co_ci_u32_e32 v18, vcc_lo, 0, v18, vcc_lo
	s_delay_alu instid0(VALU_DEP_2) | instskip(SKIP_1) | instid1(VALU_DEP_2)
	v_add_co_u32 v17, vcc_lo, 0, v27
	s_waitcnt lgkmcnt(0)
	v_add_co_ci_u32_e32 v18, vcc_lo, v28, v18, vcc_lo
.LBB736_66:                             ;   in Loop: Header=BB736_59 Depth=1
	s_or_b32 exec_lo, exec_lo, s11
	s_waitcnt lgkmcnt(1)
	ds_bpermute_b32 v55, v47, v27
	s_waitcnt lgkmcnt(1)
	ds_bpermute_b32 v28, v47, v18
	s_mov_b32 s11, exec_lo
	v_cmpx_le_u32_e64 v48, v20
	s_cbranch_execz .LBB736_68
; %bb.67:                               ;   in Loop: Header=BB736_59 Depth=1
	s_waitcnt lgkmcnt(1)
	v_add_co_u32 v27, vcc_lo, v17, v55
	v_add_co_ci_u32_e32 v18, vcc_lo, 0, v18, vcc_lo
	s_delay_alu instid0(VALU_DEP_2) | instskip(SKIP_1) | instid1(VALU_DEP_2)
	v_add_co_u32 v17, vcc_lo, 0, v27
	s_waitcnt lgkmcnt(0)
	v_add_co_ci_u32_e32 v18, vcc_lo, v28, v18, vcc_lo
.LBB736_68:                             ;   in Loop: Header=BB736_59 Depth=1
	s_or_b32 exec_lo, exec_lo, s11
	s_waitcnt lgkmcnt(1)
	ds_bpermute_b32 v55, v49, v27
	s_waitcnt lgkmcnt(1)
	ds_bpermute_b32 v28, v49, v18
	s_mov_b32 s11, exec_lo
	v_cmpx_le_u32_e64 v50, v20
	;; [unrolled: 17-line block ×3, first 2 shown]
	s_cbranch_execz .LBB736_72
; %bb.71:                               ;   in Loop: Header=BB736_59 Depth=1
	s_waitcnt lgkmcnt(1)
	v_add_co_u32 v27, vcc_lo, v17, v55
	v_add_co_ci_u32_e32 v18, vcc_lo, 0, v18, vcc_lo
	s_delay_alu instid0(VALU_DEP_2) | instskip(SKIP_1) | instid1(VALU_DEP_2)
	v_add_co_u32 v17, vcc_lo, 0, v27
	s_waitcnt lgkmcnt(0)
	v_add_co_ci_u32_e32 v18, vcc_lo, v28, v18, vcc_lo
.LBB736_72:                             ;   in Loop: Header=BB736_59 Depth=1
	s_or_b32 exec_lo, exec_lo, s11
	s_waitcnt lgkmcnt(0)
	ds_bpermute_b32 v28, v53, v27
	ds_bpermute_b32 v27, v53, v18
	s_mov_b32 s11, exec_lo
	v_cmpx_le_u32_e64 v54, v20
	s_cbranch_execz .LBB736_58
; %bb.73:                               ;   in Loop: Header=BB736_59 Depth=1
	s_waitcnt lgkmcnt(1)
	v_add_co_u32 v17, vcc_lo, v17, v28
	v_add_co_ci_u32_e32 v18, vcc_lo, 0, v18, vcc_lo
	s_delay_alu instid0(VALU_DEP_2) | instskip(SKIP_1) | instid1(VALU_DEP_2)
	v_add_co_u32 v17, vcc_lo, v17, 0
	s_waitcnt lgkmcnt(0)
	v_add_co_ci_u32_e32 v18, vcc_lo, v18, v27, vcc_lo
	s_branch .LBB736_58
.LBB736_74:                             ;   in Loop: Header=BB736_59 Depth=1
                                        ; implicit-def: $vgpr17_vgpr18
	s_cbranch_execz .LBB736_59
; %bb.75:
	s_and_saveexec_b32 s11, s3
	s_cbranch_execz .LBB736_77
; %bb.76:
	s_add_i32 s12, s15, 32
	s_mov_b32 s13, 0
	v_add_co_u32 v17, vcc_lo, v15, v13
	s_lshl_b64 s[12:13], s[12:13], 4
	v_dual_mov_b32 v19, 2 :: v_dual_mov_b32 v20, 0
	s_add_u32 s12, s8, s12
	s_addc_u32 s13, s9, s13
	v_add_co_ci_u32_e32 v18, vcc_lo, v16, v14, vcc_lo
	v_dual_mov_b32 v26, s13 :: v_dual_mov_b32 v25, s12
	;;#ASMSTART
	global_store_dwordx4 v[25:26], v[17:20] off	
s_waitcnt vmcnt(0)
	;;#ASMEND
	ds_store_b128 v20, v[13:16] offset:6144
.LBB736_77:
	s_or_b32 exec_lo, exec_lo, s11
	v_cmp_eq_u32_e32 vcc_lo, 0, v0
	s_and_b32 exec_lo, exec_lo, vcc_lo
	s_cbranch_execz .LBB736_79
; %bb.78:
	v_mov_b32_e32 v13, 0
	ds_store_b64 v13, v[15:16] offset:24
.LBB736_79:
	s_or_b32 exec_lo, exec_lo, s10
	s_waitcnt lgkmcnt(1)
	v_cndmask_b32_e64 v16, v29, v23, s3
	v_cmp_ne_u32_e32 vcc_lo, 0, v0
	v_mov_b32_e32 v15, 0
	s_waitcnt lgkmcnt(0)
	s_barrier
	buffer_gl0_inv
	v_cndmask_b32_e32 v16, 0, v16, vcc_lo
	ds_load_b64 v[13:14], v15 offset:24
	v_cndmask_b32_e64 v17, v30, v24, s3
	s_waitcnt lgkmcnt(0)
	s_barrier
	buffer_gl0_inv
	v_cndmask_b32_e32 v17, 0, v17, vcc_lo
	v_add_co_u32 v29, vcc_lo, v13, v16
	s_delay_alu instid0(VALU_DEP_2) | instskip(SKIP_3) | instid1(VALU_DEP_2)
	v_add_co_ci_u32_e32 v30, vcc_lo, v14, v17, vcc_lo
	ds_load_b128 v[13:16], v15 offset:6144
	v_add_co_u32 v27, vcc_lo, v29, v41
	v_add_co_ci_u32_e32 v28, vcc_lo, 0, v30, vcc_lo
	v_add_co_u32 v25, vcc_lo, v27, v40
	s_delay_alu instid0(VALU_DEP_2) | instskip(NEXT) | instid1(VALU_DEP_2)
	v_add_co_ci_u32_e32 v26, vcc_lo, 0, v28, vcc_lo
	v_add_co_u32 v23, vcc_lo, v25, v39
	s_delay_alu instid0(VALU_DEP_2) | instskip(NEXT) | instid1(VALU_DEP_2)
	;; [unrolled: 3-line block ×3, first 2 shown]
	v_add_co_ci_u32_e32 v20, vcc_lo, 0, v24, vcc_lo
	v_add_co_u32 v17, vcc_lo, v19, v37
	s_delay_alu instid0(VALU_DEP_2)
	v_add_co_ci_u32_e32 v18, vcc_lo, 0, v20, vcc_lo
	s_load_b64 s[10:11], s[0:1], 0x30
.LBB736_80:
	s_waitcnt lgkmcnt(0)
	v_cmp_gt_u64_e32 vcc_lo, 0x81, v[13:14]
	s_mov_b32 s0, -1
	s_cbranch_vccnz .LBB736_108
.LBB736_81:
	s_and_b32 vcc_lo, exec_lo, s0
	s_cbranch_vccnz .LBB736_127
.LBB736_82:
	v_cmp_eq_u32_e32 vcc_lo, 0, v0
	s_and_b32 s0, vcc_lo, s14
	s_delay_alu instid0(SALU_CYCLE_1)
	s_and_saveexec_b32 s1, s0
	s_cbranch_execnz .LBB736_143
.LBB736_83:
	s_nop 0
	s_sendmsg sendmsg(MSG_DEALLOC_VGPRS)
	s_endpgm
.LBB736_84:
                                        ; kill: def $vgpr13_vgpr14 killed $sgpr0_sgpr1 killed $exec
                                        ; implicit-def: $vgpr17_vgpr18
                                        ; implicit-def: $vgpr19_vgpr20
                                        ; implicit-def: $vgpr23_vgpr24
                                        ; implicit-def: $vgpr25_vgpr26
                                        ; implicit-def: $vgpr27_vgpr28
                                        ; implicit-def: $vgpr29_vgpr30
                                        ; implicit-def: $vgpr15_vgpr16
	s_load_b64 s[10:11], s[0:1], 0x30
	s_and_b32 vcc_lo, exec_lo, s3
	s_cbranch_vccz .LBB736_80
; %bb.85:
	s_waitcnt lgkmcnt(0)
	v_dual_mov_b32 v14, 0 :: v_dual_mov_b32 v15, v21
	v_mov_b32_dpp v16, v21 row_shr:1 row_mask:0xf bank_mask:0xf
	s_delay_alu instid0(VALU_DEP_2)
	v_mov_b32_dpp v13, v14 row_shr:1 row_mask:0xf bank_mask:0xf
	s_and_saveexec_b32 s0, s2
; %bb.86:
	s_delay_alu instid0(VALU_DEP_2) | instskip(SKIP_1) | instid1(VALU_DEP_2)
	v_add_co_u32 v15, vcc_lo, v21, v16
	v_add_co_ci_u32_e32 v14, vcc_lo, 0, v22, vcc_lo
	v_add_co_u32 v21, vcc_lo, 0, v15
	s_delay_alu instid0(VALU_DEP_2) | instskip(NEXT) | instid1(VALU_DEP_1)
	v_add_co_ci_u32_e32 v22, vcc_lo, v13, v14, vcc_lo
	v_mov_b32_e32 v14, v22
; %bb.87:
	s_or_b32 exec_lo, exec_lo, s0
	v_mov_b32_dpp v13, v15 row_shr:2 row_mask:0xf bank_mask:0xf
	s_delay_alu instid0(VALU_DEP_2)
	v_mov_b32_dpp v16, v14 row_shr:2 row_mask:0xf bank_mask:0xf
	s_mov_b32 s0, exec_lo
	v_cmpx_lt_u32_e32 1, v44
; %bb.88:
	s_delay_alu instid0(VALU_DEP_3) | instskip(SKIP_1) | instid1(VALU_DEP_2)
	v_add_co_u32 v15, vcc_lo, v21, v13
	v_add_co_ci_u32_e32 v14, vcc_lo, 0, v22, vcc_lo
	v_add_co_u32 v13, vcc_lo, 0, v15
	s_delay_alu instid0(VALU_DEP_2) | instskip(NEXT) | instid1(VALU_DEP_1)
	v_add_co_ci_u32_e32 v14, vcc_lo, v16, v14, vcc_lo
	v_dual_mov_b32 v22, v14 :: v_dual_mov_b32 v21, v13
; %bb.89:
	s_or_b32 exec_lo, exec_lo, s0
	v_mov_b32_dpp v13, v15 row_shr:4 row_mask:0xf bank_mask:0xf
	v_mov_b32_dpp v16, v14 row_shr:4 row_mask:0xf bank_mask:0xf
	s_mov_b32 s0, exec_lo
	v_cmpx_lt_u32_e32 3, v44
; %bb.90:
	s_delay_alu instid0(VALU_DEP_3) | instskip(SKIP_1) | instid1(VALU_DEP_2)
	v_add_co_u32 v15, vcc_lo, v21, v13
	v_add_co_ci_u32_e32 v14, vcc_lo, 0, v22, vcc_lo
	v_add_co_u32 v13, vcc_lo, 0, v15
	s_delay_alu instid0(VALU_DEP_2) | instskip(NEXT) | instid1(VALU_DEP_1)
	v_add_co_ci_u32_e32 v14, vcc_lo, v16, v14, vcc_lo
	v_dual_mov_b32 v22, v14 :: v_dual_mov_b32 v21, v13
; %bb.91:
	s_or_b32 exec_lo, exec_lo, s0
	v_mov_b32_dpp v16, v15 row_shr:8 row_mask:0xf bank_mask:0xf
	v_mov_b32_dpp v13, v14 row_shr:8 row_mask:0xf bank_mask:0xf
	s_mov_b32 s0, exec_lo
	v_cmpx_lt_u32_e32 7, v44
; %bb.92:
	s_delay_alu instid0(VALU_DEP_3) | instskip(SKIP_1) | instid1(VALU_DEP_2)
	v_add_co_u32 v15, vcc_lo, v21, v16
	v_add_co_ci_u32_e32 v14, vcc_lo, 0, v22, vcc_lo
	v_add_co_u32 v21, vcc_lo, 0, v15
	s_delay_alu instid0(VALU_DEP_2) | instskip(NEXT) | instid1(VALU_DEP_1)
	v_add_co_ci_u32_e32 v22, vcc_lo, v13, v14, vcc_lo
	v_mov_b32_e32 v14, v22
; %bb.93:
	s_or_b32 exec_lo, exec_lo, s0
	ds_swizzle_b32 v15, v15 offset:swizzle(BROADCAST,32,15)
	ds_swizzle_b32 v13, v14 offset:swizzle(BROADCAST,32,15)
	v_and_b32_e32 v14, 16, v42
	s_mov_b32 s0, exec_lo
	s_delay_alu instid0(VALU_DEP_1)
	v_cmpx_ne_u32_e32 0, v14
	s_cbranch_execz .LBB736_95
; %bb.94:
	s_waitcnt lgkmcnt(1)
	v_add_co_u32 v14, vcc_lo, v21, v15
	v_add_co_ci_u32_e32 v15, vcc_lo, 0, v22, vcc_lo
	s_delay_alu instid0(VALU_DEP_2) | instskip(SKIP_1) | instid1(VALU_DEP_2)
	v_add_co_u32 v21, vcc_lo, v14, 0
	s_waitcnt lgkmcnt(0)
	v_add_co_ci_u32_e32 v22, vcc_lo, v15, v13, vcc_lo
.LBB736_95:
	s_or_b32 exec_lo, exec_lo, s0
	s_waitcnt lgkmcnt(0)
	v_or_b32_e32 v13, 31, v0
	v_lshrrev_b32_e32 v15, 5, v0
	s_mov_b32 s0, exec_lo
	s_delay_alu instid0(VALU_DEP_2)
	v_cmpx_eq_u32_e64 v13, v0
	s_cbranch_execz .LBB736_97
; %bb.96:
	s_delay_alu instid0(VALU_DEP_2)
	v_lshlrev_b32_e32 v13, 3, v15
	ds_store_b64 v13, v[21:22]
.LBB736_97:
	s_or_b32 exec_lo, exec_lo, s0
	s_delay_alu instid0(SALU_CYCLE_1)
	s_mov_b32 s0, exec_lo
	s_waitcnt lgkmcnt(0)
	s_barrier
	buffer_gl0_inv
	v_cmpx_gt_u32_e32 4, v0
	s_cbranch_execz .LBB736_103
; %bb.98:
	v_lshlrev_b32_e32 v13, 1, v0
	s_mov_b32 s1, exec_lo
	s_delay_alu instid0(VALU_DEP_1)
	v_add_nc_u32_e32 v16, v43, v13
	ds_load_b64 v[13:14], v16
	s_waitcnt lgkmcnt(0)
	v_dual_mov_b32 v18, v13 :: v_dual_and_b32 v17, 3, v42
	v_mov_b32_dpp v20, v13 row_shr:1 row_mask:0xf bank_mask:0xf
	v_mov_b32_dpp v19, v14 row_shr:1 row_mask:0xf bank_mask:0xf
	s_delay_alu instid0(VALU_DEP_3)
	v_cmpx_ne_u32_e32 0, v17
; %bb.99:
	s_delay_alu instid0(VALU_DEP_3) | instskip(SKIP_1) | instid1(VALU_DEP_2)
	v_add_co_u32 v18, vcc_lo, v13, v20
	v_add_co_ci_u32_e32 v14, vcc_lo, 0, v14, vcc_lo
	v_add_co_u32 v13, vcc_lo, 0, v18
	s_delay_alu instid0(VALU_DEP_2)
	v_add_co_ci_u32_e32 v14, vcc_lo, v19, v14, vcc_lo
; %bb.100:
	s_or_b32 exec_lo, exec_lo, s1
	v_mov_b32_dpp v19, v18 row_shr:2 row_mask:0xf bank_mask:0xf
	s_delay_alu instid0(VALU_DEP_2)
	v_mov_b32_dpp v18, v14 row_shr:2 row_mask:0xf bank_mask:0xf
	s_mov_b32 s1, exec_lo
	v_cmpx_lt_u32_e32 1, v17
; %bb.101:
	s_delay_alu instid0(VALU_DEP_3) | instskip(SKIP_1) | instid1(VALU_DEP_2)
	v_add_co_u32 v13, vcc_lo, v13, v19
	v_add_co_ci_u32_e32 v14, vcc_lo, 0, v14, vcc_lo
	v_add_co_u32 v13, vcc_lo, v13, 0
	s_delay_alu instid0(VALU_DEP_2)
	v_add_co_ci_u32_e32 v14, vcc_lo, v14, v18, vcc_lo
; %bb.102:
	s_or_b32 exec_lo, exec_lo, s1
	ds_store_b64 v16, v[13:14]
.LBB736_103:
	s_or_b32 exec_lo, exec_lo, s0
	v_mov_b32_e32 v17, 0
	v_mov_b32_e32 v18, 0
	s_mov_b32 s0, exec_lo
	s_waitcnt lgkmcnt(0)
	s_barrier
	buffer_gl0_inv
	v_cmpx_lt_u32_e32 31, v0
	s_cbranch_execz .LBB736_105
; %bb.104:
	v_lshl_add_u32 v13, v15, 3, -8
	ds_load_b64 v[17:18], v13
.LBB736_105:
	s_or_b32 exec_lo, exec_lo, s0
	v_dual_mov_b32 v16, 0 :: v_dual_add_nc_u32 v13, -1, v42
	s_delay_alu instid0(VALU_DEP_1) | instskip(SKIP_4) | instid1(VALU_DEP_3)
	v_cmp_gt_i32_e32 vcc_lo, 0, v13
	v_cndmask_b32_e32 v13, v13, v42, vcc_lo
	s_waitcnt lgkmcnt(0)
	v_add_co_u32 v14, vcc_lo, v17, v21
	v_add_co_ci_u32_e32 v15, vcc_lo, v18, v22, vcc_lo
	v_lshlrev_b32_e32 v13, 2, v13
	v_cmp_eq_u32_e32 vcc_lo, 0, v0
	ds_bpermute_b32 v19, v13, v14
	ds_bpermute_b32 v20, v13, v15
	ds_load_b64 v[13:14], v16 offset:24
	s_and_saveexec_b32 s0, vcc_lo
	s_cbranch_execz .LBB736_107
; %bb.106:
	s_add_u32 s2, s8, 0x200
	s_addc_u32 s3, s9, 0
	s_delay_alu instid0(SALU_CYCLE_1)
	v_dual_mov_b32 v15, 2 :: v_dual_mov_b32 v22, s3
	v_mov_b32_e32 v21, s2
	s_waitcnt lgkmcnt(0)
	;;#ASMSTART
	global_store_dwordx4 v[21:22], v[13:16] off	
s_waitcnt vmcnt(0)
	;;#ASMEND
.LBB736_107:
	s_or_b32 exec_lo, exec_lo, s0
	v_cmp_eq_u32_e64 s0, 0, v42
	s_waitcnt lgkmcnt(0)
	s_barrier
	buffer_gl0_inv
	v_cndmask_b32_e64 v15, v19, v17, s0
	v_cndmask_b32_e64 v16, v20, v18, s0
	s_delay_alu instid0(VALU_DEP_2) | instskip(NEXT) | instid1(VALU_DEP_2)
	v_cndmask_b32_e64 v29, v15, 0, vcc_lo
	v_cndmask_b32_e64 v30, v16, 0, vcc_lo
	v_mov_b32_e32 v15, 0
	v_mov_b32_e32 v16, 0
	s_delay_alu instid0(VALU_DEP_4) | instskip(NEXT) | instid1(VALU_DEP_4)
	v_add_co_u32 v27, vcc_lo, v29, v41
	v_add_co_ci_u32_e32 v28, vcc_lo, 0, v30, vcc_lo
	s_delay_alu instid0(VALU_DEP_2) | instskip(NEXT) | instid1(VALU_DEP_2)
	v_add_co_u32 v25, vcc_lo, v27, v40
	v_add_co_ci_u32_e32 v26, vcc_lo, 0, v28, vcc_lo
	s_delay_alu instid0(VALU_DEP_2) | instskip(NEXT) | instid1(VALU_DEP_2)
	;; [unrolled: 3-line block ×4, first 2 shown]
	v_add_co_u32 v17, vcc_lo, v19, v37
	v_add_co_ci_u32_e32 v18, vcc_lo, 0, v20, vcc_lo
	v_cmp_gt_u64_e32 vcc_lo, 0x81, v[13:14]
	s_mov_b32 s0, -1
	s_cbranch_vccz .LBB736_81
.LBB736_108:
	v_add_co_u32 v21, vcc_lo, v15, v13
	v_add_co_ci_u32_e32 v22, vcc_lo, v16, v14, vcc_lo
	s_delay_alu instid0(VALU_DEP_1) | instskip(SKIP_1) | instid1(SALU_CYCLE_1)
	v_cmp_lt_u64_e32 vcc_lo, v[29:30], v[21:22]
	s_or_b32 s1, s16, vcc_lo
	s_and_saveexec_b32 s0, s1
	s_cbranch_execz .LBB736_111
; %bb.109:
	v_and_b32_e32 v37, 1, v36
	s_delay_alu instid0(VALU_DEP_1)
	v_cmp_eq_u32_e32 vcc_lo, 1, v37
	s_and_b32 exec_lo, exec_lo, vcc_lo
	s_cbranch_execz .LBB736_111
; %bb.110:
	v_lshlrev_b64 v[37:38], 3, v[29:30]
	s_lshl_b64 s[2:3], s[6:7], 3
	s_delay_alu instid0(SALU_CYCLE_1) | instskip(SKIP_1) | instid1(VALU_DEP_1)
	s_add_u32 s1, s10, s2
	s_addc_u32 s2, s11, s3
	v_add_co_u32 v37, vcc_lo, s1, v37
	s_delay_alu instid0(VALU_DEP_2)
	v_add_co_ci_u32_e32 v38, vcc_lo, s2, v38, vcc_lo
	global_store_b64 v[37:38], v[9:10], off
.LBB736_111:
	s_or_b32 exec_lo, exec_lo, s0
	v_cmp_lt_u64_e32 vcc_lo, v[27:28], v[21:22]
	s_or_b32 s1, s16, vcc_lo
	s_delay_alu instid0(SALU_CYCLE_1)
	s_and_saveexec_b32 s0, s1
	s_cbranch_execz .LBB736_114
; %bb.112:
	v_and_b32_e32 v30, 1, v34
	s_delay_alu instid0(VALU_DEP_1)
	v_cmp_eq_u32_e32 vcc_lo, 1, v30
	s_and_b32 exec_lo, exec_lo, vcc_lo
	s_cbranch_execz .LBB736_114
; %bb.113:
	v_lshlrev_b64 v[37:38], 3, v[27:28]
	s_lshl_b64 s[2:3], s[6:7], 3
	s_delay_alu instid0(SALU_CYCLE_1) | instskip(SKIP_1) | instid1(VALU_DEP_1)
	s_add_u32 s1, s10, s2
	s_addc_u32 s2, s11, s3
	v_add_co_u32 v37, vcc_lo, s1, v37
	s_delay_alu instid0(VALU_DEP_2)
	v_add_co_ci_u32_e32 v38, vcc_lo, s2, v38, vcc_lo
	global_store_b64 v[37:38], v[11:12], off
.LBB736_114:
	s_or_b32 exec_lo, exec_lo, s0
	v_cmp_lt_u64_e32 vcc_lo, v[25:26], v[21:22]
	s_or_b32 s1, s16, vcc_lo
	s_delay_alu instid0(SALU_CYCLE_1)
	s_and_saveexec_b32 s0, s1
	s_cbranch_execz .LBB736_117
; %bb.115:
	v_and_b32_e32 v28, 1, v33
	s_delay_alu instid0(VALU_DEP_1)
	v_cmp_eq_u32_e32 vcc_lo, 1, v28
	s_and_b32 exec_lo, exec_lo, vcc_lo
	s_cbranch_execz .LBB736_117
; %bb.116:
	v_lshlrev_b64 v[37:38], 3, v[25:26]
	s_lshl_b64 s[2:3], s[6:7], 3
	s_delay_alu instid0(SALU_CYCLE_1) | instskip(SKIP_1) | instid1(VALU_DEP_1)
	s_add_u32 s1, s10, s2
	s_addc_u32 s2, s11, s3
	v_add_co_u32 v37, vcc_lo, s1, v37
	s_delay_alu instid0(VALU_DEP_2)
	v_add_co_ci_u32_e32 v38, vcc_lo, s2, v38, vcc_lo
	global_store_b64 v[37:38], v[5:6], off
.LBB736_117:
	s_or_b32 exec_lo, exec_lo, s0
	v_cmp_lt_u64_e32 vcc_lo, v[23:24], v[21:22]
	s_or_b32 s1, s16, vcc_lo
	s_delay_alu instid0(SALU_CYCLE_1)
	s_and_saveexec_b32 s0, s1
	s_cbranch_execz .LBB736_120
; %bb.118:
	v_and_b32_e32 v26, 1, v35
	s_delay_alu instid0(VALU_DEP_1)
	v_cmp_eq_u32_e32 vcc_lo, 1, v26
	s_and_b32 exec_lo, exec_lo, vcc_lo
	s_cbranch_execz .LBB736_120
; %bb.119:
	v_lshlrev_b64 v[37:38], 3, v[23:24]
	s_lshl_b64 s[2:3], s[6:7], 3
	s_delay_alu instid0(SALU_CYCLE_1) | instskip(SKIP_1) | instid1(VALU_DEP_1)
	s_add_u32 s1, s10, s2
	s_addc_u32 s2, s11, s3
	v_add_co_u32 v37, vcc_lo, s1, v37
	s_delay_alu instid0(VALU_DEP_2)
	v_add_co_ci_u32_e32 v38, vcc_lo, s2, v38, vcc_lo
	global_store_b64 v[37:38], v[7:8], off
.LBB736_120:
	s_or_b32 exec_lo, exec_lo, s0
	v_cmp_lt_u64_e32 vcc_lo, v[19:20], v[21:22]
	s_or_b32 s1, s16, vcc_lo
	s_delay_alu instid0(SALU_CYCLE_1)
	s_and_saveexec_b32 s0, s1
	s_cbranch_execz .LBB736_123
; %bb.121:
	v_and_b32_e32 v24, 1, v31
	s_delay_alu instid0(VALU_DEP_1)
	v_cmp_eq_u32_e32 vcc_lo, 1, v24
	s_and_b32 exec_lo, exec_lo, vcc_lo
	s_cbranch_execz .LBB736_123
; %bb.122:
	v_lshlrev_b64 v[37:38], 3, v[19:20]
	s_lshl_b64 s[2:3], s[6:7], 3
	s_delay_alu instid0(SALU_CYCLE_1) | instskip(SKIP_1) | instid1(VALU_DEP_1)
	s_add_u32 s1, s10, s2
	s_addc_u32 s2, s11, s3
	v_add_co_u32 v37, vcc_lo, s1, v37
	s_delay_alu instid0(VALU_DEP_2)
	v_add_co_ci_u32_e32 v38, vcc_lo, s2, v38, vcc_lo
	global_store_b64 v[37:38], v[1:2], off
.LBB736_123:
	s_or_b32 exec_lo, exec_lo, s0
	v_cmp_lt_u64_e32 vcc_lo, v[17:18], v[21:22]
	s_or_b32 s1, s16, vcc_lo
	s_delay_alu instid0(SALU_CYCLE_1)
	s_and_saveexec_b32 s0, s1
	s_cbranch_execz .LBB736_126
; %bb.124:
	v_and_b32_e32 v20, 1, v32
	s_delay_alu instid0(VALU_DEP_1)
	v_cmp_eq_u32_e32 vcc_lo, 1, v20
	s_and_b32 exec_lo, exec_lo, vcc_lo
	s_cbranch_execz .LBB736_126
; %bb.125:
	v_lshlrev_b64 v[20:21], 3, v[17:18]
	s_lshl_b64 s[2:3], s[6:7], 3
	s_delay_alu instid0(SALU_CYCLE_1) | instskip(SKIP_1) | instid1(VALU_DEP_1)
	s_add_u32 s1, s10, s2
	s_addc_u32 s2, s11, s3
	v_add_co_u32 v20, vcc_lo, s1, v20
	s_delay_alu instid0(VALU_DEP_2)
	v_add_co_ci_u32_e32 v21, vcc_lo, s2, v21, vcc_lo
	global_store_b64 v[20:21], v[3:4], off
.LBB736_126:
	s_or_b32 exec_lo, exec_lo, s0
	s_branch .LBB736_82
.LBB736_127:
	v_and_b32_e32 v18, 1, v36
	s_mov_b32 s0, exec_lo
	s_delay_alu instid0(VALU_DEP_1)
	v_cmpx_eq_u32_e32 1, v18
	s_cbranch_execz .LBB736_129
; %bb.128:
	v_sub_nc_u32_e32 v18, v29, v15
	s_delay_alu instid0(VALU_DEP_1)
	v_lshlrev_b32_e32 v18, 3, v18
	ds_store_b64 v18, v[9:10]
.LBB736_129:
	s_or_b32 exec_lo, exec_lo, s0
	v_and_b32_e32 v9, 1, v34
	s_mov_b32 s0, exec_lo
	s_delay_alu instid0(VALU_DEP_1)
	v_cmpx_eq_u32_e32 1, v9
	s_cbranch_execz .LBB736_131
; %bb.130:
	v_sub_nc_u32_e32 v9, v27, v15
	s_delay_alu instid0(VALU_DEP_1)
	v_lshlrev_b32_e32 v9, 3, v9
	ds_store_b64 v9, v[11:12]
.LBB736_131:
	s_or_b32 exec_lo, exec_lo, s0
	;; [unrolled: 12-line block ×6, first 2 shown]
	v_mov_b32_e32 v3, 0
	s_mov_b32 s1, exec_lo
	s_waitcnt lgkmcnt(0)
	s_waitcnt_vscnt null, 0x0
	s_barrier
	buffer_gl0_inv
	v_mov_b32_e32 v1, v3
	s_delay_alu instid0(VALU_DEP_1)
	v_cmpx_gt_u64_e64 v[13:14], v[0:1]
	s_cbranch_execz .LBB736_142
; %bb.140:
	v_lshlrev_b64 v[4:5], 3, v[15:16]
	s_lshl_b64 s[2:3], s[6:7], 3
	v_or_b32_e32 v2, 0x80, v0
	s_delay_alu instid0(VALU_DEP_2) | instskip(NEXT) | instid1(VALU_DEP_3)
	v_add_co_u32 v4, vcc_lo, s10, v4
	v_add_co_ci_u32_e32 v5, vcc_lo, s11, v5, vcc_lo
	s_delay_alu instid0(VALU_DEP_2) | instskip(NEXT) | instid1(VALU_DEP_2)
	v_add_co_u32 v6, vcc_lo, v4, s2
	v_add_co_ci_u32_e32 v7, vcc_lo, s3, v5, vcc_lo
	v_dual_mov_b32 v5, v1 :: v_dual_mov_b32 v4, v0
	s_mov_b32 s2, 0
	.p2align	6
.LBB736_141:                            ; =>This Inner Loop Header: Depth=1
	s_delay_alu instid0(VALU_DEP_1) | instskip(NEXT) | instid1(VALU_DEP_2)
	v_lshlrev_b32_e32 v1, 3, v4
	v_lshlrev_b64 v[10:11], 3, v[4:5]
	v_dual_mov_b32 v5, v3 :: v_dual_mov_b32 v4, v2
	v_cmp_le_u64_e32 vcc_lo, v[13:14], v[2:3]
	v_add_nc_u32_e32 v2, 0x80, v2
	ds_load_b64 v[8:9], v1
	v_add_co_u32 v10, s0, v6, v10
	s_delay_alu instid0(VALU_DEP_1)
	v_add_co_ci_u32_e64 v11, s0, v7, v11, s0
	s_or_b32 s2, vcc_lo, s2
	s_waitcnt lgkmcnt(0)
	global_store_b64 v[10:11], v[8:9], off
	s_and_not1_b32 exec_lo, exec_lo, s2
	s_cbranch_execnz .LBB736_141
.LBB736_142:
	s_or_b32 exec_lo, exec_lo, s1
	v_cmp_eq_u32_e32 vcc_lo, 0, v0
	s_and_b32 s0, vcc_lo, s14
	s_delay_alu instid0(SALU_CYCLE_1)
	s_and_saveexec_b32 s1, s0
	s_cbranch_execz .LBB736_83
.LBB736_143:
	v_add_co_u32 v0, vcc_lo, v15, v13
	v_add_co_ci_u32_e32 v1, vcc_lo, v16, v14, vcc_lo
	v_mov_b32_e32 v2, 0
	s_delay_alu instid0(VALU_DEP_3) | instskip(NEXT) | instid1(VALU_DEP_3)
	v_add_co_u32 v0, vcc_lo, v0, s6
	v_add_co_ci_u32_e32 v1, vcc_lo, s7, v1, vcc_lo
	global_store_b64 v2, v[0:1], s[4:5]
	s_nop 0
	s_sendmsg sendmsg(MSG_DEALLOC_VGPRS)
	s_endpgm
	.section	.rodata,"a",@progbits
	.p2align	6, 0x0
	.amdhsa_kernel _ZN7rocprim17ROCPRIM_400000_NS6detail17trampoline_kernelINS0_14default_configENS1_25partition_config_selectorILNS1_17partition_subalgoE5ElNS0_10empty_typeEbEEZZNS1_14partition_implILS5_5ELb0ES3_mN6hipcub16HIPCUB_304000_NS21CountingInputIteratorIllEEPS6_NSA_22TransformInputIteratorIbN2at6native12_GLOBAL__N_19NonZeroOpIbEEPKblEENS0_5tupleIJPlS6_EEENSN_IJSD_SD_EEES6_PiJS6_EEE10hipError_tPvRmT3_T4_T5_T6_T7_T9_mT8_P12ihipStream_tbDpT10_ENKUlT_T0_E_clISt17integral_constantIbLb0EES1B_EEDaS16_S17_EUlS16_E_NS1_11comp_targetILNS1_3genE9ELNS1_11target_archE1100ELNS1_3gpuE3ELNS1_3repE0EEENS1_30default_config_static_selectorELNS0_4arch9wavefront6targetE0EEEvT1_
		.amdhsa_group_segment_fixed_size 6160
		.amdhsa_private_segment_fixed_size 0
		.amdhsa_kernarg_size 120
		.amdhsa_user_sgpr_count 15
		.amdhsa_user_sgpr_dispatch_ptr 0
		.amdhsa_user_sgpr_queue_ptr 0
		.amdhsa_user_sgpr_kernarg_segment_ptr 1
		.amdhsa_user_sgpr_dispatch_id 0
		.amdhsa_user_sgpr_private_segment_size 0
		.amdhsa_wavefront_size32 1
		.amdhsa_uses_dynamic_stack 0
		.amdhsa_enable_private_segment 0
		.amdhsa_system_sgpr_workgroup_id_x 1
		.amdhsa_system_sgpr_workgroup_id_y 0
		.amdhsa_system_sgpr_workgroup_id_z 0
		.amdhsa_system_sgpr_workgroup_info 0
		.amdhsa_system_vgpr_workitem_id 0
		.amdhsa_next_free_vgpr 57
		.amdhsa_next_free_sgpr 20
		.amdhsa_reserve_vcc 1
		.amdhsa_float_round_mode_32 0
		.amdhsa_float_round_mode_16_64 0
		.amdhsa_float_denorm_mode_32 3
		.amdhsa_float_denorm_mode_16_64 3
		.amdhsa_dx10_clamp 1
		.amdhsa_ieee_mode 1
		.amdhsa_fp16_overflow 0
		.amdhsa_workgroup_processor_mode 1
		.amdhsa_memory_ordered 1
		.amdhsa_forward_progress 0
		.amdhsa_shared_vgpr_count 0
		.amdhsa_exception_fp_ieee_invalid_op 0
		.amdhsa_exception_fp_denorm_src 0
		.amdhsa_exception_fp_ieee_div_zero 0
		.amdhsa_exception_fp_ieee_overflow 0
		.amdhsa_exception_fp_ieee_underflow 0
		.amdhsa_exception_fp_ieee_inexact 0
		.amdhsa_exception_int_div_zero 0
	.end_amdhsa_kernel
	.section	.text._ZN7rocprim17ROCPRIM_400000_NS6detail17trampoline_kernelINS0_14default_configENS1_25partition_config_selectorILNS1_17partition_subalgoE5ElNS0_10empty_typeEbEEZZNS1_14partition_implILS5_5ELb0ES3_mN6hipcub16HIPCUB_304000_NS21CountingInputIteratorIllEEPS6_NSA_22TransformInputIteratorIbN2at6native12_GLOBAL__N_19NonZeroOpIbEEPKblEENS0_5tupleIJPlS6_EEENSN_IJSD_SD_EEES6_PiJS6_EEE10hipError_tPvRmT3_T4_T5_T6_T7_T9_mT8_P12ihipStream_tbDpT10_ENKUlT_T0_E_clISt17integral_constantIbLb0EES1B_EEDaS16_S17_EUlS16_E_NS1_11comp_targetILNS1_3genE9ELNS1_11target_archE1100ELNS1_3gpuE3ELNS1_3repE0EEENS1_30default_config_static_selectorELNS0_4arch9wavefront6targetE0EEEvT1_,"axG",@progbits,_ZN7rocprim17ROCPRIM_400000_NS6detail17trampoline_kernelINS0_14default_configENS1_25partition_config_selectorILNS1_17partition_subalgoE5ElNS0_10empty_typeEbEEZZNS1_14partition_implILS5_5ELb0ES3_mN6hipcub16HIPCUB_304000_NS21CountingInputIteratorIllEEPS6_NSA_22TransformInputIteratorIbN2at6native12_GLOBAL__N_19NonZeroOpIbEEPKblEENS0_5tupleIJPlS6_EEENSN_IJSD_SD_EEES6_PiJS6_EEE10hipError_tPvRmT3_T4_T5_T6_T7_T9_mT8_P12ihipStream_tbDpT10_ENKUlT_T0_E_clISt17integral_constantIbLb0EES1B_EEDaS16_S17_EUlS16_E_NS1_11comp_targetILNS1_3genE9ELNS1_11target_archE1100ELNS1_3gpuE3ELNS1_3repE0EEENS1_30default_config_static_selectorELNS0_4arch9wavefront6targetE0EEEvT1_,comdat
.Lfunc_end736:
	.size	_ZN7rocprim17ROCPRIM_400000_NS6detail17trampoline_kernelINS0_14default_configENS1_25partition_config_selectorILNS1_17partition_subalgoE5ElNS0_10empty_typeEbEEZZNS1_14partition_implILS5_5ELb0ES3_mN6hipcub16HIPCUB_304000_NS21CountingInputIteratorIllEEPS6_NSA_22TransformInputIteratorIbN2at6native12_GLOBAL__N_19NonZeroOpIbEEPKblEENS0_5tupleIJPlS6_EEENSN_IJSD_SD_EEES6_PiJS6_EEE10hipError_tPvRmT3_T4_T5_T6_T7_T9_mT8_P12ihipStream_tbDpT10_ENKUlT_T0_E_clISt17integral_constantIbLb0EES1B_EEDaS16_S17_EUlS16_E_NS1_11comp_targetILNS1_3genE9ELNS1_11target_archE1100ELNS1_3gpuE3ELNS1_3repE0EEENS1_30default_config_static_selectorELNS0_4arch9wavefront6targetE0EEEvT1_, .Lfunc_end736-_ZN7rocprim17ROCPRIM_400000_NS6detail17trampoline_kernelINS0_14default_configENS1_25partition_config_selectorILNS1_17partition_subalgoE5ElNS0_10empty_typeEbEEZZNS1_14partition_implILS5_5ELb0ES3_mN6hipcub16HIPCUB_304000_NS21CountingInputIteratorIllEEPS6_NSA_22TransformInputIteratorIbN2at6native12_GLOBAL__N_19NonZeroOpIbEEPKblEENS0_5tupleIJPlS6_EEENSN_IJSD_SD_EEES6_PiJS6_EEE10hipError_tPvRmT3_T4_T5_T6_T7_T9_mT8_P12ihipStream_tbDpT10_ENKUlT_T0_E_clISt17integral_constantIbLb0EES1B_EEDaS16_S17_EUlS16_E_NS1_11comp_targetILNS1_3genE9ELNS1_11target_archE1100ELNS1_3gpuE3ELNS1_3repE0EEENS1_30default_config_static_selectorELNS0_4arch9wavefront6targetE0EEEvT1_
                                        ; -- End function
	.section	.AMDGPU.csdata,"",@progbits
; Kernel info:
; codeLenInByte = 6168
; NumSgprs: 22
; NumVgprs: 57
; ScratchSize: 0
; MemoryBound: 0
; FloatMode: 240
; IeeeMode: 1
; LDSByteSize: 6160 bytes/workgroup (compile time only)
; SGPRBlocks: 2
; VGPRBlocks: 7
; NumSGPRsForWavesPerEU: 22
; NumVGPRsForWavesPerEU: 57
; Occupancy: 16
; WaveLimiterHint : 1
; COMPUTE_PGM_RSRC2:SCRATCH_EN: 0
; COMPUTE_PGM_RSRC2:USER_SGPR: 15
; COMPUTE_PGM_RSRC2:TRAP_HANDLER: 0
; COMPUTE_PGM_RSRC2:TGID_X_EN: 1
; COMPUTE_PGM_RSRC2:TGID_Y_EN: 0
; COMPUTE_PGM_RSRC2:TGID_Z_EN: 0
; COMPUTE_PGM_RSRC2:TIDIG_COMP_CNT: 0
	.section	.text._ZN7rocprim17ROCPRIM_400000_NS6detail17trampoline_kernelINS0_14default_configENS1_25partition_config_selectorILNS1_17partition_subalgoE5ElNS0_10empty_typeEbEEZZNS1_14partition_implILS5_5ELb0ES3_mN6hipcub16HIPCUB_304000_NS21CountingInputIteratorIllEEPS6_NSA_22TransformInputIteratorIbN2at6native12_GLOBAL__N_19NonZeroOpIbEEPKblEENS0_5tupleIJPlS6_EEENSN_IJSD_SD_EEES6_PiJS6_EEE10hipError_tPvRmT3_T4_T5_T6_T7_T9_mT8_P12ihipStream_tbDpT10_ENKUlT_T0_E_clISt17integral_constantIbLb0EES1B_EEDaS16_S17_EUlS16_E_NS1_11comp_targetILNS1_3genE8ELNS1_11target_archE1030ELNS1_3gpuE2ELNS1_3repE0EEENS1_30default_config_static_selectorELNS0_4arch9wavefront6targetE0EEEvT1_,"axG",@progbits,_ZN7rocprim17ROCPRIM_400000_NS6detail17trampoline_kernelINS0_14default_configENS1_25partition_config_selectorILNS1_17partition_subalgoE5ElNS0_10empty_typeEbEEZZNS1_14partition_implILS5_5ELb0ES3_mN6hipcub16HIPCUB_304000_NS21CountingInputIteratorIllEEPS6_NSA_22TransformInputIteratorIbN2at6native12_GLOBAL__N_19NonZeroOpIbEEPKblEENS0_5tupleIJPlS6_EEENSN_IJSD_SD_EEES6_PiJS6_EEE10hipError_tPvRmT3_T4_T5_T6_T7_T9_mT8_P12ihipStream_tbDpT10_ENKUlT_T0_E_clISt17integral_constantIbLb0EES1B_EEDaS16_S17_EUlS16_E_NS1_11comp_targetILNS1_3genE8ELNS1_11target_archE1030ELNS1_3gpuE2ELNS1_3repE0EEENS1_30default_config_static_selectorELNS0_4arch9wavefront6targetE0EEEvT1_,comdat
	.globl	_ZN7rocprim17ROCPRIM_400000_NS6detail17trampoline_kernelINS0_14default_configENS1_25partition_config_selectorILNS1_17partition_subalgoE5ElNS0_10empty_typeEbEEZZNS1_14partition_implILS5_5ELb0ES3_mN6hipcub16HIPCUB_304000_NS21CountingInputIteratorIllEEPS6_NSA_22TransformInputIteratorIbN2at6native12_GLOBAL__N_19NonZeroOpIbEEPKblEENS0_5tupleIJPlS6_EEENSN_IJSD_SD_EEES6_PiJS6_EEE10hipError_tPvRmT3_T4_T5_T6_T7_T9_mT8_P12ihipStream_tbDpT10_ENKUlT_T0_E_clISt17integral_constantIbLb0EES1B_EEDaS16_S17_EUlS16_E_NS1_11comp_targetILNS1_3genE8ELNS1_11target_archE1030ELNS1_3gpuE2ELNS1_3repE0EEENS1_30default_config_static_selectorELNS0_4arch9wavefront6targetE0EEEvT1_ ; -- Begin function _ZN7rocprim17ROCPRIM_400000_NS6detail17trampoline_kernelINS0_14default_configENS1_25partition_config_selectorILNS1_17partition_subalgoE5ElNS0_10empty_typeEbEEZZNS1_14partition_implILS5_5ELb0ES3_mN6hipcub16HIPCUB_304000_NS21CountingInputIteratorIllEEPS6_NSA_22TransformInputIteratorIbN2at6native12_GLOBAL__N_19NonZeroOpIbEEPKblEENS0_5tupleIJPlS6_EEENSN_IJSD_SD_EEES6_PiJS6_EEE10hipError_tPvRmT3_T4_T5_T6_T7_T9_mT8_P12ihipStream_tbDpT10_ENKUlT_T0_E_clISt17integral_constantIbLb0EES1B_EEDaS16_S17_EUlS16_E_NS1_11comp_targetILNS1_3genE8ELNS1_11target_archE1030ELNS1_3gpuE2ELNS1_3repE0EEENS1_30default_config_static_selectorELNS0_4arch9wavefront6targetE0EEEvT1_
	.p2align	8
	.type	_ZN7rocprim17ROCPRIM_400000_NS6detail17trampoline_kernelINS0_14default_configENS1_25partition_config_selectorILNS1_17partition_subalgoE5ElNS0_10empty_typeEbEEZZNS1_14partition_implILS5_5ELb0ES3_mN6hipcub16HIPCUB_304000_NS21CountingInputIteratorIllEEPS6_NSA_22TransformInputIteratorIbN2at6native12_GLOBAL__N_19NonZeroOpIbEEPKblEENS0_5tupleIJPlS6_EEENSN_IJSD_SD_EEES6_PiJS6_EEE10hipError_tPvRmT3_T4_T5_T6_T7_T9_mT8_P12ihipStream_tbDpT10_ENKUlT_T0_E_clISt17integral_constantIbLb0EES1B_EEDaS16_S17_EUlS16_E_NS1_11comp_targetILNS1_3genE8ELNS1_11target_archE1030ELNS1_3gpuE2ELNS1_3repE0EEENS1_30default_config_static_selectorELNS0_4arch9wavefront6targetE0EEEvT1_,@function
_ZN7rocprim17ROCPRIM_400000_NS6detail17trampoline_kernelINS0_14default_configENS1_25partition_config_selectorILNS1_17partition_subalgoE5ElNS0_10empty_typeEbEEZZNS1_14partition_implILS5_5ELb0ES3_mN6hipcub16HIPCUB_304000_NS21CountingInputIteratorIllEEPS6_NSA_22TransformInputIteratorIbN2at6native12_GLOBAL__N_19NonZeroOpIbEEPKblEENS0_5tupleIJPlS6_EEENSN_IJSD_SD_EEES6_PiJS6_EEE10hipError_tPvRmT3_T4_T5_T6_T7_T9_mT8_P12ihipStream_tbDpT10_ENKUlT_T0_E_clISt17integral_constantIbLb0EES1B_EEDaS16_S17_EUlS16_E_NS1_11comp_targetILNS1_3genE8ELNS1_11target_archE1030ELNS1_3gpuE2ELNS1_3repE0EEENS1_30default_config_static_selectorELNS0_4arch9wavefront6targetE0EEEvT1_: ; @_ZN7rocprim17ROCPRIM_400000_NS6detail17trampoline_kernelINS0_14default_configENS1_25partition_config_selectorILNS1_17partition_subalgoE5ElNS0_10empty_typeEbEEZZNS1_14partition_implILS5_5ELb0ES3_mN6hipcub16HIPCUB_304000_NS21CountingInputIteratorIllEEPS6_NSA_22TransformInputIteratorIbN2at6native12_GLOBAL__N_19NonZeroOpIbEEPKblEENS0_5tupleIJPlS6_EEENSN_IJSD_SD_EEES6_PiJS6_EEE10hipError_tPvRmT3_T4_T5_T6_T7_T9_mT8_P12ihipStream_tbDpT10_ENKUlT_T0_E_clISt17integral_constantIbLb0EES1B_EEDaS16_S17_EUlS16_E_NS1_11comp_targetILNS1_3genE8ELNS1_11target_archE1030ELNS1_3gpuE2ELNS1_3repE0EEENS1_30default_config_static_selectorELNS0_4arch9wavefront6targetE0EEEvT1_
; %bb.0:
	.section	.rodata,"a",@progbits
	.p2align	6, 0x0
	.amdhsa_kernel _ZN7rocprim17ROCPRIM_400000_NS6detail17trampoline_kernelINS0_14default_configENS1_25partition_config_selectorILNS1_17partition_subalgoE5ElNS0_10empty_typeEbEEZZNS1_14partition_implILS5_5ELb0ES3_mN6hipcub16HIPCUB_304000_NS21CountingInputIteratorIllEEPS6_NSA_22TransformInputIteratorIbN2at6native12_GLOBAL__N_19NonZeroOpIbEEPKblEENS0_5tupleIJPlS6_EEENSN_IJSD_SD_EEES6_PiJS6_EEE10hipError_tPvRmT3_T4_T5_T6_T7_T9_mT8_P12ihipStream_tbDpT10_ENKUlT_T0_E_clISt17integral_constantIbLb0EES1B_EEDaS16_S17_EUlS16_E_NS1_11comp_targetILNS1_3genE8ELNS1_11target_archE1030ELNS1_3gpuE2ELNS1_3repE0EEENS1_30default_config_static_selectorELNS0_4arch9wavefront6targetE0EEEvT1_
		.amdhsa_group_segment_fixed_size 0
		.amdhsa_private_segment_fixed_size 0
		.amdhsa_kernarg_size 120
		.amdhsa_user_sgpr_count 15
		.amdhsa_user_sgpr_dispatch_ptr 0
		.amdhsa_user_sgpr_queue_ptr 0
		.amdhsa_user_sgpr_kernarg_segment_ptr 1
		.amdhsa_user_sgpr_dispatch_id 0
		.amdhsa_user_sgpr_private_segment_size 0
		.amdhsa_wavefront_size32 1
		.amdhsa_uses_dynamic_stack 0
		.amdhsa_enable_private_segment 0
		.amdhsa_system_sgpr_workgroup_id_x 1
		.amdhsa_system_sgpr_workgroup_id_y 0
		.amdhsa_system_sgpr_workgroup_id_z 0
		.amdhsa_system_sgpr_workgroup_info 0
		.amdhsa_system_vgpr_workitem_id 0
		.amdhsa_next_free_vgpr 1
		.amdhsa_next_free_sgpr 1
		.amdhsa_reserve_vcc 0
		.amdhsa_float_round_mode_32 0
		.amdhsa_float_round_mode_16_64 0
		.amdhsa_float_denorm_mode_32 3
		.amdhsa_float_denorm_mode_16_64 3
		.amdhsa_dx10_clamp 1
		.amdhsa_ieee_mode 1
		.amdhsa_fp16_overflow 0
		.amdhsa_workgroup_processor_mode 1
		.amdhsa_memory_ordered 1
		.amdhsa_forward_progress 0
		.amdhsa_shared_vgpr_count 0
		.amdhsa_exception_fp_ieee_invalid_op 0
		.amdhsa_exception_fp_denorm_src 0
		.amdhsa_exception_fp_ieee_div_zero 0
		.amdhsa_exception_fp_ieee_overflow 0
		.amdhsa_exception_fp_ieee_underflow 0
		.amdhsa_exception_fp_ieee_inexact 0
		.amdhsa_exception_int_div_zero 0
	.end_amdhsa_kernel
	.section	.text._ZN7rocprim17ROCPRIM_400000_NS6detail17trampoline_kernelINS0_14default_configENS1_25partition_config_selectorILNS1_17partition_subalgoE5ElNS0_10empty_typeEbEEZZNS1_14partition_implILS5_5ELb0ES3_mN6hipcub16HIPCUB_304000_NS21CountingInputIteratorIllEEPS6_NSA_22TransformInputIteratorIbN2at6native12_GLOBAL__N_19NonZeroOpIbEEPKblEENS0_5tupleIJPlS6_EEENSN_IJSD_SD_EEES6_PiJS6_EEE10hipError_tPvRmT3_T4_T5_T6_T7_T9_mT8_P12ihipStream_tbDpT10_ENKUlT_T0_E_clISt17integral_constantIbLb0EES1B_EEDaS16_S17_EUlS16_E_NS1_11comp_targetILNS1_3genE8ELNS1_11target_archE1030ELNS1_3gpuE2ELNS1_3repE0EEENS1_30default_config_static_selectorELNS0_4arch9wavefront6targetE0EEEvT1_,"axG",@progbits,_ZN7rocprim17ROCPRIM_400000_NS6detail17trampoline_kernelINS0_14default_configENS1_25partition_config_selectorILNS1_17partition_subalgoE5ElNS0_10empty_typeEbEEZZNS1_14partition_implILS5_5ELb0ES3_mN6hipcub16HIPCUB_304000_NS21CountingInputIteratorIllEEPS6_NSA_22TransformInputIteratorIbN2at6native12_GLOBAL__N_19NonZeroOpIbEEPKblEENS0_5tupleIJPlS6_EEENSN_IJSD_SD_EEES6_PiJS6_EEE10hipError_tPvRmT3_T4_T5_T6_T7_T9_mT8_P12ihipStream_tbDpT10_ENKUlT_T0_E_clISt17integral_constantIbLb0EES1B_EEDaS16_S17_EUlS16_E_NS1_11comp_targetILNS1_3genE8ELNS1_11target_archE1030ELNS1_3gpuE2ELNS1_3repE0EEENS1_30default_config_static_selectorELNS0_4arch9wavefront6targetE0EEEvT1_,comdat
.Lfunc_end737:
	.size	_ZN7rocprim17ROCPRIM_400000_NS6detail17trampoline_kernelINS0_14default_configENS1_25partition_config_selectorILNS1_17partition_subalgoE5ElNS0_10empty_typeEbEEZZNS1_14partition_implILS5_5ELb0ES3_mN6hipcub16HIPCUB_304000_NS21CountingInputIteratorIllEEPS6_NSA_22TransformInputIteratorIbN2at6native12_GLOBAL__N_19NonZeroOpIbEEPKblEENS0_5tupleIJPlS6_EEENSN_IJSD_SD_EEES6_PiJS6_EEE10hipError_tPvRmT3_T4_T5_T6_T7_T9_mT8_P12ihipStream_tbDpT10_ENKUlT_T0_E_clISt17integral_constantIbLb0EES1B_EEDaS16_S17_EUlS16_E_NS1_11comp_targetILNS1_3genE8ELNS1_11target_archE1030ELNS1_3gpuE2ELNS1_3repE0EEENS1_30default_config_static_selectorELNS0_4arch9wavefront6targetE0EEEvT1_, .Lfunc_end737-_ZN7rocprim17ROCPRIM_400000_NS6detail17trampoline_kernelINS0_14default_configENS1_25partition_config_selectorILNS1_17partition_subalgoE5ElNS0_10empty_typeEbEEZZNS1_14partition_implILS5_5ELb0ES3_mN6hipcub16HIPCUB_304000_NS21CountingInputIteratorIllEEPS6_NSA_22TransformInputIteratorIbN2at6native12_GLOBAL__N_19NonZeroOpIbEEPKblEENS0_5tupleIJPlS6_EEENSN_IJSD_SD_EEES6_PiJS6_EEE10hipError_tPvRmT3_T4_T5_T6_T7_T9_mT8_P12ihipStream_tbDpT10_ENKUlT_T0_E_clISt17integral_constantIbLb0EES1B_EEDaS16_S17_EUlS16_E_NS1_11comp_targetILNS1_3genE8ELNS1_11target_archE1030ELNS1_3gpuE2ELNS1_3repE0EEENS1_30default_config_static_selectorELNS0_4arch9wavefront6targetE0EEEvT1_
                                        ; -- End function
	.section	.AMDGPU.csdata,"",@progbits
; Kernel info:
; codeLenInByte = 0
; NumSgprs: 0
; NumVgprs: 0
; ScratchSize: 0
; MemoryBound: 0
; FloatMode: 240
; IeeeMode: 1
; LDSByteSize: 0 bytes/workgroup (compile time only)
; SGPRBlocks: 0
; VGPRBlocks: 0
; NumSGPRsForWavesPerEU: 1
; NumVGPRsForWavesPerEU: 1
; Occupancy: 16
; WaveLimiterHint : 0
; COMPUTE_PGM_RSRC2:SCRATCH_EN: 0
; COMPUTE_PGM_RSRC2:USER_SGPR: 15
; COMPUTE_PGM_RSRC2:TRAP_HANDLER: 0
; COMPUTE_PGM_RSRC2:TGID_X_EN: 1
; COMPUTE_PGM_RSRC2:TGID_Y_EN: 0
; COMPUTE_PGM_RSRC2:TGID_Z_EN: 0
; COMPUTE_PGM_RSRC2:TIDIG_COMP_CNT: 0
	.section	.text._ZN7rocprim17ROCPRIM_400000_NS6detail17trampoline_kernelINS0_14default_configENS1_25partition_config_selectorILNS1_17partition_subalgoE5ElNS0_10empty_typeEbEEZZNS1_14partition_implILS5_5ELb0ES3_mN6hipcub16HIPCUB_304000_NS21CountingInputIteratorIllEEPS6_NSA_22TransformInputIteratorIbN2at6native12_GLOBAL__N_19NonZeroOpIbEEPKblEENS0_5tupleIJPlS6_EEENSN_IJSD_SD_EEES6_PiJS6_EEE10hipError_tPvRmT3_T4_T5_T6_T7_T9_mT8_P12ihipStream_tbDpT10_ENKUlT_T0_E_clISt17integral_constantIbLb1EES1B_EEDaS16_S17_EUlS16_E_NS1_11comp_targetILNS1_3genE0ELNS1_11target_archE4294967295ELNS1_3gpuE0ELNS1_3repE0EEENS1_30default_config_static_selectorELNS0_4arch9wavefront6targetE0EEEvT1_,"axG",@progbits,_ZN7rocprim17ROCPRIM_400000_NS6detail17trampoline_kernelINS0_14default_configENS1_25partition_config_selectorILNS1_17partition_subalgoE5ElNS0_10empty_typeEbEEZZNS1_14partition_implILS5_5ELb0ES3_mN6hipcub16HIPCUB_304000_NS21CountingInputIteratorIllEEPS6_NSA_22TransformInputIteratorIbN2at6native12_GLOBAL__N_19NonZeroOpIbEEPKblEENS0_5tupleIJPlS6_EEENSN_IJSD_SD_EEES6_PiJS6_EEE10hipError_tPvRmT3_T4_T5_T6_T7_T9_mT8_P12ihipStream_tbDpT10_ENKUlT_T0_E_clISt17integral_constantIbLb1EES1B_EEDaS16_S17_EUlS16_E_NS1_11comp_targetILNS1_3genE0ELNS1_11target_archE4294967295ELNS1_3gpuE0ELNS1_3repE0EEENS1_30default_config_static_selectorELNS0_4arch9wavefront6targetE0EEEvT1_,comdat
	.globl	_ZN7rocprim17ROCPRIM_400000_NS6detail17trampoline_kernelINS0_14default_configENS1_25partition_config_selectorILNS1_17partition_subalgoE5ElNS0_10empty_typeEbEEZZNS1_14partition_implILS5_5ELb0ES3_mN6hipcub16HIPCUB_304000_NS21CountingInputIteratorIllEEPS6_NSA_22TransformInputIteratorIbN2at6native12_GLOBAL__N_19NonZeroOpIbEEPKblEENS0_5tupleIJPlS6_EEENSN_IJSD_SD_EEES6_PiJS6_EEE10hipError_tPvRmT3_T4_T5_T6_T7_T9_mT8_P12ihipStream_tbDpT10_ENKUlT_T0_E_clISt17integral_constantIbLb1EES1B_EEDaS16_S17_EUlS16_E_NS1_11comp_targetILNS1_3genE0ELNS1_11target_archE4294967295ELNS1_3gpuE0ELNS1_3repE0EEENS1_30default_config_static_selectorELNS0_4arch9wavefront6targetE0EEEvT1_ ; -- Begin function _ZN7rocprim17ROCPRIM_400000_NS6detail17trampoline_kernelINS0_14default_configENS1_25partition_config_selectorILNS1_17partition_subalgoE5ElNS0_10empty_typeEbEEZZNS1_14partition_implILS5_5ELb0ES3_mN6hipcub16HIPCUB_304000_NS21CountingInputIteratorIllEEPS6_NSA_22TransformInputIteratorIbN2at6native12_GLOBAL__N_19NonZeroOpIbEEPKblEENS0_5tupleIJPlS6_EEENSN_IJSD_SD_EEES6_PiJS6_EEE10hipError_tPvRmT3_T4_T5_T6_T7_T9_mT8_P12ihipStream_tbDpT10_ENKUlT_T0_E_clISt17integral_constantIbLb1EES1B_EEDaS16_S17_EUlS16_E_NS1_11comp_targetILNS1_3genE0ELNS1_11target_archE4294967295ELNS1_3gpuE0ELNS1_3repE0EEENS1_30default_config_static_selectorELNS0_4arch9wavefront6targetE0EEEvT1_
	.p2align	8
	.type	_ZN7rocprim17ROCPRIM_400000_NS6detail17trampoline_kernelINS0_14default_configENS1_25partition_config_selectorILNS1_17partition_subalgoE5ElNS0_10empty_typeEbEEZZNS1_14partition_implILS5_5ELb0ES3_mN6hipcub16HIPCUB_304000_NS21CountingInputIteratorIllEEPS6_NSA_22TransformInputIteratorIbN2at6native12_GLOBAL__N_19NonZeroOpIbEEPKblEENS0_5tupleIJPlS6_EEENSN_IJSD_SD_EEES6_PiJS6_EEE10hipError_tPvRmT3_T4_T5_T6_T7_T9_mT8_P12ihipStream_tbDpT10_ENKUlT_T0_E_clISt17integral_constantIbLb1EES1B_EEDaS16_S17_EUlS16_E_NS1_11comp_targetILNS1_3genE0ELNS1_11target_archE4294967295ELNS1_3gpuE0ELNS1_3repE0EEENS1_30default_config_static_selectorELNS0_4arch9wavefront6targetE0EEEvT1_,@function
_ZN7rocprim17ROCPRIM_400000_NS6detail17trampoline_kernelINS0_14default_configENS1_25partition_config_selectorILNS1_17partition_subalgoE5ElNS0_10empty_typeEbEEZZNS1_14partition_implILS5_5ELb0ES3_mN6hipcub16HIPCUB_304000_NS21CountingInputIteratorIllEEPS6_NSA_22TransformInputIteratorIbN2at6native12_GLOBAL__N_19NonZeroOpIbEEPKblEENS0_5tupleIJPlS6_EEENSN_IJSD_SD_EEES6_PiJS6_EEE10hipError_tPvRmT3_T4_T5_T6_T7_T9_mT8_P12ihipStream_tbDpT10_ENKUlT_T0_E_clISt17integral_constantIbLb1EES1B_EEDaS16_S17_EUlS16_E_NS1_11comp_targetILNS1_3genE0ELNS1_11target_archE4294967295ELNS1_3gpuE0ELNS1_3repE0EEENS1_30default_config_static_selectorELNS0_4arch9wavefront6targetE0EEEvT1_: ; @_ZN7rocprim17ROCPRIM_400000_NS6detail17trampoline_kernelINS0_14default_configENS1_25partition_config_selectorILNS1_17partition_subalgoE5ElNS0_10empty_typeEbEEZZNS1_14partition_implILS5_5ELb0ES3_mN6hipcub16HIPCUB_304000_NS21CountingInputIteratorIllEEPS6_NSA_22TransformInputIteratorIbN2at6native12_GLOBAL__N_19NonZeroOpIbEEPKblEENS0_5tupleIJPlS6_EEENSN_IJSD_SD_EEES6_PiJS6_EEE10hipError_tPvRmT3_T4_T5_T6_T7_T9_mT8_P12ihipStream_tbDpT10_ENKUlT_T0_E_clISt17integral_constantIbLb1EES1B_EEDaS16_S17_EUlS16_E_NS1_11comp_targetILNS1_3genE0ELNS1_11target_archE4294967295ELNS1_3gpuE0ELNS1_3repE0EEENS1_30default_config_static_selectorELNS0_4arch9wavefront6targetE0EEEvT1_
; %bb.0:
	.section	.rodata,"a",@progbits
	.p2align	6, 0x0
	.amdhsa_kernel _ZN7rocprim17ROCPRIM_400000_NS6detail17trampoline_kernelINS0_14default_configENS1_25partition_config_selectorILNS1_17partition_subalgoE5ElNS0_10empty_typeEbEEZZNS1_14partition_implILS5_5ELb0ES3_mN6hipcub16HIPCUB_304000_NS21CountingInputIteratorIllEEPS6_NSA_22TransformInputIteratorIbN2at6native12_GLOBAL__N_19NonZeroOpIbEEPKblEENS0_5tupleIJPlS6_EEENSN_IJSD_SD_EEES6_PiJS6_EEE10hipError_tPvRmT3_T4_T5_T6_T7_T9_mT8_P12ihipStream_tbDpT10_ENKUlT_T0_E_clISt17integral_constantIbLb1EES1B_EEDaS16_S17_EUlS16_E_NS1_11comp_targetILNS1_3genE0ELNS1_11target_archE4294967295ELNS1_3gpuE0ELNS1_3repE0EEENS1_30default_config_static_selectorELNS0_4arch9wavefront6targetE0EEEvT1_
		.amdhsa_group_segment_fixed_size 0
		.amdhsa_private_segment_fixed_size 0
		.amdhsa_kernarg_size 136
		.amdhsa_user_sgpr_count 15
		.amdhsa_user_sgpr_dispatch_ptr 0
		.amdhsa_user_sgpr_queue_ptr 0
		.amdhsa_user_sgpr_kernarg_segment_ptr 1
		.amdhsa_user_sgpr_dispatch_id 0
		.amdhsa_user_sgpr_private_segment_size 0
		.amdhsa_wavefront_size32 1
		.amdhsa_uses_dynamic_stack 0
		.amdhsa_enable_private_segment 0
		.amdhsa_system_sgpr_workgroup_id_x 1
		.amdhsa_system_sgpr_workgroup_id_y 0
		.amdhsa_system_sgpr_workgroup_id_z 0
		.amdhsa_system_sgpr_workgroup_info 0
		.amdhsa_system_vgpr_workitem_id 0
		.amdhsa_next_free_vgpr 1
		.amdhsa_next_free_sgpr 1
		.amdhsa_reserve_vcc 0
		.amdhsa_float_round_mode_32 0
		.amdhsa_float_round_mode_16_64 0
		.amdhsa_float_denorm_mode_32 3
		.amdhsa_float_denorm_mode_16_64 3
		.amdhsa_dx10_clamp 1
		.amdhsa_ieee_mode 1
		.amdhsa_fp16_overflow 0
		.amdhsa_workgroup_processor_mode 1
		.amdhsa_memory_ordered 1
		.amdhsa_forward_progress 0
		.amdhsa_shared_vgpr_count 0
		.amdhsa_exception_fp_ieee_invalid_op 0
		.amdhsa_exception_fp_denorm_src 0
		.amdhsa_exception_fp_ieee_div_zero 0
		.amdhsa_exception_fp_ieee_overflow 0
		.amdhsa_exception_fp_ieee_underflow 0
		.amdhsa_exception_fp_ieee_inexact 0
		.amdhsa_exception_int_div_zero 0
	.end_amdhsa_kernel
	.section	.text._ZN7rocprim17ROCPRIM_400000_NS6detail17trampoline_kernelINS0_14default_configENS1_25partition_config_selectorILNS1_17partition_subalgoE5ElNS0_10empty_typeEbEEZZNS1_14partition_implILS5_5ELb0ES3_mN6hipcub16HIPCUB_304000_NS21CountingInputIteratorIllEEPS6_NSA_22TransformInputIteratorIbN2at6native12_GLOBAL__N_19NonZeroOpIbEEPKblEENS0_5tupleIJPlS6_EEENSN_IJSD_SD_EEES6_PiJS6_EEE10hipError_tPvRmT3_T4_T5_T6_T7_T9_mT8_P12ihipStream_tbDpT10_ENKUlT_T0_E_clISt17integral_constantIbLb1EES1B_EEDaS16_S17_EUlS16_E_NS1_11comp_targetILNS1_3genE0ELNS1_11target_archE4294967295ELNS1_3gpuE0ELNS1_3repE0EEENS1_30default_config_static_selectorELNS0_4arch9wavefront6targetE0EEEvT1_,"axG",@progbits,_ZN7rocprim17ROCPRIM_400000_NS6detail17trampoline_kernelINS0_14default_configENS1_25partition_config_selectorILNS1_17partition_subalgoE5ElNS0_10empty_typeEbEEZZNS1_14partition_implILS5_5ELb0ES3_mN6hipcub16HIPCUB_304000_NS21CountingInputIteratorIllEEPS6_NSA_22TransformInputIteratorIbN2at6native12_GLOBAL__N_19NonZeroOpIbEEPKblEENS0_5tupleIJPlS6_EEENSN_IJSD_SD_EEES6_PiJS6_EEE10hipError_tPvRmT3_T4_T5_T6_T7_T9_mT8_P12ihipStream_tbDpT10_ENKUlT_T0_E_clISt17integral_constantIbLb1EES1B_EEDaS16_S17_EUlS16_E_NS1_11comp_targetILNS1_3genE0ELNS1_11target_archE4294967295ELNS1_3gpuE0ELNS1_3repE0EEENS1_30default_config_static_selectorELNS0_4arch9wavefront6targetE0EEEvT1_,comdat
.Lfunc_end738:
	.size	_ZN7rocprim17ROCPRIM_400000_NS6detail17trampoline_kernelINS0_14default_configENS1_25partition_config_selectorILNS1_17partition_subalgoE5ElNS0_10empty_typeEbEEZZNS1_14partition_implILS5_5ELb0ES3_mN6hipcub16HIPCUB_304000_NS21CountingInputIteratorIllEEPS6_NSA_22TransformInputIteratorIbN2at6native12_GLOBAL__N_19NonZeroOpIbEEPKblEENS0_5tupleIJPlS6_EEENSN_IJSD_SD_EEES6_PiJS6_EEE10hipError_tPvRmT3_T4_T5_T6_T7_T9_mT8_P12ihipStream_tbDpT10_ENKUlT_T0_E_clISt17integral_constantIbLb1EES1B_EEDaS16_S17_EUlS16_E_NS1_11comp_targetILNS1_3genE0ELNS1_11target_archE4294967295ELNS1_3gpuE0ELNS1_3repE0EEENS1_30default_config_static_selectorELNS0_4arch9wavefront6targetE0EEEvT1_, .Lfunc_end738-_ZN7rocprim17ROCPRIM_400000_NS6detail17trampoline_kernelINS0_14default_configENS1_25partition_config_selectorILNS1_17partition_subalgoE5ElNS0_10empty_typeEbEEZZNS1_14partition_implILS5_5ELb0ES3_mN6hipcub16HIPCUB_304000_NS21CountingInputIteratorIllEEPS6_NSA_22TransformInputIteratorIbN2at6native12_GLOBAL__N_19NonZeroOpIbEEPKblEENS0_5tupleIJPlS6_EEENSN_IJSD_SD_EEES6_PiJS6_EEE10hipError_tPvRmT3_T4_T5_T6_T7_T9_mT8_P12ihipStream_tbDpT10_ENKUlT_T0_E_clISt17integral_constantIbLb1EES1B_EEDaS16_S17_EUlS16_E_NS1_11comp_targetILNS1_3genE0ELNS1_11target_archE4294967295ELNS1_3gpuE0ELNS1_3repE0EEENS1_30default_config_static_selectorELNS0_4arch9wavefront6targetE0EEEvT1_
                                        ; -- End function
	.section	.AMDGPU.csdata,"",@progbits
; Kernel info:
; codeLenInByte = 0
; NumSgprs: 0
; NumVgprs: 0
; ScratchSize: 0
; MemoryBound: 0
; FloatMode: 240
; IeeeMode: 1
; LDSByteSize: 0 bytes/workgroup (compile time only)
; SGPRBlocks: 0
; VGPRBlocks: 0
; NumSGPRsForWavesPerEU: 1
; NumVGPRsForWavesPerEU: 1
; Occupancy: 16
; WaveLimiterHint : 0
; COMPUTE_PGM_RSRC2:SCRATCH_EN: 0
; COMPUTE_PGM_RSRC2:USER_SGPR: 15
; COMPUTE_PGM_RSRC2:TRAP_HANDLER: 0
; COMPUTE_PGM_RSRC2:TGID_X_EN: 1
; COMPUTE_PGM_RSRC2:TGID_Y_EN: 0
; COMPUTE_PGM_RSRC2:TGID_Z_EN: 0
; COMPUTE_PGM_RSRC2:TIDIG_COMP_CNT: 0
	.section	.text._ZN7rocprim17ROCPRIM_400000_NS6detail17trampoline_kernelINS0_14default_configENS1_25partition_config_selectorILNS1_17partition_subalgoE5ElNS0_10empty_typeEbEEZZNS1_14partition_implILS5_5ELb0ES3_mN6hipcub16HIPCUB_304000_NS21CountingInputIteratorIllEEPS6_NSA_22TransformInputIteratorIbN2at6native12_GLOBAL__N_19NonZeroOpIbEEPKblEENS0_5tupleIJPlS6_EEENSN_IJSD_SD_EEES6_PiJS6_EEE10hipError_tPvRmT3_T4_T5_T6_T7_T9_mT8_P12ihipStream_tbDpT10_ENKUlT_T0_E_clISt17integral_constantIbLb1EES1B_EEDaS16_S17_EUlS16_E_NS1_11comp_targetILNS1_3genE5ELNS1_11target_archE942ELNS1_3gpuE9ELNS1_3repE0EEENS1_30default_config_static_selectorELNS0_4arch9wavefront6targetE0EEEvT1_,"axG",@progbits,_ZN7rocprim17ROCPRIM_400000_NS6detail17trampoline_kernelINS0_14default_configENS1_25partition_config_selectorILNS1_17partition_subalgoE5ElNS0_10empty_typeEbEEZZNS1_14partition_implILS5_5ELb0ES3_mN6hipcub16HIPCUB_304000_NS21CountingInputIteratorIllEEPS6_NSA_22TransformInputIteratorIbN2at6native12_GLOBAL__N_19NonZeroOpIbEEPKblEENS0_5tupleIJPlS6_EEENSN_IJSD_SD_EEES6_PiJS6_EEE10hipError_tPvRmT3_T4_T5_T6_T7_T9_mT8_P12ihipStream_tbDpT10_ENKUlT_T0_E_clISt17integral_constantIbLb1EES1B_EEDaS16_S17_EUlS16_E_NS1_11comp_targetILNS1_3genE5ELNS1_11target_archE942ELNS1_3gpuE9ELNS1_3repE0EEENS1_30default_config_static_selectorELNS0_4arch9wavefront6targetE0EEEvT1_,comdat
	.globl	_ZN7rocprim17ROCPRIM_400000_NS6detail17trampoline_kernelINS0_14default_configENS1_25partition_config_selectorILNS1_17partition_subalgoE5ElNS0_10empty_typeEbEEZZNS1_14partition_implILS5_5ELb0ES3_mN6hipcub16HIPCUB_304000_NS21CountingInputIteratorIllEEPS6_NSA_22TransformInputIteratorIbN2at6native12_GLOBAL__N_19NonZeroOpIbEEPKblEENS0_5tupleIJPlS6_EEENSN_IJSD_SD_EEES6_PiJS6_EEE10hipError_tPvRmT3_T4_T5_T6_T7_T9_mT8_P12ihipStream_tbDpT10_ENKUlT_T0_E_clISt17integral_constantIbLb1EES1B_EEDaS16_S17_EUlS16_E_NS1_11comp_targetILNS1_3genE5ELNS1_11target_archE942ELNS1_3gpuE9ELNS1_3repE0EEENS1_30default_config_static_selectorELNS0_4arch9wavefront6targetE0EEEvT1_ ; -- Begin function _ZN7rocprim17ROCPRIM_400000_NS6detail17trampoline_kernelINS0_14default_configENS1_25partition_config_selectorILNS1_17partition_subalgoE5ElNS0_10empty_typeEbEEZZNS1_14partition_implILS5_5ELb0ES3_mN6hipcub16HIPCUB_304000_NS21CountingInputIteratorIllEEPS6_NSA_22TransformInputIteratorIbN2at6native12_GLOBAL__N_19NonZeroOpIbEEPKblEENS0_5tupleIJPlS6_EEENSN_IJSD_SD_EEES6_PiJS6_EEE10hipError_tPvRmT3_T4_T5_T6_T7_T9_mT8_P12ihipStream_tbDpT10_ENKUlT_T0_E_clISt17integral_constantIbLb1EES1B_EEDaS16_S17_EUlS16_E_NS1_11comp_targetILNS1_3genE5ELNS1_11target_archE942ELNS1_3gpuE9ELNS1_3repE0EEENS1_30default_config_static_selectorELNS0_4arch9wavefront6targetE0EEEvT1_
	.p2align	8
	.type	_ZN7rocprim17ROCPRIM_400000_NS6detail17trampoline_kernelINS0_14default_configENS1_25partition_config_selectorILNS1_17partition_subalgoE5ElNS0_10empty_typeEbEEZZNS1_14partition_implILS5_5ELb0ES3_mN6hipcub16HIPCUB_304000_NS21CountingInputIteratorIllEEPS6_NSA_22TransformInputIteratorIbN2at6native12_GLOBAL__N_19NonZeroOpIbEEPKblEENS0_5tupleIJPlS6_EEENSN_IJSD_SD_EEES6_PiJS6_EEE10hipError_tPvRmT3_T4_T5_T6_T7_T9_mT8_P12ihipStream_tbDpT10_ENKUlT_T0_E_clISt17integral_constantIbLb1EES1B_EEDaS16_S17_EUlS16_E_NS1_11comp_targetILNS1_3genE5ELNS1_11target_archE942ELNS1_3gpuE9ELNS1_3repE0EEENS1_30default_config_static_selectorELNS0_4arch9wavefront6targetE0EEEvT1_,@function
_ZN7rocprim17ROCPRIM_400000_NS6detail17trampoline_kernelINS0_14default_configENS1_25partition_config_selectorILNS1_17partition_subalgoE5ElNS0_10empty_typeEbEEZZNS1_14partition_implILS5_5ELb0ES3_mN6hipcub16HIPCUB_304000_NS21CountingInputIteratorIllEEPS6_NSA_22TransformInputIteratorIbN2at6native12_GLOBAL__N_19NonZeroOpIbEEPKblEENS0_5tupleIJPlS6_EEENSN_IJSD_SD_EEES6_PiJS6_EEE10hipError_tPvRmT3_T4_T5_T6_T7_T9_mT8_P12ihipStream_tbDpT10_ENKUlT_T0_E_clISt17integral_constantIbLb1EES1B_EEDaS16_S17_EUlS16_E_NS1_11comp_targetILNS1_3genE5ELNS1_11target_archE942ELNS1_3gpuE9ELNS1_3repE0EEENS1_30default_config_static_selectorELNS0_4arch9wavefront6targetE0EEEvT1_: ; @_ZN7rocprim17ROCPRIM_400000_NS6detail17trampoline_kernelINS0_14default_configENS1_25partition_config_selectorILNS1_17partition_subalgoE5ElNS0_10empty_typeEbEEZZNS1_14partition_implILS5_5ELb0ES3_mN6hipcub16HIPCUB_304000_NS21CountingInputIteratorIllEEPS6_NSA_22TransformInputIteratorIbN2at6native12_GLOBAL__N_19NonZeroOpIbEEPKblEENS0_5tupleIJPlS6_EEENSN_IJSD_SD_EEES6_PiJS6_EEE10hipError_tPvRmT3_T4_T5_T6_T7_T9_mT8_P12ihipStream_tbDpT10_ENKUlT_T0_E_clISt17integral_constantIbLb1EES1B_EEDaS16_S17_EUlS16_E_NS1_11comp_targetILNS1_3genE5ELNS1_11target_archE942ELNS1_3gpuE9ELNS1_3repE0EEENS1_30default_config_static_selectorELNS0_4arch9wavefront6targetE0EEEvT1_
; %bb.0:
	.section	.rodata,"a",@progbits
	.p2align	6, 0x0
	.amdhsa_kernel _ZN7rocprim17ROCPRIM_400000_NS6detail17trampoline_kernelINS0_14default_configENS1_25partition_config_selectorILNS1_17partition_subalgoE5ElNS0_10empty_typeEbEEZZNS1_14partition_implILS5_5ELb0ES3_mN6hipcub16HIPCUB_304000_NS21CountingInputIteratorIllEEPS6_NSA_22TransformInputIteratorIbN2at6native12_GLOBAL__N_19NonZeroOpIbEEPKblEENS0_5tupleIJPlS6_EEENSN_IJSD_SD_EEES6_PiJS6_EEE10hipError_tPvRmT3_T4_T5_T6_T7_T9_mT8_P12ihipStream_tbDpT10_ENKUlT_T0_E_clISt17integral_constantIbLb1EES1B_EEDaS16_S17_EUlS16_E_NS1_11comp_targetILNS1_3genE5ELNS1_11target_archE942ELNS1_3gpuE9ELNS1_3repE0EEENS1_30default_config_static_selectorELNS0_4arch9wavefront6targetE0EEEvT1_
		.amdhsa_group_segment_fixed_size 0
		.amdhsa_private_segment_fixed_size 0
		.amdhsa_kernarg_size 136
		.amdhsa_user_sgpr_count 15
		.amdhsa_user_sgpr_dispatch_ptr 0
		.amdhsa_user_sgpr_queue_ptr 0
		.amdhsa_user_sgpr_kernarg_segment_ptr 1
		.amdhsa_user_sgpr_dispatch_id 0
		.amdhsa_user_sgpr_private_segment_size 0
		.amdhsa_wavefront_size32 1
		.amdhsa_uses_dynamic_stack 0
		.amdhsa_enable_private_segment 0
		.amdhsa_system_sgpr_workgroup_id_x 1
		.amdhsa_system_sgpr_workgroup_id_y 0
		.amdhsa_system_sgpr_workgroup_id_z 0
		.amdhsa_system_sgpr_workgroup_info 0
		.amdhsa_system_vgpr_workitem_id 0
		.amdhsa_next_free_vgpr 1
		.amdhsa_next_free_sgpr 1
		.amdhsa_reserve_vcc 0
		.amdhsa_float_round_mode_32 0
		.amdhsa_float_round_mode_16_64 0
		.amdhsa_float_denorm_mode_32 3
		.amdhsa_float_denorm_mode_16_64 3
		.amdhsa_dx10_clamp 1
		.amdhsa_ieee_mode 1
		.amdhsa_fp16_overflow 0
		.amdhsa_workgroup_processor_mode 1
		.amdhsa_memory_ordered 1
		.amdhsa_forward_progress 0
		.amdhsa_shared_vgpr_count 0
		.amdhsa_exception_fp_ieee_invalid_op 0
		.amdhsa_exception_fp_denorm_src 0
		.amdhsa_exception_fp_ieee_div_zero 0
		.amdhsa_exception_fp_ieee_overflow 0
		.amdhsa_exception_fp_ieee_underflow 0
		.amdhsa_exception_fp_ieee_inexact 0
		.amdhsa_exception_int_div_zero 0
	.end_amdhsa_kernel
	.section	.text._ZN7rocprim17ROCPRIM_400000_NS6detail17trampoline_kernelINS0_14default_configENS1_25partition_config_selectorILNS1_17partition_subalgoE5ElNS0_10empty_typeEbEEZZNS1_14partition_implILS5_5ELb0ES3_mN6hipcub16HIPCUB_304000_NS21CountingInputIteratorIllEEPS6_NSA_22TransformInputIteratorIbN2at6native12_GLOBAL__N_19NonZeroOpIbEEPKblEENS0_5tupleIJPlS6_EEENSN_IJSD_SD_EEES6_PiJS6_EEE10hipError_tPvRmT3_T4_T5_T6_T7_T9_mT8_P12ihipStream_tbDpT10_ENKUlT_T0_E_clISt17integral_constantIbLb1EES1B_EEDaS16_S17_EUlS16_E_NS1_11comp_targetILNS1_3genE5ELNS1_11target_archE942ELNS1_3gpuE9ELNS1_3repE0EEENS1_30default_config_static_selectorELNS0_4arch9wavefront6targetE0EEEvT1_,"axG",@progbits,_ZN7rocprim17ROCPRIM_400000_NS6detail17trampoline_kernelINS0_14default_configENS1_25partition_config_selectorILNS1_17partition_subalgoE5ElNS0_10empty_typeEbEEZZNS1_14partition_implILS5_5ELb0ES3_mN6hipcub16HIPCUB_304000_NS21CountingInputIteratorIllEEPS6_NSA_22TransformInputIteratorIbN2at6native12_GLOBAL__N_19NonZeroOpIbEEPKblEENS0_5tupleIJPlS6_EEENSN_IJSD_SD_EEES6_PiJS6_EEE10hipError_tPvRmT3_T4_T5_T6_T7_T9_mT8_P12ihipStream_tbDpT10_ENKUlT_T0_E_clISt17integral_constantIbLb1EES1B_EEDaS16_S17_EUlS16_E_NS1_11comp_targetILNS1_3genE5ELNS1_11target_archE942ELNS1_3gpuE9ELNS1_3repE0EEENS1_30default_config_static_selectorELNS0_4arch9wavefront6targetE0EEEvT1_,comdat
.Lfunc_end739:
	.size	_ZN7rocprim17ROCPRIM_400000_NS6detail17trampoline_kernelINS0_14default_configENS1_25partition_config_selectorILNS1_17partition_subalgoE5ElNS0_10empty_typeEbEEZZNS1_14partition_implILS5_5ELb0ES3_mN6hipcub16HIPCUB_304000_NS21CountingInputIteratorIllEEPS6_NSA_22TransformInputIteratorIbN2at6native12_GLOBAL__N_19NonZeroOpIbEEPKblEENS0_5tupleIJPlS6_EEENSN_IJSD_SD_EEES6_PiJS6_EEE10hipError_tPvRmT3_T4_T5_T6_T7_T9_mT8_P12ihipStream_tbDpT10_ENKUlT_T0_E_clISt17integral_constantIbLb1EES1B_EEDaS16_S17_EUlS16_E_NS1_11comp_targetILNS1_3genE5ELNS1_11target_archE942ELNS1_3gpuE9ELNS1_3repE0EEENS1_30default_config_static_selectorELNS0_4arch9wavefront6targetE0EEEvT1_, .Lfunc_end739-_ZN7rocprim17ROCPRIM_400000_NS6detail17trampoline_kernelINS0_14default_configENS1_25partition_config_selectorILNS1_17partition_subalgoE5ElNS0_10empty_typeEbEEZZNS1_14partition_implILS5_5ELb0ES3_mN6hipcub16HIPCUB_304000_NS21CountingInputIteratorIllEEPS6_NSA_22TransformInputIteratorIbN2at6native12_GLOBAL__N_19NonZeroOpIbEEPKblEENS0_5tupleIJPlS6_EEENSN_IJSD_SD_EEES6_PiJS6_EEE10hipError_tPvRmT3_T4_T5_T6_T7_T9_mT8_P12ihipStream_tbDpT10_ENKUlT_T0_E_clISt17integral_constantIbLb1EES1B_EEDaS16_S17_EUlS16_E_NS1_11comp_targetILNS1_3genE5ELNS1_11target_archE942ELNS1_3gpuE9ELNS1_3repE0EEENS1_30default_config_static_selectorELNS0_4arch9wavefront6targetE0EEEvT1_
                                        ; -- End function
	.section	.AMDGPU.csdata,"",@progbits
; Kernel info:
; codeLenInByte = 0
; NumSgprs: 0
; NumVgprs: 0
; ScratchSize: 0
; MemoryBound: 0
; FloatMode: 240
; IeeeMode: 1
; LDSByteSize: 0 bytes/workgroup (compile time only)
; SGPRBlocks: 0
; VGPRBlocks: 0
; NumSGPRsForWavesPerEU: 1
; NumVGPRsForWavesPerEU: 1
; Occupancy: 16
; WaveLimiterHint : 0
; COMPUTE_PGM_RSRC2:SCRATCH_EN: 0
; COMPUTE_PGM_RSRC2:USER_SGPR: 15
; COMPUTE_PGM_RSRC2:TRAP_HANDLER: 0
; COMPUTE_PGM_RSRC2:TGID_X_EN: 1
; COMPUTE_PGM_RSRC2:TGID_Y_EN: 0
; COMPUTE_PGM_RSRC2:TGID_Z_EN: 0
; COMPUTE_PGM_RSRC2:TIDIG_COMP_CNT: 0
	.section	.text._ZN7rocprim17ROCPRIM_400000_NS6detail17trampoline_kernelINS0_14default_configENS1_25partition_config_selectorILNS1_17partition_subalgoE5ElNS0_10empty_typeEbEEZZNS1_14partition_implILS5_5ELb0ES3_mN6hipcub16HIPCUB_304000_NS21CountingInputIteratorIllEEPS6_NSA_22TransformInputIteratorIbN2at6native12_GLOBAL__N_19NonZeroOpIbEEPKblEENS0_5tupleIJPlS6_EEENSN_IJSD_SD_EEES6_PiJS6_EEE10hipError_tPvRmT3_T4_T5_T6_T7_T9_mT8_P12ihipStream_tbDpT10_ENKUlT_T0_E_clISt17integral_constantIbLb1EES1B_EEDaS16_S17_EUlS16_E_NS1_11comp_targetILNS1_3genE4ELNS1_11target_archE910ELNS1_3gpuE8ELNS1_3repE0EEENS1_30default_config_static_selectorELNS0_4arch9wavefront6targetE0EEEvT1_,"axG",@progbits,_ZN7rocprim17ROCPRIM_400000_NS6detail17trampoline_kernelINS0_14default_configENS1_25partition_config_selectorILNS1_17partition_subalgoE5ElNS0_10empty_typeEbEEZZNS1_14partition_implILS5_5ELb0ES3_mN6hipcub16HIPCUB_304000_NS21CountingInputIteratorIllEEPS6_NSA_22TransformInputIteratorIbN2at6native12_GLOBAL__N_19NonZeroOpIbEEPKblEENS0_5tupleIJPlS6_EEENSN_IJSD_SD_EEES6_PiJS6_EEE10hipError_tPvRmT3_T4_T5_T6_T7_T9_mT8_P12ihipStream_tbDpT10_ENKUlT_T0_E_clISt17integral_constantIbLb1EES1B_EEDaS16_S17_EUlS16_E_NS1_11comp_targetILNS1_3genE4ELNS1_11target_archE910ELNS1_3gpuE8ELNS1_3repE0EEENS1_30default_config_static_selectorELNS0_4arch9wavefront6targetE0EEEvT1_,comdat
	.globl	_ZN7rocprim17ROCPRIM_400000_NS6detail17trampoline_kernelINS0_14default_configENS1_25partition_config_selectorILNS1_17partition_subalgoE5ElNS0_10empty_typeEbEEZZNS1_14partition_implILS5_5ELb0ES3_mN6hipcub16HIPCUB_304000_NS21CountingInputIteratorIllEEPS6_NSA_22TransformInputIteratorIbN2at6native12_GLOBAL__N_19NonZeroOpIbEEPKblEENS0_5tupleIJPlS6_EEENSN_IJSD_SD_EEES6_PiJS6_EEE10hipError_tPvRmT3_T4_T5_T6_T7_T9_mT8_P12ihipStream_tbDpT10_ENKUlT_T0_E_clISt17integral_constantIbLb1EES1B_EEDaS16_S17_EUlS16_E_NS1_11comp_targetILNS1_3genE4ELNS1_11target_archE910ELNS1_3gpuE8ELNS1_3repE0EEENS1_30default_config_static_selectorELNS0_4arch9wavefront6targetE0EEEvT1_ ; -- Begin function _ZN7rocprim17ROCPRIM_400000_NS6detail17trampoline_kernelINS0_14default_configENS1_25partition_config_selectorILNS1_17partition_subalgoE5ElNS0_10empty_typeEbEEZZNS1_14partition_implILS5_5ELb0ES3_mN6hipcub16HIPCUB_304000_NS21CountingInputIteratorIllEEPS6_NSA_22TransformInputIteratorIbN2at6native12_GLOBAL__N_19NonZeroOpIbEEPKblEENS0_5tupleIJPlS6_EEENSN_IJSD_SD_EEES6_PiJS6_EEE10hipError_tPvRmT3_T4_T5_T6_T7_T9_mT8_P12ihipStream_tbDpT10_ENKUlT_T0_E_clISt17integral_constantIbLb1EES1B_EEDaS16_S17_EUlS16_E_NS1_11comp_targetILNS1_3genE4ELNS1_11target_archE910ELNS1_3gpuE8ELNS1_3repE0EEENS1_30default_config_static_selectorELNS0_4arch9wavefront6targetE0EEEvT1_
	.p2align	8
	.type	_ZN7rocprim17ROCPRIM_400000_NS6detail17trampoline_kernelINS0_14default_configENS1_25partition_config_selectorILNS1_17partition_subalgoE5ElNS0_10empty_typeEbEEZZNS1_14partition_implILS5_5ELb0ES3_mN6hipcub16HIPCUB_304000_NS21CountingInputIteratorIllEEPS6_NSA_22TransformInputIteratorIbN2at6native12_GLOBAL__N_19NonZeroOpIbEEPKblEENS0_5tupleIJPlS6_EEENSN_IJSD_SD_EEES6_PiJS6_EEE10hipError_tPvRmT3_T4_T5_T6_T7_T9_mT8_P12ihipStream_tbDpT10_ENKUlT_T0_E_clISt17integral_constantIbLb1EES1B_EEDaS16_S17_EUlS16_E_NS1_11comp_targetILNS1_3genE4ELNS1_11target_archE910ELNS1_3gpuE8ELNS1_3repE0EEENS1_30default_config_static_selectorELNS0_4arch9wavefront6targetE0EEEvT1_,@function
_ZN7rocprim17ROCPRIM_400000_NS6detail17trampoline_kernelINS0_14default_configENS1_25partition_config_selectorILNS1_17partition_subalgoE5ElNS0_10empty_typeEbEEZZNS1_14partition_implILS5_5ELb0ES3_mN6hipcub16HIPCUB_304000_NS21CountingInputIteratorIllEEPS6_NSA_22TransformInputIteratorIbN2at6native12_GLOBAL__N_19NonZeroOpIbEEPKblEENS0_5tupleIJPlS6_EEENSN_IJSD_SD_EEES6_PiJS6_EEE10hipError_tPvRmT3_T4_T5_T6_T7_T9_mT8_P12ihipStream_tbDpT10_ENKUlT_T0_E_clISt17integral_constantIbLb1EES1B_EEDaS16_S17_EUlS16_E_NS1_11comp_targetILNS1_3genE4ELNS1_11target_archE910ELNS1_3gpuE8ELNS1_3repE0EEENS1_30default_config_static_selectorELNS0_4arch9wavefront6targetE0EEEvT1_: ; @_ZN7rocprim17ROCPRIM_400000_NS6detail17trampoline_kernelINS0_14default_configENS1_25partition_config_selectorILNS1_17partition_subalgoE5ElNS0_10empty_typeEbEEZZNS1_14partition_implILS5_5ELb0ES3_mN6hipcub16HIPCUB_304000_NS21CountingInputIteratorIllEEPS6_NSA_22TransformInputIteratorIbN2at6native12_GLOBAL__N_19NonZeroOpIbEEPKblEENS0_5tupleIJPlS6_EEENSN_IJSD_SD_EEES6_PiJS6_EEE10hipError_tPvRmT3_T4_T5_T6_T7_T9_mT8_P12ihipStream_tbDpT10_ENKUlT_T0_E_clISt17integral_constantIbLb1EES1B_EEDaS16_S17_EUlS16_E_NS1_11comp_targetILNS1_3genE4ELNS1_11target_archE910ELNS1_3gpuE8ELNS1_3repE0EEENS1_30default_config_static_selectorELNS0_4arch9wavefront6targetE0EEEvT1_
; %bb.0:
	.section	.rodata,"a",@progbits
	.p2align	6, 0x0
	.amdhsa_kernel _ZN7rocprim17ROCPRIM_400000_NS6detail17trampoline_kernelINS0_14default_configENS1_25partition_config_selectorILNS1_17partition_subalgoE5ElNS0_10empty_typeEbEEZZNS1_14partition_implILS5_5ELb0ES3_mN6hipcub16HIPCUB_304000_NS21CountingInputIteratorIllEEPS6_NSA_22TransformInputIteratorIbN2at6native12_GLOBAL__N_19NonZeroOpIbEEPKblEENS0_5tupleIJPlS6_EEENSN_IJSD_SD_EEES6_PiJS6_EEE10hipError_tPvRmT3_T4_T5_T6_T7_T9_mT8_P12ihipStream_tbDpT10_ENKUlT_T0_E_clISt17integral_constantIbLb1EES1B_EEDaS16_S17_EUlS16_E_NS1_11comp_targetILNS1_3genE4ELNS1_11target_archE910ELNS1_3gpuE8ELNS1_3repE0EEENS1_30default_config_static_selectorELNS0_4arch9wavefront6targetE0EEEvT1_
		.amdhsa_group_segment_fixed_size 0
		.amdhsa_private_segment_fixed_size 0
		.amdhsa_kernarg_size 136
		.amdhsa_user_sgpr_count 15
		.amdhsa_user_sgpr_dispatch_ptr 0
		.amdhsa_user_sgpr_queue_ptr 0
		.amdhsa_user_sgpr_kernarg_segment_ptr 1
		.amdhsa_user_sgpr_dispatch_id 0
		.amdhsa_user_sgpr_private_segment_size 0
		.amdhsa_wavefront_size32 1
		.amdhsa_uses_dynamic_stack 0
		.amdhsa_enable_private_segment 0
		.amdhsa_system_sgpr_workgroup_id_x 1
		.amdhsa_system_sgpr_workgroup_id_y 0
		.amdhsa_system_sgpr_workgroup_id_z 0
		.amdhsa_system_sgpr_workgroup_info 0
		.amdhsa_system_vgpr_workitem_id 0
		.amdhsa_next_free_vgpr 1
		.amdhsa_next_free_sgpr 1
		.amdhsa_reserve_vcc 0
		.amdhsa_float_round_mode_32 0
		.amdhsa_float_round_mode_16_64 0
		.amdhsa_float_denorm_mode_32 3
		.amdhsa_float_denorm_mode_16_64 3
		.amdhsa_dx10_clamp 1
		.amdhsa_ieee_mode 1
		.amdhsa_fp16_overflow 0
		.amdhsa_workgroup_processor_mode 1
		.amdhsa_memory_ordered 1
		.amdhsa_forward_progress 0
		.amdhsa_shared_vgpr_count 0
		.amdhsa_exception_fp_ieee_invalid_op 0
		.amdhsa_exception_fp_denorm_src 0
		.amdhsa_exception_fp_ieee_div_zero 0
		.amdhsa_exception_fp_ieee_overflow 0
		.amdhsa_exception_fp_ieee_underflow 0
		.amdhsa_exception_fp_ieee_inexact 0
		.amdhsa_exception_int_div_zero 0
	.end_amdhsa_kernel
	.section	.text._ZN7rocprim17ROCPRIM_400000_NS6detail17trampoline_kernelINS0_14default_configENS1_25partition_config_selectorILNS1_17partition_subalgoE5ElNS0_10empty_typeEbEEZZNS1_14partition_implILS5_5ELb0ES3_mN6hipcub16HIPCUB_304000_NS21CountingInputIteratorIllEEPS6_NSA_22TransformInputIteratorIbN2at6native12_GLOBAL__N_19NonZeroOpIbEEPKblEENS0_5tupleIJPlS6_EEENSN_IJSD_SD_EEES6_PiJS6_EEE10hipError_tPvRmT3_T4_T5_T6_T7_T9_mT8_P12ihipStream_tbDpT10_ENKUlT_T0_E_clISt17integral_constantIbLb1EES1B_EEDaS16_S17_EUlS16_E_NS1_11comp_targetILNS1_3genE4ELNS1_11target_archE910ELNS1_3gpuE8ELNS1_3repE0EEENS1_30default_config_static_selectorELNS0_4arch9wavefront6targetE0EEEvT1_,"axG",@progbits,_ZN7rocprim17ROCPRIM_400000_NS6detail17trampoline_kernelINS0_14default_configENS1_25partition_config_selectorILNS1_17partition_subalgoE5ElNS0_10empty_typeEbEEZZNS1_14partition_implILS5_5ELb0ES3_mN6hipcub16HIPCUB_304000_NS21CountingInputIteratorIllEEPS6_NSA_22TransformInputIteratorIbN2at6native12_GLOBAL__N_19NonZeroOpIbEEPKblEENS0_5tupleIJPlS6_EEENSN_IJSD_SD_EEES6_PiJS6_EEE10hipError_tPvRmT3_T4_T5_T6_T7_T9_mT8_P12ihipStream_tbDpT10_ENKUlT_T0_E_clISt17integral_constantIbLb1EES1B_EEDaS16_S17_EUlS16_E_NS1_11comp_targetILNS1_3genE4ELNS1_11target_archE910ELNS1_3gpuE8ELNS1_3repE0EEENS1_30default_config_static_selectorELNS0_4arch9wavefront6targetE0EEEvT1_,comdat
.Lfunc_end740:
	.size	_ZN7rocprim17ROCPRIM_400000_NS6detail17trampoline_kernelINS0_14default_configENS1_25partition_config_selectorILNS1_17partition_subalgoE5ElNS0_10empty_typeEbEEZZNS1_14partition_implILS5_5ELb0ES3_mN6hipcub16HIPCUB_304000_NS21CountingInputIteratorIllEEPS6_NSA_22TransformInputIteratorIbN2at6native12_GLOBAL__N_19NonZeroOpIbEEPKblEENS0_5tupleIJPlS6_EEENSN_IJSD_SD_EEES6_PiJS6_EEE10hipError_tPvRmT3_T4_T5_T6_T7_T9_mT8_P12ihipStream_tbDpT10_ENKUlT_T0_E_clISt17integral_constantIbLb1EES1B_EEDaS16_S17_EUlS16_E_NS1_11comp_targetILNS1_3genE4ELNS1_11target_archE910ELNS1_3gpuE8ELNS1_3repE0EEENS1_30default_config_static_selectorELNS0_4arch9wavefront6targetE0EEEvT1_, .Lfunc_end740-_ZN7rocprim17ROCPRIM_400000_NS6detail17trampoline_kernelINS0_14default_configENS1_25partition_config_selectorILNS1_17partition_subalgoE5ElNS0_10empty_typeEbEEZZNS1_14partition_implILS5_5ELb0ES3_mN6hipcub16HIPCUB_304000_NS21CountingInputIteratorIllEEPS6_NSA_22TransformInputIteratorIbN2at6native12_GLOBAL__N_19NonZeroOpIbEEPKblEENS0_5tupleIJPlS6_EEENSN_IJSD_SD_EEES6_PiJS6_EEE10hipError_tPvRmT3_T4_T5_T6_T7_T9_mT8_P12ihipStream_tbDpT10_ENKUlT_T0_E_clISt17integral_constantIbLb1EES1B_EEDaS16_S17_EUlS16_E_NS1_11comp_targetILNS1_3genE4ELNS1_11target_archE910ELNS1_3gpuE8ELNS1_3repE0EEENS1_30default_config_static_selectorELNS0_4arch9wavefront6targetE0EEEvT1_
                                        ; -- End function
	.section	.AMDGPU.csdata,"",@progbits
; Kernel info:
; codeLenInByte = 0
; NumSgprs: 0
; NumVgprs: 0
; ScratchSize: 0
; MemoryBound: 0
; FloatMode: 240
; IeeeMode: 1
; LDSByteSize: 0 bytes/workgroup (compile time only)
; SGPRBlocks: 0
; VGPRBlocks: 0
; NumSGPRsForWavesPerEU: 1
; NumVGPRsForWavesPerEU: 1
; Occupancy: 15
; WaveLimiterHint : 0
; COMPUTE_PGM_RSRC2:SCRATCH_EN: 0
; COMPUTE_PGM_RSRC2:USER_SGPR: 15
; COMPUTE_PGM_RSRC2:TRAP_HANDLER: 0
; COMPUTE_PGM_RSRC2:TGID_X_EN: 1
; COMPUTE_PGM_RSRC2:TGID_Y_EN: 0
; COMPUTE_PGM_RSRC2:TGID_Z_EN: 0
; COMPUTE_PGM_RSRC2:TIDIG_COMP_CNT: 0
	.section	.text._ZN7rocprim17ROCPRIM_400000_NS6detail17trampoline_kernelINS0_14default_configENS1_25partition_config_selectorILNS1_17partition_subalgoE5ElNS0_10empty_typeEbEEZZNS1_14partition_implILS5_5ELb0ES3_mN6hipcub16HIPCUB_304000_NS21CountingInputIteratorIllEEPS6_NSA_22TransformInputIteratorIbN2at6native12_GLOBAL__N_19NonZeroOpIbEEPKblEENS0_5tupleIJPlS6_EEENSN_IJSD_SD_EEES6_PiJS6_EEE10hipError_tPvRmT3_T4_T5_T6_T7_T9_mT8_P12ihipStream_tbDpT10_ENKUlT_T0_E_clISt17integral_constantIbLb1EES1B_EEDaS16_S17_EUlS16_E_NS1_11comp_targetILNS1_3genE3ELNS1_11target_archE908ELNS1_3gpuE7ELNS1_3repE0EEENS1_30default_config_static_selectorELNS0_4arch9wavefront6targetE0EEEvT1_,"axG",@progbits,_ZN7rocprim17ROCPRIM_400000_NS6detail17trampoline_kernelINS0_14default_configENS1_25partition_config_selectorILNS1_17partition_subalgoE5ElNS0_10empty_typeEbEEZZNS1_14partition_implILS5_5ELb0ES3_mN6hipcub16HIPCUB_304000_NS21CountingInputIteratorIllEEPS6_NSA_22TransformInputIteratorIbN2at6native12_GLOBAL__N_19NonZeroOpIbEEPKblEENS0_5tupleIJPlS6_EEENSN_IJSD_SD_EEES6_PiJS6_EEE10hipError_tPvRmT3_T4_T5_T6_T7_T9_mT8_P12ihipStream_tbDpT10_ENKUlT_T0_E_clISt17integral_constantIbLb1EES1B_EEDaS16_S17_EUlS16_E_NS1_11comp_targetILNS1_3genE3ELNS1_11target_archE908ELNS1_3gpuE7ELNS1_3repE0EEENS1_30default_config_static_selectorELNS0_4arch9wavefront6targetE0EEEvT1_,comdat
	.globl	_ZN7rocprim17ROCPRIM_400000_NS6detail17trampoline_kernelINS0_14default_configENS1_25partition_config_selectorILNS1_17partition_subalgoE5ElNS0_10empty_typeEbEEZZNS1_14partition_implILS5_5ELb0ES3_mN6hipcub16HIPCUB_304000_NS21CountingInputIteratorIllEEPS6_NSA_22TransformInputIteratorIbN2at6native12_GLOBAL__N_19NonZeroOpIbEEPKblEENS0_5tupleIJPlS6_EEENSN_IJSD_SD_EEES6_PiJS6_EEE10hipError_tPvRmT3_T4_T5_T6_T7_T9_mT8_P12ihipStream_tbDpT10_ENKUlT_T0_E_clISt17integral_constantIbLb1EES1B_EEDaS16_S17_EUlS16_E_NS1_11comp_targetILNS1_3genE3ELNS1_11target_archE908ELNS1_3gpuE7ELNS1_3repE0EEENS1_30default_config_static_selectorELNS0_4arch9wavefront6targetE0EEEvT1_ ; -- Begin function _ZN7rocprim17ROCPRIM_400000_NS6detail17trampoline_kernelINS0_14default_configENS1_25partition_config_selectorILNS1_17partition_subalgoE5ElNS0_10empty_typeEbEEZZNS1_14partition_implILS5_5ELb0ES3_mN6hipcub16HIPCUB_304000_NS21CountingInputIteratorIllEEPS6_NSA_22TransformInputIteratorIbN2at6native12_GLOBAL__N_19NonZeroOpIbEEPKblEENS0_5tupleIJPlS6_EEENSN_IJSD_SD_EEES6_PiJS6_EEE10hipError_tPvRmT3_T4_T5_T6_T7_T9_mT8_P12ihipStream_tbDpT10_ENKUlT_T0_E_clISt17integral_constantIbLb1EES1B_EEDaS16_S17_EUlS16_E_NS1_11comp_targetILNS1_3genE3ELNS1_11target_archE908ELNS1_3gpuE7ELNS1_3repE0EEENS1_30default_config_static_selectorELNS0_4arch9wavefront6targetE0EEEvT1_
	.p2align	8
	.type	_ZN7rocprim17ROCPRIM_400000_NS6detail17trampoline_kernelINS0_14default_configENS1_25partition_config_selectorILNS1_17partition_subalgoE5ElNS0_10empty_typeEbEEZZNS1_14partition_implILS5_5ELb0ES3_mN6hipcub16HIPCUB_304000_NS21CountingInputIteratorIllEEPS6_NSA_22TransformInputIteratorIbN2at6native12_GLOBAL__N_19NonZeroOpIbEEPKblEENS0_5tupleIJPlS6_EEENSN_IJSD_SD_EEES6_PiJS6_EEE10hipError_tPvRmT3_T4_T5_T6_T7_T9_mT8_P12ihipStream_tbDpT10_ENKUlT_T0_E_clISt17integral_constantIbLb1EES1B_EEDaS16_S17_EUlS16_E_NS1_11comp_targetILNS1_3genE3ELNS1_11target_archE908ELNS1_3gpuE7ELNS1_3repE0EEENS1_30default_config_static_selectorELNS0_4arch9wavefront6targetE0EEEvT1_,@function
_ZN7rocprim17ROCPRIM_400000_NS6detail17trampoline_kernelINS0_14default_configENS1_25partition_config_selectorILNS1_17partition_subalgoE5ElNS0_10empty_typeEbEEZZNS1_14partition_implILS5_5ELb0ES3_mN6hipcub16HIPCUB_304000_NS21CountingInputIteratorIllEEPS6_NSA_22TransformInputIteratorIbN2at6native12_GLOBAL__N_19NonZeroOpIbEEPKblEENS0_5tupleIJPlS6_EEENSN_IJSD_SD_EEES6_PiJS6_EEE10hipError_tPvRmT3_T4_T5_T6_T7_T9_mT8_P12ihipStream_tbDpT10_ENKUlT_T0_E_clISt17integral_constantIbLb1EES1B_EEDaS16_S17_EUlS16_E_NS1_11comp_targetILNS1_3genE3ELNS1_11target_archE908ELNS1_3gpuE7ELNS1_3repE0EEENS1_30default_config_static_selectorELNS0_4arch9wavefront6targetE0EEEvT1_: ; @_ZN7rocprim17ROCPRIM_400000_NS6detail17trampoline_kernelINS0_14default_configENS1_25partition_config_selectorILNS1_17partition_subalgoE5ElNS0_10empty_typeEbEEZZNS1_14partition_implILS5_5ELb0ES3_mN6hipcub16HIPCUB_304000_NS21CountingInputIteratorIllEEPS6_NSA_22TransformInputIteratorIbN2at6native12_GLOBAL__N_19NonZeroOpIbEEPKblEENS0_5tupleIJPlS6_EEENSN_IJSD_SD_EEES6_PiJS6_EEE10hipError_tPvRmT3_T4_T5_T6_T7_T9_mT8_P12ihipStream_tbDpT10_ENKUlT_T0_E_clISt17integral_constantIbLb1EES1B_EEDaS16_S17_EUlS16_E_NS1_11comp_targetILNS1_3genE3ELNS1_11target_archE908ELNS1_3gpuE7ELNS1_3repE0EEENS1_30default_config_static_selectorELNS0_4arch9wavefront6targetE0EEEvT1_
; %bb.0:
	.section	.rodata,"a",@progbits
	.p2align	6, 0x0
	.amdhsa_kernel _ZN7rocprim17ROCPRIM_400000_NS6detail17trampoline_kernelINS0_14default_configENS1_25partition_config_selectorILNS1_17partition_subalgoE5ElNS0_10empty_typeEbEEZZNS1_14partition_implILS5_5ELb0ES3_mN6hipcub16HIPCUB_304000_NS21CountingInputIteratorIllEEPS6_NSA_22TransformInputIteratorIbN2at6native12_GLOBAL__N_19NonZeroOpIbEEPKblEENS0_5tupleIJPlS6_EEENSN_IJSD_SD_EEES6_PiJS6_EEE10hipError_tPvRmT3_T4_T5_T6_T7_T9_mT8_P12ihipStream_tbDpT10_ENKUlT_T0_E_clISt17integral_constantIbLb1EES1B_EEDaS16_S17_EUlS16_E_NS1_11comp_targetILNS1_3genE3ELNS1_11target_archE908ELNS1_3gpuE7ELNS1_3repE0EEENS1_30default_config_static_selectorELNS0_4arch9wavefront6targetE0EEEvT1_
		.amdhsa_group_segment_fixed_size 0
		.amdhsa_private_segment_fixed_size 0
		.amdhsa_kernarg_size 136
		.amdhsa_user_sgpr_count 15
		.amdhsa_user_sgpr_dispatch_ptr 0
		.amdhsa_user_sgpr_queue_ptr 0
		.amdhsa_user_sgpr_kernarg_segment_ptr 1
		.amdhsa_user_sgpr_dispatch_id 0
		.amdhsa_user_sgpr_private_segment_size 0
		.amdhsa_wavefront_size32 1
		.amdhsa_uses_dynamic_stack 0
		.amdhsa_enable_private_segment 0
		.amdhsa_system_sgpr_workgroup_id_x 1
		.amdhsa_system_sgpr_workgroup_id_y 0
		.amdhsa_system_sgpr_workgroup_id_z 0
		.amdhsa_system_sgpr_workgroup_info 0
		.amdhsa_system_vgpr_workitem_id 0
		.amdhsa_next_free_vgpr 1
		.amdhsa_next_free_sgpr 1
		.amdhsa_reserve_vcc 0
		.amdhsa_float_round_mode_32 0
		.amdhsa_float_round_mode_16_64 0
		.amdhsa_float_denorm_mode_32 3
		.amdhsa_float_denorm_mode_16_64 3
		.amdhsa_dx10_clamp 1
		.amdhsa_ieee_mode 1
		.amdhsa_fp16_overflow 0
		.amdhsa_workgroup_processor_mode 1
		.amdhsa_memory_ordered 1
		.amdhsa_forward_progress 0
		.amdhsa_shared_vgpr_count 0
		.amdhsa_exception_fp_ieee_invalid_op 0
		.amdhsa_exception_fp_denorm_src 0
		.amdhsa_exception_fp_ieee_div_zero 0
		.amdhsa_exception_fp_ieee_overflow 0
		.amdhsa_exception_fp_ieee_underflow 0
		.amdhsa_exception_fp_ieee_inexact 0
		.amdhsa_exception_int_div_zero 0
	.end_amdhsa_kernel
	.section	.text._ZN7rocprim17ROCPRIM_400000_NS6detail17trampoline_kernelINS0_14default_configENS1_25partition_config_selectorILNS1_17partition_subalgoE5ElNS0_10empty_typeEbEEZZNS1_14partition_implILS5_5ELb0ES3_mN6hipcub16HIPCUB_304000_NS21CountingInputIteratorIllEEPS6_NSA_22TransformInputIteratorIbN2at6native12_GLOBAL__N_19NonZeroOpIbEEPKblEENS0_5tupleIJPlS6_EEENSN_IJSD_SD_EEES6_PiJS6_EEE10hipError_tPvRmT3_T4_T5_T6_T7_T9_mT8_P12ihipStream_tbDpT10_ENKUlT_T0_E_clISt17integral_constantIbLb1EES1B_EEDaS16_S17_EUlS16_E_NS1_11comp_targetILNS1_3genE3ELNS1_11target_archE908ELNS1_3gpuE7ELNS1_3repE0EEENS1_30default_config_static_selectorELNS0_4arch9wavefront6targetE0EEEvT1_,"axG",@progbits,_ZN7rocprim17ROCPRIM_400000_NS6detail17trampoline_kernelINS0_14default_configENS1_25partition_config_selectorILNS1_17partition_subalgoE5ElNS0_10empty_typeEbEEZZNS1_14partition_implILS5_5ELb0ES3_mN6hipcub16HIPCUB_304000_NS21CountingInputIteratorIllEEPS6_NSA_22TransformInputIteratorIbN2at6native12_GLOBAL__N_19NonZeroOpIbEEPKblEENS0_5tupleIJPlS6_EEENSN_IJSD_SD_EEES6_PiJS6_EEE10hipError_tPvRmT3_T4_T5_T6_T7_T9_mT8_P12ihipStream_tbDpT10_ENKUlT_T0_E_clISt17integral_constantIbLb1EES1B_EEDaS16_S17_EUlS16_E_NS1_11comp_targetILNS1_3genE3ELNS1_11target_archE908ELNS1_3gpuE7ELNS1_3repE0EEENS1_30default_config_static_selectorELNS0_4arch9wavefront6targetE0EEEvT1_,comdat
.Lfunc_end741:
	.size	_ZN7rocprim17ROCPRIM_400000_NS6detail17trampoline_kernelINS0_14default_configENS1_25partition_config_selectorILNS1_17partition_subalgoE5ElNS0_10empty_typeEbEEZZNS1_14partition_implILS5_5ELb0ES3_mN6hipcub16HIPCUB_304000_NS21CountingInputIteratorIllEEPS6_NSA_22TransformInputIteratorIbN2at6native12_GLOBAL__N_19NonZeroOpIbEEPKblEENS0_5tupleIJPlS6_EEENSN_IJSD_SD_EEES6_PiJS6_EEE10hipError_tPvRmT3_T4_T5_T6_T7_T9_mT8_P12ihipStream_tbDpT10_ENKUlT_T0_E_clISt17integral_constantIbLb1EES1B_EEDaS16_S17_EUlS16_E_NS1_11comp_targetILNS1_3genE3ELNS1_11target_archE908ELNS1_3gpuE7ELNS1_3repE0EEENS1_30default_config_static_selectorELNS0_4arch9wavefront6targetE0EEEvT1_, .Lfunc_end741-_ZN7rocprim17ROCPRIM_400000_NS6detail17trampoline_kernelINS0_14default_configENS1_25partition_config_selectorILNS1_17partition_subalgoE5ElNS0_10empty_typeEbEEZZNS1_14partition_implILS5_5ELb0ES3_mN6hipcub16HIPCUB_304000_NS21CountingInputIteratorIllEEPS6_NSA_22TransformInputIteratorIbN2at6native12_GLOBAL__N_19NonZeroOpIbEEPKblEENS0_5tupleIJPlS6_EEENSN_IJSD_SD_EEES6_PiJS6_EEE10hipError_tPvRmT3_T4_T5_T6_T7_T9_mT8_P12ihipStream_tbDpT10_ENKUlT_T0_E_clISt17integral_constantIbLb1EES1B_EEDaS16_S17_EUlS16_E_NS1_11comp_targetILNS1_3genE3ELNS1_11target_archE908ELNS1_3gpuE7ELNS1_3repE0EEENS1_30default_config_static_selectorELNS0_4arch9wavefront6targetE0EEEvT1_
                                        ; -- End function
	.section	.AMDGPU.csdata,"",@progbits
; Kernel info:
; codeLenInByte = 0
; NumSgprs: 0
; NumVgprs: 0
; ScratchSize: 0
; MemoryBound: 0
; FloatMode: 240
; IeeeMode: 1
; LDSByteSize: 0 bytes/workgroup (compile time only)
; SGPRBlocks: 0
; VGPRBlocks: 0
; NumSGPRsForWavesPerEU: 1
; NumVGPRsForWavesPerEU: 1
; Occupancy: 16
; WaveLimiterHint : 0
; COMPUTE_PGM_RSRC2:SCRATCH_EN: 0
; COMPUTE_PGM_RSRC2:USER_SGPR: 15
; COMPUTE_PGM_RSRC2:TRAP_HANDLER: 0
; COMPUTE_PGM_RSRC2:TGID_X_EN: 1
; COMPUTE_PGM_RSRC2:TGID_Y_EN: 0
; COMPUTE_PGM_RSRC2:TGID_Z_EN: 0
; COMPUTE_PGM_RSRC2:TIDIG_COMP_CNT: 0
	.section	.text._ZN7rocprim17ROCPRIM_400000_NS6detail17trampoline_kernelINS0_14default_configENS1_25partition_config_selectorILNS1_17partition_subalgoE5ElNS0_10empty_typeEbEEZZNS1_14partition_implILS5_5ELb0ES3_mN6hipcub16HIPCUB_304000_NS21CountingInputIteratorIllEEPS6_NSA_22TransformInputIteratorIbN2at6native12_GLOBAL__N_19NonZeroOpIbEEPKblEENS0_5tupleIJPlS6_EEENSN_IJSD_SD_EEES6_PiJS6_EEE10hipError_tPvRmT3_T4_T5_T6_T7_T9_mT8_P12ihipStream_tbDpT10_ENKUlT_T0_E_clISt17integral_constantIbLb1EES1B_EEDaS16_S17_EUlS16_E_NS1_11comp_targetILNS1_3genE2ELNS1_11target_archE906ELNS1_3gpuE6ELNS1_3repE0EEENS1_30default_config_static_selectorELNS0_4arch9wavefront6targetE0EEEvT1_,"axG",@progbits,_ZN7rocprim17ROCPRIM_400000_NS6detail17trampoline_kernelINS0_14default_configENS1_25partition_config_selectorILNS1_17partition_subalgoE5ElNS0_10empty_typeEbEEZZNS1_14partition_implILS5_5ELb0ES3_mN6hipcub16HIPCUB_304000_NS21CountingInputIteratorIllEEPS6_NSA_22TransformInputIteratorIbN2at6native12_GLOBAL__N_19NonZeroOpIbEEPKblEENS0_5tupleIJPlS6_EEENSN_IJSD_SD_EEES6_PiJS6_EEE10hipError_tPvRmT3_T4_T5_T6_T7_T9_mT8_P12ihipStream_tbDpT10_ENKUlT_T0_E_clISt17integral_constantIbLb1EES1B_EEDaS16_S17_EUlS16_E_NS1_11comp_targetILNS1_3genE2ELNS1_11target_archE906ELNS1_3gpuE6ELNS1_3repE0EEENS1_30default_config_static_selectorELNS0_4arch9wavefront6targetE0EEEvT1_,comdat
	.globl	_ZN7rocprim17ROCPRIM_400000_NS6detail17trampoline_kernelINS0_14default_configENS1_25partition_config_selectorILNS1_17partition_subalgoE5ElNS0_10empty_typeEbEEZZNS1_14partition_implILS5_5ELb0ES3_mN6hipcub16HIPCUB_304000_NS21CountingInputIteratorIllEEPS6_NSA_22TransformInputIteratorIbN2at6native12_GLOBAL__N_19NonZeroOpIbEEPKblEENS0_5tupleIJPlS6_EEENSN_IJSD_SD_EEES6_PiJS6_EEE10hipError_tPvRmT3_T4_T5_T6_T7_T9_mT8_P12ihipStream_tbDpT10_ENKUlT_T0_E_clISt17integral_constantIbLb1EES1B_EEDaS16_S17_EUlS16_E_NS1_11comp_targetILNS1_3genE2ELNS1_11target_archE906ELNS1_3gpuE6ELNS1_3repE0EEENS1_30default_config_static_selectorELNS0_4arch9wavefront6targetE0EEEvT1_ ; -- Begin function _ZN7rocprim17ROCPRIM_400000_NS6detail17trampoline_kernelINS0_14default_configENS1_25partition_config_selectorILNS1_17partition_subalgoE5ElNS0_10empty_typeEbEEZZNS1_14partition_implILS5_5ELb0ES3_mN6hipcub16HIPCUB_304000_NS21CountingInputIteratorIllEEPS6_NSA_22TransformInputIteratorIbN2at6native12_GLOBAL__N_19NonZeroOpIbEEPKblEENS0_5tupleIJPlS6_EEENSN_IJSD_SD_EEES6_PiJS6_EEE10hipError_tPvRmT3_T4_T5_T6_T7_T9_mT8_P12ihipStream_tbDpT10_ENKUlT_T0_E_clISt17integral_constantIbLb1EES1B_EEDaS16_S17_EUlS16_E_NS1_11comp_targetILNS1_3genE2ELNS1_11target_archE906ELNS1_3gpuE6ELNS1_3repE0EEENS1_30default_config_static_selectorELNS0_4arch9wavefront6targetE0EEEvT1_
	.p2align	8
	.type	_ZN7rocprim17ROCPRIM_400000_NS6detail17trampoline_kernelINS0_14default_configENS1_25partition_config_selectorILNS1_17partition_subalgoE5ElNS0_10empty_typeEbEEZZNS1_14partition_implILS5_5ELb0ES3_mN6hipcub16HIPCUB_304000_NS21CountingInputIteratorIllEEPS6_NSA_22TransformInputIteratorIbN2at6native12_GLOBAL__N_19NonZeroOpIbEEPKblEENS0_5tupleIJPlS6_EEENSN_IJSD_SD_EEES6_PiJS6_EEE10hipError_tPvRmT3_T4_T5_T6_T7_T9_mT8_P12ihipStream_tbDpT10_ENKUlT_T0_E_clISt17integral_constantIbLb1EES1B_EEDaS16_S17_EUlS16_E_NS1_11comp_targetILNS1_3genE2ELNS1_11target_archE906ELNS1_3gpuE6ELNS1_3repE0EEENS1_30default_config_static_selectorELNS0_4arch9wavefront6targetE0EEEvT1_,@function
_ZN7rocprim17ROCPRIM_400000_NS6detail17trampoline_kernelINS0_14default_configENS1_25partition_config_selectorILNS1_17partition_subalgoE5ElNS0_10empty_typeEbEEZZNS1_14partition_implILS5_5ELb0ES3_mN6hipcub16HIPCUB_304000_NS21CountingInputIteratorIllEEPS6_NSA_22TransformInputIteratorIbN2at6native12_GLOBAL__N_19NonZeroOpIbEEPKblEENS0_5tupleIJPlS6_EEENSN_IJSD_SD_EEES6_PiJS6_EEE10hipError_tPvRmT3_T4_T5_T6_T7_T9_mT8_P12ihipStream_tbDpT10_ENKUlT_T0_E_clISt17integral_constantIbLb1EES1B_EEDaS16_S17_EUlS16_E_NS1_11comp_targetILNS1_3genE2ELNS1_11target_archE906ELNS1_3gpuE6ELNS1_3repE0EEENS1_30default_config_static_selectorELNS0_4arch9wavefront6targetE0EEEvT1_: ; @_ZN7rocprim17ROCPRIM_400000_NS6detail17trampoline_kernelINS0_14default_configENS1_25partition_config_selectorILNS1_17partition_subalgoE5ElNS0_10empty_typeEbEEZZNS1_14partition_implILS5_5ELb0ES3_mN6hipcub16HIPCUB_304000_NS21CountingInputIteratorIllEEPS6_NSA_22TransformInputIteratorIbN2at6native12_GLOBAL__N_19NonZeroOpIbEEPKblEENS0_5tupleIJPlS6_EEENSN_IJSD_SD_EEES6_PiJS6_EEE10hipError_tPvRmT3_T4_T5_T6_T7_T9_mT8_P12ihipStream_tbDpT10_ENKUlT_T0_E_clISt17integral_constantIbLb1EES1B_EEDaS16_S17_EUlS16_E_NS1_11comp_targetILNS1_3genE2ELNS1_11target_archE906ELNS1_3gpuE6ELNS1_3repE0EEENS1_30default_config_static_selectorELNS0_4arch9wavefront6targetE0EEEvT1_
; %bb.0:
	.section	.rodata,"a",@progbits
	.p2align	6, 0x0
	.amdhsa_kernel _ZN7rocprim17ROCPRIM_400000_NS6detail17trampoline_kernelINS0_14default_configENS1_25partition_config_selectorILNS1_17partition_subalgoE5ElNS0_10empty_typeEbEEZZNS1_14partition_implILS5_5ELb0ES3_mN6hipcub16HIPCUB_304000_NS21CountingInputIteratorIllEEPS6_NSA_22TransformInputIteratorIbN2at6native12_GLOBAL__N_19NonZeroOpIbEEPKblEENS0_5tupleIJPlS6_EEENSN_IJSD_SD_EEES6_PiJS6_EEE10hipError_tPvRmT3_T4_T5_T6_T7_T9_mT8_P12ihipStream_tbDpT10_ENKUlT_T0_E_clISt17integral_constantIbLb1EES1B_EEDaS16_S17_EUlS16_E_NS1_11comp_targetILNS1_3genE2ELNS1_11target_archE906ELNS1_3gpuE6ELNS1_3repE0EEENS1_30default_config_static_selectorELNS0_4arch9wavefront6targetE0EEEvT1_
		.amdhsa_group_segment_fixed_size 0
		.amdhsa_private_segment_fixed_size 0
		.amdhsa_kernarg_size 136
		.amdhsa_user_sgpr_count 15
		.amdhsa_user_sgpr_dispatch_ptr 0
		.amdhsa_user_sgpr_queue_ptr 0
		.amdhsa_user_sgpr_kernarg_segment_ptr 1
		.amdhsa_user_sgpr_dispatch_id 0
		.amdhsa_user_sgpr_private_segment_size 0
		.amdhsa_wavefront_size32 1
		.amdhsa_uses_dynamic_stack 0
		.amdhsa_enable_private_segment 0
		.amdhsa_system_sgpr_workgroup_id_x 1
		.amdhsa_system_sgpr_workgroup_id_y 0
		.amdhsa_system_sgpr_workgroup_id_z 0
		.amdhsa_system_sgpr_workgroup_info 0
		.amdhsa_system_vgpr_workitem_id 0
		.amdhsa_next_free_vgpr 1
		.amdhsa_next_free_sgpr 1
		.amdhsa_reserve_vcc 0
		.amdhsa_float_round_mode_32 0
		.amdhsa_float_round_mode_16_64 0
		.amdhsa_float_denorm_mode_32 3
		.amdhsa_float_denorm_mode_16_64 3
		.amdhsa_dx10_clamp 1
		.amdhsa_ieee_mode 1
		.amdhsa_fp16_overflow 0
		.amdhsa_workgroup_processor_mode 1
		.amdhsa_memory_ordered 1
		.amdhsa_forward_progress 0
		.amdhsa_shared_vgpr_count 0
		.amdhsa_exception_fp_ieee_invalid_op 0
		.amdhsa_exception_fp_denorm_src 0
		.amdhsa_exception_fp_ieee_div_zero 0
		.amdhsa_exception_fp_ieee_overflow 0
		.amdhsa_exception_fp_ieee_underflow 0
		.amdhsa_exception_fp_ieee_inexact 0
		.amdhsa_exception_int_div_zero 0
	.end_amdhsa_kernel
	.section	.text._ZN7rocprim17ROCPRIM_400000_NS6detail17trampoline_kernelINS0_14default_configENS1_25partition_config_selectorILNS1_17partition_subalgoE5ElNS0_10empty_typeEbEEZZNS1_14partition_implILS5_5ELb0ES3_mN6hipcub16HIPCUB_304000_NS21CountingInputIteratorIllEEPS6_NSA_22TransformInputIteratorIbN2at6native12_GLOBAL__N_19NonZeroOpIbEEPKblEENS0_5tupleIJPlS6_EEENSN_IJSD_SD_EEES6_PiJS6_EEE10hipError_tPvRmT3_T4_T5_T6_T7_T9_mT8_P12ihipStream_tbDpT10_ENKUlT_T0_E_clISt17integral_constantIbLb1EES1B_EEDaS16_S17_EUlS16_E_NS1_11comp_targetILNS1_3genE2ELNS1_11target_archE906ELNS1_3gpuE6ELNS1_3repE0EEENS1_30default_config_static_selectorELNS0_4arch9wavefront6targetE0EEEvT1_,"axG",@progbits,_ZN7rocprim17ROCPRIM_400000_NS6detail17trampoline_kernelINS0_14default_configENS1_25partition_config_selectorILNS1_17partition_subalgoE5ElNS0_10empty_typeEbEEZZNS1_14partition_implILS5_5ELb0ES3_mN6hipcub16HIPCUB_304000_NS21CountingInputIteratorIllEEPS6_NSA_22TransformInputIteratorIbN2at6native12_GLOBAL__N_19NonZeroOpIbEEPKblEENS0_5tupleIJPlS6_EEENSN_IJSD_SD_EEES6_PiJS6_EEE10hipError_tPvRmT3_T4_T5_T6_T7_T9_mT8_P12ihipStream_tbDpT10_ENKUlT_T0_E_clISt17integral_constantIbLb1EES1B_EEDaS16_S17_EUlS16_E_NS1_11comp_targetILNS1_3genE2ELNS1_11target_archE906ELNS1_3gpuE6ELNS1_3repE0EEENS1_30default_config_static_selectorELNS0_4arch9wavefront6targetE0EEEvT1_,comdat
.Lfunc_end742:
	.size	_ZN7rocprim17ROCPRIM_400000_NS6detail17trampoline_kernelINS0_14default_configENS1_25partition_config_selectorILNS1_17partition_subalgoE5ElNS0_10empty_typeEbEEZZNS1_14partition_implILS5_5ELb0ES3_mN6hipcub16HIPCUB_304000_NS21CountingInputIteratorIllEEPS6_NSA_22TransformInputIteratorIbN2at6native12_GLOBAL__N_19NonZeroOpIbEEPKblEENS0_5tupleIJPlS6_EEENSN_IJSD_SD_EEES6_PiJS6_EEE10hipError_tPvRmT3_T4_T5_T6_T7_T9_mT8_P12ihipStream_tbDpT10_ENKUlT_T0_E_clISt17integral_constantIbLb1EES1B_EEDaS16_S17_EUlS16_E_NS1_11comp_targetILNS1_3genE2ELNS1_11target_archE906ELNS1_3gpuE6ELNS1_3repE0EEENS1_30default_config_static_selectorELNS0_4arch9wavefront6targetE0EEEvT1_, .Lfunc_end742-_ZN7rocprim17ROCPRIM_400000_NS6detail17trampoline_kernelINS0_14default_configENS1_25partition_config_selectorILNS1_17partition_subalgoE5ElNS0_10empty_typeEbEEZZNS1_14partition_implILS5_5ELb0ES3_mN6hipcub16HIPCUB_304000_NS21CountingInputIteratorIllEEPS6_NSA_22TransformInputIteratorIbN2at6native12_GLOBAL__N_19NonZeroOpIbEEPKblEENS0_5tupleIJPlS6_EEENSN_IJSD_SD_EEES6_PiJS6_EEE10hipError_tPvRmT3_T4_T5_T6_T7_T9_mT8_P12ihipStream_tbDpT10_ENKUlT_T0_E_clISt17integral_constantIbLb1EES1B_EEDaS16_S17_EUlS16_E_NS1_11comp_targetILNS1_3genE2ELNS1_11target_archE906ELNS1_3gpuE6ELNS1_3repE0EEENS1_30default_config_static_selectorELNS0_4arch9wavefront6targetE0EEEvT1_
                                        ; -- End function
	.section	.AMDGPU.csdata,"",@progbits
; Kernel info:
; codeLenInByte = 0
; NumSgprs: 0
; NumVgprs: 0
; ScratchSize: 0
; MemoryBound: 0
; FloatMode: 240
; IeeeMode: 1
; LDSByteSize: 0 bytes/workgroup (compile time only)
; SGPRBlocks: 0
; VGPRBlocks: 0
; NumSGPRsForWavesPerEU: 1
; NumVGPRsForWavesPerEU: 1
; Occupancy: 16
; WaveLimiterHint : 0
; COMPUTE_PGM_RSRC2:SCRATCH_EN: 0
; COMPUTE_PGM_RSRC2:USER_SGPR: 15
; COMPUTE_PGM_RSRC2:TRAP_HANDLER: 0
; COMPUTE_PGM_RSRC2:TGID_X_EN: 1
; COMPUTE_PGM_RSRC2:TGID_Y_EN: 0
; COMPUTE_PGM_RSRC2:TGID_Z_EN: 0
; COMPUTE_PGM_RSRC2:TIDIG_COMP_CNT: 0
	.section	.text._ZN7rocprim17ROCPRIM_400000_NS6detail17trampoline_kernelINS0_14default_configENS1_25partition_config_selectorILNS1_17partition_subalgoE5ElNS0_10empty_typeEbEEZZNS1_14partition_implILS5_5ELb0ES3_mN6hipcub16HIPCUB_304000_NS21CountingInputIteratorIllEEPS6_NSA_22TransformInputIteratorIbN2at6native12_GLOBAL__N_19NonZeroOpIbEEPKblEENS0_5tupleIJPlS6_EEENSN_IJSD_SD_EEES6_PiJS6_EEE10hipError_tPvRmT3_T4_T5_T6_T7_T9_mT8_P12ihipStream_tbDpT10_ENKUlT_T0_E_clISt17integral_constantIbLb1EES1B_EEDaS16_S17_EUlS16_E_NS1_11comp_targetILNS1_3genE10ELNS1_11target_archE1200ELNS1_3gpuE4ELNS1_3repE0EEENS1_30default_config_static_selectorELNS0_4arch9wavefront6targetE0EEEvT1_,"axG",@progbits,_ZN7rocprim17ROCPRIM_400000_NS6detail17trampoline_kernelINS0_14default_configENS1_25partition_config_selectorILNS1_17partition_subalgoE5ElNS0_10empty_typeEbEEZZNS1_14partition_implILS5_5ELb0ES3_mN6hipcub16HIPCUB_304000_NS21CountingInputIteratorIllEEPS6_NSA_22TransformInputIteratorIbN2at6native12_GLOBAL__N_19NonZeroOpIbEEPKblEENS0_5tupleIJPlS6_EEENSN_IJSD_SD_EEES6_PiJS6_EEE10hipError_tPvRmT3_T4_T5_T6_T7_T9_mT8_P12ihipStream_tbDpT10_ENKUlT_T0_E_clISt17integral_constantIbLb1EES1B_EEDaS16_S17_EUlS16_E_NS1_11comp_targetILNS1_3genE10ELNS1_11target_archE1200ELNS1_3gpuE4ELNS1_3repE0EEENS1_30default_config_static_selectorELNS0_4arch9wavefront6targetE0EEEvT1_,comdat
	.globl	_ZN7rocprim17ROCPRIM_400000_NS6detail17trampoline_kernelINS0_14default_configENS1_25partition_config_selectorILNS1_17partition_subalgoE5ElNS0_10empty_typeEbEEZZNS1_14partition_implILS5_5ELb0ES3_mN6hipcub16HIPCUB_304000_NS21CountingInputIteratorIllEEPS6_NSA_22TransformInputIteratorIbN2at6native12_GLOBAL__N_19NonZeroOpIbEEPKblEENS0_5tupleIJPlS6_EEENSN_IJSD_SD_EEES6_PiJS6_EEE10hipError_tPvRmT3_T4_T5_T6_T7_T9_mT8_P12ihipStream_tbDpT10_ENKUlT_T0_E_clISt17integral_constantIbLb1EES1B_EEDaS16_S17_EUlS16_E_NS1_11comp_targetILNS1_3genE10ELNS1_11target_archE1200ELNS1_3gpuE4ELNS1_3repE0EEENS1_30default_config_static_selectorELNS0_4arch9wavefront6targetE0EEEvT1_ ; -- Begin function _ZN7rocprim17ROCPRIM_400000_NS6detail17trampoline_kernelINS0_14default_configENS1_25partition_config_selectorILNS1_17partition_subalgoE5ElNS0_10empty_typeEbEEZZNS1_14partition_implILS5_5ELb0ES3_mN6hipcub16HIPCUB_304000_NS21CountingInputIteratorIllEEPS6_NSA_22TransformInputIteratorIbN2at6native12_GLOBAL__N_19NonZeroOpIbEEPKblEENS0_5tupleIJPlS6_EEENSN_IJSD_SD_EEES6_PiJS6_EEE10hipError_tPvRmT3_T4_T5_T6_T7_T9_mT8_P12ihipStream_tbDpT10_ENKUlT_T0_E_clISt17integral_constantIbLb1EES1B_EEDaS16_S17_EUlS16_E_NS1_11comp_targetILNS1_3genE10ELNS1_11target_archE1200ELNS1_3gpuE4ELNS1_3repE0EEENS1_30default_config_static_selectorELNS0_4arch9wavefront6targetE0EEEvT1_
	.p2align	8
	.type	_ZN7rocprim17ROCPRIM_400000_NS6detail17trampoline_kernelINS0_14default_configENS1_25partition_config_selectorILNS1_17partition_subalgoE5ElNS0_10empty_typeEbEEZZNS1_14partition_implILS5_5ELb0ES3_mN6hipcub16HIPCUB_304000_NS21CountingInputIteratorIllEEPS6_NSA_22TransformInputIteratorIbN2at6native12_GLOBAL__N_19NonZeroOpIbEEPKblEENS0_5tupleIJPlS6_EEENSN_IJSD_SD_EEES6_PiJS6_EEE10hipError_tPvRmT3_T4_T5_T6_T7_T9_mT8_P12ihipStream_tbDpT10_ENKUlT_T0_E_clISt17integral_constantIbLb1EES1B_EEDaS16_S17_EUlS16_E_NS1_11comp_targetILNS1_3genE10ELNS1_11target_archE1200ELNS1_3gpuE4ELNS1_3repE0EEENS1_30default_config_static_selectorELNS0_4arch9wavefront6targetE0EEEvT1_,@function
_ZN7rocprim17ROCPRIM_400000_NS6detail17trampoline_kernelINS0_14default_configENS1_25partition_config_selectorILNS1_17partition_subalgoE5ElNS0_10empty_typeEbEEZZNS1_14partition_implILS5_5ELb0ES3_mN6hipcub16HIPCUB_304000_NS21CountingInputIteratorIllEEPS6_NSA_22TransformInputIteratorIbN2at6native12_GLOBAL__N_19NonZeroOpIbEEPKblEENS0_5tupleIJPlS6_EEENSN_IJSD_SD_EEES6_PiJS6_EEE10hipError_tPvRmT3_T4_T5_T6_T7_T9_mT8_P12ihipStream_tbDpT10_ENKUlT_T0_E_clISt17integral_constantIbLb1EES1B_EEDaS16_S17_EUlS16_E_NS1_11comp_targetILNS1_3genE10ELNS1_11target_archE1200ELNS1_3gpuE4ELNS1_3repE0EEENS1_30default_config_static_selectorELNS0_4arch9wavefront6targetE0EEEvT1_: ; @_ZN7rocprim17ROCPRIM_400000_NS6detail17trampoline_kernelINS0_14default_configENS1_25partition_config_selectorILNS1_17partition_subalgoE5ElNS0_10empty_typeEbEEZZNS1_14partition_implILS5_5ELb0ES3_mN6hipcub16HIPCUB_304000_NS21CountingInputIteratorIllEEPS6_NSA_22TransformInputIteratorIbN2at6native12_GLOBAL__N_19NonZeroOpIbEEPKblEENS0_5tupleIJPlS6_EEENSN_IJSD_SD_EEES6_PiJS6_EEE10hipError_tPvRmT3_T4_T5_T6_T7_T9_mT8_P12ihipStream_tbDpT10_ENKUlT_T0_E_clISt17integral_constantIbLb1EES1B_EEDaS16_S17_EUlS16_E_NS1_11comp_targetILNS1_3genE10ELNS1_11target_archE1200ELNS1_3gpuE4ELNS1_3repE0EEENS1_30default_config_static_selectorELNS0_4arch9wavefront6targetE0EEEvT1_
; %bb.0:
	.section	.rodata,"a",@progbits
	.p2align	6, 0x0
	.amdhsa_kernel _ZN7rocprim17ROCPRIM_400000_NS6detail17trampoline_kernelINS0_14default_configENS1_25partition_config_selectorILNS1_17partition_subalgoE5ElNS0_10empty_typeEbEEZZNS1_14partition_implILS5_5ELb0ES3_mN6hipcub16HIPCUB_304000_NS21CountingInputIteratorIllEEPS6_NSA_22TransformInputIteratorIbN2at6native12_GLOBAL__N_19NonZeroOpIbEEPKblEENS0_5tupleIJPlS6_EEENSN_IJSD_SD_EEES6_PiJS6_EEE10hipError_tPvRmT3_T4_T5_T6_T7_T9_mT8_P12ihipStream_tbDpT10_ENKUlT_T0_E_clISt17integral_constantIbLb1EES1B_EEDaS16_S17_EUlS16_E_NS1_11comp_targetILNS1_3genE10ELNS1_11target_archE1200ELNS1_3gpuE4ELNS1_3repE0EEENS1_30default_config_static_selectorELNS0_4arch9wavefront6targetE0EEEvT1_
		.amdhsa_group_segment_fixed_size 0
		.amdhsa_private_segment_fixed_size 0
		.amdhsa_kernarg_size 136
		.amdhsa_user_sgpr_count 15
		.amdhsa_user_sgpr_dispatch_ptr 0
		.amdhsa_user_sgpr_queue_ptr 0
		.amdhsa_user_sgpr_kernarg_segment_ptr 1
		.amdhsa_user_sgpr_dispatch_id 0
		.amdhsa_user_sgpr_private_segment_size 0
		.amdhsa_wavefront_size32 1
		.amdhsa_uses_dynamic_stack 0
		.amdhsa_enable_private_segment 0
		.amdhsa_system_sgpr_workgroup_id_x 1
		.amdhsa_system_sgpr_workgroup_id_y 0
		.amdhsa_system_sgpr_workgroup_id_z 0
		.amdhsa_system_sgpr_workgroup_info 0
		.amdhsa_system_vgpr_workitem_id 0
		.amdhsa_next_free_vgpr 1
		.amdhsa_next_free_sgpr 1
		.amdhsa_reserve_vcc 0
		.amdhsa_float_round_mode_32 0
		.amdhsa_float_round_mode_16_64 0
		.amdhsa_float_denorm_mode_32 3
		.amdhsa_float_denorm_mode_16_64 3
		.amdhsa_dx10_clamp 1
		.amdhsa_ieee_mode 1
		.amdhsa_fp16_overflow 0
		.amdhsa_workgroup_processor_mode 1
		.amdhsa_memory_ordered 1
		.amdhsa_forward_progress 0
		.amdhsa_shared_vgpr_count 0
		.amdhsa_exception_fp_ieee_invalid_op 0
		.amdhsa_exception_fp_denorm_src 0
		.amdhsa_exception_fp_ieee_div_zero 0
		.amdhsa_exception_fp_ieee_overflow 0
		.amdhsa_exception_fp_ieee_underflow 0
		.amdhsa_exception_fp_ieee_inexact 0
		.amdhsa_exception_int_div_zero 0
	.end_amdhsa_kernel
	.section	.text._ZN7rocprim17ROCPRIM_400000_NS6detail17trampoline_kernelINS0_14default_configENS1_25partition_config_selectorILNS1_17partition_subalgoE5ElNS0_10empty_typeEbEEZZNS1_14partition_implILS5_5ELb0ES3_mN6hipcub16HIPCUB_304000_NS21CountingInputIteratorIllEEPS6_NSA_22TransformInputIteratorIbN2at6native12_GLOBAL__N_19NonZeroOpIbEEPKblEENS0_5tupleIJPlS6_EEENSN_IJSD_SD_EEES6_PiJS6_EEE10hipError_tPvRmT3_T4_T5_T6_T7_T9_mT8_P12ihipStream_tbDpT10_ENKUlT_T0_E_clISt17integral_constantIbLb1EES1B_EEDaS16_S17_EUlS16_E_NS1_11comp_targetILNS1_3genE10ELNS1_11target_archE1200ELNS1_3gpuE4ELNS1_3repE0EEENS1_30default_config_static_selectorELNS0_4arch9wavefront6targetE0EEEvT1_,"axG",@progbits,_ZN7rocprim17ROCPRIM_400000_NS6detail17trampoline_kernelINS0_14default_configENS1_25partition_config_selectorILNS1_17partition_subalgoE5ElNS0_10empty_typeEbEEZZNS1_14partition_implILS5_5ELb0ES3_mN6hipcub16HIPCUB_304000_NS21CountingInputIteratorIllEEPS6_NSA_22TransformInputIteratorIbN2at6native12_GLOBAL__N_19NonZeroOpIbEEPKblEENS0_5tupleIJPlS6_EEENSN_IJSD_SD_EEES6_PiJS6_EEE10hipError_tPvRmT3_T4_T5_T6_T7_T9_mT8_P12ihipStream_tbDpT10_ENKUlT_T0_E_clISt17integral_constantIbLb1EES1B_EEDaS16_S17_EUlS16_E_NS1_11comp_targetILNS1_3genE10ELNS1_11target_archE1200ELNS1_3gpuE4ELNS1_3repE0EEENS1_30default_config_static_selectorELNS0_4arch9wavefront6targetE0EEEvT1_,comdat
.Lfunc_end743:
	.size	_ZN7rocprim17ROCPRIM_400000_NS6detail17trampoline_kernelINS0_14default_configENS1_25partition_config_selectorILNS1_17partition_subalgoE5ElNS0_10empty_typeEbEEZZNS1_14partition_implILS5_5ELb0ES3_mN6hipcub16HIPCUB_304000_NS21CountingInputIteratorIllEEPS6_NSA_22TransformInputIteratorIbN2at6native12_GLOBAL__N_19NonZeroOpIbEEPKblEENS0_5tupleIJPlS6_EEENSN_IJSD_SD_EEES6_PiJS6_EEE10hipError_tPvRmT3_T4_T5_T6_T7_T9_mT8_P12ihipStream_tbDpT10_ENKUlT_T0_E_clISt17integral_constantIbLb1EES1B_EEDaS16_S17_EUlS16_E_NS1_11comp_targetILNS1_3genE10ELNS1_11target_archE1200ELNS1_3gpuE4ELNS1_3repE0EEENS1_30default_config_static_selectorELNS0_4arch9wavefront6targetE0EEEvT1_, .Lfunc_end743-_ZN7rocprim17ROCPRIM_400000_NS6detail17trampoline_kernelINS0_14default_configENS1_25partition_config_selectorILNS1_17partition_subalgoE5ElNS0_10empty_typeEbEEZZNS1_14partition_implILS5_5ELb0ES3_mN6hipcub16HIPCUB_304000_NS21CountingInputIteratorIllEEPS6_NSA_22TransformInputIteratorIbN2at6native12_GLOBAL__N_19NonZeroOpIbEEPKblEENS0_5tupleIJPlS6_EEENSN_IJSD_SD_EEES6_PiJS6_EEE10hipError_tPvRmT3_T4_T5_T6_T7_T9_mT8_P12ihipStream_tbDpT10_ENKUlT_T0_E_clISt17integral_constantIbLb1EES1B_EEDaS16_S17_EUlS16_E_NS1_11comp_targetILNS1_3genE10ELNS1_11target_archE1200ELNS1_3gpuE4ELNS1_3repE0EEENS1_30default_config_static_selectorELNS0_4arch9wavefront6targetE0EEEvT1_
                                        ; -- End function
	.section	.AMDGPU.csdata,"",@progbits
; Kernel info:
; codeLenInByte = 0
; NumSgprs: 0
; NumVgprs: 0
; ScratchSize: 0
; MemoryBound: 0
; FloatMode: 240
; IeeeMode: 1
; LDSByteSize: 0 bytes/workgroup (compile time only)
; SGPRBlocks: 0
; VGPRBlocks: 0
; NumSGPRsForWavesPerEU: 1
; NumVGPRsForWavesPerEU: 1
; Occupancy: 16
; WaveLimiterHint : 0
; COMPUTE_PGM_RSRC2:SCRATCH_EN: 0
; COMPUTE_PGM_RSRC2:USER_SGPR: 15
; COMPUTE_PGM_RSRC2:TRAP_HANDLER: 0
; COMPUTE_PGM_RSRC2:TGID_X_EN: 1
; COMPUTE_PGM_RSRC2:TGID_Y_EN: 0
; COMPUTE_PGM_RSRC2:TGID_Z_EN: 0
; COMPUTE_PGM_RSRC2:TIDIG_COMP_CNT: 0
	.section	.text._ZN7rocprim17ROCPRIM_400000_NS6detail17trampoline_kernelINS0_14default_configENS1_25partition_config_selectorILNS1_17partition_subalgoE5ElNS0_10empty_typeEbEEZZNS1_14partition_implILS5_5ELb0ES3_mN6hipcub16HIPCUB_304000_NS21CountingInputIteratorIllEEPS6_NSA_22TransformInputIteratorIbN2at6native12_GLOBAL__N_19NonZeroOpIbEEPKblEENS0_5tupleIJPlS6_EEENSN_IJSD_SD_EEES6_PiJS6_EEE10hipError_tPvRmT3_T4_T5_T6_T7_T9_mT8_P12ihipStream_tbDpT10_ENKUlT_T0_E_clISt17integral_constantIbLb1EES1B_EEDaS16_S17_EUlS16_E_NS1_11comp_targetILNS1_3genE9ELNS1_11target_archE1100ELNS1_3gpuE3ELNS1_3repE0EEENS1_30default_config_static_selectorELNS0_4arch9wavefront6targetE0EEEvT1_,"axG",@progbits,_ZN7rocprim17ROCPRIM_400000_NS6detail17trampoline_kernelINS0_14default_configENS1_25partition_config_selectorILNS1_17partition_subalgoE5ElNS0_10empty_typeEbEEZZNS1_14partition_implILS5_5ELb0ES3_mN6hipcub16HIPCUB_304000_NS21CountingInputIteratorIllEEPS6_NSA_22TransformInputIteratorIbN2at6native12_GLOBAL__N_19NonZeroOpIbEEPKblEENS0_5tupleIJPlS6_EEENSN_IJSD_SD_EEES6_PiJS6_EEE10hipError_tPvRmT3_T4_T5_T6_T7_T9_mT8_P12ihipStream_tbDpT10_ENKUlT_T0_E_clISt17integral_constantIbLb1EES1B_EEDaS16_S17_EUlS16_E_NS1_11comp_targetILNS1_3genE9ELNS1_11target_archE1100ELNS1_3gpuE3ELNS1_3repE0EEENS1_30default_config_static_selectorELNS0_4arch9wavefront6targetE0EEEvT1_,comdat
	.globl	_ZN7rocprim17ROCPRIM_400000_NS6detail17trampoline_kernelINS0_14default_configENS1_25partition_config_selectorILNS1_17partition_subalgoE5ElNS0_10empty_typeEbEEZZNS1_14partition_implILS5_5ELb0ES3_mN6hipcub16HIPCUB_304000_NS21CountingInputIteratorIllEEPS6_NSA_22TransformInputIteratorIbN2at6native12_GLOBAL__N_19NonZeroOpIbEEPKblEENS0_5tupleIJPlS6_EEENSN_IJSD_SD_EEES6_PiJS6_EEE10hipError_tPvRmT3_T4_T5_T6_T7_T9_mT8_P12ihipStream_tbDpT10_ENKUlT_T0_E_clISt17integral_constantIbLb1EES1B_EEDaS16_S17_EUlS16_E_NS1_11comp_targetILNS1_3genE9ELNS1_11target_archE1100ELNS1_3gpuE3ELNS1_3repE0EEENS1_30default_config_static_selectorELNS0_4arch9wavefront6targetE0EEEvT1_ ; -- Begin function _ZN7rocprim17ROCPRIM_400000_NS6detail17trampoline_kernelINS0_14default_configENS1_25partition_config_selectorILNS1_17partition_subalgoE5ElNS0_10empty_typeEbEEZZNS1_14partition_implILS5_5ELb0ES3_mN6hipcub16HIPCUB_304000_NS21CountingInputIteratorIllEEPS6_NSA_22TransformInputIteratorIbN2at6native12_GLOBAL__N_19NonZeroOpIbEEPKblEENS0_5tupleIJPlS6_EEENSN_IJSD_SD_EEES6_PiJS6_EEE10hipError_tPvRmT3_T4_T5_T6_T7_T9_mT8_P12ihipStream_tbDpT10_ENKUlT_T0_E_clISt17integral_constantIbLb1EES1B_EEDaS16_S17_EUlS16_E_NS1_11comp_targetILNS1_3genE9ELNS1_11target_archE1100ELNS1_3gpuE3ELNS1_3repE0EEENS1_30default_config_static_selectorELNS0_4arch9wavefront6targetE0EEEvT1_
	.p2align	8
	.type	_ZN7rocprim17ROCPRIM_400000_NS6detail17trampoline_kernelINS0_14default_configENS1_25partition_config_selectorILNS1_17partition_subalgoE5ElNS0_10empty_typeEbEEZZNS1_14partition_implILS5_5ELb0ES3_mN6hipcub16HIPCUB_304000_NS21CountingInputIteratorIllEEPS6_NSA_22TransformInputIteratorIbN2at6native12_GLOBAL__N_19NonZeroOpIbEEPKblEENS0_5tupleIJPlS6_EEENSN_IJSD_SD_EEES6_PiJS6_EEE10hipError_tPvRmT3_T4_T5_T6_T7_T9_mT8_P12ihipStream_tbDpT10_ENKUlT_T0_E_clISt17integral_constantIbLb1EES1B_EEDaS16_S17_EUlS16_E_NS1_11comp_targetILNS1_3genE9ELNS1_11target_archE1100ELNS1_3gpuE3ELNS1_3repE0EEENS1_30default_config_static_selectorELNS0_4arch9wavefront6targetE0EEEvT1_,@function
_ZN7rocprim17ROCPRIM_400000_NS6detail17trampoline_kernelINS0_14default_configENS1_25partition_config_selectorILNS1_17partition_subalgoE5ElNS0_10empty_typeEbEEZZNS1_14partition_implILS5_5ELb0ES3_mN6hipcub16HIPCUB_304000_NS21CountingInputIteratorIllEEPS6_NSA_22TransformInputIteratorIbN2at6native12_GLOBAL__N_19NonZeroOpIbEEPKblEENS0_5tupleIJPlS6_EEENSN_IJSD_SD_EEES6_PiJS6_EEE10hipError_tPvRmT3_T4_T5_T6_T7_T9_mT8_P12ihipStream_tbDpT10_ENKUlT_T0_E_clISt17integral_constantIbLb1EES1B_EEDaS16_S17_EUlS16_E_NS1_11comp_targetILNS1_3genE9ELNS1_11target_archE1100ELNS1_3gpuE3ELNS1_3repE0EEENS1_30default_config_static_selectorELNS0_4arch9wavefront6targetE0EEEvT1_: ; @_ZN7rocprim17ROCPRIM_400000_NS6detail17trampoline_kernelINS0_14default_configENS1_25partition_config_selectorILNS1_17partition_subalgoE5ElNS0_10empty_typeEbEEZZNS1_14partition_implILS5_5ELb0ES3_mN6hipcub16HIPCUB_304000_NS21CountingInputIteratorIllEEPS6_NSA_22TransformInputIteratorIbN2at6native12_GLOBAL__N_19NonZeroOpIbEEPKblEENS0_5tupleIJPlS6_EEENSN_IJSD_SD_EEES6_PiJS6_EEE10hipError_tPvRmT3_T4_T5_T6_T7_T9_mT8_P12ihipStream_tbDpT10_ENKUlT_T0_E_clISt17integral_constantIbLb1EES1B_EEDaS16_S17_EUlS16_E_NS1_11comp_targetILNS1_3genE9ELNS1_11target_archE1100ELNS1_3gpuE3ELNS1_3repE0EEENS1_30default_config_static_selectorELNS0_4arch9wavefront6targetE0EEEvT1_
; %bb.0:
	s_clause 0x4
	s_load_b64 s[18:19], s[0:1], 0x20
	s_load_b64 s[12:13], s[0:1], 0x30
	;; [unrolled: 1-line block ×3, first 2 shown]
	s_load_b128 s[4:7], s[0:1], 0x48
	s_load_b64 s[14:15], s[0:1], 0x68
	v_cmp_eq_u32_e64 s2, 0, v0
	s_delay_alu instid0(VALU_DEP_1)
	s_and_saveexec_b32 s3, s2
	s_cbranch_execz .LBB744_4
; %bb.1:
	s_mov_b32 s9, exec_lo
	s_mov_b32 s8, exec_lo
	v_mbcnt_lo_u32_b32 v1, s9, 0
                                        ; implicit-def: $vgpr2
	s_delay_alu instid0(VALU_DEP_1)
	v_cmpx_eq_u32_e32 0, v1
	s_cbranch_execz .LBB744_3
; %bb.2:
	s_load_b64 s[10:11], s[0:1], 0x78
	s_bcnt1_i32_b32 s9, s9
	s_delay_alu instid0(SALU_CYCLE_1)
	v_dual_mov_b32 v2, 0 :: v_dual_mov_b32 v3, s9
	s_waitcnt lgkmcnt(0)
	global_atomic_add_u32 v2, v2, v3, s[10:11] glc
.LBB744_3:
	s_or_b32 exec_lo, exec_lo, s8
	s_waitcnt vmcnt(0)
	v_readfirstlane_b32 s8, v2
	s_delay_alu instid0(VALU_DEP_1)
	v_dual_mov_b32 v2, 0 :: v_dual_add_nc_u32 v1, s8, v1
	ds_store_b32 v2, v1
.LBB744_4:
	s_or_b32 exec_lo, exec_lo, s3
	v_mov_b32_e32 v1, 0
	s_clause 0x1
	s_load_b128 s[8:11], s[0:1], 0x8
	s_load_b32 s0, s[0:1], 0x70
	s_waitcnt lgkmcnt(0)
	s_barrier
	buffer_gl0_inv
	ds_load_b32 v3, v1
	s_waitcnt lgkmcnt(0)
	s_barrier
	buffer_gl0_inv
	global_load_b64 v[1:2], v1, s[6:7]
	s_add_u32 s1, s10, s8
	s_mul_i32 s20, s0, 0x300
	s_addc_u32 s21, s11, s9
	s_add_i32 s0, s0, -1
	s_add_u32 s6, s10, s20
	v_readfirstlane_b32 s9, v3
	s_addc_u32 s7, s11, 0
	s_delay_alu instid0(SALU_CYCLE_1) | instskip(SKIP_1) | instid1(VALU_DEP_2)
	v_cmp_ge_u64_e64 s6, s[6:7], s[16:17]
	s_mov_b32 s17, -1
	s_cmp_eq_u32 s9, s0
	s_mul_i32 s0, s9, 0x300
	s_cselect_b32 s3, -1, 0
	s_delay_alu instid0(VALU_DEP_1) | instid1(SALU_CYCLE_1)
	s_and_b32 s6, s6, s3
	s_delay_alu instid0(SALU_CYCLE_1) | instskip(NEXT) | instid1(SALU_CYCLE_1)
	s_xor_b32 s8, s6, -1
	s_and_b32 vcc_lo, exec_lo, s8
	s_waitcnt vmcnt(0)
	v_readfirstlane_b32 s6, v1
	v_readfirstlane_b32 s7, v2
	s_cbranch_vccz .LBB744_6
; %bb.5:
	s_add_u32 s17, s0, s1
	s_addc_u32 s22, 0, s21
	v_add_co_u32 v1, s17, s17, v0
	s_delay_alu instid0(VALU_DEP_1) | instskip(SKIP_1) | instid1(VALU_DEP_3)
	v_add_co_ci_u32_e64 v2, null, s22, 0, s17
	v_lshlrev_b32_e32 v13, 3, v0
	v_add_co_u32 v3, vcc_lo, 0x80, v1
	s_delay_alu instid0(VALU_DEP_3)
	v_add_co_ci_u32_e32 v4, vcc_lo, 0, v2, vcc_lo
	v_add_co_u32 v5, vcc_lo, 0x100, v1
	v_add_co_ci_u32_e32 v6, vcc_lo, 0, v2, vcc_lo
	v_add_co_u32 v7, vcc_lo, 0x180, v1
	;; [unrolled: 2-line block ×4, first 2 shown]
	v_add_co_ci_u32_e32 v12, vcc_lo, 0, v2, vcc_lo
	ds_store_2addr_stride64_b64 v13, v[1:2], v[3:4] offset1:2
	ds_store_2addr_stride64_b64 v13, v[5:6], v[7:8] offset0:4 offset1:6
	ds_store_2addr_stride64_b64 v13, v[9:10], v[11:12] offset0:8 offset1:10
	s_waitcnt lgkmcnt(0)
	s_mov_b32 s17, 0
	s_barrier
.LBB744_6:
	v_or_b32_e32 v17, 0x100, v0
	v_or_b32_e32 v16, 0x180, v0
	;; [unrolled: 1-line block ×4, first 2 shown]
	s_and_not1_b32 vcc_lo, exec_lo, s17
	s_cbranch_vccnz .LBB744_8
; %bb.7:
	v_or_b32_e32 v3, 0x80, v0
	s_add_u32 s1, s1, s0
	s_addc_u32 s17, s21, 0
	v_add_co_u32 v1, s21, s1, v0
	s_delay_alu instid0(VALU_DEP_1) | instskip(SKIP_1) | instid1(VALU_DEP_1)
	v_add_co_ci_u32_e64 v2, null, s17, 0, s21
	v_add_co_u32 v3, s21, s1, v3
	v_add_co_ci_u32_e64 v4, null, s17, 0, s21
	v_add_co_u32 v5, s21, s1, v17
	s_delay_alu instid0(VALU_DEP_1) | instskip(SKIP_1) | instid1(VALU_DEP_1)
	v_add_co_ci_u32_e64 v6, null, s17, 0, s21
	v_add_co_u32 v7, s21, s1, v16
	v_add_co_ci_u32_e64 v8, null, s17, 0, s21
	v_add_co_u32 v9, s21, s1, v14
	v_lshlrev_b32_e32 v15, 3, v0
	v_add_co_u32 v11, s1, s1, v13
	v_add_co_ci_u32_e64 v10, null, s17, 0, s21
	v_add_co_ci_u32_e64 v12, null, s17, 0, s1
	ds_store_2addr_stride64_b64 v15, v[1:2], v[3:4] offset1:2
	ds_store_2addr_stride64_b64 v15, v[5:6], v[7:8] offset0:4 offset1:6
	ds_store_2addr_stride64_b64 v15, v[9:10], v[11:12] offset0:8 offset1:10
	s_waitcnt lgkmcnt(0)
	s_barrier
.LBB744_8:
	v_mul_u32_u24_e32 v1, 6, v0
	buffer_gl0_inv
	s_add_u32 s1, s18, s10
	s_addc_u32 s11, s19, s11
	s_add_u32 s0, s1, s0
	v_lshlrev_b32_e32 v15, 3, v1
	s_addc_u32 s1, s11, 0
	s_and_b32 vcc_lo, exec_lo, s8
	s_mov_b32 s11, -1
	ds_load_b128 v[9:12], v15
	ds_load_b128 v[5:8], v15 offset:16
	ds_load_b128 v[1:4], v15 offset:32
	s_waitcnt lgkmcnt(0)
	s_barrier
	buffer_gl0_inv
	s_cbranch_vccz .LBB744_10
; %bb.9:
	s_clause 0x5
	global_load_u8 v18, v0, s[0:1]
	global_load_u8 v19, v0, s[0:1] offset:128
	global_load_u8 v20, v0, s[0:1] offset:256
	;; [unrolled: 1-line block ×5, first 2 shown]
	s_mov_b32 s11, 0
	s_waitcnt vmcnt(5)
	ds_store_b8 v0, v18
	s_waitcnt vmcnt(4)
	ds_store_b8 v0, v19 offset:128
	s_waitcnt vmcnt(3)
	ds_store_b8 v0, v20 offset:256
	;; [unrolled: 2-line block ×5, first 2 shown]
	s_waitcnt lgkmcnt(0)
	s_barrier
.LBB744_10:
	s_and_not1_b32 vcc_lo, exec_lo, s11
	s_cbranch_vccnz .LBB744_24
; %bb.11:
	s_add_i32 s20, s20, s10
	v_dual_mov_b32 v18, 0 :: v_dual_mov_b32 v19, 0
	s_sub_i32 s10, s16, s20
	s_mov_b32 s11, exec_lo
	s_addk_i32 s10, 0x300
	s_delay_alu instid0(SALU_CYCLE_1)
	v_cmpx_gt_u32_e64 s10, v0
	s_cbranch_execz .LBB744_13
; %bb.12:
	global_load_u8 v19, v0, s[0:1]
.LBB744_13:
	s_or_b32 exec_lo, exec_lo, s11
	v_or_b32_e32 v20, 0x80, v0
	s_mov_b32 s11, exec_lo
	s_delay_alu instid0(VALU_DEP_1)
	v_cmpx_gt_u32_e64 s10, v20
	s_cbranch_execz .LBB744_15
; %bb.14:
	global_load_u8 v18, v0, s[0:1] offset:128
.LBB744_15:
	s_or_b32 exec_lo, exec_lo, s11
	v_cmp_gt_u32_e32 vcc_lo, s10, v17
	v_dual_mov_b32 v17, 0 :: v_dual_mov_b32 v20, 0
	s_and_saveexec_b32 s11, vcc_lo
	s_cbranch_execz .LBB744_17
; %bb.16:
	global_load_u8 v20, v0, s[0:1] offset:256
.LBB744_17:
	s_or_b32 exec_lo, exec_lo, s11
	s_delay_alu instid0(SALU_CYCLE_1)
	s_mov_b32 s11, exec_lo
	v_cmpx_gt_u32_e64 s10, v16
	s_cbranch_execz .LBB744_19
; %bb.18:
	global_load_u8 v17, v0, s[0:1] offset:384
.LBB744_19:
	s_or_b32 exec_lo, exec_lo, s11
	v_cmp_gt_u32_e32 vcc_lo, s10, v14
	v_mov_b32_e32 v14, 0
	v_mov_b32_e32 v16, 0
	s_and_saveexec_b32 s11, vcc_lo
	s_cbranch_execz .LBB744_21
; %bb.20:
	global_load_u8 v16, v0, s[0:1] offset:512
.LBB744_21:
	s_or_b32 exec_lo, exec_lo, s11
	v_cmp_gt_u32_e32 vcc_lo, s10, v13
	s_and_saveexec_b32 s10, vcc_lo
	s_cbranch_execz .LBB744_23
; %bb.22:
	global_load_u8 v14, v0, s[0:1] offset:640
.LBB744_23:
	s_or_b32 exec_lo, exec_lo, s10
	s_waitcnt vmcnt(0)
	ds_store_b8 v0, v19
	ds_store_b8 v0, v18 offset:128
	ds_store_b8 v0, v20 offset:256
	;; [unrolled: 1-line block ×5, first 2 shown]
	s_waitcnt lgkmcnt(0)
	s_barrier
.LBB744_24:
	v_mad_i32_i24 v43, 0xffffffd6, v0, v15
	buffer_gl0_inv
	v_mbcnt_lo_u32_b32 v42, -1, 0
	s_cmp_lg_u32 s9, 0
	s_mov_b32 s1, -1
	ds_load_u16 v36, v43
	ds_load_u16 v33, v43 offset:2
	ds_load_u16 v31, v43 offset:4
	v_mov_b32_e32 v14, 0
	v_and_b32_e32 v44, 15, v42
	s_waitcnt lgkmcnt(0)
	s_barrier
	buffer_gl0_inv
	v_and_b32_e32 v41, 0xff, v36
	v_lshrrev_b16 v34, 8, v36
	v_lshrrev_b16 v35, 8, v33
	v_and_b32_e32 v39, 0xff, v33
	v_lshrrev_b16 v32, 8, v31
	v_and_b32_e32 v37, 0xff, v31
	v_and_b32_e32 v40, 0xffff, v34
	;; [unrolled: 1-line block ×3, first 2 shown]
	s_delay_alu instid0(VALU_DEP_4) | instskip(NEXT) | instid1(VALU_DEP_3)
	v_and_b32_e32 v16, 0xffff, v32
	v_add_co_u32 v13, s0, v40, v41
	s_delay_alu instid0(VALU_DEP_1) | instskip(SKIP_1) | instid1(VALU_DEP_3)
	v_add_co_ci_u32_e64 v15, null, 0, 0, s0
	v_cmp_ne_u32_e64 s0, 0, v44
	v_add_co_u32 v13, vcc_lo, v13, v39
	s_delay_alu instid0(VALU_DEP_3) | instskip(NEXT) | instid1(VALU_DEP_2)
	v_add_co_ci_u32_e32 v15, vcc_lo, 0, v15, vcc_lo
	v_add_co_u32 v13, vcc_lo, v13, v38
	s_delay_alu instid0(VALU_DEP_2) | instskip(NEXT) | instid1(VALU_DEP_2)
	v_add_co_ci_u32_e32 v15, vcc_lo, 0, v15, vcc_lo
	v_add_co_u32 v13, vcc_lo, v13, v37
	s_delay_alu instid0(VALU_DEP_2) | instskip(NEXT) | instid1(VALU_DEP_2)
	v_add_co_ci_u32_e32 v15, vcc_lo, 0, v15, vcc_lo
	v_add_co_u32 v21, vcc_lo, v13, v16
	s_delay_alu instid0(VALU_DEP_2)
	v_add_co_ci_u32_e32 v22, vcc_lo, 0, v15, vcc_lo
	s_cbranch_scc0 .LBB744_93
; %bb.25:
	s_delay_alu instid0(VALU_DEP_2)
	v_mov_b32_e32 v15, v21
	v_mov_b32_dpp v13, v21 row_shr:1 row_mask:0xf bank_mask:0xf
	v_mov_b32_dpp v18, v14 row_shr:1 row_mask:0xf bank_mask:0xf
	v_dual_mov_b32 v17, v21 :: v_dual_mov_b32 v16, v22
	s_and_saveexec_b32 s1, s0
; %bb.26:
	s_delay_alu instid0(VALU_DEP_3) | instskip(SKIP_1) | instid1(VALU_DEP_2)
	v_add_co_u32 v17, vcc_lo, v21, v13
	v_add_co_ci_u32_e32 v14, vcc_lo, 0, v22, vcc_lo
	v_add_co_u32 v13, vcc_lo, 0, v17
	s_delay_alu instid0(VALU_DEP_2) | instskip(NEXT) | instid1(VALU_DEP_1)
	v_add_co_ci_u32_e32 v14, vcc_lo, v18, v14, vcc_lo
	v_dual_mov_b32 v16, v14 :: v_dual_mov_b32 v15, v13
; %bb.27:
	s_or_b32 exec_lo, exec_lo, s1
	v_mov_b32_dpp v13, v17 row_shr:2 row_mask:0xf bank_mask:0xf
	v_mov_b32_dpp v18, v14 row_shr:2 row_mask:0xf bank_mask:0xf
	s_mov_b32 s1, exec_lo
	v_cmpx_lt_u32_e32 1, v44
; %bb.28:
	s_delay_alu instid0(VALU_DEP_3) | instskip(SKIP_1) | instid1(VALU_DEP_2)
	v_add_co_u32 v17, vcc_lo, v15, v13
	v_add_co_ci_u32_e32 v14, vcc_lo, 0, v16, vcc_lo
	v_add_co_u32 v13, vcc_lo, 0, v17
	s_delay_alu instid0(VALU_DEP_2) | instskip(NEXT) | instid1(VALU_DEP_1)
	v_add_co_ci_u32_e32 v14, vcc_lo, v18, v14, vcc_lo
	v_dual_mov_b32 v16, v14 :: v_dual_mov_b32 v15, v13
; %bb.29:
	s_or_b32 exec_lo, exec_lo, s1
	v_mov_b32_dpp v13, v17 row_shr:4 row_mask:0xf bank_mask:0xf
	v_mov_b32_dpp v18, v14 row_shr:4 row_mask:0xf bank_mask:0xf
	s_mov_b32 s1, exec_lo
	v_cmpx_lt_u32_e32 3, v44
	;; [unrolled: 14-line block ×3, first 2 shown]
; %bb.32:
	s_delay_alu instid0(VALU_DEP_3) | instskip(SKIP_1) | instid1(VALU_DEP_2)
	v_add_co_u32 v17, vcc_lo, v15, v18
	v_add_co_ci_u32_e32 v14, vcc_lo, 0, v16, vcc_lo
	v_add_co_u32 v15, vcc_lo, 0, v17
	s_delay_alu instid0(VALU_DEP_2) | instskip(NEXT) | instid1(VALU_DEP_1)
	v_add_co_ci_u32_e32 v16, vcc_lo, v13, v14, vcc_lo
	v_mov_b32_e32 v14, v16
; %bb.33:
	s_or_b32 exec_lo, exec_lo, s1
	ds_swizzle_b32 v13, v17 offset:swizzle(BROADCAST,32,15)
	ds_swizzle_b32 v18, v14 offset:swizzle(BROADCAST,32,15)
	v_and_b32_e32 v19, 16, v42
	s_mov_b32 s1, exec_lo
	s_delay_alu instid0(VALU_DEP_1)
	v_cmpx_ne_u32_e32 0, v19
	s_cbranch_execz .LBB744_35
; %bb.34:
	s_waitcnt lgkmcnt(1)
	v_add_co_u32 v17, vcc_lo, v15, v13
	v_add_co_ci_u32_e32 v14, vcc_lo, 0, v16, vcc_lo
	s_delay_alu instid0(VALU_DEP_2) | instskip(SKIP_1) | instid1(VALU_DEP_2)
	v_add_co_u32 v13, vcc_lo, 0, v17
	s_waitcnt lgkmcnt(0)
	v_add_co_ci_u32_e32 v14, vcc_lo, v18, v14, vcc_lo
	s_delay_alu instid0(VALU_DEP_1)
	v_dual_mov_b32 v16, v14 :: v_dual_mov_b32 v15, v13
.LBB744_35:
	s_or_b32 exec_lo, exec_lo, s1
	s_waitcnt lgkmcnt(0)
	v_or_b32_e32 v18, 31, v0
	v_lshrrev_b32_e32 v13, 5, v0
	s_mov_b32 s1, exec_lo
	s_delay_alu instid0(VALU_DEP_2)
	v_cmpx_eq_u32_e64 v18, v0
	s_cbranch_execz .LBB744_37
; %bb.36:
	s_delay_alu instid0(VALU_DEP_2)
	v_lshlrev_b32_e32 v18, 3, v13
	ds_store_b64 v18, v[15:16]
.LBB744_37:
	s_or_b32 exec_lo, exec_lo, s1
	s_delay_alu instid0(SALU_CYCLE_1)
	s_mov_b32 s1, exec_lo
	s_waitcnt lgkmcnt(0)
	s_barrier
	buffer_gl0_inv
	v_cmpx_gt_u32_e32 4, v0
	s_cbranch_execz .LBB744_43
; %bb.38:
	v_lshlrev_b32_e32 v18, 3, v0
	s_mov_b32 s10, exec_lo
	ds_load_b64 v[15:16], v18
	s_waitcnt lgkmcnt(0)
	v_dual_mov_b32 v20, v15 :: v_dual_and_b32 v19, 3, v42
	v_mov_b32_dpp v24, v15 row_shr:1 row_mask:0xf bank_mask:0xf
	v_mov_b32_dpp v23, v16 row_shr:1 row_mask:0xf bank_mask:0xf
	s_delay_alu instid0(VALU_DEP_3)
	v_cmpx_ne_u32_e32 0, v19
; %bb.39:
	s_delay_alu instid0(VALU_DEP_3) | instskip(SKIP_1) | instid1(VALU_DEP_2)
	v_add_co_u32 v20, vcc_lo, v15, v24
	v_add_co_ci_u32_e32 v16, vcc_lo, 0, v16, vcc_lo
	v_add_co_u32 v15, vcc_lo, 0, v20
	s_delay_alu instid0(VALU_DEP_2)
	v_add_co_ci_u32_e32 v16, vcc_lo, v23, v16, vcc_lo
; %bb.40:
	s_or_b32 exec_lo, exec_lo, s10
	v_mov_b32_dpp v23, v20 row_shr:2 row_mask:0xf bank_mask:0xf
	s_delay_alu instid0(VALU_DEP_2)
	v_mov_b32_dpp v20, v16 row_shr:2 row_mask:0xf bank_mask:0xf
	s_mov_b32 s10, exec_lo
	v_cmpx_lt_u32_e32 1, v19
; %bb.41:
	s_delay_alu instid0(VALU_DEP_3) | instskip(SKIP_1) | instid1(VALU_DEP_2)
	v_add_co_u32 v15, vcc_lo, v15, v23
	v_add_co_ci_u32_e32 v16, vcc_lo, 0, v16, vcc_lo
	v_add_co_u32 v15, vcc_lo, v15, 0
	s_delay_alu instid0(VALU_DEP_2)
	v_add_co_ci_u32_e32 v16, vcc_lo, v16, v20, vcc_lo
; %bb.42:
	s_or_b32 exec_lo, exec_lo, s10
	ds_store_b64 v18, v[15:16]
.LBB744_43:
	s_or_b32 exec_lo, exec_lo, s1
	v_cmp_gt_u32_e32 vcc_lo, 32, v0
	s_mov_b32 s10, exec_lo
	s_waitcnt lgkmcnt(0)
	s_barrier
	buffer_gl0_inv
                                        ; implicit-def: $vgpr23_vgpr24
	v_cmpx_lt_u32_e32 31, v0
	s_cbranch_execz .LBB744_45
; %bb.44:
	v_lshl_add_u32 v13, v13, 3, -8
	ds_load_b64 v[23:24], v13
	s_waitcnt lgkmcnt(0)
	v_add_co_u32 v17, s1, v17, v23
	s_delay_alu instid0(VALU_DEP_1)
	v_add_co_ci_u32_e64 v14, s1, v14, v24, s1
.LBB744_45:
	s_or_b32 exec_lo, exec_lo, s10
	v_add_nc_u32_e32 v13, -1, v42
	s_delay_alu instid0(VALU_DEP_1) | instskip(NEXT) | instid1(VALU_DEP_1)
	v_cmp_gt_i32_e64 s1, 0, v13
	v_cndmask_b32_e64 v13, v13, v42, s1
	v_cmp_eq_u32_e64 s1, 0, v42
	s_delay_alu instid0(VALU_DEP_2)
	v_lshlrev_b32_e32 v13, 2, v13
	ds_bpermute_b32 v29, v13, v17
	ds_bpermute_b32 v30, v13, v14
	s_and_saveexec_b32 s10, vcc_lo
	s_cbranch_execz .LBB744_88
; %bb.46:
	v_mov_b32_e32 v16, 0
	ds_load_b64 v[13:14], v16 offset:24
	s_and_saveexec_b32 s11, s1
	s_cbranch_execz .LBB744_48
; %bb.47:
	s_add_i32 s16, s9, 32
	s_mov_b32 s17, 0
	s_delay_alu instid0(SALU_CYCLE_1) | instskip(NEXT) | instid1(SALU_CYCLE_1)
	s_lshl_b64 s[16:17], s[16:17], 4
	s_add_u32 s16, s14, s16
	s_addc_u32 s17, s15, s17
	s_delay_alu instid0(SALU_CYCLE_1)
	v_dual_mov_b32 v15, 1 :: v_dual_mov_b32 v18, s17
	v_mov_b32_e32 v17, s16
	s_waitcnt lgkmcnt(0)
	;;#ASMSTART
	global_store_dwordx4 v[17:18], v[13:16] off	
s_waitcnt vmcnt(0)
	;;#ASMEND
.LBB744_48:
	s_or_b32 exec_lo, exec_lo, s11
	v_xad_u32 v25, v42, -1, s9
	s_mov_b32 s16, 0
	s_mov_b32 s11, exec_lo
	s_delay_alu instid0(VALU_DEP_1) | instskip(NEXT) | instid1(VALU_DEP_1)
	v_add_nc_u32_e32 v15, 32, v25
	v_lshlrev_b64 v[15:16], 4, v[15:16]
	s_delay_alu instid0(VALU_DEP_1) | instskip(NEXT) | instid1(VALU_DEP_2)
	v_add_co_u32 v15, vcc_lo, s14, v15
	v_add_co_ci_u32_e32 v16, vcc_lo, s15, v16, vcc_lo
	;;#ASMSTART
	global_load_dwordx4 v[17:20], v[15:16] off glc	
s_waitcnt vmcnt(0)
	;;#ASMEND
	v_and_b32_e32 v20, 0xff, v18
	v_and_b32_e32 v26, 0xff00, v18
	v_or3_b32 v17, v17, 0, 0
	v_and_b32_e32 v27, 0xff000000, v18
	v_and_b32_e32 v18, 0xff0000, v18
	s_delay_alu instid0(VALU_DEP_4) | instskip(SKIP_2) | instid1(VALU_DEP_3)
	v_or3_b32 v20, 0, v20, v26
	v_and_b32_e32 v26, 0xff, v19
	v_or3_b32 v17, v17, 0, 0
	v_or3_b32 v18, v20, v18, v27
	s_delay_alu instid0(VALU_DEP_3)
	v_cmpx_eq_u16_e32 0, v26
	s_cbranch_execz .LBB744_54
; %bb.49:
	s_mov_b32 s17, 1
	.p2align	6
.LBB744_50:                             ; =>This Loop Header: Depth=1
                                        ;     Child Loop BB744_51 Depth 2
	s_delay_alu instid0(SALU_CYCLE_1)
	s_max_u32 s18, s17, 1
.LBB744_51:                             ;   Parent Loop BB744_50 Depth=1
                                        ; =>  This Inner Loop Header: Depth=2
	s_delay_alu instid0(SALU_CYCLE_1)
	s_add_i32 s18, s18, -1
	s_sleep 1
	s_cmp_eq_u32 s18, 0
	s_cbranch_scc0 .LBB744_51
; %bb.52:                               ;   in Loop: Header=BB744_50 Depth=1
	;;#ASMSTART
	global_load_dwordx4 v[17:20], v[15:16] off glc	
s_waitcnt vmcnt(0)
	;;#ASMEND
	v_and_b32_e32 v20, 0xff, v19
	s_cmp_lt_u32 s17, 32
	s_cselect_b32 s18, -1, 0
	s_delay_alu instid0(SALU_CYCLE_1) | instskip(NEXT) | instid1(VALU_DEP_1)
	s_cmp_lg_u32 s18, 0
	v_cmp_ne_u16_e32 vcc_lo, 0, v20
	s_addc_u32 s17, s17, 0
	s_or_b32 s16, vcc_lo, s16
	s_delay_alu instid0(SALU_CYCLE_1)
	s_and_not1_b32 exec_lo, exec_lo, s16
	s_cbranch_execnz .LBB744_50
; %bb.53:
	s_or_b32 exec_lo, exec_lo, s16
.LBB744_54:
	s_delay_alu instid0(SALU_CYCLE_1)
	s_or_b32 exec_lo, exec_lo, s11
	v_cmp_ne_u32_e32 vcc_lo, 31, v42
	v_and_b32_e32 v16, 0xff, v19
	v_lshlrev_b32_e64 v46, v42, -1
	s_mov_b32 s11, exec_lo
	v_add_co_ci_u32_e32 v15, vcc_lo, 0, v42, vcc_lo
	s_delay_alu instid0(VALU_DEP_3) | instskip(NEXT) | instid1(VALU_DEP_2)
	v_cmp_eq_u16_e32 vcc_lo, 2, v16
	v_dual_mov_b32 v16, v17 :: v_dual_lshlrev_b32 v45, 2, v15
	v_and_or_b32 v15, vcc_lo, v46, 0x80000000
	ds_bpermute_b32 v26, v45, v17
	ds_bpermute_b32 v20, v45, v18
	v_ctz_i32_b32_e32 v15, v15
	s_delay_alu instid0(VALU_DEP_1)
	v_cmpx_lt_u32_e64 v42, v15
	s_cbranch_execz .LBB744_56
; %bb.55:
	s_waitcnt lgkmcnt(1)
	v_add_co_u32 v16, vcc_lo, v17, v26
	v_add_co_ci_u32_e32 v18, vcc_lo, 0, v18, vcc_lo
	s_delay_alu instid0(VALU_DEP_2) | instskip(SKIP_1) | instid1(VALU_DEP_2)
	v_add_co_u32 v17, vcc_lo, 0, v16
	s_waitcnt lgkmcnt(0)
	v_add_co_ci_u32_e32 v18, vcc_lo, v20, v18, vcc_lo
.LBB744_56:
	s_or_b32 exec_lo, exec_lo, s11
	v_cmp_gt_u32_e32 vcc_lo, 30, v42
	v_add_nc_u32_e32 v48, 2, v42
	s_mov_b32 s11, exec_lo
	s_waitcnt lgkmcnt(0)
	v_cndmask_b32_e64 v20, 0, 1, vcc_lo
	s_delay_alu instid0(VALU_DEP_1) | instskip(NEXT) | instid1(VALU_DEP_1)
	v_lshlrev_b32_e32 v20, 1, v20
	v_add_lshl_u32 v47, v20, v42, 2
	ds_bpermute_b32 v26, v47, v16
	ds_bpermute_b32 v20, v47, v18
	v_cmpx_le_u32_e64 v48, v15
	s_cbranch_execz .LBB744_58
; %bb.57:
	s_waitcnt lgkmcnt(1)
	v_add_co_u32 v16, vcc_lo, v17, v26
	v_add_co_ci_u32_e32 v18, vcc_lo, 0, v18, vcc_lo
	s_delay_alu instid0(VALU_DEP_2) | instskip(SKIP_1) | instid1(VALU_DEP_2)
	v_add_co_u32 v17, vcc_lo, 0, v16
	s_waitcnt lgkmcnt(0)
	v_add_co_ci_u32_e32 v18, vcc_lo, v20, v18, vcc_lo
.LBB744_58:
	s_or_b32 exec_lo, exec_lo, s11
	v_cmp_gt_u32_e32 vcc_lo, 28, v42
	v_add_nc_u32_e32 v50, 4, v42
	s_mov_b32 s11, exec_lo
	s_waitcnt lgkmcnt(0)
	v_cndmask_b32_e64 v20, 0, 1, vcc_lo
	s_delay_alu instid0(VALU_DEP_1) | instskip(NEXT) | instid1(VALU_DEP_1)
	v_lshlrev_b32_e32 v20, 2, v20
	v_add_lshl_u32 v49, v20, v42, 2
	ds_bpermute_b32 v26, v49, v16
	ds_bpermute_b32 v20, v49, v18
	v_cmpx_le_u32_e64 v50, v15
	;; [unrolled: 22-line block ×4, first 2 shown]
	s_cbranch_execz .LBB744_64
; %bb.63:
	s_waitcnt lgkmcnt(1)
	v_add_co_u32 v15, vcc_lo, v17, v20
	v_add_co_ci_u32_e32 v18, vcc_lo, 0, v18, vcc_lo
	s_delay_alu instid0(VALU_DEP_2) | instskip(SKIP_1) | instid1(VALU_DEP_2)
	v_add_co_u32 v17, vcc_lo, v15, 0
	s_waitcnt lgkmcnt(0)
	v_add_co_ci_u32_e32 v18, vcc_lo, v18, v16, vcc_lo
.LBB744_64:
	s_or_b32 exec_lo, exec_lo, s11
	v_mov_b32_e32 v26, 0
	s_branch .LBB744_66
.LBB744_65:                             ;   in Loop: Header=BB744_66 Depth=1
	s_or_b32 exec_lo, exec_lo, s11
	v_add_co_u32 v17, vcc_lo, v17, v15
	v_subrev_nc_u32_e32 v25, 32, v25
	v_add_co_ci_u32_e32 v18, vcc_lo, v18, v16, vcc_lo
.LBB744_66:                             ; =>This Loop Header: Depth=1
                                        ;     Child Loop BB744_69 Depth 2
                                        ;       Child Loop BB744_70 Depth 3
	v_and_b32_e32 v15, 0xff, v19
	s_delay_alu instid0(VALU_DEP_1) | instskip(SKIP_2) | instid1(VALU_DEP_1)
	v_cmp_ne_u16_e32 vcc_lo, 2, v15
	v_cndmask_b32_e64 v15, 0, 1, vcc_lo
	;;#ASMSTART
	;;#ASMEND
	v_cmp_ne_u32_e32 vcc_lo, 0, v15
	s_waitcnt lgkmcnt(0)
	v_dual_mov_b32 v15, v17 :: v_dual_mov_b32 v16, v18
	s_cmp_lg_u32 vcc_lo, exec_lo
	s_cbranch_scc1 .LBB744_83
; %bb.67:                               ;   in Loop: Header=BB744_66 Depth=1
	v_lshlrev_b64 v[17:18], 4, v[25:26]
	s_mov_b32 s11, exec_lo
	s_delay_alu instid0(VALU_DEP_1) | instskip(NEXT) | instid1(VALU_DEP_2)
	v_add_co_u32 v27, vcc_lo, s14, v17
	v_add_co_ci_u32_e32 v28, vcc_lo, s15, v18, vcc_lo
	;;#ASMSTART
	global_load_dwordx4 v[17:20], v[27:28] off glc	
s_waitcnt vmcnt(0)
	;;#ASMEND
	v_and_b32_e32 v20, 0xff, v18
	v_and_b32_e32 v55, 0xff00, v18
	v_or3_b32 v17, v17, 0, 0
	v_and_b32_e32 v56, 0xff000000, v18
	v_and_b32_e32 v18, 0xff0000, v18
	s_delay_alu instid0(VALU_DEP_4) | instskip(SKIP_2) | instid1(VALU_DEP_3)
	v_or3_b32 v20, 0, v20, v55
	v_and_b32_e32 v55, 0xff, v19
	v_or3_b32 v17, v17, 0, 0
	v_or3_b32 v18, v20, v18, v56
	s_delay_alu instid0(VALU_DEP_3)
	v_cmpx_eq_u16_e32 0, v55
	s_cbranch_execz .LBB744_73
; %bb.68:                               ;   in Loop: Header=BB744_66 Depth=1
	s_mov_b32 s17, 1
	s_mov_b32 s16, 0
	.p2align	6
.LBB744_69:                             ;   Parent Loop BB744_66 Depth=1
                                        ; =>  This Loop Header: Depth=2
                                        ;       Child Loop BB744_70 Depth 3
	s_max_u32 s18, s17, 1
.LBB744_70:                             ;   Parent Loop BB744_66 Depth=1
                                        ;     Parent Loop BB744_69 Depth=2
                                        ; =>    This Inner Loop Header: Depth=3
	s_delay_alu instid0(SALU_CYCLE_1)
	s_add_i32 s18, s18, -1
	s_sleep 1
	s_cmp_eq_u32 s18, 0
	s_cbranch_scc0 .LBB744_70
; %bb.71:                               ;   in Loop: Header=BB744_69 Depth=2
	;;#ASMSTART
	global_load_dwordx4 v[17:20], v[27:28] off glc	
s_waitcnt vmcnt(0)
	;;#ASMEND
	v_and_b32_e32 v20, 0xff, v19
	s_cmp_lt_u32 s17, 32
	s_cselect_b32 s18, -1, 0
	s_delay_alu instid0(SALU_CYCLE_1) | instskip(NEXT) | instid1(VALU_DEP_1)
	s_cmp_lg_u32 s18, 0
	v_cmp_ne_u16_e32 vcc_lo, 0, v20
	s_addc_u32 s17, s17, 0
	s_or_b32 s16, vcc_lo, s16
	s_delay_alu instid0(SALU_CYCLE_1)
	s_and_not1_b32 exec_lo, exec_lo, s16
	s_cbranch_execnz .LBB744_69
; %bb.72:                               ;   in Loop: Header=BB744_66 Depth=1
	s_or_b32 exec_lo, exec_lo, s16
.LBB744_73:                             ;   in Loop: Header=BB744_66 Depth=1
	s_delay_alu instid0(SALU_CYCLE_1)
	s_or_b32 exec_lo, exec_lo, s11
	v_dual_mov_b32 v27, v17 :: v_dual_and_b32 v20, 0xff, v19
	ds_bpermute_b32 v55, v45, v17
	ds_bpermute_b32 v28, v45, v18
	s_mov_b32 s11, exec_lo
	v_cmp_eq_u16_e32 vcc_lo, 2, v20
	v_and_or_b32 v20, vcc_lo, v46, 0x80000000
	s_delay_alu instid0(VALU_DEP_1) | instskip(NEXT) | instid1(VALU_DEP_1)
	v_ctz_i32_b32_e32 v20, v20
	v_cmpx_lt_u32_e64 v42, v20
	s_cbranch_execz .LBB744_75
; %bb.74:                               ;   in Loop: Header=BB744_66 Depth=1
	s_waitcnt lgkmcnt(1)
	v_add_co_u32 v27, vcc_lo, v17, v55
	v_add_co_ci_u32_e32 v18, vcc_lo, 0, v18, vcc_lo
	s_delay_alu instid0(VALU_DEP_2) | instskip(SKIP_1) | instid1(VALU_DEP_2)
	v_add_co_u32 v17, vcc_lo, 0, v27
	s_waitcnt lgkmcnt(0)
	v_add_co_ci_u32_e32 v18, vcc_lo, v28, v18, vcc_lo
.LBB744_75:                             ;   in Loop: Header=BB744_66 Depth=1
	s_or_b32 exec_lo, exec_lo, s11
	s_waitcnt lgkmcnt(1)
	ds_bpermute_b32 v55, v47, v27
	s_waitcnt lgkmcnt(1)
	ds_bpermute_b32 v28, v47, v18
	s_mov_b32 s11, exec_lo
	v_cmpx_le_u32_e64 v48, v20
	s_cbranch_execz .LBB744_77
; %bb.76:                               ;   in Loop: Header=BB744_66 Depth=1
	s_waitcnt lgkmcnt(1)
	v_add_co_u32 v27, vcc_lo, v17, v55
	v_add_co_ci_u32_e32 v18, vcc_lo, 0, v18, vcc_lo
	s_delay_alu instid0(VALU_DEP_2) | instskip(SKIP_1) | instid1(VALU_DEP_2)
	v_add_co_u32 v17, vcc_lo, 0, v27
	s_waitcnt lgkmcnt(0)
	v_add_co_ci_u32_e32 v18, vcc_lo, v28, v18, vcc_lo
.LBB744_77:                             ;   in Loop: Header=BB744_66 Depth=1
	s_or_b32 exec_lo, exec_lo, s11
	s_waitcnt lgkmcnt(1)
	ds_bpermute_b32 v55, v49, v27
	s_waitcnt lgkmcnt(1)
	ds_bpermute_b32 v28, v49, v18
	s_mov_b32 s11, exec_lo
	v_cmpx_le_u32_e64 v50, v20
	s_cbranch_execz .LBB744_79
; %bb.78:                               ;   in Loop: Header=BB744_66 Depth=1
	s_waitcnt lgkmcnt(1)
	v_add_co_u32 v27, vcc_lo, v17, v55
	v_add_co_ci_u32_e32 v18, vcc_lo, 0, v18, vcc_lo
	s_delay_alu instid0(VALU_DEP_2) | instskip(SKIP_1) | instid1(VALU_DEP_2)
	v_add_co_u32 v17, vcc_lo, 0, v27
	s_waitcnt lgkmcnt(0)
	v_add_co_ci_u32_e32 v18, vcc_lo, v28, v18, vcc_lo
.LBB744_79:                             ;   in Loop: Header=BB744_66 Depth=1
	s_or_b32 exec_lo, exec_lo, s11
	s_waitcnt lgkmcnt(1)
	ds_bpermute_b32 v55, v51, v27
	s_waitcnt lgkmcnt(1)
	ds_bpermute_b32 v28, v51, v18
	s_mov_b32 s11, exec_lo
	v_cmpx_le_u32_e64 v52, v20
	s_cbranch_execz .LBB744_81
; %bb.80:                               ;   in Loop: Header=BB744_66 Depth=1
	s_waitcnt lgkmcnt(1)
	v_add_co_u32 v27, vcc_lo, v17, v55
	v_add_co_ci_u32_e32 v18, vcc_lo, 0, v18, vcc_lo
	s_delay_alu instid0(VALU_DEP_2) | instskip(SKIP_1) | instid1(VALU_DEP_2)
	v_add_co_u32 v17, vcc_lo, 0, v27
	s_waitcnt lgkmcnt(0)
	v_add_co_ci_u32_e32 v18, vcc_lo, v28, v18, vcc_lo
.LBB744_81:                             ;   in Loop: Header=BB744_66 Depth=1
	s_or_b32 exec_lo, exec_lo, s11
	s_waitcnt lgkmcnt(0)
	ds_bpermute_b32 v28, v53, v27
	ds_bpermute_b32 v27, v53, v18
	s_mov_b32 s11, exec_lo
	v_cmpx_le_u32_e64 v54, v20
	s_cbranch_execz .LBB744_65
; %bb.82:                               ;   in Loop: Header=BB744_66 Depth=1
	s_waitcnt lgkmcnt(1)
	v_add_co_u32 v17, vcc_lo, v17, v28
	v_add_co_ci_u32_e32 v18, vcc_lo, 0, v18, vcc_lo
	s_delay_alu instid0(VALU_DEP_2) | instskip(SKIP_1) | instid1(VALU_DEP_2)
	v_add_co_u32 v17, vcc_lo, v17, 0
	s_waitcnt lgkmcnt(0)
	v_add_co_ci_u32_e32 v18, vcc_lo, v18, v27, vcc_lo
	s_branch .LBB744_65
.LBB744_83:                             ;   in Loop: Header=BB744_66 Depth=1
                                        ; implicit-def: $vgpr17_vgpr18
	s_cbranch_execz .LBB744_66
; %bb.84:
	s_and_saveexec_b32 s11, s1
	s_cbranch_execz .LBB744_86
; %bb.85:
	s_add_i32 s16, s9, 32
	s_mov_b32 s17, 0
	v_add_co_u32 v17, vcc_lo, v15, v13
	s_lshl_b64 s[16:17], s[16:17], 4
	v_dual_mov_b32 v19, 2 :: v_dual_mov_b32 v20, 0
	s_add_u32 s16, s14, s16
	s_addc_u32 s17, s15, s17
	v_add_co_ci_u32_e32 v18, vcc_lo, v16, v14, vcc_lo
	v_dual_mov_b32 v26, s17 :: v_dual_mov_b32 v25, s16
	;;#ASMSTART
	global_store_dwordx4 v[25:26], v[17:20] off	
s_waitcnt vmcnt(0)
	;;#ASMEND
	ds_store_b128 v20, v[13:16] offset:6144
.LBB744_86:
	s_or_b32 exec_lo, exec_lo, s11
	s_delay_alu instid0(SALU_CYCLE_1)
	s_and_b32 exec_lo, exec_lo, s2
	s_cbranch_execz .LBB744_88
; %bb.87:
	v_mov_b32_e32 v13, 0
	ds_store_b64 v13, v[15:16] offset:24
.LBB744_88:
	s_or_b32 exec_lo, exec_lo, s10
	v_mov_b32_e32 v15, 0
	s_waitcnt lgkmcnt(0)
	s_barrier
	buffer_gl0_inv
	v_cndmask_b32_e64 v16, v29, v23, s1
	ds_load_b64 v[13:14], v15 offset:24
	v_cndmask_b32_e64 v17, v30, v24, s1
	s_waitcnt lgkmcnt(0)
	s_barrier
	v_cndmask_b32_e64 v16, v16, 0, s2
	buffer_gl0_inv
	v_cndmask_b32_e64 v17, v17, 0, s2
	v_add_co_u32 v29, vcc_lo, v13, v16
	s_delay_alu instid0(VALU_DEP_2) | instskip(SKIP_3) | instid1(VALU_DEP_2)
	v_add_co_ci_u32_e32 v30, vcc_lo, v14, v17, vcc_lo
	ds_load_b128 v[13:16], v15 offset:6144
	v_add_co_u32 v27, vcc_lo, v29, v41
	v_add_co_ci_u32_e32 v28, vcc_lo, 0, v30, vcc_lo
	v_add_co_u32 v25, vcc_lo, v27, v40
	s_delay_alu instid0(VALU_DEP_2) | instskip(NEXT) | instid1(VALU_DEP_2)
	v_add_co_ci_u32_e32 v26, vcc_lo, 0, v28, vcc_lo
	v_add_co_u32 v23, vcc_lo, v25, v39
	s_delay_alu instid0(VALU_DEP_2) | instskip(NEXT) | instid1(VALU_DEP_2)
	;; [unrolled: 3-line block ×3, first 2 shown]
	v_add_co_ci_u32_e32 v20, vcc_lo, 0, v24, vcc_lo
	v_add_co_u32 v17, vcc_lo, v19, v37
	s_delay_alu instid0(VALU_DEP_2)
	v_add_co_ci_u32_e32 v18, vcc_lo, 0, v20, vcc_lo
.LBB744_89:
	s_waitcnt lgkmcnt(0)
	v_cmp_gt_u64_e32 vcc_lo, 0x81, v[13:14]
	s_mov_b32 s0, -1
	s_cbranch_vccnz .LBB744_117
.LBB744_90:
	s_and_b32 vcc_lo, exec_lo, s0
	s_cbranch_vccnz .LBB744_136
.LBB744_91:
	s_and_b32 s0, s2, s3
	s_delay_alu instid0(SALU_CYCLE_1)
	s_and_saveexec_b32 s1, s0
	s_cbranch_execnz .LBB744_152
.LBB744_92:
	s_nop 0
	s_sendmsg sendmsg(MSG_DEALLOC_VGPRS)
	s_endpgm
.LBB744_93:
                                        ; kill: def $vgpr13_vgpr14 killed $sgpr0_sgpr1 killed $exec
                                        ; implicit-def: $vgpr17_vgpr18
                                        ; implicit-def: $vgpr19_vgpr20
                                        ; implicit-def: $vgpr23_vgpr24
                                        ; implicit-def: $vgpr25_vgpr26
                                        ; implicit-def: $vgpr27_vgpr28
                                        ; implicit-def: $vgpr29_vgpr30
                                        ; implicit-def: $vgpr15_vgpr16
	s_and_b32 vcc_lo, exec_lo, s1
	s_cbranch_vccz .LBB744_89
; %bb.94:
	s_waitcnt lgkmcnt(0)
	v_dual_mov_b32 v14, 0 :: v_dual_mov_b32 v15, v21
	v_mov_b32_dpp v16, v21 row_shr:1 row_mask:0xf bank_mask:0xf
	s_delay_alu instid0(VALU_DEP_2)
	v_mov_b32_dpp v13, v14 row_shr:1 row_mask:0xf bank_mask:0xf
	s_and_saveexec_b32 s1, s0
; %bb.95:
	s_delay_alu instid0(VALU_DEP_2) | instskip(SKIP_1) | instid1(VALU_DEP_2)
	v_add_co_u32 v15, vcc_lo, v21, v16
	v_add_co_ci_u32_e32 v14, vcc_lo, 0, v22, vcc_lo
	v_add_co_u32 v21, vcc_lo, 0, v15
	s_delay_alu instid0(VALU_DEP_2) | instskip(NEXT) | instid1(VALU_DEP_1)
	v_add_co_ci_u32_e32 v22, vcc_lo, v13, v14, vcc_lo
	v_mov_b32_e32 v14, v22
; %bb.96:
	s_or_b32 exec_lo, exec_lo, s1
	v_mov_b32_dpp v13, v15 row_shr:2 row_mask:0xf bank_mask:0xf
	s_delay_alu instid0(VALU_DEP_2)
	v_mov_b32_dpp v16, v14 row_shr:2 row_mask:0xf bank_mask:0xf
	s_mov_b32 s0, exec_lo
	v_cmpx_lt_u32_e32 1, v44
; %bb.97:
	s_delay_alu instid0(VALU_DEP_3) | instskip(SKIP_1) | instid1(VALU_DEP_2)
	v_add_co_u32 v15, vcc_lo, v21, v13
	v_add_co_ci_u32_e32 v14, vcc_lo, 0, v22, vcc_lo
	v_add_co_u32 v13, vcc_lo, 0, v15
	s_delay_alu instid0(VALU_DEP_2) | instskip(NEXT) | instid1(VALU_DEP_1)
	v_add_co_ci_u32_e32 v14, vcc_lo, v16, v14, vcc_lo
	v_dual_mov_b32 v22, v14 :: v_dual_mov_b32 v21, v13
; %bb.98:
	s_or_b32 exec_lo, exec_lo, s0
	v_mov_b32_dpp v13, v15 row_shr:4 row_mask:0xf bank_mask:0xf
	v_mov_b32_dpp v16, v14 row_shr:4 row_mask:0xf bank_mask:0xf
	s_mov_b32 s0, exec_lo
	v_cmpx_lt_u32_e32 3, v44
; %bb.99:
	s_delay_alu instid0(VALU_DEP_3) | instskip(SKIP_1) | instid1(VALU_DEP_2)
	v_add_co_u32 v15, vcc_lo, v21, v13
	v_add_co_ci_u32_e32 v14, vcc_lo, 0, v22, vcc_lo
	v_add_co_u32 v13, vcc_lo, 0, v15
	s_delay_alu instid0(VALU_DEP_2) | instskip(NEXT) | instid1(VALU_DEP_1)
	v_add_co_ci_u32_e32 v14, vcc_lo, v16, v14, vcc_lo
	v_dual_mov_b32 v22, v14 :: v_dual_mov_b32 v21, v13
; %bb.100:
	s_or_b32 exec_lo, exec_lo, s0
	v_mov_b32_dpp v16, v15 row_shr:8 row_mask:0xf bank_mask:0xf
	v_mov_b32_dpp v13, v14 row_shr:8 row_mask:0xf bank_mask:0xf
	s_mov_b32 s0, exec_lo
	v_cmpx_lt_u32_e32 7, v44
; %bb.101:
	s_delay_alu instid0(VALU_DEP_3) | instskip(SKIP_1) | instid1(VALU_DEP_2)
	v_add_co_u32 v15, vcc_lo, v21, v16
	v_add_co_ci_u32_e32 v14, vcc_lo, 0, v22, vcc_lo
	v_add_co_u32 v21, vcc_lo, 0, v15
	s_delay_alu instid0(VALU_DEP_2) | instskip(NEXT) | instid1(VALU_DEP_1)
	v_add_co_ci_u32_e32 v22, vcc_lo, v13, v14, vcc_lo
	v_mov_b32_e32 v14, v22
; %bb.102:
	s_or_b32 exec_lo, exec_lo, s0
	ds_swizzle_b32 v15, v15 offset:swizzle(BROADCAST,32,15)
	ds_swizzle_b32 v13, v14 offset:swizzle(BROADCAST,32,15)
	v_and_b32_e32 v14, 16, v42
	s_mov_b32 s0, exec_lo
	s_delay_alu instid0(VALU_DEP_1)
	v_cmpx_ne_u32_e32 0, v14
	s_cbranch_execz .LBB744_104
; %bb.103:
	s_waitcnt lgkmcnt(1)
	v_add_co_u32 v14, vcc_lo, v21, v15
	v_add_co_ci_u32_e32 v15, vcc_lo, 0, v22, vcc_lo
	s_delay_alu instid0(VALU_DEP_2) | instskip(SKIP_1) | instid1(VALU_DEP_2)
	v_add_co_u32 v21, vcc_lo, v14, 0
	s_waitcnt lgkmcnt(0)
	v_add_co_ci_u32_e32 v22, vcc_lo, v15, v13, vcc_lo
.LBB744_104:
	s_or_b32 exec_lo, exec_lo, s0
	s_waitcnt lgkmcnt(0)
	v_or_b32_e32 v13, 31, v0
	v_lshrrev_b32_e32 v15, 5, v0
	s_mov_b32 s0, exec_lo
	s_delay_alu instid0(VALU_DEP_2)
	v_cmpx_eq_u32_e64 v13, v0
	s_cbranch_execz .LBB744_106
; %bb.105:
	s_delay_alu instid0(VALU_DEP_2)
	v_lshlrev_b32_e32 v13, 3, v15
	ds_store_b64 v13, v[21:22]
.LBB744_106:
	s_or_b32 exec_lo, exec_lo, s0
	s_delay_alu instid0(SALU_CYCLE_1)
	s_mov_b32 s0, exec_lo
	s_waitcnt lgkmcnt(0)
	s_barrier
	buffer_gl0_inv
	v_cmpx_gt_u32_e32 4, v0
	s_cbranch_execz .LBB744_112
; %bb.107:
	v_lshlrev_b32_e32 v13, 1, v0
	s_mov_b32 s1, exec_lo
	s_delay_alu instid0(VALU_DEP_1)
	v_add_nc_u32_e32 v16, v43, v13
	ds_load_b64 v[13:14], v16
	s_waitcnt lgkmcnt(0)
	v_dual_mov_b32 v18, v13 :: v_dual_and_b32 v17, 3, v42
	v_mov_b32_dpp v20, v13 row_shr:1 row_mask:0xf bank_mask:0xf
	v_mov_b32_dpp v19, v14 row_shr:1 row_mask:0xf bank_mask:0xf
	s_delay_alu instid0(VALU_DEP_3)
	v_cmpx_ne_u32_e32 0, v17
; %bb.108:
	s_delay_alu instid0(VALU_DEP_3) | instskip(SKIP_1) | instid1(VALU_DEP_2)
	v_add_co_u32 v18, vcc_lo, v13, v20
	v_add_co_ci_u32_e32 v14, vcc_lo, 0, v14, vcc_lo
	v_add_co_u32 v13, vcc_lo, 0, v18
	s_delay_alu instid0(VALU_DEP_2)
	v_add_co_ci_u32_e32 v14, vcc_lo, v19, v14, vcc_lo
; %bb.109:
	s_or_b32 exec_lo, exec_lo, s1
	v_mov_b32_dpp v19, v18 row_shr:2 row_mask:0xf bank_mask:0xf
	s_delay_alu instid0(VALU_DEP_2)
	v_mov_b32_dpp v18, v14 row_shr:2 row_mask:0xf bank_mask:0xf
	s_mov_b32 s1, exec_lo
	v_cmpx_lt_u32_e32 1, v17
; %bb.110:
	s_delay_alu instid0(VALU_DEP_3) | instskip(SKIP_1) | instid1(VALU_DEP_2)
	v_add_co_u32 v13, vcc_lo, v13, v19
	v_add_co_ci_u32_e32 v14, vcc_lo, 0, v14, vcc_lo
	v_add_co_u32 v13, vcc_lo, v13, 0
	s_delay_alu instid0(VALU_DEP_2)
	v_add_co_ci_u32_e32 v14, vcc_lo, v14, v18, vcc_lo
; %bb.111:
	s_or_b32 exec_lo, exec_lo, s1
	ds_store_b64 v16, v[13:14]
.LBB744_112:
	s_or_b32 exec_lo, exec_lo, s0
	v_mov_b32_e32 v17, 0
	v_mov_b32_e32 v18, 0
	s_mov_b32 s0, exec_lo
	s_waitcnt lgkmcnt(0)
	s_barrier
	buffer_gl0_inv
	v_cmpx_lt_u32_e32 31, v0
	s_cbranch_execz .LBB744_114
; %bb.113:
	v_lshl_add_u32 v13, v15, 3, -8
	ds_load_b64 v[17:18], v13
.LBB744_114:
	s_or_b32 exec_lo, exec_lo, s0
	v_dual_mov_b32 v16, 0 :: v_dual_add_nc_u32 v13, -1, v42
	s_delay_alu instid0(VALU_DEP_1) | instskip(SKIP_4) | instid1(VALU_DEP_3)
	v_cmp_gt_i32_e32 vcc_lo, 0, v13
	v_cndmask_b32_e32 v13, v13, v42, vcc_lo
	s_waitcnt lgkmcnt(0)
	v_add_co_u32 v14, vcc_lo, v17, v21
	v_add_co_ci_u32_e32 v15, vcc_lo, v18, v22, vcc_lo
	v_lshlrev_b32_e32 v13, 2, v13
	ds_bpermute_b32 v19, v13, v14
	ds_bpermute_b32 v20, v13, v15
	ds_load_b64 v[13:14], v16 offset:24
	s_and_saveexec_b32 s0, s2
	s_cbranch_execz .LBB744_116
; %bb.115:
	s_add_u32 s10, s14, 0x200
	s_addc_u32 s11, s15, 0
	s_delay_alu instid0(SALU_CYCLE_1)
	v_dual_mov_b32 v15, 2 :: v_dual_mov_b32 v22, s11
	v_mov_b32_e32 v21, s10
	s_waitcnt lgkmcnt(0)
	;;#ASMSTART
	global_store_dwordx4 v[21:22], v[13:16] off	
s_waitcnt vmcnt(0)
	;;#ASMEND
.LBB744_116:
	s_or_b32 exec_lo, exec_lo, s0
	v_cmp_eq_u32_e32 vcc_lo, 0, v42
	s_waitcnt lgkmcnt(0)
	s_barrier
	buffer_gl0_inv
	v_dual_cndmask_b32 v15, v19, v17 :: v_dual_cndmask_b32 v16, v20, v18
	s_delay_alu instid0(VALU_DEP_1) | instskip(NEXT) | instid1(VALU_DEP_2)
	v_cndmask_b32_e64 v29, v15, 0, s2
	v_cndmask_b32_e64 v30, v16, 0, s2
	v_mov_b32_e32 v15, 0
	v_mov_b32_e32 v16, 0
	s_delay_alu instid0(VALU_DEP_4) | instskip(NEXT) | instid1(VALU_DEP_4)
	v_add_co_u32 v27, vcc_lo, v29, v41
	v_add_co_ci_u32_e32 v28, vcc_lo, 0, v30, vcc_lo
	s_delay_alu instid0(VALU_DEP_2) | instskip(NEXT) | instid1(VALU_DEP_2)
	v_add_co_u32 v25, vcc_lo, v27, v40
	v_add_co_ci_u32_e32 v26, vcc_lo, 0, v28, vcc_lo
	s_delay_alu instid0(VALU_DEP_2) | instskip(NEXT) | instid1(VALU_DEP_2)
	;; [unrolled: 3-line block ×4, first 2 shown]
	v_add_co_u32 v17, vcc_lo, v19, v37
	v_add_co_ci_u32_e32 v18, vcc_lo, 0, v20, vcc_lo
	v_cmp_gt_u64_e32 vcc_lo, 0x81, v[13:14]
	s_mov_b32 s0, -1
	s_cbranch_vccz .LBB744_90
.LBB744_117:
	v_add_co_u32 v21, vcc_lo, v15, v13
	v_add_co_ci_u32_e32 v22, vcc_lo, v16, v14, vcc_lo
	s_delay_alu instid0(VALU_DEP_1) | instskip(SKIP_1) | instid1(SALU_CYCLE_1)
	v_cmp_lt_u64_e32 vcc_lo, v[29:30], v[21:22]
	s_or_b32 s1, s8, vcc_lo
	s_and_saveexec_b32 s0, s1
	s_cbranch_execz .LBB744_120
; %bb.118:
	v_and_b32_e32 v37, 1, v36
	s_delay_alu instid0(VALU_DEP_1)
	v_cmp_eq_u32_e32 vcc_lo, 1, v37
	s_and_b32 exec_lo, exec_lo, vcc_lo
	s_cbranch_execz .LBB744_120
; %bb.119:
	v_lshlrev_b64 v[37:38], 3, v[29:30]
	s_lshl_b64 s[10:11], s[6:7], 3
	s_delay_alu instid0(SALU_CYCLE_1) | instskip(SKIP_1) | instid1(VALU_DEP_1)
	s_add_u32 s1, s12, s10
	s_addc_u32 s9, s13, s11
	v_add_co_u32 v37, vcc_lo, s1, v37
	s_delay_alu instid0(VALU_DEP_2)
	v_add_co_ci_u32_e32 v38, vcc_lo, s9, v38, vcc_lo
	global_store_b64 v[37:38], v[9:10], off
.LBB744_120:
	s_or_b32 exec_lo, exec_lo, s0
	v_cmp_lt_u64_e32 vcc_lo, v[27:28], v[21:22]
	s_or_b32 s1, s8, vcc_lo
	s_delay_alu instid0(SALU_CYCLE_1)
	s_and_saveexec_b32 s0, s1
	s_cbranch_execz .LBB744_123
; %bb.121:
	v_and_b32_e32 v30, 1, v34
	s_delay_alu instid0(VALU_DEP_1)
	v_cmp_eq_u32_e32 vcc_lo, 1, v30
	s_and_b32 exec_lo, exec_lo, vcc_lo
	s_cbranch_execz .LBB744_123
; %bb.122:
	v_lshlrev_b64 v[37:38], 3, v[27:28]
	s_lshl_b64 s[10:11], s[6:7], 3
	s_delay_alu instid0(SALU_CYCLE_1) | instskip(SKIP_1) | instid1(VALU_DEP_1)
	s_add_u32 s1, s12, s10
	s_addc_u32 s9, s13, s11
	v_add_co_u32 v37, vcc_lo, s1, v37
	s_delay_alu instid0(VALU_DEP_2)
	v_add_co_ci_u32_e32 v38, vcc_lo, s9, v38, vcc_lo
	global_store_b64 v[37:38], v[11:12], off
.LBB744_123:
	s_or_b32 exec_lo, exec_lo, s0
	v_cmp_lt_u64_e32 vcc_lo, v[25:26], v[21:22]
	s_or_b32 s1, s8, vcc_lo
	s_delay_alu instid0(SALU_CYCLE_1)
	;; [unrolled: 23-line block ×5, first 2 shown]
	s_and_saveexec_b32 s0, s1
	s_cbranch_execz .LBB744_135
; %bb.133:
	v_and_b32_e32 v20, 1, v32
	s_delay_alu instid0(VALU_DEP_1)
	v_cmp_eq_u32_e32 vcc_lo, 1, v20
	s_and_b32 exec_lo, exec_lo, vcc_lo
	s_cbranch_execz .LBB744_135
; %bb.134:
	v_lshlrev_b64 v[20:21], 3, v[17:18]
	s_lshl_b64 s[8:9], s[6:7], 3
	s_delay_alu instid0(SALU_CYCLE_1) | instskip(SKIP_1) | instid1(VALU_DEP_1)
	s_add_u32 s1, s12, s8
	s_addc_u32 s8, s13, s9
	v_add_co_u32 v20, vcc_lo, s1, v20
	s_delay_alu instid0(VALU_DEP_2)
	v_add_co_ci_u32_e32 v21, vcc_lo, s8, v21, vcc_lo
	global_store_b64 v[20:21], v[3:4], off
.LBB744_135:
	s_or_b32 exec_lo, exec_lo, s0
	s_branch .LBB744_91
.LBB744_136:
	v_and_b32_e32 v18, 1, v36
	s_mov_b32 s0, exec_lo
	s_delay_alu instid0(VALU_DEP_1)
	v_cmpx_eq_u32_e32 1, v18
	s_cbranch_execz .LBB744_138
; %bb.137:
	v_sub_nc_u32_e32 v18, v29, v15
	s_delay_alu instid0(VALU_DEP_1)
	v_lshlrev_b32_e32 v18, 3, v18
	ds_store_b64 v18, v[9:10]
.LBB744_138:
	s_or_b32 exec_lo, exec_lo, s0
	v_and_b32_e32 v9, 1, v34
	s_mov_b32 s0, exec_lo
	s_delay_alu instid0(VALU_DEP_1)
	v_cmpx_eq_u32_e32 1, v9
	s_cbranch_execz .LBB744_140
; %bb.139:
	v_sub_nc_u32_e32 v9, v27, v15
	s_delay_alu instid0(VALU_DEP_1)
	v_lshlrev_b32_e32 v9, 3, v9
	ds_store_b64 v9, v[11:12]
.LBB744_140:
	s_or_b32 exec_lo, exec_lo, s0
	;; [unrolled: 12-line block ×6, first 2 shown]
	v_mov_b32_e32 v1, 0
	s_mov_b32 s1, exec_lo
	s_waitcnt lgkmcnt(0)
	s_waitcnt_vscnt null, 0x0
	s_barrier
	buffer_gl0_inv
	v_cmpx_gt_u64_e64 v[13:14], v[0:1]
	s_cbranch_execz .LBB744_151
; %bb.149:
	v_lshlrev_b64 v[4:5], 3, v[15:16]
	s_lshl_b64 s[8:9], s[6:7], 3
	v_dual_mov_b32 v3, v1 :: v_dual_mov_b32 v2, v0
	v_or_b32_e32 v0, 0x80, v0
	s_delay_alu instid0(VALU_DEP_3) | instskip(NEXT) | instid1(VALU_DEP_4)
	v_add_co_u32 v4, vcc_lo, s12, v4
	v_add_co_ci_u32_e32 v5, vcc_lo, s13, v5, vcc_lo
	s_delay_alu instid0(VALU_DEP_2) | instskip(NEXT) | instid1(VALU_DEP_2)
	v_add_co_u32 v4, vcc_lo, v4, s8
	v_add_co_ci_u32_e32 v5, vcc_lo, s9, v5, vcc_lo
	s_mov_b32 s8, 0
	.p2align	6
.LBB744_150:                            ; =>This Inner Loop Header: Depth=1
	v_lshlrev_b32_e32 v6, 3, v2
	v_lshlrev_b64 v[8:9], 3, v[2:3]
	v_mov_b32_e32 v3, v1
	v_cmp_le_u64_e32 vcc_lo, v[13:14], v[0:1]
	v_mov_b32_e32 v2, v0
	ds_load_b64 v[6:7], v6
	v_add_nc_u32_e32 v0, 0x80, v0
	v_add_co_u32 v8, s0, v4, v8
	s_delay_alu instid0(VALU_DEP_1)
	v_add_co_ci_u32_e64 v9, s0, v5, v9, s0
	s_or_b32 s8, vcc_lo, s8
	s_waitcnt lgkmcnt(0)
	global_store_b64 v[8:9], v[6:7], off
	s_and_not1_b32 exec_lo, exec_lo, s8
	s_cbranch_execnz .LBB744_150
.LBB744_151:
	s_or_b32 exec_lo, exec_lo, s1
	s_and_b32 s0, s2, s3
	s_delay_alu instid0(SALU_CYCLE_1)
	s_and_saveexec_b32 s1, s0
	s_cbranch_execz .LBB744_92
.LBB744_152:
	v_add_co_u32 v0, vcc_lo, v15, v13
	v_add_co_ci_u32_e32 v1, vcc_lo, v16, v14, vcc_lo
	v_mov_b32_e32 v2, 0
	s_delay_alu instid0(VALU_DEP_3) | instskip(NEXT) | instid1(VALU_DEP_3)
	v_add_co_u32 v0, vcc_lo, v0, s6
	v_add_co_ci_u32_e32 v1, vcc_lo, s7, v1, vcc_lo
	global_store_b64 v2, v[0:1], s[4:5]
	s_nop 0
	s_sendmsg sendmsg(MSG_DEALLOC_VGPRS)
	s_endpgm
	.section	.rodata,"a",@progbits
	.p2align	6, 0x0
	.amdhsa_kernel _ZN7rocprim17ROCPRIM_400000_NS6detail17trampoline_kernelINS0_14default_configENS1_25partition_config_selectorILNS1_17partition_subalgoE5ElNS0_10empty_typeEbEEZZNS1_14partition_implILS5_5ELb0ES3_mN6hipcub16HIPCUB_304000_NS21CountingInputIteratorIllEEPS6_NSA_22TransformInputIteratorIbN2at6native12_GLOBAL__N_19NonZeroOpIbEEPKblEENS0_5tupleIJPlS6_EEENSN_IJSD_SD_EEES6_PiJS6_EEE10hipError_tPvRmT3_T4_T5_T6_T7_T9_mT8_P12ihipStream_tbDpT10_ENKUlT_T0_E_clISt17integral_constantIbLb1EES1B_EEDaS16_S17_EUlS16_E_NS1_11comp_targetILNS1_3genE9ELNS1_11target_archE1100ELNS1_3gpuE3ELNS1_3repE0EEENS1_30default_config_static_selectorELNS0_4arch9wavefront6targetE0EEEvT1_
		.amdhsa_group_segment_fixed_size 6160
		.amdhsa_private_segment_fixed_size 0
		.amdhsa_kernarg_size 136
		.amdhsa_user_sgpr_count 15
		.amdhsa_user_sgpr_dispatch_ptr 0
		.amdhsa_user_sgpr_queue_ptr 0
		.amdhsa_user_sgpr_kernarg_segment_ptr 1
		.amdhsa_user_sgpr_dispatch_id 0
		.amdhsa_user_sgpr_private_segment_size 0
		.amdhsa_wavefront_size32 1
		.amdhsa_uses_dynamic_stack 0
		.amdhsa_enable_private_segment 0
		.amdhsa_system_sgpr_workgroup_id_x 1
		.amdhsa_system_sgpr_workgroup_id_y 0
		.amdhsa_system_sgpr_workgroup_id_z 0
		.amdhsa_system_sgpr_workgroup_info 0
		.amdhsa_system_vgpr_workitem_id 0
		.amdhsa_next_free_vgpr 57
		.amdhsa_next_free_sgpr 23
		.amdhsa_reserve_vcc 1
		.amdhsa_float_round_mode_32 0
		.amdhsa_float_round_mode_16_64 0
		.amdhsa_float_denorm_mode_32 3
		.amdhsa_float_denorm_mode_16_64 3
		.amdhsa_dx10_clamp 1
		.amdhsa_ieee_mode 1
		.amdhsa_fp16_overflow 0
		.amdhsa_workgroup_processor_mode 1
		.amdhsa_memory_ordered 1
		.amdhsa_forward_progress 0
		.amdhsa_shared_vgpr_count 0
		.amdhsa_exception_fp_ieee_invalid_op 0
		.amdhsa_exception_fp_denorm_src 0
		.amdhsa_exception_fp_ieee_div_zero 0
		.amdhsa_exception_fp_ieee_overflow 0
		.amdhsa_exception_fp_ieee_underflow 0
		.amdhsa_exception_fp_ieee_inexact 0
		.amdhsa_exception_int_div_zero 0
	.end_amdhsa_kernel
	.section	.text._ZN7rocprim17ROCPRIM_400000_NS6detail17trampoline_kernelINS0_14default_configENS1_25partition_config_selectorILNS1_17partition_subalgoE5ElNS0_10empty_typeEbEEZZNS1_14partition_implILS5_5ELb0ES3_mN6hipcub16HIPCUB_304000_NS21CountingInputIteratorIllEEPS6_NSA_22TransformInputIteratorIbN2at6native12_GLOBAL__N_19NonZeroOpIbEEPKblEENS0_5tupleIJPlS6_EEENSN_IJSD_SD_EEES6_PiJS6_EEE10hipError_tPvRmT3_T4_T5_T6_T7_T9_mT8_P12ihipStream_tbDpT10_ENKUlT_T0_E_clISt17integral_constantIbLb1EES1B_EEDaS16_S17_EUlS16_E_NS1_11comp_targetILNS1_3genE9ELNS1_11target_archE1100ELNS1_3gpuE3ELNS1_3repE0EEENS1_30default_config_static_selectorELNS0_4arch9wavefront6targetE0EEEvT1_,"axG",@progbits,_ZN7rocprim17ROCPRIM_400000_NS6detail17trampoline_kernelINS0_14default_configENS1_25partition_config_selectorILNS1_17partition_subalgoE5ElNS0_10empty_typeEbEEZZNS1_14partition_implILS5_5ELb0ES3_mN6hipcub16HIPCUB_304000_NS21CountingInputIteratorIllEEPS6_NSA_22TransformInputIteratorIbN2at6native12_GLOBAL__N_19NonZeroOpIbEEPKblEENS0_5tupleIJPlS6_EEENSN_IJSD_SD_EEES6_PiJS6_EEE10hipError_tPvRmT3_T4_T5_T6_T7_T9_mT8_P12ihipStream_tbDpT10_ENKUlT_T0_E_clISt17integral_constantIbLb1EES1B_EEDaS16_S17_EUlS16_E_NS1_11comp_targetILNS1_3genE9ELNS1_11target_archE1100ELNS1_3gpuE3ELNS1_3repE0EEENS1_30default_config_static_selectorELNS0_4arch9wavefront6targetE0EEEvT1_,comdat
.Lfunc_end744:
	.size	_ZN7rocprim17ROCPRIM_400000_NS6detail17trampoline_kernelINS0_14default_configENS1_25partition_config_selectorILNS1_17partition_subalgoE5ElNS0_10empty_typeEbEEZZNS1_14partition_implILS5_5ELb0ES3_mN6hipcub16HIPCUB_304000_NS21CountingInputIteratorIllEEPS6_NSA_22TransformInputIteratorIbN2at6native12_GLOBAL__N_19NonZeroOpIbEEPKblEENS0_5tupleIJPlS6_EEENSN_IJSD_SD_EEES6_PiJS6_EEE10hipError_tPvRmT3_T4_T5_T6_T7_T9_mT8_P12ihipStream_tbDpT10_ENKUlT_T0_E_clISt17integral_constantIbLb1EES1B_EEDaS16_S17_EUlS16_E_NS1_11comp_targetILNS1_3genE9ELNS1_11target_archE1100ELNS1_3gpuE3ELNS1_3repE0EEENS1_30default_config_static_selectorELNS0_4arch9wavefront6targetE0EEEvT1_, .Lfunc_end744-_ZN7rocprim17ROCPRIM_400000_NS6detail17trampoline_kernelINS0_14default_configENS1_25partition_config_selectorILNS1_17partition_subalgoE5ElNS0_10empty_typeEbEEZZNS1_14partition_implILS5_5ELb0ES3_mN6hipcub16HIPCUB_304000_NS21CountingInputIteratorIllEEPS6_NSA_22TransformInputIteratorIbN2at6native12_GLOBAL__N_19NonZeroOpIbEEPKblEENS0_5tupleIJPlS6_EEENSN_IJSD_SD_EEES6_PiJS6_EEE10hipError_tPvRmT3_T4_T5_T6_T7_T9_mT8_P12ihipStream_tbDpT10_ENKUlT_T0_E_clISt17integral_constantIbLb1EES1B_EEDaS16_S17_EUlS16_E_NS1_11comp_targetILNS1_3genE9ELNS1_11target_archE1100ELNS1_3gpuE3ELNS1_3repE0EEENS1_30default_config_static_selectorELNS0_4arch9wavefront6targetE0EEEvT1_
                                        ; -- End function
	.section	.AMDGPU.csdata,"",@progbits
; Kernel info:
; codeLenInByte = 6404
; NumSgprs: 25
; NumVgprs: 57
; ScratchSize: 0
; MemoryBound: 0
; FloatMode: 240
; IeeeMode: 1
; LDSByteSize: 6160 bytes/workgroup (compile time only)
; SGPRBlocks: 3
; VGPRBlocks: 7
; NumSGPRsForWavesPerEU: 25
; NumVGPRsForWavesPerEU: 57
; Occupancy: 16
; WaveLimiterHint : 1
; COMPUTE_PGM_RSRC2:SCRATCH_EN: 0
; COMPUTE_PGM_RSRC2:USER_SGPR: 15
; COMPUTE_PGM_RSRC2:TRAP_HANDLER: 0
; COMPUTE_PGM_RSRC2:TGID_X_EN: 1
; COMPUTE_PGM_RSRC2:TGID_Y_EN: 0
; COMPUTE_PGM_RSRC2:TGID_Z_EN: 0
; COMPUTE_PGM_RSRC2:TIDIG_COMP_CNT: 0
	.section	.text._ZN7rocprim17ROCPRIM_400000_NS6detail17trampoline_kernelINS0_14default_configENS1_25partition_config_selectorILNS1_17partition_subalgoE5ElNS0_10empty_typeEbEEZZNS1_14partition_implILS5_5ELb0ES3_mN6hipcub16HIPCUB_304000_NS21CountingInputIteratorIllEEPS6_NSA_22TransformInputIteratorIbN2at6native12_GLOBAL__N_19NonZeroOpIbEEPKblEENS0_5tupleIJPlS6_EEENSN_IJSD_SD_EEES6_PiJS6_EEE10hipError_tPvRmT3_T4_T5_T6_T7_T9_mT8_P12ihipStream_tbDpT10_ENKUlT_T0_E_clISt17integral_constantIbLb1EES1B_EEDaS16_S17_EUlS16_E_NS1_11comp_targetILNS1_3genE8ELNS1_11target_archE1030ELNS1_3gpuE2ELNS1_3repE0EEENS1_30default_config_static_selectorELNS0_4arch9wavefront6targetE0EEEvT1_,"axG",@progbits,_ZN7rocprim17ROCPRIM_400000_NS6detail17trampoline_kernelINS0_14default_configENS1_25partition_config_selectorILNS1_17partition_subalgoE5ElNS0_10empty_typeEbEEZZNS1_14partition_implILS5_5ELb0ES3_mN6hipcub16HIPCUB_304000_NS21CountingInputIteratorIllEEPS6_NSA_22TransformInputIteratorIbN2at6native12_GLOBAL__N_19NonZeroOpIbEEPKblEENS0_5tupleIJPlS6_EEENSN_IJSD_SD_EEES6_PiJS6_EEE10hipError_tPvRmT3_T4_T5_T6_T7_T9_mT8_P12ihipStream_tbDpT10_ENKUlT_T0_E_clISt17integral_constantIbLb1EES1B_EEDaS16_S17_EUlS16_E_NS1_11comp_targetILNS1_3genE8ELNS1_11target_archE1030ELNS1_3gpuE2ELNS1_3repE0EEENS1_30default_config_static_selectorELNS0_4arch9wavefront6targetE0EEEvT1_,comdat
	.globl	_ZN7rocprim17ROCPRIM_400000_NS6detail17trampoline_kernelINS0_14default_configENS1_25partition_config_selectorILNS1_17partition_subalgoE5ElNS0_10empty_typeEbEEZZNS1_14partition_implILS5_5ELb0ES3_mN6hipcub16HIPCUB_304000_NS21CountingInputIteratorIllEEPS6_NSA_22TransformInputIteratorIbN2at6native12_GLOBAL__N_19NonZeroOpIbEEPKblEENS0_5tupleIJPlS6_EEENSN_IJSD_SD_EEES6_PiJS6_EEE10hipError_tPvRmT3_T4_T5_T6_T7_T9_mT8_P12ihipStream_tbDpT10_ENKUlT_T0_E_clISt17integral_constantIbLb1EES1B_EEDaS16_S17_EUlS16_E_NS1_11comp_targetILNS1_3genE8ELNS1_11target_archE1030ELNS1_3gpuE2ELNS1_3repE0EEENS1_30default_config_static_selectorELNS0_4arch9wavefront6targetE0EEEvT1_ ; -- Begin function _ZN7rocprim17ROCPRIM_400000_NS6detail17trampoline_kernelINS0_14default_configENS1_25partition_config_selectorILNS1_17partition_subalgoE5ElNS0_10empty_typeEbEEZZNS1_14partition_implILS5_5ELb0ES3_mN6hipcub16HIPCUB_304000_NS21CountingInputIteratorIllEEPS6_NSA_22TransformInputIteratorIbN2at6native12_GLOBAL__N_19NonZeroOpIbEEPKblEENS0_5tupleIJPlS6_EEENSN_IJSD_SD_EEES6_PiJS6_EEE10hipError_tPvRmT3_T4_T5_T6_T7_T9_mT8_P12ihipStream_tbDpT10_ENKUlT_T0_E_clISt17integral_constantIbLb1EES1B_EEDaS16_S17_EUlS16_E_NS1_11comp_targetILNS1_3genE8ELNS1_11target_archE1030ELNS1_3gpuE2ELNS1_3repE0EEENS1_30default_config_static_selectorELNS0_4arch9wavefront6targetE0EEEvT1_
	.p2align	8
	.type	_ZN7rocprim17ROCPRIM_400000_NS6detail17trampoline_kernelINS0_14default_configENS1_25partition_config_selectorILNS1_17partition_subalgoE5ElNS0_10empty_typeEbEEZZNS1_14partition_implILS5_5ELb0ES3_mN6hipcub16HIPCUB_304000_NS21CountingInputIteratorIllEEPS6_NSA_22TransformInputIteratorIbN2at6native12_GLOBAL__N_19NonZeroOpIbEEPKblEENS0_5tupleIJPlS6_EEENSN_IJSD_SD_EEES6_PiJS6_EEE10hipError_tPvRmT3_T4_T5_T6_T7_T9_mT8_P12ihipStream_tbDpT10_ENKUlT_T0_E_clISt17integral_constantIbLb1EES1B_EEDaS16_S17_EUlS16_E_NS1_11comp_targetILNS1_3genE8ELNS1_11target_archE1030ELNS1_3gpuE2ELNS1_3repE0EEENS1_30default_config_static_selectorELNS0_4arch9wavefront6targetE0EEEvT1_,@function
_ZN7rocprim17ROCPRIM_400000_NS6detail17trampoline_kernelINS0_14default_configENS1_25partition_config_selectorILNS1_17partition_subalgoE5ElNS0_10empty_typeEbEEZZNS1_14partition_implILS5_5ELb0ES3_mN6hipcub16HIPCUB_304000_NS21CountingInputIteratorIllEEPS6_NSA_22TransformInputIteratorIbN2at6native12_GLOBAL__N_19NonZeroOpIbEEPKblEENS0_5tupleIJPlS6_EEENSN_IJSD_SD_EEES6_PiJS6_EEE10hipError_tPvRmT3_T4_T5_T6_T7_T9_mT8_P12ihipStream_tbDpT10_ENKUlT_T0_E_clISt17integral_constantIbLb1EES1B_EEDaS16_S17_EUlS16_E_NS1_11comp_targetILNS1_3genE8ELNS1_11target_archE1030ELNS1_3gpuE2ELNS1_3repE0EEENS1_30default_config_static_selectorELNS0_4arch9wavefront6targetE0EEEvT1_: ; @_ZN7rocprim17ROCPRIM_400000_NS6detail17trampoline_kernelINS0_14default_configENS1_25partition_config_selectorILNS1_17partition_subalgoE5ElNS0_10empty_typeEbEEZZNS1_14partition_implILS5_5ELb0ES3_mN6hipcub16HIPCUB_304000_NS21CountingInputIteratorIllEEPS6_NSA_22TransformInputIteratorIbN2at6native12_GLOBAL__N_19NonZeroOpIbEEPKblEENS0_5tupleIJPlS6_EEENSN_IJSD_SD_EEES6_PiJS6_EEE10hipError_tPvRmT3_T4_T5_T6_T7_T9_mT8_P12ihipStream_tbDpT10_ENKUlT_T0_E_clISt17integral_constantIbLb1EES1B_EEDaS16_S17_EUlS16_E_NS1_11comp_targetILNS1_3genE8ELNS1_11target_archE1030ELNS1_3gpuE2ELNS1_3repE0EEENS1_30default_config_static_selectorELNS0_4arch9wavefront6targetE0EEEvT1_
; %bb.0:
	.section	.rodata,"a",@progbits
	.p2align	6, 0x0
	.amdhsa_kernel _ZN7rocprim17ROCPRIM_400000_NS6detail17trampoline_kernelINS0_14default_configENS1_25partition_config_selectorILNS1_17partition_subalgoE5ElNS0_10empty_typeEbEEZZNS1_14partition_implILS5_5ELb0ES3_mN6hipcub16HIPCUB_304000_NS21CountingInputIteratorIllEEPS6_NSA_22TransformInputIteratorIbN2at6native12_GLOBAL__N_19NonZeroOpIbEEPKblEENS0_5tupleIJPlS6_EEENSN_IJSD_SD_EEES6_PiJS6_EEE10hipError_tPvRmT3_T4_T5_T6_T7_T9_mT8_P12ihipStream_tbDpT10_ENKUlT_T0_E_clISt17integral_constantIbLb1EES1B_EEDaS16_S17_EUlS16_E_NS1_11comp_targetILNS1_3genE8ELNS1_11target_archE1030ELNS1_3gpuE2ELNS1_3repE0EEENS1_30default_config_static_selectorELNS0_4arch9wavefront6targetE0EEEvT1_
		.amdhsa_group_segment_fixed_size 0
		.amdhsa_private_segment_fixed_size 0
		.amdhsa_kernarg_size 136
		.amdhsa_user_sgpr_count 15
		.amdhsa_user_sgpr_dispatch_ptr 0
		.amdhsa_user_sgpr_queue_ptr 0
		.amdhsa_user_sgpr_kernarg_segment_ptr 1
		.amdhsa_user_sgpr_dispatch_id 0
		.amdhsa_user_sgpr_private_segment_size 0
		.amdhsa_wavefront_size32 1
		.amdhsa_uses_dynamic_stack 0
		.amdhsa_enable_private_segment 0
		.amdhsa_system_sgpr_workgroup_id_x 1
		.amdhsa_system_sgpr_workgroup_id_y 0
		.amdhsa_system_sgpr_workgroup_id_z 0
		.amdhsa_system_sgpr_workgroup_info 0
		.amdhsa_system_vgpr_workitem_id 0
		.amdhsa_next_free_vgpr 1
		.amdhsa_next_free_sgpr 1
		.amdhsa_reserve_vcc 0
		.amdhsa_float_round_mode_32 0
		.amdhsa_float_round_mode_16_64 0
		.amdhsa_float_denorm_mode_32 3
		.amdhsa_float_denorm_mode_16_64 3
		.amdhsa_dx10_clamp 1
		.amdhsa_ieee_mode 1
		.amdhsa_fp16_overflow 0
		.amdhsa_workgroup_processor_mode 1
		.amdhsa_memory_ordered 1
		.amdhsa_forward_progress 0
		.amdhsa_shared_vgpr_count 0
		.amdhsa_exception_fp_ieee_invalid_op 0
		.amdhsa_exception_fp_denorm_src 0
		.amdhsa_exception_fp_ieee_div_zero 0
		.amdhsa_exception_fp_ieee_overflow 0
		.amdhsa_exception_fp_ieee_underflow 0
		.amdhsa_exception_fp_ieee_inexact 0
		.amdhsa_exception_int_div_zero 0
	.end_amdhsa_kernel
	.section	.text._ZN7rocprim17ROCPRIM_400000_NS6detail17trampoline_kernelINS0_14default_configENS1_25partition_config_selectorILNS1_17partition_subalgoE5ElNS0_10empty_typeEbEEZZNS1_14partition_implILS5_5ELb0ES3_mN6hipcub16HIPCUB_304000_NS21CountingInputIteratorIllEEPS6_NSA_22TransformInputIteratorIbN2at6native12_GLOBAL__N_19NonZeroOpIbEEPKblEENS0_5tupleIJPlS6_EEENSN_IJSD_SD_EEES6_PiJS6_EEE10hipError_tPvRmT3_T4_T5_T6_T7_T9_mT8_P12ihipStream_tbDpT10_ENKUlT_T0_E_clISt17integral_constantIbLb1EES1B_EEDaS16_S17_EUlS16_E_NS1_11comp_targetILNS1_3genE8ELNS1_11target_archE1030ELNS1_3gpuE2ELNS1_3repE0EEENS1_30default_config_static_selectorELNS0_4arch9wavefront6targetE0EEEvT1_,"axG",@progbits,_ZN7rocprim17ROCPRIM_400000_NS6detail17trampoline_kernelINS0_14default_configENS1_25partition_config_selectorILNS1_17partition_subalgoE5ElNS0_10empty_typeEbEEZZNS1_14partition_implILS5_5ELb0ES3_mN6hipcub16HIPCUB_304000_NS21CountingInputIteratorIllEEPS6_NSA_22TransformInputIteratorIbN2at6native12_GLOBAL__N_19NonZeroOpIbEEPKblEENS0_5tupleIJPlS6_EEENSN_IJSD_SD_EEES6_PiJS6_EEE10hipError_tPvRmT3_T4_T5_T6_T7_T9_mT8_P12ihipStream_tbDpT10_ENKUlT_T0_E_clISt17integral_constantIbLb1EES1B_EEDaS16_S17_EUlS16_E_NS1_11comp_targetILNS1_3genE8ELNS1_11target_archE1030ELNS1_3gpuE2ELNS1_3repE0EEENS1_30default_config_static_selectorELNS0_4arch9wavefront6targetE0EEEvT1_,comdat
.Lfunc_end745:
	.size	_ZN7rocprim17ROCPRIM_400000_NS6detail17trampoline_kernelINS0_14default_configENS1_25partition_config_selectorILNS1_17partition_subalgoE5ElNS0_10empty_typeEbEEZZNS1_14partition_implILS5_5ELb0ES3_mN6hipcub16HIPCUB_304000_NS21CountingInputIteratorIllEEPS6_NSA_22TransformInputIteratorIbN2at6native12_GLOBAL__N_19NonZeroOpIbEEPKblEENS0_5tupleIJPlS6_EEENSN_IJSD_SD_EEES6_PiJS6_EEE10hipError_tPvRmT3_T4_T5_T6_T7_T9_mT8_P12ihipStream_tbDpT10_ENKUlT_T0_E_clISt17integral_constantIbLb1EES1B_EEDaS16_S17_EUlS16_E_NS1_11comp_targetILNS1_3genE8ELNS1_11target_archE1030ELNS1_3gpuE2ELNS1_3repE0EEENS1_30default_config_static_selectorELNS0_4arch9wavefront6targetE0EEEvT1_, .Lfunc_end745-_ZN7rocprim17ROCPRIM_400000_NS6detail17trampoline_kernelINS0_14default_configENS1_25partition_config_selectorILNS1_17partition_subalgoE5ElNS0_10empty_typeEbEEZZNS1_14partition_implILS5_5ELb0ES3_mN6hipcub16HIPCUB_304000_NS21CountingInputIteratorIllEEPS6_NSA_22TransformInputIteratorIbN2at6native12_GLOBAL__N_19NonZeroOpIbEEPKblEENS0_5tupleIJPlS6_EEENSN_IJSD_SD_EEES6_PiJS6_EEE10hipError_tPvRmT3_T4_T5_T6_T7_T9_mT8_P12ihipStream_tbDpT10_ENKUlT_T0_E_clISt17integral_constantIbLb1EES1B_EEDaS16_S17_EUlS16_E_NS1_11comp_targetILNS1_3genE8ELNS1_11target_archE1030ELNS1_3gpuE2ELNS1_3repE0EEENS1_30default_config_static_selectorELNS0_4arch9wavefront6targetE0EEEvT1_
                                        ; -- End function
	.section	.AMDGPU.csdata,"",@progbits
; Kernel info:
; codeLenInByte = 0
; NumSgprs: 0
; NumVgprs: 0
; ScratchSize: 0
; MemoryBound: 0
; FloatMode: 240
; IeeeMode: 1
; LDSByteSize: 0 bytes/workgroup (compile time only)
; SGPRBlocks: 0
; VGPRBlocks: 0
; NumSGPRsForWavesPerEU: 1
; NumVGPRsForWavesPerEU: 1
; Occupancy: 16
; WaveLimiterHint : 0
; COMPUTE_PGM_RSRC2:SCRATCH_EN: 0
; COMPUTE_PGM_RSRC2:USER_SGPR: 15
; COMPUTE_PGM_RSRC2:TRAP_HANDLER: 0
; COMPUTE_PGM_RSRC2:TGID_X_EN: 1
; COMPUTE_PGM_RSRC2:TGID_Y_EN: 0
; COMPUTE_PGM_RSRC2:TGID_Z_EN: 0
; COMPUTE_PGM_RSRC2:TIDIG_COMP_CNT: 0
	.section	.text._ZN7rocprim17ROCPRIM_400000_NS6detail17trampoline_kernelINS0_14default_configENS1_25partition_config_selectorILNS1_17partition_subalgoE5ElNS0_10empty_typeEbEEZZNS1_14partition_implILS5_5ELb0ES3_mN6hipcub16HIPCUB_304000_NS21CountingInputIteratorIllEEPS6_NSA_22TransformInputIteratorIbN2at6native12_GLOBAL__N_19NonZeroOpIbEEPKblEENS0_5tupleIJPlS6_EEENSN_IJSD_SD_EEES6_PiJS6_EEE10hipError_tPvRmT3_T4_T5_T6_T7_T9_mT8_P12ihipStream_tbDpT10_ENKUlT_T0_E_clISt17integral_constantIbLb1EES1A_IbLb0EEEEDaS16_S17_EUlS16_E_NS1_11comp_targetILNS1_3genE0ELNS1_11target_archE4294967295ELNS1_3gpuE0ELNS1_3repE0EEENS1_30default_config_static_selectorELNS0_4arch9wavefront6targetE0EEEvT1_,"axG",@progbits,_ZN7rocprim17ROCPRIM_400000_NS6detail17trampoline_kernelINS0_14default_configENS1_25partition_config_selectorILNS1_17partition_subalgoE5ElNS0_10empty_typeEbEEZZNS1_14partition_implILS5_5ELb0ES3_mN6hipcub16HIPCUB_304000_NS21CountingInputIteratorIllEEPS6_NSA_22TransformInputIteratorIbN2at6native12_GLOBAL__N_19NonZeroOpIbEEPKblEENS0_5tupleIJPlS6_EEENSN_IJSD_SD_EEES6_PiJS6_EEE10hipError_tPvRmT3_T4_T5_T6_T7_T9_mT8_P12ihipStream_tbDpT10_ENKUlT_T0_E_clISt17integral_constantIbLb1EES1A_IbLb0EEEEDaS16_S17_EUlS16_E_NS1_11comp_targetILNS1_3genE0ELNS1_11target_archE4294967295ELNS1_3gpuE0ELNS1_3repE0EEENS1_30default_config_static_selectorELNS0_4arch9wavefront6targetE0EEEvT1_,comdat
	.globl	_ZN7rocprim17ROCPRIM_400000_NS6detail17trampoline_kernelINS0_14default_configENS1_25partition_config_selectorILNS1_17partition_subalgoE5ElNS0_10empty_typeEbEEZZNS1_14partition_implILS5_5ELb0ES3_mN6hipcub16HIPCUB_304000_NS21CountingInputIteratorIllEEPS6_NSA_22TransformInputIteratorIbN2at6native12_GLOBAL__N_19NonZeroOpIbEEPKblEENS0_5tupleIJPlS6_EEENSN_IJSD_SD_EEES6_PiJS6_EEE10hipError_tPvRmT3_T4_T5_T6_T7_T9_mT8_P12ihipStream_tbDpT10_ENKUlT_T0_E_clISt17integral_constantIbLb1EES1A_IbLb0EEEEDaS16_S17_EUlS16_E_NS1_11comp_targetILNS1_3genE0ELNS1_11target_archE4294967295ELNS1_3gpuE0ELNS1_3repE0EEENS1_30default_config_static_selectorELNS0_4arch9wavefront6targetE0EEEvT1_ ; -- Begin function _ZN7rocprim17ROCPRIM_400000_NS6detail17trampoline_kernelINS0_14default_configENS1_25partition_config_selectorILNS1_17partition_subalgoE5ElNS0_10empty_typeEbEEZZNS1_14partition_implILS5_5ELb0ES3_mN6hipcub16HIPCUB_304000_NS21CountingInputIteratorIllEEPS6_NSA_22TransformInputIteratorIbN2at6native12_GLOBAL__N_19NonZeroOpIbEEPKblEENS0_5tupleIJPlS6_EEENSN_IJSD_SD_EEES6_PiJS6_EEE10hipError_tPvRmT3_T4_T5_T6_T7_T9_mT8_P12ihipStream_tbDpT10_ENKUlT_T0_E_clISt17integral_constantIbLb1EES1A_IbLb0EEEEDaS16_S17_EUlS16_E_NS1_11comp_targetILNS1_3genE0ELNS1_11target_archE4294967295ELNS1_3gpuE0ELNS1_3repE0EEENS1_30default_config_static_selectorELNS0_4arch9wavefront6targetE0EEEvT1_
	.p2align	8
	.type	_ZN7rocprim17ROCPRIM_400000_NS6detail17trampoline_kernelINS0_14default_configENS1_25partition_config_selectorILNS1_17partition_subalgoE5ElNS0_10empty_typeEbEEZZNS1_14partition_implILS5_5ELb0ES3_mN6hipcub16HIPCUB_304000_NS21CountingInputIteratorIllEEPS6_NSA_22TransformInputIteratorIbN2at6native12_GLOBAL__N_19NonZeroOpIbEEPKblEENS0_5tupleIJPlS6_EEENSN_IJSD_SD_EEES6_PiJS6_EEE10hipError_tPvRmT3_T4_T5_T6_T7_T9_mT8_P12ihipStream_tbDpT10_ENKUlT_T0_E_clISt17integral_constantIbLb1EES1A_IbLb0EEEEDaS16_S17_EUlS16_E_NS1_11comp_targetILNS1_3genE0ELNS1_11target_archE4294967295ELNS1_3gpuE0ELNS1_3repE0EEENS1_30default_config_static_selectorELNS0_4arch9wavefront6targetE0EEEvT1_,@function
_ZN7rocprim17ROCPRIM_400000_NS6detail17trampoline_kernelINS0_14default_configENS1_25partition_config_selectorILNS1_17partition_subalgoE5ElNS0_10empty_typeEbEEZZNS1_14partition_implILS5_5ELb0ES3_mN6hipcub16HIPCUB_304000_NS21CountingInputIteratorIllEEPS6_NSA_22TransformInputIteratorIbN2at6native12_GLOBAL__N_19NonZeroOpIbEEPKblEENS0_5tupleIJPlS6_EEENSN_IJSD_SD_EEES6_PiJS6_EEE10hipError_tPvRmT3_T4_T5_T6_T7_T9_mT8_P12ihipStream_tbDpT10_ENKUlT_T0_E_clISt17integral_constantIbLb1EES1A_IbLb0EEEEDaS16_S17_EUlS16_E_NS1_11comp_targetILNS1_3genE0ELNS1_11target_archE4294967295ELNS1_3gpuE0ELNS1_3repE0EEENS1_30default_config_static_selectorELNS0_4arch9wavefront6targetE0EEEvT1_: ; @_ZN7rocprim17ROCPRIM_400000_NS6detail17trampoline_kernelINS0_14default_configENS1_25partition_config_selectorILNS1_17partition_subalgoE5ElNS0_10empty_typeEbEEZZNS1_14partition_implILS5_5ELb0ES3_mN6hipcub16HIPCUB_304000_NS21CountingInputIteratorIllEEPS6_NSA_22TransformInputIteratorIbN2at6native12_GLOBAL__N_19NonZeroOpIbEEPKblEENS0_5tupleIJPlS6_EEENSN_IJSD_SD_EEES6_PiJS6_EEE10hipError_tPvRmT3_T4_T5_T6_T7_T9_mT8_P12ihipStream_tbDpT10_ENKUlT_T0_E_clISt17integral_constantIbLb1EES1A_IbLb0EEEEDaS16_S17_EUlS16_E_NS1_11comp_targetILNS1_3genE0ELNS1_11target_archE4294967295ELNS1_3gpuE0ELNS1_3repE0EEENS1_30default_config_static_selectorELNS0_4arch9wavefront6targetE0EEEvT1_
; %bb.0:
	.section	.rodata,"a",@progbits
	.p2align	6, 0x0
	.amdhsa_kernel _ZN7rocprim17ROCPRIM_400000_NS6detail17trampoline_kernelINS0_14default_configENS1_25partition_config_selectorILNS1_17partition_subalgoE5ElNS0_10empty_typeEbEEZZNS1_14partition_implILS5_5ELb0ES3_mN6hipcub16HIPCUB_304000_NS21CountingInputIteratorIllEEPS6_NSA_22TransformInputIteratorIbN2at6native12_GLOBAL__N_19NonZeroOpIbEEPKblEENS0_5tupleIJPlS6_EEENSN_IJSD_SD_EEES6_PiJS6_EEE10hipError_tPvRmT3_T4_T5_T6_T7_T9_mT8_P12ihipStream_tbDpT10_ENKUlT_T0_E_clISt17integral_constantIbLb1EES1A_IbLb0EEEEDaS16_S17_EUlS16_E_NS1_11comp_targetILNS1_3genE0ELNS1_11target_archE4294967295ELNS1_3gpuE0ELNS1_3repE0EEENS1_30default_config_static_selectorELNS0_4arch9wavefront6targetE0EEEvT1_
		.amdhsa_group_segment_fixed_size 0
		.amdhsa_private_segment_fixed_size 0
		.amdhsa_kernarg_size 120
		.amdhsa_user_sgpr_count 15
		.amdhsa_user_sgpr_dispatch_ptr 0
		.amdhsa_user_sgpr_queue_ptr 0
		.amdhsa_user_sgpr_kernarg_segment_ptr 1
		.amdhsa_user_sgpr_dispatch_id 0
		.amdhsa_user_sgpr_private_segment_size 0
		.amdhsa_wavefront_size32 1
		.amdhsa_uses_dynamic_stack 0
		.amdhsa_enable_private_segment 0
		.amdhsa_system_sgpr_workgroup_id_x 1
		.amdhsa_system_sgpr_workgroup_id_y 0
		.amdhsa_system_sgpr_workgroup_id_z 0
		.amdhsa_system_sgpr_workgroup_info 0
		.amdhsa_system_vgpr_workitem_id 0
		.amdhsa_next_free_vgpr 1
		.amdhsa_next_free_sgpr 1
		.amdhsa_reserve_vcc 0
		.amdhsa_float_round_mode_32 0
		.amdhsa_float_round_mode_16_64 0
		.amdhsa_float_denorm_mode_32 3
		.amdhsa_float_denorm_mode_16_64 3
		.amdhsa_dx10_clamp 1
		.amdhsa_ieee_mode 1
		.amdhsa_fp16_overflow 0
		.amdhsa_workgroup_processor_mode 1
		.amdhsa_memory_ordered 1
		.amdhsa_forward_progress 0
		.amdhsa_shared_vgpr_count 0
		.amdhsa_exception_fp_ieee_invalid_op 0
		.amdhsa_exception_fp_denorm_src 0
		.amdhsa_exception_fp_ieee_div_zero 0
		.amdhsa_exception_fp_ieee_overflow 0
		.amdhsa_exception_fp_ieee_underflow 0
		.amdhsa_exception_fp_ieee_inexact 0
		.amdhsa_exception_int_div_zero 0
	.end_amdhsa_kernel
	.section	.text._ZN7rocprim17ROCPRIM_400000_NS6detail17trampoline_kernelINS0_14default_configENS1_25partition_config_selectorILNS1_17partition_subalgoE5ElNS0_10empty_typeEbEEZZNS1_14partition_implILS5_5ELb0ES3_mN6hipcub16HIPCUB_304000_NS21CountingInputIteratorIllEEPS6_NSA_22TransformInputIteratorIbN2at6native12_GLOBAL__N_19NonZeroOpIbEEPKblEENS0_5tupleIJPlS6_EEENSN_IJSD_SD_EEES6_PiJS6_EEE10hipError_tPvRmT3_T4_T5_T6_T7_T9_mT8_P12ihipStream_tbDpT10_ENKUlT_T0_E_clISt17integral_constantIbLb1EES1A_IbLb0EEEEDaS16_S17_EUlS16_E_NS1_11comp_targetILNS1_3genE0ELNS1_11target_archE4294967295ELNS1_3gpuE0ELNS1_3repE0EEENS1_30default_config_static_selectorELNS0_4arch9wavefront6targetE0EEEvT1_,"axG",@progbits,_ZN7rocprim17ROCPRIM_400000_NS6detail17trampoline_kernelINS0_14default_configENS1_25partition_config_selectorILNS1_17partition_subalgoE5ElNS0_10empty_typeEbEEZZNS1_14partition_implILS5_5ELb0ES3_mN6hipcub16HIPCUB_304000_NS21CountingInputIteratorIllEEPS6_NSA_22TransformInputIteratorIbN2at6native12_GLOBAL__N_19NonZeroOpIbEEPKblEENS0_5tupleIJPlS6_EEENSN_IJSD_SD_EEES6_PiJS6_EEE10hipError_tPvRmT3_T4_T5_T6_T7_T9_mT8_P12ihipStream_tbDpT10_ENKUlT_T0_E_clISt17integral_constantIbLb1EES1A_IbLb0EEEEDaS16_S17_EUlS16_E_NS1_11comp_targetILNS1_3genE0ELNS1_11target_archE4294967295ELNS1_3gpuE0ELNS1_3repE0EEENS1_30default_config_static_selectorELNS0_4arch9wavefront6targetE0EEEvT1_,comdat
.Lfunc_end746:
	.size	_ZN7rocprim17ROCPRIM_400000_NS6detail17trampoline_kernelINS0_14default_configENS1_25partition_config_selectorILNS1_17partition_subalgoE5ElNS0_10empty_typeEbEEZZNS1_14partition_implILS5_5ELb0ES3_mN6hipcub16HIPCUB_304000_NS21CountingInputIteratorIllEEPS6_NSA_22TransformInputIteratorIbN2at6native12_GLOBAL__N_19NonZeroOpIbEEPKblEENS0_5tupleIJPlS6_EEENSN_IJSD_SD_EEES6_PiJS6_EEE10hipError_tPvRmT3_T4_T5_T6_T7_T9_mT8_P12ihipStream_tbDpT10_ENKUlT_T0_E_clISt17integral_constantIbLb1EES1A_IbLb0EEEEDaS16_S17_EUlS16_E_NS1_11comp_targetILNS1_3genE0ELNS1_11target_archE4294967295ELNS1_3gpuE0ELNS1_3repE0EEENS1_30default_config_static_selectorELNS0_4arch9wavefront6targetE0EEEvT1_, .Lfunc_end746-_ZN7rocprim17ROCPRIM_400000_NS6detail17trampoline_kernelINS0_14default_configENS1_25partition_config_selectorILNS1_17partition_subalgoE5ElNS0_10empty_typeEbEEZZNS1_14partition_implILS5_5ELb0ES3_mN6hipcub16HIPCUB_304000_NS21CountingInputIteratorIllEEPS6_NSA_22TransformInputIteratorIbN2at6native12_GLOBAL__N_19NonZeroOpIbEEPKblEENS0_5tupleIJPlS6_EEENSN_IJSD_SD_EEES6_PiJS6_EEE10hipError_tPvRmT3_T4_T5_T6_T7_T9_mT8_P12ihipStream_tbDpT10_ENKUlT_T0_E_clISt17integral_constantIbLb1EES1A_IbLb0EEEEDaS16_S17_EUlS16_E_NS1_11comp_targetILNS1_3genE0ELNS1_11target_archE4294967295ELNS1_3gpuE0ELNS1_3repE0EEENS1_30default_config_static_selectorELNS0_4arch9wavefront6targetE0EEEvT1_
                                        ; -- End function
	.section	.AMDGPU.csdata,"",@progbits
; Kernel info:
; codeLenInByte = 0
; NumSgprs: 0
; NumVgprs: 0
; ScratchSize: 0
; MemoryBound: 0
; FloatMode: 240
; IeeeMode: 1
; LDSByteSize: 0 bytes/workgroup (compile time only)
; SGPRBlocks: 0
; VGPRBlocks: 0
; NumSGPRsForWavesPerEU: 1
; NumVGPRsForWavesPerEU: 1
; Occupancy: 16
; WaveLimiterHint : 0
; COMPUTE_PGM_RSRC2:SCRATCH_EN: 0
; COMPUTE_PGM_RSRC2:USER_SGPR: 15
; COMPUTE_PGM_RSRC2:TRAP_HANDLER: 0
; COMPUTE_PGM_RSRC2:TGID_X_EN: 1
; COMPUTE_PGM_RSRC2:TGID_Y_EN: 0
; COMPUTE_PGM_RSRC2:TGID_Z_EN: 0
; COMPUTE_PGM_RSRC2:TIDIG_COMP_CNT: 0
	.section	.text._ZN7rocprim17ROCPRIM_400000_NS6detail17trampoline_kernelINS0_14default_configENS1_25partition_config_selectorILNS1_17partition_subalgoE5ElNS0_10empty_typeEbEEZZNS1_14partition_implILS5_5ELb0ES3_mN6hipcub16HIPCUB_304000_NS21CountingInputIteratorIllEEPS6_NSA_22TransformInputIteratorIbN2at6native12_GLOBAL__N_19NonZeroOpIbEEPKblEENS0_5tupleIJPlS6_EEENSN_IJSD_SD_EEES6_PiJS6_EEE10hipError_tPvRmT3_T4_T5_T6_T7_T9_mT8_P12ihipStream_tbDpT10_ENKUlT_T0_E_clISt17integral_constantIbLb1EES1A_IbLb0EEEEDaS16_S17_EUlS16_E_NS1_11comp_targetILNS1_3genE5ELNS1_11target_archE942ELNS1_3gpuE9ELNS1_3repE0EEENS1_30default_config_static_selectorELNS0_4arch9wavefront6targetE0EEEvT1_,"axG",@progbits,_ZN7rocprim17ROCPRIM_400000_NS6detail17trampoline_kernelINS0_14default_configENS1_25partition_config_selectorILNS1_17partition_subalgoE5ElNS0_10empty_typeEbEEZZNS1_14partition_implILS5_5ELb0ES3_mN6hipcub16HIPCUB_304000_NS21CountingInputIteratorIllEEPS6_NSA_22TransformInputIteratorIbN2at6native12_GLOBAL__N_19NonZeroOpIbEEPKblEENS0_5tupleIJPlS6_EEENSN_IJSD_SD_EEES6_PiJS6_EEE10hipError_tPvRmT3_T4_T5_T6_T7_T9_mT8_P12ihipStream_tbDpT10_ENKUlT_T0_E_clISt17integral_constantIbLb1EES1A_IbLb0EEEEDaS16_S17_EUlS16_E_NS1_11comp_targetILNS1_3genE5ELNS1_11target_archE942ELNS1_3gpuE9ELNS1_3repE0EEENS1_30default_config_static_selectorELNS0_4arch9wavefront6targetE0EEEvT1_,comdat
	.globl	_ZN7rocprim17ROCPRIM_400000_NS6detail17trampoline_kernelINS0_14default_configENS1_25partition_config_selectorILNS1_17partition_subalgoE5ElNS0_10empty_typeEbEEZZNS1_14partition_implILS5_5ELb0ES3_mN6hipcub16HIPCUB_304000_NS21CountingInputIteratorIllEEPS6_NSA_22TransformInputIteratorIbN2at6native12_GLOBAL__N_19NonZeroOpIbEEPKblEENS0_5tupleIJPlS6_EEENSN_IJSD_SD_EEES6_PiJS6_EEE10hipError_tPvRmT3_T4_T5_T6_T7_T9_mT8_P12ihipStream_tbDpT10_ENKUlT_T0_E_clISt17integral_constantIbLb1EES1A_IbLb0EEEEDaS16_S17_EUlS16_E_NS1_11comp_targetILNS1_3genE5ELNS1_11target_archE942ELNS1_3gpuE9ELNS1_3repE0EEENS1_30default_config_static_selectorELNS0_4arch9wavefront6targetE0EEEvT1_ ; -- Begin function _ZN7rocprim17ROCPRIM_400000_NS6detail17trampoline_kernelINS0_14default_configENS1_25partition_config_selectorILNS1_17partition_subalgoE5ElNS0_10empty_typeEbEEZZNS1_14partition_implILS5_5ELb0ES3_mN6hipcub16HIPCUB_304000_NS21CountingInputIteratorIllEEPS6_NSA_22TransformInputIteratorIbN2at6native12_GLOBAL__N_19NonZeroOpIbEEPKblEENS0_5tupleIJPlS6_EEENSN_IJSD_SD_EEES6_PiJS6_EEE10hipError_tPvRmT3_T4_T5_T6_T7_T9_mT8_P12ihipStream_tbDpT10_ENKUlT_T0_E_clISt17integral_constantIbLb1EES1A_IbLb0EEEEDaS16_S17_EUlS16_E_NS1_11comp_targetILNS1_3genE5ELNS1_11target_archE942ELNS1_3gpuE9ELNS1_3repE0EEENS1_30default_config_static_selectorELNS0_4arch9wavefront6targetE0EEEvT1_
	.p2align	8
	.type	_ZN7rocprim17ROCPRIM_400000_NS6detail17trampoline_kernelINS0_14default_configENS1_25partition_config_selectorILNS1_17partition_subalgoE5ElNS0_10empty_typeEbEEZZNS1_14partition_implILS5_5ELb0ES3_mN6hipcub16HIPCUB_304000_NS21CountingInputIteratorIllEEPS6_NSA_22TransformInputIteratorIbN2at6native12_GLOBAL__N_19NonZeroOpIbEEPKblEENS0_5tupleIJPlS6_EEENSN_IJSD_SD_EEES6_PiJS6_EEE10hipError_tPvRmT3_T4_T5_T6_T7_T9_mT8_P12ihipStream_tbDpT10_ENKUlT_T0_E_clISt17integral_constantIbLb1EES1A_IbLb0EEEEDaS16_S17_EUlS16_E_NS1_11comp_targetILNS1_3genE5ELNS1_11target_archE942ELNS1_3gpuE9ELNS1_3repE0EEENS1_30default_config_static_selectorELNS0_4arch9wavefront6targetE0EEEvT1_,@function
_ZN7rocprim17ROCPRIM_400000_NS6detail17trampoline_kernelINS0_14default_configENS1_25partition_config_selectorILNS1_17partition_subalgoE5ElNS0_10empty_typeEbEEZZNS1_14partition_implILS5_5ELb0ES3_mN6hipcub16HIPCUB_304000_NS21CountingInputIteratorIllEEPS6_NSA_22TransformInputIteratorIbN2at6native12_GLOBAL__N_19NonZeroOpIbEEPKblEENS0_5tupleIJPlS6_EEENSN_IJSD_SD_EEES6_PiJS6_EEE10hipError_tPvRmT3_T4_T5_T6_T7_T9_mT8_P12ihipStream_tbDpT10_ENKUlT_T0_E_clISt17integral_constantIbLb1EES1A_IbLb0EEEEDaS16_S17_EUlS16_E_NS1_11comp_targetILNS1_3genE5ELNS1_11target_archE942ELNS1_3gpuE9ELNS1_3repE0EEENS1_30default_config_static_selectorELNS0_4arch9wavefront6targetE0EEEvT1_: ; @_ZN7rocprim17ROCPRIM_400000_NS6detail17trampoline_kernelINS0_14default_configENS1_25partition_config_selectorILNS1_17partition_subalgoE5ElNS0_10empty_typeEbEEZZNS1_14partition_implILS5_5ELb0ES3_mN6hipcub16HIPCUB_304000_NS21CountingInputIteratorIllEEPS6_NSA_22TransformInputIteratorIbN2at6native12_GLOBAL__N_19NonZeroOpIbEEPKblEENS0_5tupleIJPlS6_EEENSN_IJSD_SD_EEES6_PiJS6_EEE10hipError_tPvRmT3_T4_T5_T6_T7_T9_mT8_P12ihipStream_tbDpT10_ENKUlT_T0_E_clISt17integral_constantIbLb1EES1A_IbLb0EEEEDaS16_S17_EUlS16_E_NS1_11comp_targetILNS1_3genE5ELNS1_11target_archE942ELNS1_3gpuE9ELNS1_3repE0EEENS1_30default_config_static_selectorELNS0_4arch9wavefront6targetE0EEEvT1_
; %bb.0:
	.section	.rodata,"a",@progbits
	.p2align	6, 0x0
	.amdhsa_kernel _ZN7rocprim17ROCPRIM_400000_NS6detail17trampoline_kernelINS0_14default_configENS1_25partition_config_selectorILNS1_17partition_subalgoE5ElNS0_10empty_typeEbEEZZNS1_14partition_implILS5_5ELb0ES3_mN6hipcub16HIPCUB_304000_NS21CountingInputIteratorIllEEPS6_NSA_22TransformInputIteratorIbN2at6native12_GLOBAL__N_19NonZeroOpIbEEPKblEENS0_5tupleIJPlS6_EEENSN_IJSD_SD_EEES6_PiJS6_EEE10hipError_tPvRmT3_T4_T5_T6_T7_T9_mT8_P12ihipStream_tbDpT10_ENKUlT_T0_E_clISt17integral_constantIbLb1EES1A_IbLb0EEEEDaS16_S17_EUlS16_E_NS1_11comp_targetILNS1_3genE5ELNS1_11target_archE942ELNS1_3gpuE9ELNS1_3repE0EEENS1_30default_config_static_selectorELNS0_4arch9wavefront6targetE0EEEvT1_
		.amdhsa_group_segment_fixed_size 0
		.amdhsa_private_segment_fixed_size 0
		.amdhsa_kernarg_size 120
		.amdhsa_user_sgpr_count 15
		.amdhsa_user_sgpr_dispatch_ptr 0
		.amdhsa_user_sgpr_queue_ptr 0
		.amdhsa_user_sgpr_kernarg_segment_ptr 1
		.amdhsa_user_sgpr_dispatch_id 0
		.amdhsa_user_sgpr_private_segment_size 0
		.amdhsa_wavefront_size32 1
		.amdhsa_uses_dynamic_stack 0
		.amdhsa_enable_private_segment 0
		.amdhsa_system_sgpr_workgroup_id_x 1
		.amdhsa_system_sgpr_workgroup_id_y 0
		.amdhsa_system_sgpr_workgroup_id_z 0
		.amdhsa_system_sgpr_workgroup_info 0
		.amdhsa_system_vgpr_workitem_id 0
		.amdhsa_next_free_vgpr 1
		.amdhsa_next_free_sgpr 1
		.amdhsa_reserve_vcc 0
		.amdhsa_float_round_mode_32 0
		.amdhsa_float_round_mode_16_64 0
		.amdhsa_float_denorm_mode_32 3
		.amdhsa_float_denorm_mode_16_64 3
		.amdhsa_dx10_clamp 1
		.amdhsa_ieee_mode 1
		.amdhsa_fp16_overflow 0
		.amdhsa_workgroup_processor_mode 1
		.amdhsa_memory_ordered 1
		.amdhsa_forward_progress 0
		.amdhsa_shared_vgpr_count 0
		.amdhsa_exception_fp_ieee_invalid_op 0
		.amdhsa_exception_fp_denorm_src 0
		.amdhsa_exception_fp_ieee_div_zero 0
		.amdhsa_exception_fp_ieee_overflow 0
		.amdhsa_exception_fp_ieee_underflow 0
		.amdhsa_exception_fp_ieee_inexact 0
		.amdhsa_exception_int_div_zero 0
	.end_amdhsa_kernel
	.section	.text._ZN7rocprim17ROCPRIM_400000_NS6detail17trampoline_kernelINS0_14default_configENS1_25partition_config_selectorILNS1_17partition_subalgoE5ElNS0_10empty_typeEbEEZZNS1_14partition_implILS5_5ELb0ES3_mN6hipcub16HIPCUB_304000_NS21CountingInputIteratorIllEEPS6_NSA_22TransformInputIteratorIbN2at6native12_GLOBAL__N_19NonZeroOpIbEEPKblEENS0_5tupleIJPlS6_EEENSN_IJSD_SD_EEES6_PiJS6_EEE10hipError_tPvRmT3_T4_T5_T6_T7_T9_mT8_P12ihipStream_tbDpT10_ENKUlT_T0_E_clISt17integral_constantIbLb1EES1A_IbLb0EEEEDaS16_S17_EUlS16_E_NS1_11comp_targetILNS1_3genE5ELNS1_11target_archE942ELNS1_3gpuE9ELNS1_3repE0EEENS1_30default_config_static_selectorELNS0_4arch9wavefront6targetE0EEEvT1_,"axG",@progbits,_ZN7rocprim17ROCPRIM_400000_NS6detail17trampoline_kernelINS0_14default_configENS1_25partition_config_selectorILNS1_17partition_subalgoE5ElNS0_10empty_typeEbEEZZNS1_14partition_implILS5_5ELb0ES3_mN6hipcub16HIPCUB_304000_NS21CountingInputIteratorIllEEPS6_NSA_22TransformInputIteratorIbN2at6native12_GLOBAL__N_19NonZeroOpIbEEPKblEENS0_5tupleIJPlS6_EEENSN_IJSD_SD_EEES6_PiJS6_EEE10hipError_tPvRmT3_T4_T5_T6_T7_T9_mT8_P12ihipStream_tbDpT10_ENKUlT_T0_E_clISt17integral_constantIbLb1EES1A_IbLb0EEEEDaS16_S17_EUlS16_E_NS1_11comp_targetILNS1_3genE5ELNS1_11target_archE942ELNS1_3gpuE9ELNS1_3repE0EEENS1_30default_config_static_selectorELNS0_4arch9wavefront6targetE0EEEvT1_,comdat
.Lfunc_end747:
	.size	_ZN7rocprim17ROCPRIM_400000_NS6detail17trampoline_kernelINS0_14default_configENS1_25partition_config_selectorILNS1_17partition_subalgoE5ElNS0_10empty_typeEbEEZZNS1_14partition_implILS5_5ELb0ES3_mN6hipcub16HIPCUB_304000_NS21CountingInputIteratorIllEEPS6_NSA_22TransformInputIteratorIbN2at6native12_GLOBAL__N_19NonZeroOpIbEEPKblEENS0_5tupleIJPlS6_EEENSN_IJSD_SD_EEES6_PiJS6_EEE10hipError_tPvRmT3_T4_T5_T6_T7_T9_mT8_P12ihipStream_tbDpT10_ENKUlT_T0_E_clISt17integral_constantIbLb1EES1A_IbLb0EEEEDaS16_S17_EUlS16_E_NS1_11comp_targetILNS1_3genE5ELNS1_11target_archE942ELNS1_3gpuE9ELNS1_3repE0EEENS1_30default_config_static_selectorELNS0_4arch9wavefront6targetE0EEEvT1_, .Lfunc_end747-_ZN7rocprim17ROCPRIM_400000_NS6detail17trampoline_kernelINS0_14default_configENS1_25partition_config_selectorILNS1_17partition_subalgoE5ElNS0_10empty_typeEbEEZZNS1_14partition_implILS5_5ELb0ES3_mN6hipcub16HIPCUB_304000_NS21CountingInputIteratorIllEEPS6_NSA_22TransformInputIteratorIbN2at6native12_GLOBAL__N_19NonZeroOpIbEEPKblEENS0_5tupleIJPlS6_EEENSN_IJSD_SD_EEES6_PiJS6_EEE10hipError_tPvRmT3_T4_T5_T6_T7_T9_mT8_P12ihipStream_tbDpT10_ENKUlT_T0_E_clISt17integral_constantIbLb1EES1A_IbLb0EEEEDaS16_S17_EUlS16_E_NS1_11comp_targetILNS1_3genE5ELNS1_11target_archE942ELNS1_3gpuE9ELNS1_3repE0EEENS1_30default_config_static_selectorELNS0_4arch9wavefront6targetE0EEEvT1_
                                        ; -- End function
	.section	.AMDGPU.csdata,"",@progbits
; Kernel info:
; codeLenInByte = 0
; NumSgprs: 0
; NumVgprs: 0
; ScratchSize: 0
; MemoryBound: 0
; FloatMode: 240
; IeeeMode: 1
; LDSByteSize: 0 bytes/workgroup (compile time only)
; SGPRBlocks: 0
; VGPRBlocks: 0
; NumSGPRsForWavesPerEU: 1
; NumVGPRsForWavesPerEU: 1
; Occupancy: 16
; WaveLimiterHint : 0
; COMPUTE_PGM_RSRC2:SCRATCH_EN: 0
; COMPUTE_PGM_RSRC2:USER_SGPR: 15
; COMPUTE_PGM_RSRC2:TRAP_HANDLER: 0
; COMPUTE_PGM_RSRC2:TGID_X_EN: 1
; COMPUTE_PGM_RSRC2:TGID_Y_EN: 0
; COMPUTE_PGM_RSRC2:TGID_Z_EN: 0
; COMPUTE_PGM_RSRC2:TIDIG_COMP_CNT: 0
	.section	.text._ZN7rocprim17ROCPRIM_400000_NS6detail17trampoline_kernelINS0_14default_configENS1_25partition_config_selectorILNS1_17partition_subalgoE5ElNS0_10empty_typeEbEEZZNS1_14partition_implILS5_5ELb0ES3_mN6hipcub16HIPCUB_304000_NS21CountingInputIteratorIllEEPS6_NSA_22TransformInputIteratorIbN2at6native12_GLOBAL__N_19NonZeroOpIbEEPKblEENS0_5tupleIJPlS6_EEENSN_IJSD_SD_EEES6_PiJS6_EEE10hipError_tPvRmT3_T4_T5_T6_T7_T9_mT8_P12ihipStream_tbDpT10_ENKUlT_T0_E_clISt17integral_constantIbLb1EES1A_IbLb0EEEEDaS16_S17_EUlS16_E_NS1_11comp_targetILNS1_3genE4ELNS1_11target_archE910ELNS1_3gpuE8ELNS1_3repE0EEENS1_30default_config_static_selectorELNS0_4arch9wavefront6targetE0EEEvT1_,"axG",@progbits,_ZN7rocprim17ROCPRIM_400000_NS6detail17trampoline_kernelINS0_14default_configENS1_25partition_config_selectorILNS1_17partition_subalgoE5ElNS0_10empty_typeEbEEZZNS1_14partition_implILS5_5ELb0ES3_mN6hipcub16HIPCUB_304000_NS21CountingInputIteratorIllEEPS6_NSA_22TransformInputIteratorIbN2at6native12_GLOBAL__N_19NonZeroOpIbEEPKblEENS0_5tupleIJPlS6_EEENSN_IJSD_SD_EEES6_PiJS6_EEE10hipError_tPvRmT3_T4_T5_T6_T7_T9_mT8_P12ihipStream_tbDpT10_ENKUlT_T0_E_clISt17integral_constantIbLb1EES1A_IbLb0EEEEDaS16_S17_EUlS16_E_NS1_11comp_targetILNS1_3genE4ELNS1_11target_archE910ELNS1_3gpuE8ELNS1_3repE0EEENS1_30default_config_static_selectorELNS0_4arch9wavefront6targetE0EEEvT1_,comdat
	.globl	_ZN7rocprim17ROCPRIM_400000_NS6detail17trampoline_kernelINS0_14default_configENS1_25partition_config_selectorILNS1_17partition_subalgoE5ElNS0_10empty_typeEbEEZZNS1_14partition_implILS5_5ELb0ES3_mN6hipcub16HIPCUB_304000_NS21CountingInputIteratorIllEEPS6_NSA_22TransformInputIteratorIbN2at6native12_GLOBAL__N_19NonZeroOpIbEEPKblEENS0_5tupleIJPlS6_EEENSN_IJSD_SD_EEES6_PiJS6_EEE10hipError_tPvRmT3_T4_T5_T6_T7_T9_mT8_P12ihipStream_tbDpT10_ENKUlT_T0_E_clISt17integral_constantIbLb1EES1A_IbLb0EEEEDaS16_S17_EUlS16_E_NS1_11comp_targetILNS1_3genE4ELNS1_11target_archE910ELNS1_3gpuE8ELNS1_3repE0EEENS1_30default_config_static_selectorELNS0_4arch9wavefront6targetE0EEEvT1_ ; -- Begin function _ZN7rocprim17ROCPRIM_400000_NS6detail17trampoline_kernelINS0_14default_configENS1_25partition_config_selectorILNS1_17partition_subalgoE5ElNS0_10empty_typeEbEEZZNS1_14partition_implILS5_5ELb0ES3_mN6hipcub16HIPCUB_304000_NS21CountingInputIteratorIllEEPS6_NSA_22TransformInputIteratorIbN2at6native12_GLOBAL__N_19NonZeroOpIbEEPKblEENS0_5tupleIJPlS6_EEENSN_IJSD_SD_EEES6_PiJS6_EEE10hipError_tPvRmT3_T4_T5_T6_T7_T9_mT8_P12ihipStream_tbDpT10_ENKUlT_T0_E_clISt17integral_constantIbLb1EES1A_IbLb0EEEEDaS16_S17_EUlS16_E_NS1_11comp_targetILNS1_3genE4ELNS1_11target_archE910ELNS1_3gpuE8ELNS1_3repE0EEENS1_30default_config_static_selectorELNS0_4arch9wavefront6targetE0EEEvT1_
	.p2align	8
	.type	_ZN7rocprim17ROCPRIM_400000_NS6detail17trampoline_kernelINS0_14default_configENS1_25partition_config_selectorILNS1_17partition_subalgoE5ElNS0_10empty_typeEbEEZZNS1_14partition_implILS5_5ELb0ES3_mN6hipcub16HIPCUB_304000_NS21CountingInputIteratorIllEEPS6_NSA_22TransformInputIteratorIbN2at6native12_GLOBAL__N_19NonZeroOpIbEEPKblEENS0_5tupleIJPlS6_EEENSN_IJSD_SD_EEES6_PiJS6_EEE10hipError_tPvRmT3_T4_T5_T6_T7_T9_mT8_P12ihipStream_tbDpT10_ENKUlT_T0_E_clISt17integral_constantIbLb1EES1A_IbLb0EEEEDaS16_S17_EUlS16_E_NS1_11comp_targetILNS1_3genE4ELNS1_11target_archE910ELNS1_3gpuE8ELNS1_3repE0EEENS1_30default_config_static_selectorELNS0_4arch9wavefront6targetE0EEEvT1_,@function
_ZN7rocprim17ROCPRIM_400000_NS6detail17trampoline_kernelINS0_14default_configENS1_25partition_config_selectorILNS1_17partition_subalgoE5ElNS0_10empty_typeEbEEZZNS1_14partition_implILS5_5ELb0ES3_mN6hipcub16HIPCUB_304000_NS21CountingInputIteratorIllEEPS6_NSA_22TransformInputIteratorIbN2at6native12_GLOBAL__N_19NonZeroOpIbEEPKblEENS0_5tupleIJPlS6_EEENSN_IJSD_SD_EEES6_PiJS6_EEE10hipError_tPvRmT3_T4_T5_T6_T7_T9_mT8_P12ihipStream_tbDpT10_ENKUlT_T0_E_clISt17integral_constantIbLb1EES1A_IbLb0EEEEDaS16_S17_EUlS16_E_NS1_11comp_targetILNS1_3genE4ELNS1_11target_archE910ELNS1_3gpuE8ELNS1_3repE0EEENS1_30default_config_static_selectorELNS0_4arch9wavefront6targetE0EEEvT1_: ; @_ZN7rocprim17ROCPRIM_400000_NS6detail17trampoline_kernelINS0_14default_configENS1_25partition_config_selectorILNS1_17partition_subalgoE5ElNS0_10empty_typeEbEEZZNS1_14partition_implILS5_5ELb0ES3_mN6hipcub16HIPCUB_304000_NS21CountingInputIteratorIllEEPS6_NSA_22TransformInputIteratorIbN2at6native12_GLOBAL__N_19NonZeroOpIbEEPKblEENS0_5tupleIJPlS6_EEENSN_IJSD_SD_EEES6_PiJS6_EEE10hipError_tPvRmT3_T4_T5_T6_T7_T9_mT8_P12ihipStream_tbDpT10_ENKUlT_T0_E_clISt17integral_constantIbLb1EES1A_IbLb0EEEEDaS16_S17_EUlS16_E_NS1_11comp_targetILNS1_3genE4ELNS1_11target_archE910ELNS1_3gpuE8ELNS1_3repE0EEENS1_30default_config_static_selectorELNS0_4arch9wavefront6targetE0EEEvT1_
; %bb.0:
	.section	.rodata,"a",@progbits
	.p2align	6, 0x0
	.amdhsa_kernel _ZN7rocprim17ROCPRIM_400000_NS6detail17trampoline_kernelINS0_14default_configENS1_25partition_config_selectorILNS1_17partition_subalgoE5ElNS0_10empty_typeEbEEZZNS1_14partition_implILS5_5ELb0ES3_mN6hipcub16HIPCUB_304000_NS21CountingInputIteratorIllEEPS6_NSA_22TransformInputIteratorIbN2at6native12_GLOBAL__N_19NonZeroOpIbEEPKblEENS0_5tupleIJPlS6_EEENSN_IJSD_SD_EEES6_PiJS6_EEE10hipError_tPvRmT3_T4_T5_T6_T7_T9_mT8_P12ihipStream_tbDpT10_ENKUlT_T0_E_clISt17integral_constantIbLb1EES1A_IbLb0EEEEDaS16_S17_EUlS16_E_NS1_11comp_targetILNS1_3genE4ELNS1_11target_archE910ELNS1_3gpuE8ELNS1_3repE0EEENS1_30default_config_static_selectorELNS0_4arch9wavefront6targetE0EEEvT1_
		.amdhsa_group_segment_fixed_size 0
		.amdhsa_private_segment_fixed_size 0
		.amdhsa_kernarg_size 120
		.amdhsa_user_sgpr_count 15
		.amdhsa_user_sgpr_dispatch_ptr 0
		.amdhsa_user_sgpr_queue_ptr 0
		.amdhsa_user_sgpr_kernarg_segment_ptr 1
		.amdhsa_user_sgpr_dispatch_id 0
		.amdhsa_user_sgpr_private_segment_size 0
		.amdhsa_wavefront_size32 1
		.amdhsa_uses_dynamic_stack 0
		.amdhsa_enable_private_segment 0
		.amdhsa_system_sgpr_workgroup_id_x 1
		.amdhsa_system_sgpr_workgroup_id_y 0
		.amdhsa_system_sgpr_workgroup_id_z 0
		.amdhsa_system_sgpr_workgroup_info 0
		.amdhsa_system_vgpr_workitem_id 0
		.amdhsa_next_free_vgpr 1
		.amdhsa_next_free_sgpr 1
		.amdhsa_reserve_vcc 0
		.amdhsa_float_round_mode_32 0
		.amdhsa_float_round_mode_16_64 0
		.amdhsa_float_denorm_mode_32 3
		.amdhsa_float_denorm_mode_16_64 3
		.amdhsa_dx10_clamp 1
		.amdhsa_ieee_mode 1
		.amdhsa_fp16_overflow 0
		.amdhsa_workgroup_processor_mode 1
		.amdhsa_memory_ordered 1
		.amdhsa_forward_progress 0
		.amdhsa_shared_vgpr_count 0
		.amdhsa_exception_fp_ieee_invalid_op 0
		.amdhsa_exception_fp_denorm_src 0
		.amdhsa_exception_fp_ieee_div_zero 0
		.amdhsa_exception_fp_ieee_overflow 0
		.amdhsa_exception_fp_ieee_underflow 0
		.amdhsa_exception_fp_ieee_inexact 0
		.amdhsa_exception_int_div_zero 0
	.end_amdhsa_kernel
	.section	.text._ZN7rocprim17ROCPRIM_400000_NS6detail17trampoline_kernelINS0_14default_configENS1_25partition_config_selectorILNS1_17partition_subalgoE5ElNS0_10empty_typeEbEEZZNS1_14partition_implILS5_5ELb0ES3_mN6hipcub16HIPCUB_304000_NS21CountingInputIteratorIllEEPS6_NSA_22TransformInputIteratorIbN2at6native12_GLOBAL__N_19NonZeroOpIbEEPKblEENS0_5tupleIJPlS6_EEENSN_IJSD_SD_EEES6_PiJS6_EEE10hipError_tPvRmT3_T4_T5_T6_T7_T9_mT8_P12ihipStream_tbDpT10_ENKUlT_T0_E_clISt17integral_constantIbLb1EES1A_IbLb0EEEEDaS16_S17_EUlS16_E_NS1_11comp_targetILNS1_3genE4ELNS1_11target_archE910ELNS1_3gpuE8ELNS1_3repE0EEENS1_30default_config_static_selectorELNS0_4arch9wavefront6targetE0EEEvT1_,"axG",@progbits,_ZN7rocprim17ROCPRIM_400000_NS6detail17trampoline_kernelINS0_14default_configENS1_25partition_config_selectorILNS1_17partition_subalgoE5ElNS0_10empty_typeEbEEZZNS1_14partition_implILS5_5ELb0ES3_mN6hipcub16HIPCUB_304000_NS21CountingInputIteratorIllEEPS6_NSA_22TransformInputIteratorIbN2at6native12_GLOBAL__N_19NonZeroOpIbEEPKblEENS0_5tupleIJPlS6_EEENSN_IJSD_SD_EEES6_PiJS6_EEE10hipError_tPvRmT3_T4_T5_T6_T7_T9_mT8_P12ihipStream_tbDpT10_ENKUlT_T0_E_clISt17integral_constantIbLb1EES1A_IbLb0EEEEDaS16_S17_EUlS16_E_NS1_11comp_targetILNS1_3genE4ELNS1_11target_archE910ELNS1_3gpuE8ELNS1_3repE0EEENS1_30default_config_static_selectorELNS0_4arch9wavefront6targetE0EEEvT1_,comdat
.Lfunc_end748:
	.size	_ZN7rocprim17ROCPRIM_400000_NS6detail17trampoline_kernelINS0_14default_configENS1_25partition_config_selectorILNS1_17partition_subalgoE5ElNS0_10empty_typeEbEEZZNS1_14partition_implILS5_5ELb0ES3_mN6hipcub16HIPCUB_304000_NS21CountingInputIteratorIllEEPS6_NSA_22TransformInputIteratorIbN2at6native12_GLOBAL__N_19NonZeroOpIbEEPKblEENS0_5tupleIJPlS6_EEENSN_IJSD_SD_EEES6_PiJS6_EEE10hipError_tPvRmT3_T4_T5_T6_T7_T9_mT8_P12ihipStream_tbDpT10_ENKUlT_T0_E_clISt17integral_constantIbLb1EES1A_IbLb0EEEEDaS16_S17_EUlS16_E_NS1_11comp_targetILNS1_3genE4ELNS1_11target_archE910ELNS1_3gpuE8ELNS1_3repE0EEENS1_30default_config_static_selectorELNS0_4arch9wavefront6targetE0EEEvT1_, .Lfunc_end748-_ZN7rocprim17ROCPRIM_400000_NS6detail17trampoline_kernelINS0_14default_configENS1_25partition_config_selectorILNS1_17partition_subalgoE5ElNS0_10empty_typeEbEEZZNS1_14partition_implILS5_5ELb0ES3_mN6hipcub16HIPCUB_304000_NS21CountingInputIteratorIllEEPS6_NSA_22TransformInputIteratorIbN2at6native12_GLOBAL__N_19NonZeroOpIbEEPKblEENS0_5tupleIJPlS6_EEENSN_IJSD_SD_EEES6_PiJS6_EEE10hipError_tPvRmT3_T4_T5_T6_T7_T9_mT8_P12ihipStream_tbDpT10_ENKUlT_T0_E_clISt17integral_constantIbLb1EES1A_IbLb0EEEEDaS16_S17_EUlS16_E_NS1_11comp_targetILNS1_3genE4ELNS1_11target_archE910ELNS1_3gpuE8ELNS1_3repE0EEENS1_30default_config_static_selectorELNS0_4arch9wavefront6targetE0EEEvT1_
                                        ; -- End function
	.section	.AMDGPU.csdata,"",@progbits
; Kernel info:
; codeLenInByte = 0
; NumSgprs: 0
; NumVgprs: 0
; ScratchSize: 0
; MemoryBound: 0
; FloatMode: 240
; IeeeMode: 1
; LDSByteSize: 0 bytes/workgroup (compile time only)
; SGPRBlocks: 0
; VGPRBlocks: 0
; NumSGPRsForWavesPerEU: 1
; NumVGPRsForWavesPerEU: 1
; Occupancy: 15
; WaveLimiterHint : 0
; COMPUTE_PGM_RSRC2:SCRATCH_EN: 0
; COMPUTE_PGM_RSRC2:USER_SGPR: 15
; COMPUTE_PGM_RSRC2:TRAP_HANDLER: 0
; COMPUTE_PGM_RSRC2:TGID_X_EN: 1
; COMPUTE_PGM_RSRC2:TGID_Y_EN: 0
; COMPUTE_PGM_RSRC2:TGID_Z_EN: 0
; COMPUTE_PGM_RSRC2:TIDIG_COMP_CNT: 0
	.section	.text._ZN7rocprim17ROCPRIM_400000_NS6detail17trampoline_kernelINS0_14default_configENS1_25partition_config_selectorILNS1_17partition_subalgoE5ElNS0_10empty_typeEbEEZZNS1_14partition_implILS5_5ELb0ES3_mN6hipcub16HIPCUB_304000_NS21CountingInputIteratorIllEEPS6_NSA_22TransformInputIteratorIbN2at6native12_GLOBAL__N_19NonZeroOpIbEEPKblEENS0_5tupleIJPlS6_EEENSN_IJSD_SD_EEES6_PiJS6_EEE10hipError_tPvRmT3_T4_T5_T6_T7_T9_mT8_P12ihipStream_tbDpT10_ENKUlT_T0_E_clISt17integral_constantIbLb1EES1A_IbLb0EEEEDaS16_S17_EUlS16_E_NS1_11comp_targetILNS1_3genE3ELNS1_11target_archE908ELNS1_3gpuE7ELNS1_3repE0EEENS1_30default_config_static_selectorELNS0_4arch9wavefront6targetE0EEEvT1_,"axG",@progbits,_ZN7rocprim17ROCPRIM_400000_NS6detail17trampoline_kernelINS0_14default_configENS1_25partition_config_selectorILNS1_17partition_subalgoE5ElNS0_10empty_typeEbEEZZNS1_14partition_implILS5_5ELb0ES3_mN6hipcub16HIPCUB_304000_NS21CountingInputIteratorIllEEPS6_NSA_22TransformInputIteratorIbN2at6native12_GLOBAL__N_19NonZeroOpIbEEPKblEENS0_5tupleIJPlS6_EEENSN_IJSD_SD_EEES6_PiJS6_EEE10hipError_tPvRmT3_T4_T5_T6_T7_T9_mT8_P12ihipStream_tbDpT10_ENKUlT_T0_E_clISt17integral_constantIbLb1EES1A_IbLb0EEEEDaS16_S17_EUlS16_E_NS1_11comp_targetILNS1_3genE3ELNS1_11target_archE908ELNS1_3gpuE7ELNS1_3repE0EEENS1_30default_config_static_selectorELNS0_4arch9wavefront6targetE0EEEvT1_,comdat
	.globl	_ZN7rocprim17ROCPRIM_400000_NS6detail17trampoline_kernelINS0_14default_configENS1_25partition_config_selectorILNS1_17partition_subalgoE5ElNS0_10empty_typeEbEEZZNS1_14partition_implILS5_5ELb0ES3_mN6hipcub16HIPCUB_304000_NS21CountingInputIteratorIllEEPS6_NSA_22TransformInputIteratorIbN2at6native12_GLOBAL__N_19NonZeroOpIbEEPKblEENS0_5tupleIJPlS6_EEENSN_IJSD_SD_EEES6_PiJS6_EEE10hipError_tPvRmT3_T4_T5_T6_T7_T9_mT8_P12ihipStream_tbDpT10_ENKUlT_T0_E_clISt17integral_constantIbLb1EES1A_IbLb0EEEEDaS16_S17_EUlS16_E_NS1_11comp_targetILNS1_3genE3ELNS1_11target_archE908ELNS1_3gpuE7ELNS1_3repE0EEENS1_30default_config_static_selectorELNS0_4arch9wavefront6targetE0EEEvT1_ ; -- Begin function _ZN7rocprim17ROCPRIM_400000_NS6detail17trampoline_kernelINS0_14default_configENS1_25partition_config_selectorILNS1_17partition_subalgoE5ElNS0_10empty_typeEbEEZZNS1_14partition_implILS5_5ELb0ES3_mN6hipcub16HIPCUB_304000_NS21CountingInputIteratorIllEEPS6_NSA_22TransformInputIteratorIbN2at6native12_GLOBAL__N_19NonZeroOpIbEEPKblEENS0_5tupleIJPlS6_EEENSN_IJSD_SD_EEES6_PiJS6_EEE10hipError_tPvRmT3_T4_T5_T6_T7_T9_mT8_P12ihipStream_tbDpT10_ENKUlT_T0_E_clISt17integral_constantIbLb1EES1A_IbLb0EEEEDaS16_S17_EUlS16_E_NS1_11comp_targetILNS1_3genE3ELNS1_11target_archE908ELNS1_3gpuE7ELNS1_3repE0EEENS1_30default_config_static_selectorELNS0_4arch9wavefront6targetE0EEEvT1_
	.p2align	8
	.type	_ZN7rocprim17ROCPRIM_400000_NS6detail17trampoline_kernelINS0_14default_configENS1_25partition_config_selectorILNS1_17partition_subalgoE5ElNS0_10empty_typeEbEEZZNS1_14partition_implILS5_5ELb0ES3_mN6hipcub16HIPCUB_304000_NS21CountingInputIteratorIllEEPS6_NSA_22TransformInputIteratorIbN2at6native12_GLOBAL__N_19NonZeroOpIbEEPKblEENS0_5tupleIJPlS6_EEENSN_IJSD_SD_EEES6_PiJS6_EEE10hipError_tPvRmT3_T4_T5_T6_T7_T9_mT8_P12ihipStream_tbDpT10_ENKUlT_T0_E_clISt17integral_constantIbLb1EES1A_IbLb0EEEEDaS16_S17_EUlS16_E_NS1_11comp_targetILNS1_3genE3ELNS1_11target_archE908ELNS1_3gpuE7ELNS1_3repE0EEENS1_30default_config_static_selectorELNS0_4arch9wavefront6targetE0EEEvT1_,@function
_ZN7rocprim17ROCPRIM_400000_NS6detail17trampoline_kernelINS0_14default_configENS1_25partition_config_selectorILNS1_17partition_subalgoE5ElNS0_10empty_typeEbEEZZNS1_14partition_implILS5_5ELb0ES3_mN6hipcub16HIPCUB_304000_NS21CountingInputIteratorIllEEPS6_NSA_22TransformInputIteratorIbN2at6native12_GLOBAL__N_19NonZeroOpIbEEPKblEENS0_5tupleIJPlS6_EEENSN_IJSD_SD_EEES6_PiJS6_EEE10hipError_tPvRmT3_T4_T5_T6_T7_T9_mT8_P12ihipStream_tbDpT10_ENKUlT_T0_E_clISt17integral_constantIbLb1EES1A_IbLb0EEEEDaS16_S17_EUlS16_E_NS1_11comp_targetILNS1_3genE3ELNS1_11target_archE908ELNS1_3gpuE7ELNS1_3repE0EEENS1_30default_config_static_selectorELNS0_4arch9wavefront6targetE0EEEvT1_: ; @_ZN7rocprim17ROCPRIM_400000_NS6detail17trampoline_kernelINS0_14default_configENS1_25partition_config_selectorILNS1_17partition_subalgoE5ElNS0_10empty_typeEbEEZZNS1_14partition_implILS5_5ELb0ES3_mN6hipcub16HIPCUB_304000_NS21CountingInputIteratorIllEEPS6_NSA_22TransformInputIteratorIbN2at6native12_GLOBAL__N_19NonZeroOpIbEEPKblEENS0_5tupleIJPlS6_EEENSN_IJSD_SD_EEES6_PiJS6_EEE10hipError_tPvRmT3_T4_T5_T6_T7_T9_mT8_P12ihipStream_tbDpT10_ENKUlT_T0_E_clISt17integral_constantIbLb1EES1A_IbLb0EEEEDaS16_S17_EUlS16_E_NS1_11comp_targetILNS1_3genE3ELNS1_11target_archE908ELNS1_3gpuE7ELNS1_3repE0EEENS1_30default_config_static_selectorELNS0_4arch9wavefront6targetE0EEEvT1_
; %bb.0:
	.section	.rodata,"a",@progbits
	.p2align	6, 0x0
	.amdhsa_kernel _ZN7rocprim17ROCPRIM_400000_NS6detail17trampoline_kernelINS0_14default_configENS1_25partition_config_selectorILNS1_17partition_subalgoE5ElNS0_10empty_typeEbEEZZNS1_14partition_implILS5_5ELb0ES3_mN6hipcub16HIPCUB_304000_NS21CountingInputIteratorIllEEPS6_NSA_22TransformInputIteratorIbN2at6native12_GLOBAL__N_19NonZeroOpIbEEPKblEENS0_5tupleIJPlS6_EEENSN_IJSD_SD_EEES6_PiJS6_EEE10hipError_tPvRmT3_T4_T5_T6_T7_T9_mT8_P12ihipStream_tbDpT10_ENKUlT_T0_E_clISt17integral_constantIbLb1EES1A_IbLb0EEEEDaS16_S17_EUlS16_E_NS1_11comp_targetILNS1_3genE3ELNS1_11target_archE908ELNS1_3gpuE7ELNS1_3repE0EEENS1_30default_config_static_selectorELNS0_4arch9wavefront6targetE0EEEvT1_
		.amdhsa_group_segment_fixed_size 0
		.amdhsa_private_segment_fixed_size 0
		.amdhsa_kernarg_size 120
		.amdhsa_user_sgpr_count 15
		.amdhsa_user_sgpr_dispatch_ptr 0
		.amdhsa_user_sgpr_queue_ptr 0
		.amdhsa_user_sgpr_kernarg_segment_ptr 1
		.amdhsa_user_sgpr_dispatch_id 0
		.amdhsa_user_sgpr_private_segment_size 0
		.amdhsa_wavefront_size32 1
		.amdhsa_uses_dynamic_stack 0
		.amdhsa_enable_private_segment 0
		.amdhsa_system_sgpr_workgroup_id_x 1
		.amdhsa_system_sgpr_workgroup_id_y 0
		.amdhsa_system_sgpr_workgroup_id_z 0
		.amdhsa_system_sgpr_workgroup_info 0
		.amdhsa_system_vgpr_workitem_id 0
		.amdhsa_next_free_vgpr 1
		.amdhsa_next_free_sgpr 1
		.amdhsa_reserve_vcc 0
		.amdhsa_float_round_mode_32 0
		.amdhsa_float_round_mode_16_64 0
		.amdhsa_float_denorm_mode_32 3
		.amdhsa_float_denorm_mode_16_64 3
		.amdhsa_dx10_clamp 1
		.amdhsa_ieee_mode 1
		.amdhsa_fp16_overflow 0
		.amdhsa_workgroup_processor_mode 1
		.amdhsa_memory_ordered 1
		.amdhsa_forward_progress 0
		.amdhsa_shared_vgpr_count 0
		.amdhsa_exception_fp_ieee_invalid_op 0
		.amdhsa_exception_fp_denorm_src 0
		.amdhsa_exception_fp_ieee_div_zero 0
		.amdhsa_exception_fp_ieee_overflow 0
		.amdhsa_exception_fp_ieee_underflow 0
		.amdhsa_exception_fp_ieee_inexact 0
		.amdhsa_exception_int_div_zero 0
	.end_amdhsa_kernel
	.section	.text._ZN7rocprim17ROCPRIM_400000_NS6detail17trampoline_kernelINS0_14default_configENS1_25partition_config_selectorILNS1_17partition_subalgoE5ElNS0_10empty_typeEbEEZZNS1_14partition_implILS5_5ELb0ES3_mN6hipcub16HIPCUB_304000_NS21CountingInputIteratorIllEEPS6_NSA_22TransformInputIteratorIbN2at6native12_GLOBAL__N_19NonZeroOpIbEEPKblEENS0_5tupleIJPlS6_EEENSN_IJSD_SD_EEES6_PiJS6_EEE10hipError_tPvRmT3_T4_T5_T6_T7_T9_mT8_P12ihipStream_tbDpT10_ENKUlT_T0_E_clISt17integral_constantIbLb1EES1A_IbLb0EEEEDaS16_S17_EUlS16_E_NS1_11comp_targetILNS1_3genE3ELNS1_11target_archE908ELNS1_3gpuE7ELNS1_3repE0EEENS1_30default_config_static_selectorELNS0_4arch9wavefront6targetE0EEEvT1_,"axG",@progbits,_ZN7rocprim17ROCPRIM_400000_NS6detail17trampoline_kernelINS0_14default_configENS1_25partition_config_selectorILNS1_17partition_subalgoE5ElNS0_10empty_typeEbEEZZNS1_14partition_implILS5_5ELb0ES3_mN6hipcub16HIPCUB_304000_NS21CountingInputIteratorIllEEPS6_NSA_22TransformInputIteratorIbN2at6native12_GLOBAL__N_19NonZeroOpIbEEPKblEENS0_5tupleIJPlS6_EEENSN_IJSD_SD_EEES6_PiJS6_EEE10hipError_tPvRmT3_T4_T5_T6_T7_T9_mT8_P12ihipStream_tbDpT10_ENKUlT_T0_E_clISt17integral_constantIbLb1EES1A_IbLb0EEEEDaS16_S17_EUlS16_E_NS1_11comp_targetILNS1_3genE3ELNS1_11target_archE908ELNS1_3gpuE7ELNS1_3repE0EEENS1_30default_config_static_selectorELNS0_4arch9wavefront6targetE0EEEvT1_,comdat
.Lfunc_end749:
	.size	_ZN7rocprim17ROCPRIM_400000_NS6detail17trampoline_kernelINS0_14default_configENS1_25partition_config_selectorILNS1_17partition_subalgoE5ElNS0_10empty_typeEbEEZZNS1_14partition_implILS5_5ELb0ES3_mN6hipcub16HIPCUB_304000_NS21CountingInputIteratorIllEEPS6_NSA_22TransformInputIteratorIbN2at6native12_GLOBAL__N_19NonZeroOpIbEEPKblEENS0_5tupleIJPlS6_EEENSN_IJSD_SD_EEES6_PiJS6_EEE10hipError_tPvRmT3_T4_T5_T6_T7_T9_mT8_P12ihipStream_tbDpT10_ENKUlT_T0_E_clISt17integral_constantIbLb1EES1A_IbLb0EEEEDaS16_S17_EUlS16_E_NS1_11comp_targetILNS1_3genE3ELNS1_11target_archE908ELNS1_3gpuE7ELNS1_3repE0EEENS1_30default_config_static_selectorELNS0_4arch9wavefront6targetE0EEEvT1_, .Lfunc_end749-_ZN7rocprim17ROCPRIM_400000_NS6detail17trampoline_kernelINS0_14default_configENS1_25partition_config_selectorILNS1_17partition_subalgoE5ElNS0_10empty_typeEbEEZZNS1_14partition_implILS5_5ELb0ES3_mN6hipcub16HIPCUB_304000_NS21CountingInputIteratorIllEEPS6_NSA_22TransformInputIteratorIbN2at6native12_GLOBAL__N_19NonZeroOpIbEEPKblEENS0_5tupleIJPlS6_EEENSN_IJSD_SD_EEES6_PiJS6_EEE10hipError_tPvRmT3_T4_T5_T6_T7_T9_mT8_P12ihipStream_tbDpT10_ENKUlT_T0_E_clISt17integral_constantIbLb1EES1A_IbLb0EEEEDaS16_S17_EUlS16_E_NS1_11comp_targetILNS1_3genE3ELNS1_11target_archE908ELNS1_3gpuE7ELNS1_3repE0EEENS1_30default_config_static_selectorELNS0_4arch9wavefront6targetE0EEEvT1_
                                        ; -- End function
	.section	.AMDGPU.csdata,"",@progbits
; Kernel info:
; codeLenInByte = 0
; NumSgprs: 0
; NumVgprs: 0
; ScratchSize: 0
; MemoryBound: 0
; FloatMode: 240
; IeeeMode: 1
; LDSByteSize: 0 bytes/workgroup (compile time only)
; SGPRBlocks: 0
; VGPRBlocks: 0
; NumSGPRsForWavesPerEU: 1
; NumVGPRsForWavesPerEU: 1
; Occupancy: 16
; WaveLimiterHint : 0
; COMPUTE_PGM_RSRC2:SCRATCH_EN: 0
; COMPUTE_PGM_RSRC2:USER_SGPR: 15
; COMPUTE_PGM_RSRC2:TRAP_HANDLER: 0
; COMPUTE_PGM_RSRC2:TGID_X_EN: 1
; COMPUTE_PGM_RSRC2:TGID_Y_EN: 0
; COMPUTE_PGM_RSRC2:TGID_Z_EN: 0
; COMPUTE_PGM_RSRC2:TIDIG_COMP_CNT: 0
	.section	.text._ZN7rocprim17ROCPRIM_400000_NS6detail17trampoline_kernelINS0_14default_configENS1_25partition_config_selectorILNS1_17partition_subalgoE5ElNS0_10empty_typeEbEEZZNS1_14partition_implILS5_5ELb0ES3_mN6hipcub16HIPCUB_304000_NS21CountingInputIteratorIllEEPS6_NSA_22TransformInputIteratorIbN2at6native12_GLOBAL__N_19NonZeroOpIbEEPKblEENS0_5tupleIJPlS6_EEENSN_IJSD_SD_EEES6_PiJS6_EEE10hipError_tPvRmT3_T4_T5_T6_T7_T9_mT8_P12ihipStream_tbDpT10_ENKUlT_T0_E_clISt17integral_constantIbLb1EES1A_IbLb0EEEEDaS16_S17_EUlS16_E_NS1_11comp_targetILNS1_3genE2ELNS1_11target_archE906ELNS1_3gpuE6ELNS1_3repE0EEENS1_30default_config_static_selectorELNS0_4arch9wavefront6targetE0EEEvT1_,"axG",@progbits,_ZN7rocprim17ROCPRIM_400000_NS6detail17trampoline_kernelINS0_14default_configENS1_25partition_config_selectorILNS1_17partition_subalgoE5ElNS0_10empty_typeEbEEZZNS1_14partition_implILS5_5ELb0ES3_mN6hipcub16HIPCUB_304000_NS21CountingInputIteratorIllEEPS6_NSA_22TransformInputIteratorIbN2at6native12_GLOBAL__N_19NonZeroOpIbEEPKblEENS0_5tupleIJPlS6_EEENSN_IJSD_SD_EEES6_PiJS6_EEE10hipError_tPvRmT3_T4_T5_T6_T7_T9_mT8_P12ihipStream_tbDpT10_ENKUlT_T0_E_clISt17integral_constantIbLb1EES1A_IbLb0EEEEDaS16_S17_EUlS16_E_NS1_11comp_targetILNS1_3genE2ELNS1_11target_archE906ELNS1_3gpuE6ELNS1_3repE0EEENS1_30default_config_static_selectorELNS0_4arch9wavefront6targetE0EEEvT1_,comdat
	.globl	_ZN7rocprim17ROCPRIM_400000_NS6detail17trampoline_kernelINS0_14default_configENS1_25partition_config_selectorILNS1_17partition_subalgoE5ElNS0_10empty_typeEbEEZZNS1_14partition_implILS5_5ELb0ES3_mN6hipcub16HIPCUB_304000_NS21CountingInputIteratorIllEEPS6_NSA_22TransformInputIteratorIbN2at6native12_GLOBAL__N_19NonZeroOpIbEEPKblEENS0_5tupleIJPlS6_EEENSN_IJSD_SD_EEES6_PiJS6_EEE10hipError_tPvRmT3_T4_T5_T6_T7_T9_mT8_P12ihipStream_tbDpT10_ENKUlT_T0_E_clISt17integral_constantIbLb1EES1A_IbLb0EEEEDaS16_S17_EUlS16_E_NS1_11comp_targetILNS1_3genE2ELNS1_11target_archE906ELNS1_3gpuE6ELNS1_3repE0EEENS1_30default_config_static_selectorELNS0_4arch9wavefront6targetE0EEEvT1_ ; -- Begin function _ZN7rocprim17ROCPRIM_400000_NS6detail17trampoline_kernelINS0_14default_configENS1_25partition_config_selectorILNS1_17partition_subalgoE5ElNS0_10empty_typeEbEEZZNS1_14partition_implILS5_5ELb0ES3_mN6hipcub16HIPCUB_304000_NS21CountingInputIteratorIllEEPS6_NSA_22TransformInputIteratorIbN2at6native12_GLOBAL__N_19NonZeroOpIbEEPKblEENS0_5tupleIJPlS6_EEENSN_IJSD_SD_EEES6_PiJS6_EEE10hipError_tPvRmT3_T4_T5_T6_T7_T9_mT8_P12ihipStream_tbDpT10_ENKUlT_T0_E_clISt17integral_constantIbLb1EES1A_IbLb0EEEEDaS16_S17_EUlS16_E_NS1_11comp_targetILNS1_3genE2ELNS1_11target_archE906ELNS1_3gpuE6ELNS1_3repE0EEENS1_30default_config_static_selectorELNS0_4arch9wavefront6targetE0EEEvT1_
	.p2align	8
	.type	_ZN7rocprim17ROCPRIM_400000_NS6detail17trampoline_kernelINS0_14default_configENS1_25partition_config_selectorILNS1_17partition_subalgoE5ElNS0_10empty_typeEbEEZZNS1_14partition_implILS5_5ELb0ES3_mN6hipcub16HIPCUB_304000_NS21CountingInputIteratorIllEEPS6_NSA_22TransformInputIteratorIbN2at6native12_GLOBAL__N_19NonZeroOpIbEEPKblEENS0_5tupleIJPlS6_EEENSN_IJSD_SD_EEES6_PiJS6_EEE10hipError_tPvRmT3_T4_T5_T6_T7_T9_mT8_P12ihipStream_tbDpT10_ENKUlT_T0_E_clISt17integral_constantIbLb1EES1A_IbLb0EEEEDaS16_S17_EUlS16_E_NS1_11comp_targetILNS1_3genE2ELNS1_11target_archE906ELNS1_3gpuE6ELNS1_3repE0EEENS1_30default_config_static_selectorELNS0_4arch9wavefront6targetE0EEEvT1_,@function
_ZN7rocprim17ROCPRIM_400000_NS6detail17trampoline_kernelINS0_14default_configENS1_25partition_config_selectorILNS1_17partition_subalgoE5ElNS0_10empty_typeEbEEZZNS1_14partition_implILS5_5ELb0ES3_mN6hipcub16HIPCUB_304000_NS21CountingInputIteratorIllEEPS6_NSA_22TransformInputIteratorIbN2at6native12_GLOBAL__N_19NonZeroOpIbEEPKblEENS0_5tupleIJPlS6_EEENSN_IJSD_SD_EEES6_PiJS6_EEE10hipError_tPvRmT3_T4_T5_T6_T7_T9_mT8_P12ihipStream_tbDpT10_ENKUlT_T0_E_clISt17integral_constantIbLb1EES1A_IbLb0EEEEDaS16_S17_EUlS16_E_NS1_11comp_targetILNS1_3genE2ELNS1_11target_archE906ELNS1_3gpuE6ELNS1_3repE0EEENS1_30default_config_static_selectorELNS0_4arch9wavefront6targetE0EEEvT1_: ; @_ZN7rocprim17ROCPRIM_400000_NS6detail17trampoline_kernelINS0_14default_configENS1_25partition_config_selectorILNS1_17partition_subalgoE5ElNS0_10empty_typeEbEEZZNS1_14partition_implILS5_5ELb0ES3_mN6hipcub16HIPCUB_304000_NS21CountingInputIteratorIllEEPS6_NSA_22TransformInputIteratorIbN2at6native12_GLOBAL__N_19NonZeroOpIbEEPKblEENS0_5tupleIJPlS6_EEENSN_IJSD_SD_EEES6_PiJS6_EEE10hipError_tPvRmT3_T4_T5_T6_T7_T9_mT8_P12ihipStream_tbDpT10_ENKUlT_T0_E_clISt17integral_constantIbLb1EES1A_IbLb0EEEEDaS16_S17_EUlS16_E_NS1_11comp_targetILNS1_3genE2ELNS1_11target_archE906ELNS1_3gpuE6ELNS1_3repE0EEENS1_30default_config_static_selectorELNS0_4arch9wavefront6targetE0EEEvT1_
; %bb.0:
	.section	.rodata,"a",@progbits
	.p2align	6, 0x0
	.amdhsa_kernel _ZN7rocprim17ROCPRIM_400000_NS6detail17trampoline_kernelINS0_14default_configENS1_25partition_config_selectorILNS1_17partition_subalgoE5ElNS0_10empty_typeEbEEZZNS1_14partition_implILS5_5ELb0ES3_mN6hipcub16HIPCUB_304000_NS21CountingInputIteratorIllEEPS6_NSA_22TransformInputIteratorIbN2at6native12_GLOBAL__N_19NonZeroOpIbEEPKblEENS0_5tupleIJPlS6_EEENSN_IJSD_SD_EEES6_PiJS6_EEE10hipError_tPvRmT3_T4_T5_T6_T7_T9_mT8_P12ihipStream_tbDpT10_ENKUlT_T0_E_clISt17integral_constantIbLb1EES1A_IbLb0EEEEDaS16_S17_EUlS16_E_NS1_11comp_targetILNS1_3genE2ELNS1_11target_archE906ELNS1_3gpuE6ELNS1_3repE0EEENS1_30default_config_static_selectorELNS0_4arch9wavefront6targetE0EEEvT1_
		.amdhsa_group_segment_fixed_size 0
		.amdhsa_private_segment_fixed_size 0
		.amdhsa_kernarg_size 120
		.amdhsa_user_sgpr_count 15
		.amdhsa_user_sgpr_dispatch_ptr 0
		.amdhsa_user_sgpr_queue_ptr 0
		.amdhsa_user_sgpr_kernarg_segment_ptr 1
		.amdhsa_user_sgpr_dispatch_id 0
		.amdhsa_user_sgpr_private_segment_size 0
		.amdhsa_wavefront_size32 1
		.amdhsa_uses_dynamic_stack 0
		.amdhsa_enable_private_segment 0
		.amdhsa_system_sgpr_workgroup_id_x 1
		.amdhsa_system_sgpr_workgroup_id_y 0
		.amdhsa_system_sgpr_workgroup_id_z 0
		.amdhsa_system_sgpr_workgroup_info 0
		.amdhsa_system_vgpr_workitem_id 0
		.amdhsa_next_free_vgpr 1
		.amdhsa_next_free_sgpr 1
		.amdhsa_reserve_vcc 0
		.amdhsa_float_round_mode_32 0
		.amdhsa_float_round_mode_16_64 0
		.amdhsa_float_denorm_mode_32 3
		.amdhsa_float_denorm_mode_16_64 3
		.amdhsa_dx10_clamp 1
		.amdhsa_ieee_mode 1
		.amdhsa_fp16_overflow 0
		.amdhsa_workgroup_processor_mode 1
		.amdhsa_memory_ordered 1
		.amdhsa_forward_progress 0
		.amdhsa_shared_vgpr_count 0
		.amdhsa_exception_fp_ieee_invalid_op 0
		.amdhsa_exception_fp_denorm_src 0
		.amdhsa_exception_fp_ieee_div_zero 0
		.amdhsa_exception_fp_ieee_overflow 0
		.amdhsa_exception_fp_ieee_underflow 0
		.amdhsa_exception_fp_ieee_inexact 0
		.amdhsa_exception_int_div_zero 0
	.end_amdhsa_kernel
	.section	.text._ZN7rocprim17ROCPRIM_400000_NS6detail17trampoline_kernelINS0_14default_configENS1_25partition_config_selectorILNS1_17partition_subalgoE5ElNS0_10empty_typeEbEEZZNS1_14partition_implILS5_5ELb0ES3_mN6hipcub16HIPCUB_304000_NS21CountingInputIteratorIllEEPS6_NSA_22TransformInputIteratorIbN2at6native12_GLOBAL__N_19NonZeroOpIbEEPKblEENS0_5tupleIJPlS6_EEENSN_IJSD_SD_EEES6_PiJS6_EEE10hipError_tPvRmT3_T4_T5_T6_T7_T9_mT8_P12ihipStream_tbDpT10_ENKUlT_T0_E_clISt17integral_constantIbLb1EES1A_IbLb0EEEEDaS16_S17_EUlS16_E_NS1_11comp_targetILNS1_3genE2ELNS1_11target_archE906ELNS1_3gpuE6ELNS1_3repE0EEENS1_30default_config_static_selectorELNS0_4arch9wavefront6targetE0EEEvT1_,"axG",@progbits,_ZN7rocprim17ROCPRIM_400000_NS6detail17trampoline_kernelINS0_14default_configENS1_25partition_config_selectorILNS1_17partition_subalgoE5ElNS0_10empty_typeEbEEZZNS1_14partition_implILS5_5ELb0ES3_mN6hipcub16HIPCUB_304000_NS21CountingInputIteratorIllEEPS6_NSA_22TransformInputIteratorIbN2at6native12_GLOBAL__N_19NonZeroOpIbEEPKblEENS0_5tupleIJPlS6_EEENSN_IJSD_SD_EEES6_PiJS6_EEE10hipError_tPvRmT3_T4_T5_T6_T7_T9_mT8_P12ihipStream_tbDpT10_ENKUlT_T0_E_clISt17integral_constantIbLb1EES1A_IbLb0EEEEDaS16_S17_EUlS16_E_NS1_11comp_targetILNS1_3genE2ELNS1_11target_archE906ELNS1_3gpuE6ELNS1_3repE0EEENS1_30default_config_static_selectorELNS0_4arch9wavefront6targetE0EEEvT1_,comdat
.Lfunc_end750:
	.size	_ZN7rocprim17ROCPRIM_400000_NS6detail17trampoline_kernelINS0_14default_configENS1_25partition_config_selectorILNS1_17partition_subalgoE5ElNS0_10empty_typeEbEEZZNS1_14partition_implILS5_5ELb0ES3_mN6hipcub16HIPCUB_304000_NS21CountingInputIteratorIllEEPS6_NSA_22TransformInputIteratorIbN2at6native12_GLOBAL__N_19NonZeroOpIbEEPKblEENS0_5tupleIJPlS6_EEENSN_IJSD_SD_EEES6_PiJS6_EEE10hipError_tPvRmT3_T4_T5_T6_T7_T9_mT8_P12ihipStream_tbDpT10_ENKUlT_T0_E_clISt17integral_constantIbLb1EES1A_IbLb0EEEEDaS16_S17_EUlS16_E_NS1_11comp_targetILNS1_3genE2ELNS1_11target_archE906ELNS1_3gpuE6ELNS1_3repE0EEENS1_30default_config_static_selectorELNS0_4arch9wavefront6targetE0EEEvT1_, .Lfunc_end750-_ZN7rocprim17ROCPRIM_400000_NS6detail17trampoline_kernelINS0_14default_configENS1_25partition_config_selectorILNS1_17partition_subalgoE5ElNS0_10empty_typeEbEEZZNS1_14partition_implILS5_5ELb0ES3_mN6hipcub16HIPCUB_304000_NS21CountingInputIteratorIllEEPS6_NSA_22TransformInputIteratorIbN2at6native12_GLOBAL__N_19NonZeroOpIbEEPKblEENS0_5tupleIJPlS6_EEENSN_IJSD_SD_EEES6_PiJS6_EEE10hipError_tPvRmT3_T4_T5_T6_T7_T9_mT8_P12ihipStream_tbDpT10_ENKUlT_T0_E_clISt17integral_constantIbLb1EES1A_IbLb0EEEEDaS16_S17_EUlS16_E_NS1_11comp_targetILNS1_3genE2ELNS1_11target_archE906ELNS1_3gpuE6ELNS1_3repE0EEENS1_30default_config_static_selectorELNS0_4arch9wavefront6targetE0EEEvT1_
                                        ; -- End function
	.section	.AMDGPU.csdata,"",@progbits
; Kernel info:
; codeLenInByte = 0
; NumSgprs: 0
; NumVgprs: 0
; ScratchSize: 0
; MemoryBound: 0
; FloatMode: 240
; IeeeMode: 1
; LDSByteSize: 0 bytes/workgroup (compile time only)
; SGPRBlocks: 0
; VGPRBlocks: 0
; NumSGPRsForWavesPerEU: 1
; NumVGPRsForWavesPerEU: 1
; Occupancy: 16
; WaveLimiterHint : 0
; COMPUTE_PGM_RSRC2:SCRATCH_EN: 0
; COMPUTE_PGM_RSRC2:USER_SGPR: 15
; COMPUTE_PGM_RSRC2:TRAP_HANDLER: 0
; COMPUTE_PGM_RSRC2:TGID_X_EN: 1
; COMPUTE_PGM_RSRC2:TGID_Y_EN: 0
; COMPUTE_PGM_RSRC2:TGID_Z_EN: 0
; COMPUTE_PGM_RSRC2:TIDIG_COMP_CNT: 0
	.section	.text._ZN7rocprim17ROCPRIM_400000_NS6detail17trampoline_kernelINS0_14default_configENS1_25partition_config_selectorILNS1_17partition_subalgoE5ElNS0_10empty_typeEbEEZZNS1_14partition_implILS5_5ELb0ES3_mN6hipcub16HIPCUB_304000_NS21CountingInputIteratorIllEEPS6_NSA_22TransformInputIteratorIbN2at6native12_GLOBAL__N_19NonZeroOpIbEEPKblEENS0_5tupleIJPlS6_EEENSN_IJSD_SD_EEES6_PiJS6_EEE10hipError_tPvRmT3_T4_T5_T6_T7_T9_mT8_P12ihipStream_tbDpT10_ENKUlT_T0_E_clISt17integral_constantIbLb1EES1A_IbLb0EEEEDaS16_S17_EUlS16_E_NS1_11comp_targetILNS1_3genE10ELNS1_11target_archE1200ELNS1_3gpuE4ELNS1_3repE0EEENS1_30default_config_static_selectorELNS0_4arch9wavefront6targetE0EEEvT1_,"axG",@progbits,_ZN7rocprim17ROCPRIM_400000_NS6detail17trampoline_kernelINS0_14default_configENS1_25partition_config_selectorILNS1_17partition_subalgoE5ElNS0_10empty_typeEbEEZZNS1_14partition_implILS5_5ELb0ES3_mN6hipcub16HIPCUB_304000_NS21CountingInputIteratorIllEEPS6_NSA_22TransformInputIteratorIbN2at6native12_GLOBAL__N_19NonZeroOpIbEEPKblEENS0_5tupleIJPlS6_EEENSN_IJSD_SD_EEES6_PiJS6_EEE10hipError_tPvRmT3_T4_T5_T6_T7_T9_mT8_P12ihipStream_tbDpT10_ENKUlT_T0_E_clISt17integral_constantIbLb1EES1A_IbLb0EEEEDaS16_S17_EUlS16_E_NS1_11comp_targetILNS1_3genE10ELNS1_11target_archE1200ELNS1_3gpuE4ELNS1_3repE0EEENS1_30default_config_static_selectorELNS0_4arch9wavefront6targetE0EEEvT1_,comdat
	.globl	_ZN7rocprim17ROCPRIM_400000_NS6detail17trampoline_kernelINS0_14default_configENS1_25partition_config_selectorILNS1_17partition_subalgoE5ElNS0_10empty_typeEbEEZZNS1_14partition_implILS5_5ELb0ES3_mN6hipcub16HIPCUB_304000_NS21CountingInputIteratorIllEEPS6_NSA_22TransformInputIteratorIbN2at6native12_GLOBAL__N_19NonZeroOpIbEEPKblEENS0_5tupleIJPlS6_EEENSN_IJSD_SD_EEES6_PiJS6_EEE10hipError_tPvRmT3_T4_T5_T6_T7_T9_mT8_P12ihipStream_tbDpT10_ENKUlT_T0_E_clISt17integral_constantIbLb1EES1A_IbLb0EEEEDaS16_S17_EUlS16_E_NS1_11comp_targetILNS1_3genE10ELNS1_11target_archE1200ELNS1_3gpuE4ELNS1_3repE0EEENS1_30default_config_static_selectorELNS0_4arch9wavefront6targetE0EEEvT1_ ; -- Begin function _ZN7rocprim17ROCPRIM_400000_NS6detail17trampoline_kernelINS0_14default_configENS1_25partition_config_selectorILNS1_17partition_subalgoE5ElNS0_10empty_typeEbEEZZNS1_14partition_implILS5_5ELb0ES3_mN6hipcub16HIPCUB_304000_NS21CountingInputIteratorIllEEPS6_NSA_22TransformInputIteratorIbN2at6native12_GLOBAL__N_19NonZeroOpIbEEPKblEENS0_5tupleIJPlS6_EEENSN_IJSD_SD_EEES6_PiJS6_EEE10hipError_tPvRmT3_T4_T5_T6_T7_T9_mT8_P12ihipStream_tbDpT10_ENKUlT_T0_E_clISt17integral_constantIbLb1EES1A_IbLb0EEEEDaS16_S17_EUlS16_E_NS1_11comp_targetILNS1_3genE10ELNS1_11target_archE1200ELNS1_3gpuE4ELNS1_3repE0EEENS1_30default_config_static_selectorELNS0_4arch9wavefront6targetE0EEEvT1_
	.p2align	8
	.type	_ZN7rocprim17ROCPRIM_400000_NS6detail17trampoline_kernelINS0_14default_configENS1_25partition_config_selectorILNS1_17partition_subalgoE5ElNS0_10empty_typeEbEEZZNS1_14partition_implILS5_5ELb0ES3_mN6hipcub16HIPCUB_304000_NS21CountingInputIteratorIllEEPS6_NSA_22TransformInputIteratorIbN2at6native12_GLOBAL__N_19NonZeroOpIbEEPKblEENS0_5tupleIJPlS6_EEENSN_IJSD_SD_EEES6_PiJS6_EEE10hipError_tPvRmT3_T4_T5_T6_T7_T9_mT8_P12ihipStream_tbDpT10_ENKUlT_T0_E_clISt17integral_constantIbLb1EES1A_IbLb0EEEEDaS16_S17_EUlS16_E_NS1_11comp_targetILNS1_3genE10ELNS1_11target_archE1200ELNS1_3gpuE4ELNS1_3repE0EEENS1_30default_config_static_selectorELNS0_4arch9wavefront6targetE0EEEvT1_,@function
_ZN7rocprim17ROCPRIM_400000_NS6detail17trampoline_kernelINS0_14default_configENS1_25partition_config_selectorILNS1_17partition_subalgoE5ElNS0_10empty_typeEbEEZZNS1_14partition_implILS5_5ELb0ES3_mN6hipcub16HIPCUB_304000_NS21CountingInputIteratorIllEEPS6_NSA_22TransformInputIteratorIbN2at6native12_GLOBAL__N_19NonZeroOpIbEEPKblEENS0_5tupleIJPlS6_EEENSN_IJSD_SD_EEES6_PiJS6_EEE10hipError_tPvRmT3_T4_T5_T6_T7_T9_mT8_P12ihipStream_tbDpT10_ENKUlT_T0_E_clISt17integral_constantIbLb1EES1A_IbLb0EEEEDaS16_S17_EUlS16_E_NS1_11comp_targetILNS1_3genE10ELNS1_11target_archE1200ELNS1_3gpuE4ELNS1_3repE0EEENS1_30default_config_static_selectorELNS0_4arch9wavefront6targetE0EEEvT1_: ; @_ZN7rocprim17ROCPRIM_400000_NS6detail17trampoline_kernelINS0_14default_configENS1_25partition_config_selectorILNS1_17partition_subalgoE5ElNS0_10empty_typeEbEEZZNS1_14partition_implILS5_5ELb0ES3_mN6hipcub16HIPCUB_304000_NS21CountingInputIteratorIllEEPS6_NSA_22TransformInputIteratorIbN2at6native12_GLOBAL__N_19NonZeroOpIbEEPKblEENS0_5tupleIJPlS6_EEENSN_IJSD_SD_EEES6_PiJS6_EEE10hipError_tPvRmT3_T4_T5_T6_T7_T9_mT8_P12ihipStream_tbDpT10_ENKUlT_T0_E_clISt17integral_constantIbLb1EES1A_IbLb0EEEEDaS16_S17_EUlS16_E_NS1_11comp_targetILNS1_3genE10ELNS1_11target_archE1200ELNS1_3gpuE4ELNS1_3repE0EEENS1_30default_config_static_selectorELNS0_4arch9wavefront6targetE0EEEvT1_
; %bb.0:
	.section	.rodata,"a",@progbits
	.p2align	6, 0x0
	.amdhsa_kernel _ZN7rocprim17ROCPRIM_400000_NS6detail17trampoline_kernelINS0_14default_configENS1_25partition_config_selectorILNS1_17partition_subalgoE5ElNS0_10empty_typeEbEEZZNS1_14partition_implILS5_5ELb0ES3_mN6hipcub16HIPCUB_304000_NS21CountingInputIteratorIllEEPS6_NSA_22TransformInputIteratorIbN2at6native12_GLOBAL__N_19NonZeroOpIbEEPKblEENS0_5tupleIJPlS6_EEENSN_IJSD_SD_EEES6_PiJS6_EEE10hipError_tPvRmT3_T4_T5_T6_T7_T9_mT8_P12ihipStream_tbDpT10_ENKUlT_T0_E_clISt17integral_constantIbLb1EES1A_IbLb0EEEEDaS16_S17_EUlS16_E_NS1_11comp_targetILNS1_3genE10ELNS1_11target_archE1200ELNS1_3gpuE4ELNS1_3repE0EEENS1_30default_config_static_selectorELNS0_4arch9wavefront6targetE0EEEvT1_
		.amdhsa_group_segment_fixed_size 0
		.amdhsa_private_segment_fixed_size 0
		.amdhsa_kernarg_size 120
		.amdhsa_user_sgpr_count 15
		.amdhsa_user_sgpr_dispatch_ptr 0
		.amdhsa_user_sgpr_queue_ptr 0
		.amdhsa_user_sgpr_kernarg_segment_ptr 1
		.amdhsa_user_sgpr_dispatch_id 0
		.amdhsa_user_sgpr_private_segment_size 0
		.amdhsa_wavefront_size32 1
		.amdhsa_uses_dynamic_stack 0
		.amdhsa_enable_private_segment 0
		.amdhsa_system_sgpr_workgroup_id_x 1
		.amdhsa_system_sgpr_workgroup_id_y 0
		.amdhsa_system_sgpr_workgroup_id_z 0
		.amdhsa_system_sgpr_workgroup_info 0
		.amdhsa_system_vgpr_workitem_id 0
		.amdhsa_next_free_vgpr 1
		.amdhsa_next_free_sgpr 1
		.amdhsa_reserve_vcc 0
		.amdhsa_float_round_mode_32 0
		.amdhsa_float_round_mode_16_64 0
		.amdhsa_float_denorm_mode_32 3
		.amdhsa_float_denorm_mode_16_64 3
		.amdhsa_dx10_clamp 1
		.amdhsa_ieee_mode 1
		.amdhsa_fp16_overflow 0
		.amdhsa_workgroup_processor_mode 1
		.amdhsa_memory_ordered 1
		.amdhsa_forward_progress 0
		.amdhsa_shared_vgpr_count 0
		.amdhsa_exception_fp_ieee_invalid_op 0
		.amdhsa_exception_fp_denorm_src 0
		.amdhsa_exception_fp_ieee_div_zero 0
		.amdhsa_exception_fp_ieee_overflow 0
		.amdhsa_exception_fp_ieee_underflow 0
		.amdhsa_exception_fp_ieee_inexact 0
		.amdhsa_exception_int_div_zero 0
	.end_amdhsa_kernel
	.section	.text._ZN7rocprim17ROCPRIM_400000_NS6detail17trampoline_kernelINS0_14default_configENS1_25partition_config_selectorILNS1_17partition_subalgoE5ElNS0_10empty_typeEbEEZZNS1_14partition_implILS5_5ELb0ES3_mN6hipcub16HIPCUB_304000_NS21CountingInputIteratorIllEEPS6_NSA_22TransformInputIteratorIbN2at6native12_GLOBAL__N_19NonZeroOpIbEEPKblEENS0_5tupleIJPlS6_EEENSN_IJSD_SD_EEES6_PiJS6_EEE10hipError_tPvRmT3_T4_T5_T6_T7_T9_mT8_P12ihipStream_tbDpT10_ENKUlT_T0_E_clISt17integral_constantIbLb1EES1A_IbLb0EEEEDaS16_S17_EUlS16_E_NS1_11comp_targetILNS1_3genE10ELNS1_11target_archE1200ELNS1_3gpuE4ELNS1_3repE0EEENS1_30default_config_static_selectorELNS0_4arch9wavefront6targetE0EEEvT1_,"axG",@progbits,_ZN7rocprim17ROCPRIM_400000_NS6detail17trampoline_kernelINS0_14default_configENS1_25partition_config_selectorILNS1_17partition_subalgoE5ElNS0_10empty_typeEbEEZZNS1_14partition_implILS5_5ELb0ES3_mN6hipcub16HIPCUB_304000_NS21CountingInputIteratorIllEEPS6_NSA_22TransformInputIteratorIbN2at6native12_GLOBAL__N_19NonZeroOpIbEEPKblEENS0_5tupleIJPlS6_EEENSN_IJSD_SD_EEES6_PiJS6_EEE10hipError_tPvRmT3_T4_T5_T6_T7_T9_mT8_P12ihipStream_tbDpT10_ENKUlT_T0_E_clISt17integral_constantIbLb1EES1A_IbLb0EEEEDaS16_S17_EUlS16_E_NS1_11comp_targetILNS1_3genE10ELNS1_11target_archE1200ELNS1_3gpuE4ELNS1_3repE0EEENS1_30default_config_static_selectorELNS0_4arch9wavefront6targetE0EEEvT1_,comdat
.Lfunc_end751:
	.size	_ZN7rocprim17ROCPRIM_400000_NS6detail17trampoline_kernelINS0_14default_configENS1_25partition_config_selectorILNS1_17partition_subalgoE5ElNS0_10empty_typeEbEEZZNS1_14partition_implILS5_5ELb0ES3_mN6hipcub16HIPCUB_304000_NS21CountingInputIteratorIllEEPS6_NSA_22TransformInputIteratorIbN2at6native12_GLOBAL__N_19NonZeroOpIbEEPKblEENS0_5tupleIJPlS6_EEENSN_IJSD_SD_EEES6_PiJS6_EEE10hipError_tPvRmT3_T4_T5_T6_T7_T9_mT8_P12ihipStream_tbDpT10_ENKUlT_T0_E_clISt17integral_constantIbLb1EES1A_IbLb0EEEEDaS16_S17_EUlS16_E_NS1_11comp_targetILNS1_3genE10ELNS1_11target_archE1200ELNS1_3gpuE4ELNS1_3repE0EEENS1_30default_config_static_selectorELNS0_4arch9wavefront6targetE0EEEvT1_, .Lfunc_end751-_ZN7rocprim17ROCPRIM_400000_NS6detail17trampoline_kernelINS0_14default_configENS1_25partition_config_selectorILNS1_17partition_subalgoE5ElNS0_10empty_typeEbEEZZNS1_14partition_implILS5_5ELb0ES3_mN6hipcub16HIPCUB_304000_NS21CountingInputIteratorIllEEPS6_NSA_22TransformInputIteratorIbN2at6native12_GLOBAL__N_19NonZeroOpIbEEPKblEENS0_5tupleIJPlS6_EEENSN_IJSD_SD_EEES6_PiJS6_EEE10hipError_tPvRmT3_T4_T5_T6_T7_T9_mT8_P12ihipStream_tbDpT10_ENKUlT_T0_E_clISt17integral_constantIbLb1EES1A_IbLb0EEEEDaS16_S17_EUlS16_E_NS1_11comp_targetILNS1_3genE10ELNS1_11target_archE1200ELNS1_3gpuE4ELNS1_3repE0EEENS1_30default_config_static_selectorELNS0_4arch9wavefront6targetE0EEEvT1_
                                        ; -- End function
	.section	.AMDGPU.csdata,"",@progbits
; Kernel info:
; codeLenInByte = 0
; NumSgprs: 0
; NumVgprs: 0
; ScratchSize: 0
; MemoryBound: 0
; FloatMode: 240
; IeeeMode: 1
; LDSByteSize: 0 bytes/workgroup (compile time only)
; SGPRBlocks: 0
; VGPRBlocks: 0
; NumSGPRsForWavesPerEU: 1
; NumVGPRsForWavesPerEU: 1
; Occupancy: 16
; WaveLimiterHint : 0
; COMPUTE_PGM_RSRC2:SCRATCH_EN: 0
; COMPUTE_PGM_RSRC2:USER_SGPR: 15
; COMPUTE_PGM_RSRC2:TRAP_HANDLER: 0
; COMPUTE_PGM_RSRC2:TGID_X_EN: 1
; COMPUTE_PGM_RSRC2:TGID_Y_EN: 0
; COMPUTE_PGM_RSRC2:TGID_Z_EN: 0
; COMPUTE_PGM_RSRC2:TIDIG_COMP_CNT: 0
	.section	.text._ZN7rocprim17ROCPRIM_400000_NS6detail17trampoline_kernelINS0_14default_configENS1_25partition_config_selectorILNS1_17partition_subalgoE5ElNS0_10empty_typeEbEEZZNS1_14partition_implILS5_5ELb0ES3_mN6hipcub16HIPCUB_304000_NS21CountingInputIteratorIllEEPS6_NSA_22TransformInputIteratorIbN2at6native12_GLOBAL__N_19NonZeroOpIbEEPKblEENS0_5tupleIJPlS6_EEENSN_IJSD_SD_EEES6_PiJS6_EEE10hipError_tPvRmT3_T4_T5_T6_T7_T9_mT8_P12ihipStream_tbDpT10_ENKUlT_T0_E_clISt17integral_constantIbLb1EES1A_IbLb0EEEEDaS16_S17_EUlS16_E_NS1_11comp_targetILNS1_3genE9ELNS1_11target_archE1100ELNS1_3gpuE3ELNS1_3repE0EEENS1_30default_config_static_selectorELNS0_4arch9wavefront6targetE0EEEvT1_,"axG",@progbits,_ZN7rocprim17ROCPRIM_400000_NS6detail17trampoline_kernelINS0_14default_configENS1_25partition_config_selectorILNS1_17partition_subalgoE5ElNS0_10empty_typeEbEEZZNS1_14partition_implILS5_5ELb0ES3_mN6hipcub16HIPCUB_304000_NS21CountingInputIteratorIllEEPS6_NSA_22TransformInputIteratorIbN2at6native12_GLOBAL__N_19NonZeroOpIbEEPKblEENS0_5tupleIJPlS6_EEENSN_IJSD_SD_EEES6_PiJS6_EEE10hipError_tPvRmT3_T4_T5_T6_T7_T9_mT8_P12ihipStream_tbDpT10_ENKUlT_T0_E_clISt17integral_constantIbLb1EES1A_IbLb0EEEEDaS16_S17_EUlS16_E_NS1_11comp_targetILNS1_3genE9ELNS1_11target_archE1100ELNS1_3gpuE3ELNS1_3repE0EEENS1_30default_config_static_selectorELNS0_4arch9wavefront6targetE0EEEvT1_,comdat
	.globl	_ZN7rocprim17ROCPRIM_400000_NS6detail17trampoline_kernelINS0_14default_configENS1_25partition_config_selectorILNS1_17partition_subalgoE5ElNS0_10empty_typeEbEEZZNS1_14partition_implILS5_5ELb0ES3_mN6hipcub16HIPCUB_304000_NS21CountingInputIteratorIllEEPS6_NSA_22TransformInputIteratorIbN2at6native12_GLOBAL__N_19NonZeroOpIbEEPKblEENS0_5tupleIJPlS6_EEENSN_IJSD_SD_EEES6_PiJS6_EEE10hipError_tPvRmT3_T4_T5_T6_T7_T9_mT8_P12ihipStream_tbDpT10_ENKUlT_T0_E_clISt17integral_constantIbLb1EES1A_IbLb0EEEEDaS16_S17_EUlS16_E_NS1_11comp_targetILNS1_3genE9ELNS1_11target_archE1100ELNS1_3gpuE3ELNS1_3repE0EEENS1_30default_config_static_selectorELNS0_4arch9wavefront6targetE0EEEvT1_ ; -- Begin function _ZN7rocprim17ROCPRIM_400000_NS6detail17trampoline_kernelINS0_14default_configENS1_25partition_config_selectorILNS1_17partition_subalgoE5ElNS0_10empty_typeEbEEZZNS1_14partition_implILS5_5ELb0ES3_mN6hipcub16HIPCUB_304000_NS21CountingInputIteratorIllEEPS6_NSA_22TransformInputIteratorIbN2at6native12_GLOBAL__N_19NonZeroOpIbEEPKblEENS0_5tupleIJPlS6_EEENSN_IJSD_SD_EEES6_PiJS6_EEE10hipError_tPvRmT3_T4_T5_T6_T7_T9_mT8_P12ihipStream_tbDpT10_ENKUlT_T0_E_clISt17integral_constantIbLb1EES1A_IbLb0EEEEDaS16_S17_EUlS16_E_NS1_11comp_targetILNS1_3genE9ELNS1_11target_archE1100ELNS1_3gpuE3ELNS1_3repE0EEENS1_30default_config_static_selectorELNS0_4arch9wavefront6targetE0EEEvT1_
	.p2align	8
	.type	_ZN7rocprim17ROCPRIM_400000_NS6detail17trampoline_kernelINS0_14default_configENS1_25partition_config_selectorILNS1_17partition_subalgoE5ElNS0_10empty_typeEbEEZZNS1_14partition_implILS5_5ELb0ES3_mN6hipcub16HIPCUB_304000_NS21CountingInputIteratorIllEEPS6_NSA_22TransformInputIteratorIbN2at6native12_GLOBAL__N_19NonZeroOpIbEEPKblEENS0_5tupleIJPlS6_EEENSN_IJSD_SD_EEES6_PiJS6_EEE10hipError_tPvRmT3_T4_T5_T6_T7_T9_mT8_P12ihipStream_tbDpT10_ENKUlT_T0_E_clISt17integral_constantIbLb1EES1A_IbLb0EEEEDaS16_S17_EUlS16_E_NS1_11comp_targetILNS1_3genE9ELNS1_11target_archE1100ELNS1_3gpuE3ELNS1_3repE0EEENS1_30default_config_static_selectorELNS0_4arch9wavefront6targetE0EEEvT1_,@function
_ZN7rocprim17ROCPRIM_400000_NS6detail17trampoline_kernelINS0_14default_configENS1_25partition_config_selectorILNS1_17partition_subalgoE5ElNS0_10empty_typeEbEEZZNS1_14partition_implILS5_5ELb0ES3_mN6hipcub16HIPCUB_304000_NS21CountingInputIteratorIllEEPS6_NSA_22TransformInputIteratorIbN2at6native12_GLOBAL__N_19NonZeroOpIbEEPKblEENS0_5tupleIJPlS6_EEENSN_IJSD_SD_EEES6_PiJS6_EEE10hipError_tPvRmT3_T4_T5_T6_T7_T9_mT8_P12ihipStream_tbDpT10_ENKUlT_T0_E_clISt17integral_constantIbLb1EES1A_IbLb0EEEEDaS16_S17_EUlS16_E_NS1_11comp_targetILNS1_3genE9ELNS1_11target_archE1100ELNS1_3gpuE3ELNS1_3repE0EEENS1_30default_config_static_selectorELNS0_4arch9wavefront6targetE0EEEvT1_: ; @_ZN7rocprim17ROCPRIM_400000_NS6detail17trampoline_kernelINS0_14default_configENS1_25partition_config_selectorILNS1_17partition_subalgoE5ElNS0_10empty_typeEbEEZZNS1_14partition_implILS5_5ELb0ES3_mN6hipcub16HIPCUB_304000_NS21CountingInputIteratorIllEEPS6_NSA_22TransformInputIteratorIbN2at6native12_GLOBAL__N_19NonZeroOpIbEEPKblEENS0_5tupleIJPlS6_EEENSN_IJSD_SD_EEES6_PiJS6_EEE10hipError_tPvRmT3_T4_T5_T6_T7_T9_mT8_P12ihipStream_tbDpT10_ENKUlT_T0_E_clISt17integral_constantIbLb1EES1A_IbLb0EEEEDaS16_S17_EUlS16_E_NS1_11comp_targetILNS1_3genE9ELNS1_11target_archE1100ELNS1_3gpuE3ELNS1_3repE0EEENS1_30default_config_static_selectorELNS0_4arch9wavefront6targetE0EEEvT1_
; %bb.0:
	s_clause 0x4
	s_load_b128 s[8:11], s[0:1], 0x8
	s_load_b128 s[4:7], s[0:1], 0x48
	s_load_b32 s14, s[0:1], 0x70
	s_load_b64 s[2:3], s[0:1], 0x58
	s_load_b64 s[12:13], s[0:1], 0x20
	s_waitcnt lgkmcnt(0)
	s_add_u32 s8, s10, s8
	s_load_b64 s[6:7], s[6:7], 0x0
	s_mul_i32 s17, s14, 0x300
	s_addc_u32 s9, s11, s9
	s_add_i32 s14, s14, -1
	s_add_u32 s18, s10, s17
	s_addc_u32 s19, s11, 0
	s_cmp_eq_u32 s15, s14
	v_cmp_ge_u64_e64 s3, s[18:19], s[2:3]
	s_cselect_b32 s14, -1, 0
	s_mov_b32 s18, -1
	s_delay_alu instid0(VALU_DEP_1) | instskip(NEXT) | instid1(SALU_CYCLE_1)
	s_and_b32 s3, s14, s3
	s_xor_b32 s16, s3, -1
	s_mul_i32 s3, s15, 0x300
	s_and_b32 vcc_lo, exec_lo, s16
	s_cbranch_vccz .LBB752_2
; %bb.1:
	s_add_u32 s18, s8, s3
	s_addc_u32 s19, s9, 0
	v_add_co_u32 v1, s18, s18, v0
	s_delay_alu instid0(VALU_DEP_1) | instskip(SKIP_1) | instid1(VALU_DEP_3)
	v_add_co_ci_u32_e64 v2, null, s19, 0, s18
	v_lshlrev_b32_e32 v13, 3, v0
	v_add_co_u32 v3, vcc_lo, 0x80, v1
	s_delay_alu instid0(VALU_DEP_3)
	v_add_co_ci_u32_e32 v4, vcc_lo, 0, v2, vcc_lo
	v_add_co_u32 v5, vcc_lo, 0x100, v1
	v_add_co_ci_u32_e32 v6, vcc_lo, 0, v2, vcc_lo
	v_add_co_u32 v7, vcc_lo, 0x180, v1
	;; [unrolled: 2-line block ×4, first 2 shown]
	v_add_co_ci_u32_e32 v12, vcc_lo, 0, v2, vcc_lo
	ds_store_2addr_stride64_b64 v13, v[1:2], v[3:4] offset1:2
	ds_store_2addr_stride64_b64 v13, v[5:6], v[7:8] offset0:4 offset1:6
	ds_store_2addr_stride64_b64 v13, v[9:10], v[11:12] offset0:8 offset1:10
	s_waitcnt lgkmcnt(0)
	s_mov_b32 s18, 0
	s_barrier
.LBB752_2:
	v_or_b32_e32 v17, 0x100, v0
	v_or_b32_e32 v16, 0x180, v0
	;; [unrolled: 1-line block ×4, first 2 shown]
	s_and_not1_b32 vcc_lo, exec_lo, s18
	s_cbranch_vccnz .LBB752_4
; %bb.3:
	v_or_b32_e32 v3, 0x80, v0
	s_add_u32 s8, s8, s3
	s_addc_u32 s9, s9, 0
	v_add_co_u32 v1, s18, s8, v0
	s_delay_alu instid0(VALU_DEP_1) | instskip(SKIP_1) | instid1(VALU_DEP_1)
	v_add_co_ci_u32_e64 v2, null, s9, 0, s18
	v_add_co_u32 v3, s18, s8, v3
	v_add_co_ci_u32_e64 v4, null, s9, 0, s18
	v_add_co_u32 v5, s18, s8, v17
	s_delay_alu instid0(VALU_DEP_1) | instskip(SKIP_1) | instid1(VALU_DEP_1)
	v_add_co_ci_u32_e64 v6, null, s9, 0, s18
	v_add_co_u32 v7, s18, s8, v16
	v_add_co_ci_u32_e64 v8, null, s9, 0, s18
	v_add_co_u32 v9, s18, s8, v14
	v_lshlrev_b32_e32 v15, 3, v0
	v_add_co_u32 v11, s8, s8, v13
	v_add_co_ci_u32_e64 v10, null, s9, 0, s18
	v_add_co_ci_u32_e64 v12, null, s9, 0, s8
	ds_store_2addr_stride64_b64 v15, v[1:2], v[3:4] offset1:2
	ds_store_2addr_stride64_b64 v15, v[5:6], v[7:8] offset0:4 offset1:6
	ds_store_2addr_stride64_b64 v15, v[9:10], v[11:12] offset0:8 offset1:10
	s_waitcnt lgkmcnt(0)
	s_barrier
.LBB752_4:
	v_mul_u32_u24_e32 v1, 6, v0
	s_waitcnt lgkmcnt(0)
	buffer_gl0_inv
	s_add_u32 s8, s12, s10
	s_addc_u32 s9, s13, s11
	s_add_u32 s12, s8, s3
	v_lshlrev_b32_e32 v15, 3, v1
	s_addc_u32 s13, s9, 0
	s_and_b32 vcc_lo, exec_lo, s16
	s_mov_b32 s3, -1
	ds_load_b128 v[9:12], v15
	ds_load_b128 v[5:8], v15 offset:16
	ds_load_b128 v[1:4], v15 offset:32
	s_waitcnt lgkmcnt(0)
	s_barrier
	buffer_gl0_inv
	s_cbranch_vccz .LBB752_6
; %bb.5:
	s_clause 0x5
	global_load_u8 v18, v0, s[12:13]
	global_load_u8 v19, v0, s[12:13] offset:128
	global_load_u8 v20, v0, s[12:13] offset:256
	;; [unrolled: 1-line block ×5, first 2 shown]
	s_mov_b32 s3, 0
	s_waitcnt vmcnt(5)
	ds_store_b8 v0, v18
	s_waitcnt vmcnt(4)
	ds_store_b8 v0, v19 offset:128
	s_waitcnt vmcnt(3)
	ds_store_b8 v0, v20 offset:256
	;; [unrolled: 2-line block ×5, first 2 shown]
	s_waitcnt lgkmcnt(0)
	s_barrier
.LBB752_6:
	s_load_b64 s[8:9], s[0:1], 0x68
	s_and_not1_b32 vcc_lo, exec_lo, s3
	s_cbranch_vccnz .LBB752_20
; %bb.7:
	s_add_i32 s17, s17, s10
	v_dual_mov_b32 v18, 0 :: v_dual_mov_b32 v19, 0
	s_sub_i32 s2, s2, s17
	s_mov_b32 s3, exec_lo
	s_addk_i32 s2, 0x300
	s_delay_alu instid0(SALU_CYCLE_1)
	v_cmpx_gt_u32_e64 s2, v0
	s_cbranch_execz .LBB752_9
; %bb.8:
	global_load_u8 v19, v0, s[12:13]
.LBB752_9:
	s_or_b32 exec_lo, exec_lo, s3
	v_or_b32_e32 v20, 0x80, v0
	s_mov_b32 s3, exec_lo
	s_delay_alu instid0(VALU_DEP_1)
	v_cmpx_gt_u32_e64 s2, v20
	s_cbranch_execz .LBB752_11
; %bb.10:
	global_load_u8 v18, v0, s[12:13] offset:128
.LBB752_11:
	s_or_b32 exec_lo, exec_lo, s3
	v_cmp_gt_u32_e32 vcc_lo, s2, v17
	v_dual_mov_b32 v17, 0 :: v_dual_mov_b32 v20, 0
	s_and_saveexec_b32 s3, vcc_lo
	s_cbranch_execz .LBB752_13
; %bb.12:
	global_load_u8 v20, v0, s[12:13] offset:256
.LBB752_13:
	s_or_b32 exec_lo, exec_lo, s3
	s_delay_alu instid0(SALU_CYCLE_1)
	s_mov_b32 s3, exec_lo
	v_cmpx_gt_u32_e64 s2, v16
	s_cbranch_execz .LBB752_15
; %bb.14:
	global_load_u8 v17, v0, s[12:13] offset:384
.LBB752_15:
	s_or_b32 exec_lo, exec_lo, s3
	v_cmp_gt_u32_e32 vcc_lo, s2, v14
	v_mov_b32_e32 v14, 0
	v_mov_b32_e32 v16, 0
	s_and_saveexec_b32 s3, vcc_lo
	s_cbranch_execz .LBB752_17
; %bb.16:
	global_load_u8 v16, v0, s[12:13] offset:512
.LBB752_17:
	s_or_b32 exec_lo, exec_lo, s3
	v_cmp_gt_u32_e32 vcc_lo, s2, v13
	s_and_saveexec_b32 s2, vcc_lo
	s_cbranch_execz .LBB752_19
; %bb.18:
	global_load_u8 v14, v0, s[12:13] offset:640
.LBB752_19:
	s_or_b32 exec_lo, exec_lo, s2
	s_waitcnt vmcnt(0)
	ds_store_b8 v0, v19
	ds_store_b8 v0, v18 offset:128
	ds_store_b8 v0, v20 offset:256
	;; [unrolled: 1-line block ×5, first 2 shown]
	s_waitcnt lgkmcnt(0)
	s_barrier
.LBB752_20:
	v_mad_i32_i24 v43, 0xffffffd6, v0, v15
	s_waitcnt lgkmcnt(0)
	buffer_gl0_inv
	v_mbcnt_lo_u32_b32 v42, -1, 0
	s_cmp_lg_u32 s15, 0
	s_mov_b32 s3, -1
	ds_load_u16 v36, v43
	ds_load_u16 v33, v43 offset:2
	ds_load_u16 v31, v43 offset:4
	v_mov_b32_e32 v14, 0
	v_and_b32_e32 v44, 15, v42
	s_waitcnt lgkmcnt(0)
	s_barrier
	buffer_gl0_inv
	v_and_b32_e32 v41, 0xff, v36
	v_lshrrev_b16 v34, 8, v36
	v_lshrrev_b16 v35, 8, v33
	v_and_b32_e32 v39, 0xff, v33
	v_lshrrev_b16 v32, 8, v31
	v_and_b32_e32 v37, 0xff, v31
	v_and_b32_e32 v40, 0xffff, v34
	v_and_b32_e32 v38, 0xffff, v35
	s_delay_alu instid0(VALU_DEP_4) | instskip(NEXT) | instid1(VALU_DEP_3)
	v_and_b32_e32 v16, 0xffff, v32
	v_add_co_u32 v13, s2, v40, v41
	s_delay_alu instid0(VALU_DEP_1) | instskip(SKIP_1) | instid1(VALU_DEP_3)
	v_add_co_ci_u32_e64 v15, null, 0, 0, s2
	v_cmp_ne_u32_e64 s2, 0, v44
	v_add_co_u32 v13, vcc_lo, v13, v39
	s_delay_alu instid0(VALU_DEP_3) | instskip(NEXT) | instid1(VALU_DEP_2)
	v_add_co_ci_u32_e32 v15, vcc_lo, 0, v15, vcc_lo
	v_add_co_u32 v13, vcc_lo, v13, v38
	s_delay_alu instid0(VALU_DEP_2) | instskip(NEXT) | instid1(VALU_DEP_2)
	v_add_co_ci_u32_e32 v15, vcc_lo, 0, v15, vcc_lo
	v_add_co_u32 v13, vcc_lo, v13, v37
	s_delay_alu instid0(VALU_DEP_2) | instskip(NEXT) | instid1(VALU_DEP_2)
	v_add_co_ci_u32_e32 v15, vcc_lo, 0, v15, vcc_lo
	v_add_co_u32 v21, vcc_lo, v13, v16
	s_delay_alu instid0(VALU_DEP_2)
	v_add_co_ci_u32_e32 v22, vcc_lo, 0, v15, vcc_lo
	s_cbranch_scc0 .LBB752_89
; %bb.21:
	s_delay_alu instid0(VALU_DEP_2)
	v_mov_b32_e32 v15, v21
	v_mov_b32_dpp v13, v21 row_shr:1 row_mask:0xf bank_mask:0xf
	v_mov_b32_dpp v18, v14 row_shr:1 row_mask:0xf bank_mask:0xf
	v_dual_mov_b32 v17, v21 :: v_dual_mov_b32 v16, v22
	s_and_saveexec_b32 s3, s2
; %bb.22:
	s_delay_alu instid0(VALU_DEP_3) | instskip(SKIP_1) | instid1(VALU_DEP_2)
	v_add_co_u32 v17, vcc_lo, v21, v13
	v_add_co_ci_u32_e32 v14, vcc_lo, 0, v22, vcc_lo
	v_add_co_u32 v13, vcc_lo, 0, v17
	s_delay_alu instid0(VALU_DEP_2) | instskip(NEXT) | instid1(VALU_DEP_1)
	v_add_co_ci_u32_e32 v14, vcc_lo, v18, v14, vcc_lo
	v_dual_mov_b32 v16, v14 :: v_dual_mov_b32 v15, v13
; %bb.23:
	s_or_b32 exec_lo, exec_lo, s3
	v_mov_b32_dpp v13, v17 row_shr:2 row_mask:0xf bank_mask:0xf
	v_mov_b32_dpp v18, v14 row_shr:2 row_mask:0xf bank_mask:0xf
	s_mov_b32 s3, exec_lo
	v_cmpx_lt_u32_e32 1, v44
; %bb.24:
	s_delay_alu instid0(VALU_DEP_3) | instskip(SKIP_1) | instid1(VALU_DEP_2)
	v_add_co_u32 v17, vcc_lo, v15, v13
	v_add_co_ci_u32_e32 v14, vcc_lo, 0, v16, vcc_lo
	v_add_co_u32 v13, vcc_lo, 0, v17
	s_delay_alu instid0(VALU_DEP_2) | instskip(NEXT) | instid1(VALU_DEP_1)
	v_add_co_ci_u32_e32 v14, vcc_lo, v18, v14, vcc_lo
	v_dual_mov_b32 v16, v14 :: v_dual_mov_b32 v15, v13
; %bb.25:
	s_or_b32 exec_lo, exec_lo, s3
	v_mov_b32_dpp v13, v17 row_shr:4 row_mask:0xf bank_mask:0xf
	v_mov_b32_dpp v18, v14 row_shr:4 row_mask:0xf bank_mask:0xf
	s_mov_b32 s3, exec_lo
	v_cmpx_lt_u32_e32 3, v44
	;; [unrolled: 14-line block ×3, first 2 shown]
; %bb.28:
	s_delay_alu instid0(VALU_DEP_3) | instskip(SKIP_1) | instid1(VALU_DEP_2)
	v_add_co_u32 v17, vcc_lo, v15, v18
	v_add_co_ci_u32_e32 v14, vcc_lo, 0, v16, vcc_lo
	v_add_co_u32 v15, vcc_lo, 0, v17
	s_delay_alu instid0(VALU_DEP_2) | instskip(NEXT) | instid1(VALU_DEP_1)
	v_add_co_ci_u32_e32 v16, vcc_lo, v13, v14, vcc_lo
	v_mov_b32_e32 v14, v16
; %bb.29:
	s_or_b32 exec_lo, exec_lo, s3
	ds_swizzle_b32 v13, v17 offset:swizzle(BROADCAST,32,15)
	ds_swizzle_b32 v18, v14 offset:swizzle(BROADCAST,32,15)
	v_and_b32_e32 v19, 16, v42
	s_mov_b32 s3, exec_lo
	s_delay_alu instid0(VALU_DEP_1)
	v_cmpx_ne_u32_e32 0, v19
	s_cbranch_execz .LBB752_31
; %bb.30:
	s_waitcnt lgkmcnt(1)
	v_add_co_u32 v17, vcc_lo, v15, v13
	v_add_co_ci_u32_e32 v14, vcc_lo, 0, v16, vcc_lo
	s_delay_alu instid0(VALU_DEP_2) | instskip(SKIP_1) | instid1(VALU_DEP_2)
	v_add_co_u32 v13, vcc_lo, 0, v17
	s_waitcnt lgkmcnt(0)
	v_add_co_ci_u32_e32 v14, vcc_lo, v18, v14, vcc_lo
	s_delay_alu instid0(VALU_DEP_1)
	v_dual_mov_b32 v16, v14 :: v_dual_mov_b32 v15, v13
.LBB752_31:
	s_or_b32 exec_lo, exec_lo, s3
	s_waitcnt lgkmcnt(0)
	v_or_b32_e32 v18, 31, v0
	v_lshrrev_b32_e32 v13, 5, v0
	s_mov_b32 s3, exec_lo
	s_delay_alu instid0(VALU_DEP_2)
	v_cmpx_eq_u32_e64 v18, v0
	s_cbranch_execz .LBB752_33
; %bb.32:
	s_delay_alu instid0(VALU_DEP_2)
	v_lshlrev_b32_e32 v18, 3, v13
	ds_store_b64 v18, v[15:16]
.LBB752_33:
	s_or_b32 exec_lo, exec_lo, s3
	s_delay_alu instid0(SALU_CYCLE_1)
	s_mov_b32 s3, exec_lo
	s_waitcnt lgkmcnt(0)
	s_barrier
	buffer_gl0_inv
	v_cmpx_gt_u32_e32 4, v0
	s_cbranch_execz .LBB752_39
; %bb.34:
	v_lshlrev_b32_e32 v18, 3, v0
	s_mov_b32 s10, exec_lo
	ds_load_b64 v[15:16], v18
	s_waitcnt lgkmcnt(0)
	v_dual_mov_b32 v20, v15 :: v_dual_and_b32 v19, 3, v42
	v_mov_b32_dpp v24, v15 row_shr:1 row_mask:0xf bank_mask:0xf
	v_mov_b32_dpp v23, v16 row_shr:1 row_mask:0xf bank_mask:0xf
	s_delay_alu instid0(VALU_DEP_3)
	v_cmpx_ne_u32_e32 0, v19
; %bb.35:
	s_delay_alu instid0(VALU_DEP_3) | instskip(SKIP_1) | instid1(VALU_DEP_2)
	v_add_co_u32 v20, vcc_lo, v15, v24
	v_add_co_ci_u32_e32 v16, vcc_lo, 0, v16, vcc_lo
	v_add_co_u32 v15, vcc_lo, 0, v20
	s_delay_alu instid0(VALU_DEP_2)
	v_add_co_ci_u32_e32 v16, vcc_lo, v23, v16, vcc_lo
; %bb.36:
	s_or_b32 exec_lo, exec_lo, s10
	v_mov_b32_dpp v23, v20 row_shr:2 row_mask:0xf bank_mask:0xf
	s_delay_alu instid0(VALU_DEP_2)
	v_mov_b32_dpp v20, v16 row_shr:2 row_mask:0xf bank_mask:0xf
	s_mov_b32 s10, exec_lo
	v_cmpx_lt_u32_e32 1, v19
; %bb.37:
	s_delay_alu instid0(VALU_DEP_3) | instskip(SKIP_1) | instid1(VALU_DEP_2)
	v_add_co_u32 v15, vcc_lo, v15, v23
	v_add_co_ci_u32_e32 v16, vcc_lo, 0, v16, vcc_lo
	v_add_co_u32 v15, vcc_lo, v15, 0
	s_delay_alu instid0(VALU_DEP_2)
	v_add_co_ci_u32_e32 v16, vcc_lo, v16, v20, vcc_lo
; %bb.38:
	s_or_b32 exec_lo, exec_lo, s10
	ds_store_b64 v18, v[15:16]
.LBB752_39:
	s_or_b32 exec_lo, exec_lo, s3
	v_cmp_gt_u32_e32 vcc_lo, 32, v0
	s_mov_b32 s10, exec_lo
	s_waitcnt lgkmcnt(0)
	s_barrier
	buffer_gl0_inv
                                        ; implicit-def: $vgpr23_vgpr24
	v_cmpx_lt_u32_e32 31, v0
	s_cbranch_execz .LBB752_41
; %bb.40:
	v_lshl_add_u32 v13, v13, 3, -8
	ds_load_b64 v[23:24], v13
	s_waitcnt lgkmcnt(0)
	v_add_co_u32 v17, s3, v17, v23
	s_delay_alu instid0(VALU_DEP_1)
	v_add_co_ci_u32_e64 v14, s3, v14, v24, s3
.LBB752_41:
	s_or_b32 exec_lo, exec_lo, s10
	v_add_nc_u32_e32 v13, -1, v42
	s_delay_alu instid0(VALU_DEP_1) | instskip(NEXT) | instid1(VALU_DEP_1)
	v_cmp_gt_i32_e64 s3, 0, v13
	v_cndmask_b32_e64 v13, v13, v42, s3
	v_cmp_eq_u32_e64 s3, 0, v42
	s_delay_alu instid0(VALU_DEP_2)
	v_lshlrev_b32_e32 v13, 2, v13
	ds_bpermute_b32 v29, v13, v17
	ds_bpermute_b32 v30, v13, v14
	s_and_saveexec_b32 s10, vcc_lo
	s_cbranch_execz .LBB752_84
; %bb.42:
	v_mov_b32_e32 v16, 0
	ds_load_b64 v[13:14], v16 offset:24
	s_and_saveexec_b32 s11, s3
	s_cbranch_execz .LBB752_44
; %bb.43:
	s_add_i32 s12, s15, 32
	s_mov_b32 s13, 0
	s_delay_alu instid0(SALU_CYCLE_1) | instskip(NEXT) | instid1(SALU_CYCLE_1)
	s_lshl_b64 s[12:13], s[12:13], 4
	s_add_u32 s12, s8, s12
	s_addc_u32 s13, s9, s13
	s_delay_alu instid0(SALU_CYCLE_1)
	v_dual_mov_b32 v15, 1 :: v_dual_mov_b32 v18, s13
	v_mov_b32_e32 v17, s12
	s_waitcnt lgkmcnt(0)
	;;#ASMSTART
	global_store_dwordx4 v[17:18], v[13:16] off	
s_waitcnt vmcnt(0)
	;;#ASMEND
.LBB752_44:
	s_or_b32 exec_lo, exec_lo, s11
	v_xad_u32 v25, v42, -1, s15
	s_mov_b32 s12, 0
	s_mov_b32 s11, exec_lo
	s_delay_alu instid0(VALU_DEP_1) | instskip(NEXT) | instid1(VALU_DEP_1)
	v_add_nc_u32_e32 v15, 32, v25
	v_lshlrev_b64 v[15:16], 4, v[15:16]
	s_delay_alu instid0(VALU_DEP_1) | instskip(NEXT) | instid1(VALU_DEP_2)
	v_add_co_u32 v15, vcc_lo, s8, v15
	v_add_co_ci_u32_e32 v16, vcc_lo, s9, v16, vcc_lo
	;;#ASMSTART
	global_load_dwordx4 v[17:20], v[15:16] off glc	
s_waitcnt vmcnt(0)
	;;#ASMEND
	v_and_b32_e32 v20, 0xff, v18
	v_and_b32_e32 v26, 0xff00, v18
	v_or3_b32 v17, v17, 0, 0
	v_and_b32_e32 v27, 0xff000000, v18
	v_and_b32_e32 v18, 0xff0000, v18
	s_delay_alu instid0(VALU_DEP_4) | instskip(SKIP_2) | instid1(VALU_DEP_3)
	v_or3_b32 v20, 0, v20, v26
	v_and_b32_e32 v26, 0xff, v19
	v_or3_b32 v17, v17, 0, 0
	v_or3_b32 v18, v20, v18, v27
	s_delay_alu instid0(VALU_DEP_3)
	v_cmpx_eq_u16_e32 0, v26
	s_cbranch_execz .LBB752_50
; %bb.45:
	s_mov_b32 s13, 1
	.p2align	6
.LBB752_46:                             ; =>This Loop Header: Depth=1
                                        ;     Child Loop BB752_47 Depth 2
	s_delay_alu instid0(SALU_CYCLE_1)
	s_max_u32 s17, s13, 1
.LBB752_47:                             ;   Parent Loop BB752_46 Depth=1
                                        ; =>  This Inner Loop Header: Depth=2
	s_delay_alu instid0(SALU_CYCLE_1)
	s_add_i32 s17, s17, -1
	s_sleep 1
	s_cmp_eq_u32 s17, 0
	s_cbranch_scc0 .LBB752_47
; %bb.48:                               ;   in Loop: Header=BB752_46 Depth=1
	;;#ASMSTART
	global_load_dwordx4 v[17:20], v[15:16] off glc	
s_waitcnt vmcnt(0)
	;;#ASMEND
	v_and_b32_e32 v20, 0xff, v19
	s_cmp_lt_u32 s13, 32
	s_cselect_b32 s17, -1, 0
	s_delay_alu instid0(SALU_CYCLE_1) | instskip(NEXT) | instid1(VALU_DEP_1)
	s_cmp_lg_u32 s17, 0
	v_cmp_ne_u16_e32 vcc_lo, 0, v20
	s_addc_u32 s13, s13, 0
	s_or_b32 s12, vcc_lo, s12
	s_delay_alu instid0(SALU_CYCLE_1)
	s_and_not1_b32 exec_lo, exec_lo, s12
	s_cbranch_execnz .LBB752_46
; %bb.49:
	s_or_b32 exec_lo, exec_lo, s12
.LBB752_50:
	s_delay_alu instid0(SALU_CYCLE_1)
	s_or_b32 exec_lo, exec_lo, s11
	v_cmp_ne_u32_e32 vcc_lo, 31, v42
	v_and_b32_e32 v16, 0xff, v19
	v_lshlrev_b32_e64 v46, v42, -1
	s_mov_b32 s11, exec_lo
	v_add_co_ci_u32_e32 v15, vcc_lo, 0, v42, vcc_lo
	s_delay_alu instid0(VALU_DEP_3) | instskip(NEXT) | instid1(VALU_DEP_2)
	v_cmp_eq_u16_e32 vcc_lo, 2, v16
	v_dual_mov_b32 v16, v17 :: v_dual_lshlrev_b32 v45, 2, v15
	v_and_or_b32 v15, vcc_lo, v46, 0x80000000
	ds_bpermute_b32 v26, v45, v17
	ds_bpermute_b32 v20, v45, v18
	v_ctz_i32_b32_e32 v15, v15
	s_delay_alu instid0(VALU_DEP_1)
	v_cmpx_lt_u32_e64 v42, v15
	s_cbranch_execz .LBB752_52
; %bb.51:
	s_waitcnt lgkmcnt(1)
	v_add_co_u32 v16, vcc_lo, v17, v26
	v_add_co_ci_u32_e32 v18, vcc_lo, 0, v18, vcc_lo
	s_delay_alu instid0(VALU_DEP_2) | instskip(SKIP_1) | instid1(VALU_DEP_2)
	v_add_co_u32 v17, vcc_lo, 0, v16
	s_waitcnt lgkmcnt(0)
	v_add_co_ci_u32_e32 v18, vcc_lo, v20, v18, vcc_lo
.LBB752_52:
	s_or_b32 exec_lo, exec_lo, s11
	v_cmp_gt_u32_e32 vcc_lo, 30, v42
	v_add_nc_u32_e32 v48, 2, v42
	s_mov_b32 s11, exec_lo
	s_waitcnt lgkmcnt(0)
	v_cndmask_b32_e64 v20, 0, 1, vcc_lo
	s_delay_alu instid0(VALU_DEP_1) | instskip(NEXT) | instid1(VALU_DEP_1)
	v_lshlrev_b32_e32 v20, 1, v20
	v_add_lshl_u32 v47, v20, v42, 2
	ds_bpermute_b32 v26, v47, v16
	ds_bpermute_b32 v20, v47, v18
	v_cmpx_le_u32_e64 v48, v15
	s_cbranch_execz .LBB752_54
; %bb.53:
	s_waitcnt lgkmcnt(1)
	v_add_co_u32 v16, vcc_lo, v17, v26
	v_add_co_ci_u32_e32 v18, vcc_lo, 0, v18, vcc_lo
	s_delay_alu instid0(VALU_DEP_2) | instskip(SKIP_1) | instid1(VALU_DEP_2)
	v_add_co_u32 v17, vcc_lo, 0, v16
	s_waitcnt lgkmcnt(0)
	v_add_co_ci_u32_e32 v18, vcc_lo, v20, v18, vcc_lo
.LBB752_54:
	s_or_b32 exec_lo, exec_lo, s11
	v_cmp_gt_u32_e32 vcc_lo, 28, v42
	v_add_nc_u32_e32 v50, 4, v42
	s_mov_b32 s11, exec_lo
	s_waitcnt lgkmcnt(0)
	v_cndmask_b32_e64 v20, 0, 1, vcc_lo
	s_delay_alu instid0(VALU_DEP_1) | instskip(NEXT) | instid1(VALU_DEP_1)
	v_lshlrev_b32_e32 v20, 2, v20
	v_add_lshl_u32 v49, v20, v42, 2
	ds_bpermute_b32 v26, v49, v16
	ds_bpermute_b32 v20, v49, v18
	v_cmpx_le_u32_e64 v50, v15
	;; [unrolled: 22-line block ×4, first 2 shown]
	s_cbranch_execz .LBB752_60
; %bb.59:
	s_waitcnt lgkmcnt(1)
	v_add_co_u32 v15, vcc_lo, v17, v20
	v_add_co_ci_u32_e32 v18, vcc_lo, 0, v18, vcc_lo
	s_delay_alu instid0(VALU_DEP_2) | instskip(SKIP_1) | instid1(VALU_DEP_2)
	v_add_co_u32 v17, vcc_lo, v15, 0
	s_waitcnt lgkmcnt(0)
	v_add_co_ci_u32_e32 v18, vcc_lo, v18, v16, vcc_lo
.LBB752_60:
	s_or_b32 exec_lo, exec_lo, s11
	v_mov_b32_e32 v26, 0
	s_branch .LBB752_62
.LBB752_61:                             ;   in Loop: Header=BB752_62 Depth=1
	s_or_b32 exec_lo, exec_lo, s11
	v_add_co_u32 v17, vcc_lo, v17, v15
	v_subrev_nc_u32_e32 v25, 32, v25
	v_add_co_ci_u32_e32 v18, vcc_lo, v18, v16, vcc_lo
.LBB752_62:                             ; =>This Loop Header: Depth=1
                                        ;     Child Loop BB752_65 Depth 2
                                        ;       Child Loop BB752_66 Depth 3
	v_and_b32_e32 v15, 0xff, v19
	s_delay_alu instid0(VALU_DEP_1) | instskip(SKIP_2) | instid1(VALU_DEP_1)
	v_cmp_ne_u16_e32 vcc_lo, 2, v15
	v_cndmask_b32_e64 v15, 0, 1, vcc_lo
	;;#ASMSTART
	;;#ASMEND
	v_cmp_ne_u32_e32 vcc_lo, 0, v15
	s_waitcnt lgkmcnt(0)
	v_dual_mov_b32 v15, v17 :: v_dual_mov_b32 v16, v18
	s_cmp_lg_u32 vcc_lo, exec_lo
	s_cbranch_scc1 .LBB752_79
; %bb.63:                               ;   in Loop: Header=BB752_62 Depth=1
	v_lshlrev_b64 v[17:18], 4, v[25:26]
	s_mov_b32 s11, exec_lo
	s_delay_alu instid0(VALU_DEP_1) | instskip(NEXT) | instid1(VALU_DEP_2)
	v_add_co_u32 v27, vcc_lo, s8, v17
	v_add_co_ci_u32_e32 v28, vcc_lo, s9, v18, vcc_lo
	;;#ASMSTART
	global_load_dwordx4 v[17:20], v[27:28] off glc	
s_waitcnt vmcnt(0)
	;;#ASMEND
	v_and_b32_e32 v20, 0xff, v18
	v_and_b32_e32 v55, 0xff00, v18
	v_or3_b32 v17, v17, 0, 0
	v_and_b32_e32 v56, 0xff000000, v18
	v_and_b32_e32 v18, 0xff0000, v18
	s_delay_alu instid0(VALU_DEP_4) | instskip(SKIP_2) | instid1(VALU_DEP_3)
	v_or3_b32 v20, 0, v20, v55
	v_and_b32_e32 v55, 0xff, v19
	v_or3_b32 v17, v17, 0, 0
	v_or3_b32 v18, v20, v18, v56
	s_delay_alu instid0(VALU_DEP_3)
	v_cmpx_eq_u16_e32 0, v55
	s_cbranch_execz .LBB752_69
; %bb.64:                               ;   in Loop: Header=BB752_62 Depth=1
	s_mov_b32 s13, 1
	s_mov_b32 s12, 0
	.p2align	6
.LBB752_65:                             ;   Parent Loop BB752_62 Depth=1
                                        ; =>  This Loop Header: Depth=2
                                        ;       Child Loop BB752_66 Depth 3
	s_max_u32 s17, s13, 1
.LBB752_66:                             ;   Parent Loop BB752_62 Depth=1
                                        ;     Parent Loop BB752_65 Depth=2
                                        ; =>    This Inner Loop Header: Depth=3
	s_delay_alu instid0(SALU_CYCLE_1)
	s_add_i32 s17, s17, -1
	s_sleep 1
	s_cmp_eq_u32 s17, 0
	s_cbranch_scc0 .LBB752_66
; %bb.67:                               ;   in Loop: Header=BB752_65 Depth=2
	;;#ASMSTART
	global_load_dwordx4 v[17:20], v[27:28] off glc	
s_waitcnt vmcnt(0)
	;;#ASMEND
	v_and_b32_e32 v20, 0xff, v19
	s_cmp_lt_u32 s13, 32
	s_cselect_b32 s17, -1, 0
	s_delay_alu instid0(SALU_CYCLE_1) | instskip(NEXT) | instid1(VALU_DEP_1)
	s_cmp_lg_u32 s17, 0
	v_cmp_ne_u16_e32 vcc_lo, 0, v20
	s_addc_u32 s13, s13, 0
	s_or_b32 s12, vcc_lo, s12
	s_delay_alu instid0(SALU_CYCLE_1)
	s_and_not1_b32 exec_lo, exec_lo, s12
	s_cbranch_execnz .LBB752_65
; %bb.68:                               ;   in Loop: Header=BB752_62 Depth=1
	s_or_b32 exec_lo, exec_lo, s12
.LBB752_69:                             ;   in Loop: Header=BB752_62 Depth=1
	s_delay_alu instid0(SALU_CYCLE_1)
	s_or_b32 exec_lo, exec_lo, s11
	v_dual_mov_b32 v27, v17 :: v_dual_and_b32 v20, 0xff, v19
	ds_bpermute_b32 v55, v45, v17
	ds_bpermute_b32 v28, v45, v18
	s_mov_b32 s11, exec_lo
	v_cmp_eq_u16_e32 vcc_lo, 2, v20
	v_and_or_b32 v20, vcc_lo, v46, 0x80000000
	s_delay_alu instid0(VALU_DEP_1) | instskip(NEXT) | instid1(VALU_DEP_1)
	v_ctz_i32_b32_e32 v20, v20
	v_cmpx_lt_u32_e64 v42, v20
	s_cbranch_execz .LBB752_71
; %bb.70:                               ;   in Loop: Header=BB752_62 Depth=1
	s_waitcnt lgkmcnt(1)
	v_add_co_u32 v27, vcc_lo, v17, v55
	v_add_co_ci_u32_e32 v18, vcc_lo, 0, v18, vcc_lo
	s_delay_alu instid0(VALU_DEP_2) | instskip(SKIP_1) | instid1(VALU_DEP_2)
	v_add_co_u32 v17, vcc_lo, 0, v27
	s_waitcnt lgkmcnt(0)
	v_add_co_ci_u32_e32 v18, vcc_lo, v28, v18, vcc_lo
.LBB752_71:                             ;   in Loop: Header=BB752_62 Depth=1
	s_or_b32 exec_lo, exec_lo, s11
	s_waitcnt lgkmcnt(1)
	ds_bpermute_b32 v55, v47, v27
	s_waitcnt lgkmcnt(1)
	ds_bpermute_b32 v28, v47, v18
	s_mov_b32 s11, exec_lo
	v_cmpx_le_u32_e64 v48, v20
	s_cbranch_execz .LBB752_73
; %bb.72:                               ;   in Loop: Header=BB752_62 Depth=1
	s_waitcnt lgkmcnt(1)
	v_add_co_u32 v27, vcc_lo, v17, v55
	v_add_co_ci_u32_e32 v18, vcc_lo, 0, v18, vcc_lo
	s_delay_alu instid0(VALU_DEP_2) | instskip(SKIP_1) | instid1(VALU_DEP_2)
	v_add_co_u32 v17, vcc_lo, 0, v27
	s_waitcnt lgkmcnt(0)
	v_add_co_ci_u32_e32 v18, vcc_lo, v28, v18, vcc_lo
.LBB752_73:                             ;   in Loop: Header=BB752_62 Depth=1
	s_or_b32 exec_lo, exec_lo, s11
	s_waitcnt lgkmcnt(1)
	ds_bpermute_b32 v55, v49, v27
	s_waitcnt lgkmcnt(1)
	ds_bpermute_b32 v28, v49, v18
	s_mov_b32 s11, exec_lo
	v_cmpx_le_u32_e64 v50, v20
	;; [unrolled: 17-line block ×3, first 2 shown]
	s_cbranch_execz .LBB752_77
; %bb.76:                               ;   in Loop: Header=BB752_62 Depth=1
	s_waitcnt lgkmcnt(1)
	v_add_co_u32 v27, vcc_lo, v17, v55
	v_add_co_ci_u32_e32 v18, vcc_lo, 0, v18, vcc_lo
	s_delay_alu instid0(VALU_DEP_2) | instskip(SKIP_1) | instid1(VALU_DEP_2)
	v_add_co_u32 v17, vcc_lo, 0, v27
	s_waitcnt lgkmcnt(0)
	v_add_co_ci_u32_e32 v18, vcc_lo, v28, v18, vcc_lo
.LBB752_77:                             ;   in Loop: Header=BB752_62 Depth=1
	s_or_b32 exec_lo, exec_lo, s11
	s_waitcnt lgkmcnt(0)
	ds_bpermute_b32 v28, v53, v27
	ds_bpermute_b32 v27, v53, v18
	s_mov_b32 s11, exec_lo
	v_cmpx_le_u32_e64 v54, v20
	s_cbranch_execz .LBB752_61
; %bb.78:                               ;   in Loop: Header=BB752_62 Depth=1
	s_waitcnt lgkmcnt(1)
	v_add_co_u32 v17, vcc_lo, v17, v28
	v_add_co_ci_u32_e32 v18, vcc_lo, 0, v18, vcc_lo
	s_delay_alu instid0(VALU_DEP_2) | instskip(SKIP_1) | instid1(VALU_DEP_2)
	v_add_co_u32 v17, vcc_lo, v17, 0
	s_waitcnt lgkmcnt(0)
	v_add_co_ci_u32_e32 v18, vcc_lo, v18, v27, vcc_lo
	s_branch .LBB752_61
.LBB752_79:                             ;   in Loop: Header=BB752_62 Depth=1
                                        ; implicit-def: $vgpr17_vgpr18
	s_cbranch_execz .LBB752_62
; %bb.80:
	s_and_saveexec_b32 s11, s3
	s_cbranch_execz .LBB752_82
; %bb.81:
	s_add_i32 s12, s15, 32
	s_mov_b32 s13, 0
	v_add_co_u32 v17, vcc_lo, v15, v13
	s_lshl_b64 s[12:13], s[12:13], 4
	v_dual_mov_b32 v19, 2 :: v_dual_mov_b32 v20, 0
	s_add_u32 s12, s8, s12
	s_addc_u32 s13, s9, s13
	v_add_co_ci_u32_e32 v18, vcc_lo, v16, v14, vcc_lo
	v_dual_mov_b32 v26, s13 :: v_dual_mov_b32 v25, s12
	;;#ASMSTART
	global_store_dwordx4 v[25:26], v[17:20] off	
s_waitcnt vmcnt(0)
	;;#ASMEND
	ds_store_b128 v20, v[13:16] offset:6144
.LBB752_82:
	s_or_b32 exec_lo, exec_lo, s11
	v_cmp_eq_u32_e32 vcc_lo, 0, v0
	s_and_b32 exec_lo, exec_lo, vcc_lo
	s_cbranch_execz .LBB752_84
; %bb.83:
	v_mov_b32_e32 v13, 0
	ds_store_b64 v13, v[15:16] offset:24
.LBB752_84:
	s_or_b32 exec_lo, exec_lo, s10
	s_waitcnt lgkmcnt(1)
	v_cndmask_b32_e64 v16, v29, v23, s3
	v_cmp_ne_u32_e32 vcc_lo, 0, v0
	v_mov_b32_e32 v15, 0
	s_waitcnt lgkmcnt(0)
	s_barrier
	buffer_gl0_inv
	v_cndmask_b32_e32 v16, 0, v16, vcc_lo
	ds_load_b64 v[13:14], v15 offset:24
	v_cndmask_b32_e64 v17, v30, v24, s3
	s_waitcnt lgkmcnt(0)
	s_barrier
	buffer_gl0_inv
	v_cndmask_b32_e32 v17, 0, v17, vcc_lo
	v_add_co_u32 v29, vcc_lo, v13, v16
	s_delay_alu instid0(VALU_DEP_2) | instskip(SKIP_3) | instid1(VALU_DEP_2)
	v_add_co_ci_u32_e32 v30, vcc_lo, v14, v17, vcc_lo
	ds_load_b128 v[13:16], v15 offset:6144
	v_add_co_u32 v27, vcc_lo, v29, v41
	v_add_co_ci_u32_e32 v28, vcc_lo, 0, v30, vcc_lo
	v_add_co_u32 v25, vcc_lo, v27, v40
	s_delay_alu instid0(VALU_DEP_2) | instskip(NEXT) | instid1(VALU_DEP_2)
	v_add_co_ci_u32_e32 v26, vcc_lo, 0, v28, vcc_lo
	v_add_co_u32 v23, vcc_lo, v25, v39
	s_delay_alu instid0(VALU_DEP_2) | instskip(NEXT) | instid1(VALU_DEP_2)
	;; [unrolled: 3-line block ×3, first 2 shown]
	v_add_co_ci_u32_e32 v20, vcc_lo, 0, v24, vcc_lo
	v_add_co_u32 v17, vcc_lo, v19, v37
	s_delay_alu instid0(VALU_DEP_2)
	v_add_co_ci_u32_e32 v18, vcc_lo, 0, v20, vcc_lo
	s_load_b64 s[10:11], s[0:1], 0x30
.LBB752_85:
	s_waitcnt lgkmcnt(0)
	v_cmp_gt_u64_e32 vcc_lo, 0x81, v[13:14]
	s_mov_b32 s0, -1
	s_cbranch_vccnz .LBB752_113
.LBB752_86:
	s_and_b32 vcc_lo, exec_lo, s0
	s_cbranch_vccnz .LBB752_132
.LBB752_87:
	v_cmp_eq_u32_e32 vcc_lo, 0, v0
	s_and_b32 s0, vcc_lo, s14
	s_delay_alu instid0(SALU_CYCLE_1)
	s_and_saveexec_b32 s1, s0
	s_cbranch_execnz .LBB752_148
.LBB752_88:
	s_nop 0
	s_sendmsg sendmsg(MSG_DEALLOC_VGPRS)
	s_endpgm
.LBB752_89:
                                        ; kill: def $vgpr13_vgpr14 killed $sgpr0_sgpr1 killed $exec
                                        ; implicit-def: $vgpr17_vgpr18
                                        ; implicit-def: $vgpr19_vgpr20
                                        ; implicit-def: $vgpr23_vgpr24
                                        ; implicit-def: $vgpr25_vgpr26
                                        ; implicit-def: $vgpr27_vgpr28
                                        ; implicit-def: $vgpr29_vgpr30
                                        ; implicit-def: $vgpr15_vgpr16
	s_load_b64 s[10:11], s[0:1], 0x30
	s_and_b32 vcc_lo, exec_lo, s3
	s_cbranch_vccz .LBB752_85
; %bb.90:
	s_waitcnt lgkmcnt(0)
	v_dual_mov_b32 v14, 0 :: v_dual_mov_b32 v15, v21
	v_mov_b32_dpp v16, v21 row_shr:1 row_mask:0xf bank_mask:0xf
	s_delay_alu instid0(VALU_DEP_2)
	v_mov_b32_dpp v13, v14 row_shr:1 row_mask:0xf bank_mask:0xf
	s_and_saveexec_b32 s0, s2
; %bb.91:
	s_delay_alu instid0(VALU_DEP_2) | instskip(SKIP_1) | instid1(VALU_DEP_2)
	v_add_co_u32 v15, vcc_lo, v21, v16
	v_add_co_ci_u32_e32 v14, vcc_lo, 0, v22, vcc_lo
	v_add_co_u32 v21, vcc_lo, 0, v15
	s_delay_alu instid0(VALU_DEP_2) | instskip(NEXT) | instid1(VALU_DEP_1)
	v_add_co_ci_u32_e32 v22, vcc_lo, v13, v14, vcc_lo
	v_mov_b32_e32 v14, v22
; %bb.92:
	s_or_b32 exec_lo, exec_lo, s0
	v_mov_b32_dpp v13, v15 row_shr:2 row_mask:0xf bank_mask:0xf
	s_delay_alu instid0(VALU_DEP_2)
	v_mov_b32_dpp v16, v14 row_shr:2 row_mask:0xf bank_mask:0xf
	s_mov_b32 s0, exec_lo
	v_cmpx_lt_u32_e32 1, v44
; %bb.93:
	s_delay_alu instid0(VALU_DEP_3) | instskip(SKIP_1) | instid1(VALU_DEP_2)
	v_add_co_u32 v15, vcc_lo, v21, v13
	v_add_co_ci_u32_e32 v14, vcc_lo, 0, v22, vcc_lo
	v_add_co_u32 v13, vcc_lo, 0, v15
	s_delay_alu instid0(VALU_DEP_2) | instskip(NEXT) | instid1(VALU_DEP_1)
	v_add_co_ci_u32_e32 v14, vcc_lo, v16, v14, vcc_lo
	v_dual_mov_b32 v22, v14 :: v_dual_mov_b32 v21, v13
; %bb.94:
	s_or_b32 exec_lo, exec_lo, s0
	v_mov_b32_dpp v13, v15 row_shr:4 row_mask:0xf bank_mask:0xf
	v_mov_b32_dpp v16, v14 row_shr:4 row_mask:0xf bank_mask:0xf
	s_mov_b32 s0, exec_lo
	v_cmpx_lt_u32_e32 3, v44
; %bb.95:
	s_delay_alu instid0(VALU_DEP_3) | instskip(SKIP_1) | instid1(VALU_DEP_2)
	v_add_co_u32 v15, vcc_lo, v21, v13
	v_add_co_ci_u32_e32 v14, vcc_lo, 0, v22, vcc_lo
	v_add_co_u32 v13, vcc_lo, 0, v15
	s_delay_alu instid0(VALU_DEP_2) | instskip(NEXT) | instid1(VALU_DEP_1)
	v_add_co_ci_u32_e32 v14, vcc_lo, v16, v14, vcc_lo
	v_dual_mov_b32 v22, v14 :: v_dual_mov_b32 v21, v13
; %bb.96:
	s_or_b32 exec_lo, exec_lo, s0
	v_mov_b32_dpp v16, v15 row_shr:8 row_mask:0xf bank_mask:0xf
	v_mov_b32_dpp v13, v14 row_shr:8 row_mask:0xf bank_mask:0xf
	s_mov_b32 s0, exec_lo
	v_cmpx_lt_u32_e32 7, v44
; %bb.97:
	s_delay_alu instid0(VALU_DEP_3) | instskip(SKIP_1) | instid1(VALU_DEP_2)
	v_add_co_u32 v15, vcc_lo, v21, v16
	v_add_co_ci_u32_e32 v14, vcc_lo, 0, v22, vcc_lo
	v_add_co_u32 v21, vcc_lo, 0, v15
	s_delay_alu instid0(VALU_DEP_2) | instskip(NEXT) | instid1(VALU_DEP_1)
	v_add_co_ci_u32_e32 v22, vcc_lo, v13, v14, vcc_lo
	v_mov_b32_e32 v14, v22
; %bb.98:
	s_or_b32 exec_lo, exec_lo, s0
	ds_swizzle_b32 v15, v15 offset:swizzle(BROADCAST,32,15)
	ds_swizzle_b32 v13, v14 offset:swizzle(BROADCAST,32,15)
	v_and_b32_e32 v14, 16, v42
	s_mov_b32 s0, exec_lo
	s_delay_alu instid0(VALU_DEP_1)
	v_cmpx_ne_u32_e32 0, v14
	s_cbranch_execz .LBB752_100
; %bb.99:
	s_waitcnt lgkmcnt(1)
	v_add_co_u32 v14, vcc_lo, v21, v15
	v_add_co_ci_u32_e32 v15, vcc_lo, 0, v22, vcc_lo
	s_delay_alu instid0(VALU_DEP_2) | instskip(SKIP_1) | instid1(VALU_DEP_2)
	v_add_co_u32 v21, vcc_lo, v14, 0
	s_waitcnt lgkmcnt(0)
	v_add_co_ci_u32_e32 v22, vcc_lo, v15, v13, vcc_lo
.LBB752_100:
	s_or_b32 exec_lo, exec_lo, s0
	s_waitcnt lgkmcnt(0)
	v_or_b32_e32 v13, 31, v0
	v_lshrrev_b32_e32 v15, 5, v0
	s_mov_b32 s0, exec_lo
	s_delay_alu instid0(VALU_DEP_2)
	v_cmpx_eq_u32_e64 v13, v0
	s_cbranch_execz .LBB752_102
; %bb.101:
	s_delay_alu instid0(VALU_DEP_2)
	v_lshlrev_b32_e32 v13, 3, v15
	ds_store_b64 v13, v[21:22]
.LBB752_102:
	s_or_b32 exec_lo, exec_lo, s0
	s_delay_alu instid0(SALU_CYCLE_1)
	s_mov_b32 s0, exec_lo
	s_waitcnt lgkmcnt(0)
	s_barrier
	buffer_gl0_inv
	v_cmpx_gt_u32_e32 4, v0
	s_cbranch_execz .LBB752_108
; %bb.103:
	v_lshlrev_b32_e32 v13, 1, v0
	s_mov_b32 s1, exec_lo
	s_delay_alu instid0(VALU_DEP_1)
	v_add_nc_u32_e32 v16, v43, v13
	ds_load_b64 v[13:14], v16
	s_waitcnt lgkmcnt(0)
	v_dual_mov_b32 v18, v13 :: v_dual_and_b32 v17, 3, v42
	v_mov_b32_dpp v20, v13 row_shr:1 row_mask:0xf bank_mask:0xf
	v_mov_b32_dpp v19, v14 row_shr:1 row_mask:0xf bank_mask:0xf
	s_delay_alu instid0(VALU_DEP_3)
	v_cmpx_ne_u32_e32 0, v17
; %bb.104:
	s_delay_alu instid0(VALU_DEP_3) | instskip(SKIP_1) | instid1(VALU_DEP_2)
	v_add_co_u32 v18, vcc_lo, v13, v20
	v_add_co_ci_u32_e32 v14, vcc_lo, 0, v14, vcc_lo
	v_add_co_u32 v13, vcc_lo, 0, v18
	s_delay_alu instid0(VALU_DEP_2)
	v_add_co_ci_u32_e32 v14, vcc_lo, v19, v14, vcc_lo
; %bb.105:
	s_or_b32 exec_lo, exec_lo, s1
	v_mov_b32_dpp v19, v18 row_shr:2 row_mask:0xf bank_mask:0xf
	s_delay_alu instid0(VALU_DEP_2)
	v_mov_b32_dpp v18, v14 row_shr:2 row_mask:0xf bank_mask:0xf
	s_mov_b32 s1, exec_lo
	v_cmpx_lt_u32_e32 1, v17
; %bb.106:
	s_delay_alu instid0(VALU_DEP_3) | instskip(SKIP_1) | instid1(VALU_DEP_2)
	v_add_co_u32 v13, vcc_lo, v13, v19
	v_add_co_ci_u32_e32 v14, vcc_lo, 0, v14, vcc_lo
	v_add_co_u32 v13, vcc_lo, v13, 0
	s_delay_alu instid0(VALU_DEP_2)
	v_add_co_ci_u32_e32 v14, vcc_lo, v14, v18, vcc_lo
; %bb.107:
	s_or_b32 exec_lo, exec_lo, s1
	ds_store_b64 v16, v[13:14]
.LBB752_108:
	s_or_b32 exec_lo, exec_lo, s0
	v_mov_b32_e32 v17, 0
	v_mov_b32_e32 v18, 0
	s_mov_b32 s0, exec_lo
	s_waitcnt lgkmcnt(0)
	s_barrier
	buffer_gl0_inv
	v_cmpx_lt_u32_e32 31, v0
	s_cbranch_execz .LBB752_110
; %bb.109:
	v_lshl_add_u32 v13, v15, 3, -8
	ds_load_b64 v[17:18], v13
.LBB752_110:
	s_or_b32 exec_lo, exec_lo, s0
	v_dual_mov_b32 v16, 0 :: v_dual_add_nc_u32 v13, -1, v42
	s_delay_alu instid0(VALU_DEP_1) | instskip(SKIP_4) | instid1(VALU_DEP_3)
	v_cmp_gt_i32_e32 vcc_lo, 0, v13
	v_cndmask_b32_e32 v13, v13, v42, vcc_lo
	s_waitcnt lgkmcnt(0)
	v_add_co_u32 v14, vcc_lo, v17, v21
	v_add_co_ci_u32_e32 v15, vcc_lo, v18, v22, vcc_lo
	v_lshlrev_b32_e32 v13, 2, v13
	v_cmp_eq_u32_e32 vcc_lo, 0, v0
	ds_bpermute_b32 v19, v13, v14
	ds_bpermute_b32 v20, v13, v15
	ds_load_b64 v[13:14], v16 offset:24
	s_and_saveexec_b32 s0, vcc_lo
	s_cbranch_execz .LBB752_112
; %bb.111:
	s_add_u32 s2, s8, 0x200
	s_addc_u32 s3, s9, 0
	s_delay_alu instid0(SALU_CYCLE_1)
	v_dual_mov_b32 v15, 2 :: v_dual_mov_b32 v22, s3
	v_mov_b32_e32 v21, s2
	s_waitcnt lgkmcnt(0)
	;;#ASMSTART
	global_store_dwordx4 v[21:22], v[13:16] off	
s_waitcnt vmcnt(0)
	;;#ASMEND
.LBB752_112:
	s_or_b32 exec_lo, exec_lo, s0
	v_cmp_eq_u32_e64 s0, 0, v42
	s_waitcnt lgkmcnt(0)
	s_barrier
	buffer_gl0_inv
	v_cndmask_b32_e64 v15, v19, v17, s0
	v_cndmask_b32_e64 v16, v20, v18, s0
	s_delay_alu instid0(VALU_DEP_2) | instskip(NEXT) | instid1(VALU_DEP_2)
	v_cndmask_b32_e64 v29, v15, 0, vcc_lo
	v_cndmask_b32_e64 v30, v16, 0, vcc_lo
	v_mov_b32_e32 v15, 0
	v_mov_b32_e32 v16, 0
	s_delay_alu instid0(VALU_DEP_4) | instskip(NEXT) | instid1(VALU_DEP_4)
	v_add_co_u32 v27, vcc_lo, v29, v41
	v_add_co_ci_u32_e32 v28, vcc_lo, 0, v30, vcc_lo
	s_delay_alu instid0(VALU_DEP_2) | instskip(NEXT) | instid1(VALU_DEP_2)
	v_add_co_u32 v25, vcc_lo, v27, v40
	v_add_co_ci_u32_e32 v26, vcc_lo, 0, v28, vcc_lo
	s_delay_alu instid0(VALU_DEP_2) | instskip(NEXT) | instid1(VALU_DEP_2)
	;; [unrolled: 3-line block ×4, first 2 shown]
	v_add_co_u32 v17, vcc_lo, v19, v37
	v_add_co_ci_u32_e32 v18, vcc_lo, 0, v20, vcc_lo
	v_cmp_gt_u64_e32 vcc_lo, 0x81, v[13:14]
	s_mov_b32 s0, -1
	s_cbranch_vccz .LBB752_86
.LBB752_113:
	v_add_co_u32 v21, vcc_lo, v15, v13
	v_add_co_ci_u32_e32 v22, vcc_lo, v16, v14, vcc_lo
	s_delay_alu instid0(VALU_DEP_1) | instskip(SKIP_1) | instid1(SALU_CYCLE_1)
	v_cmp_lt_u64_e32 vcc_lo, v[29:30], v[21:22]
	s_or_b32 s1, s16, vcc_lo
	s_and_saveexec_b32 s0, s1
	s_cbranch_execz .LBB752_116
; %bb.114:
	v_and_b32_e32 v37, 1, v36
	s_delay_alu instid0(VALU_DEP_1)
	v_cmp_eq_u32_e32 vcc_lo, 1, v37
	s_and_b32 exec_lo, exec_lo, vcc_lo
	s_cbranch_execz .LBB752_116
; %bb.115:
	v_lshlrev_b64 v[37:38], 3, v[29:30]
	s_lshl_b64 s[2:3], s[6:7], 3
	s_delay_alu instid0(SALU_CYCLE_1) | instskip(SKIP_1) | instid1(VALU_DEP_1)
	s_add_u32 s1, s10, s2
	s_addc_u32 s2, s11, s3
	v_add_co_u32 v37, vcc_lo, s1, v37
	s_delay_alu instid0(VALU_DEP_2)
	v_add_co_ci_u32_e32 v38, vcc_lo, s2, v38, vcc_lo
	global_store_b64 v[37:38], v[9:10], off
.LBB752_116:
	s_or_b32 exec_lo, exec_lo, s0
	v_cmp_lt_u64_e32 vcc_lo, v[27:28], v[21:22]
	s_or_b32 s1, s16, vcc_lo
	s_delay_alu instid0(SALU_CYCLE_1)
	s_and_saveexec_b32 s0, s1
	s_cbranch_execz .LBB752_119
; %bb.117:
	v_and_b32_e32 v30, 1, v34
	s_delay_alu instid0(VALU_DEP_1)
	v_cmp_eq_u32_e32 vcc_lo, 1, v30
	s_and_b32 exec_lo, exec_lo, vcc_lo
	s_cbranch_execz .LBB752_119
; %bb.118:
	v_lshlrev_b64 v[37:38], 3, v[27:28]
	s_lshl_b64 s[2:3], s[6:7], 3
	s_delay_alu instid0(SALU_CYCLE_1) | instskip(SKIP_1) | instid1(VALU_DEP_1)
	s_add_u32 s1, s10, s2
	s_addc_u32 s2, s11, s3
	v_add_co_u32 v37, vcc_lo, s1, v37
	s_delay_alu instid0(VALU_DEP_2)
	v_add_co_ci_u32_e32 v38, vcc_lo, s2, v38, vcc_lo
	global_store_b64 v[37:38], v[11:12], off
.LBB752_119:
	s_or_b32 exec_lo, exec_lo, s0
	v_cmp_lt_u64_e32 vcc_lo, v[25:26], v[21:22]
	s_or_b32 s1, s16, vcc_lo
	s_delay_alu instid0(SALU_CYCLE_1)
	;; [unrolled: 23-line block ×5, first 2 shown]
	s_and_saveexec_b32 s0, s1
	s_cbranch_execz .LBB752_131
; %bb.129:
	v_and_b32_e32 v20, 1, v32
	s_delay_alu instid0(VALU_DEP_1)
	v_cmp_eq_u32_e32 vcc_lo, 1, v20
	s_and_b32 exec_lo, exec_lo, vcc_lo
	s_cbranch_execz .LBB752_131
; %bb.130:
	v_lshlrev_b64 v[20:21], 3, v[17:18]
	s_lshl_b64 s[2:3], s[6:7], 3
	s_delay_alu instid0(SALU_CYCLE_1) | instskip(SKIP_1) | instid1(VALU_DEP_1)
	s_add_u32 s1, s10, s2
	s_addc_u32 s2, s11, s3
	v_add_co_u32 v20, vcc_lo, s1, v20
	s_delay_alu instid0(VALU_DEP_2)
	v_add_co_ci_u32_e32 v21, vcc_lo, s2, v21, vcc_lo
	global_store_b64 v[20:21], v[3:4], off
.LBB752_131:
	s_or_b32 exec_lo, exec_lo, s0
	s_branch .LBB752_87
.LBB752_132:
	v_and_b32_e32 v18, 1, v36
	s_mov_b32 s0, exec_lo
	s_delay_alu instid0(VALU_DEP_1)
	v_cmpx_eq_u32_e32 1, v18
	s_cbranch_execz .LBB752_134
; %bb.133:
	v_sub_nc_u32_e32 v18, v29, v15
	s_delay_alu instid0(VALU_DEP_1)
	v_lshlrev_b32_e32 v18, 3, v18
	ds_store_b64 v18, v[9:10]
.LBB752_134:
	s_or_b32 exec_lo, exec_lo, s0
	v_and_b32_e32 v9, 1, v34
	s_mov_b32 s0, exec_lo
	s_delay_alu instid0(VALU_DEP_1)
	v_cmpx_eq_u32_e32 1, v9
	s_cbranch_execz .LBB752_136
; %bb.135:
	v_sub_nc_u32_e32 v9, v27, v15
	s_delay_alu instid0(VALU_DEP_1)
	v_lshlrev_b32_e32 v9, 3, v9
	ds_store_b64 v9, v[11:12]
.LBB752_136:
	s_or_b32 exec_lo, exec_lo, s0
	;; [unrolled: 12-line block ×6, first 2 shown]
	v_mov_b32_e32 v3, 0
	s_mov_b32 s1, exec_lo
	s_waitcnt lgkmcnt(0)
	s_waitcnt_vscnt null, 0x0
	s_barrier
	buffer_gl0_inv
	v_mov_b32_e32 v1, v3
	s_delay_alu instid0(VALU_DEP_1)
	v_cmpx_gt_u64_e64 v[13:14], v[0:1]
	s_cbranch_execz .LBB752_147
; %bb.145:
	v_lshlrev_b64 v[4:5], 3, v[15:16]
	s_lshl_b64 s[2:3], s[6:7], 3
	v_or_b32_e32 v2, 0x80, v0
	s_delay_alu instid0(VALU_DEP_2) | instskip(NEXT) | instid1(VALU_DEP_3)
	v_add_co_u32 v4, vcc_lo, s10, v4
	v_add_co_ci_u32_e32 v5, vcc_lo, s11, v5, vcc_lo
	s_delay_alu instid0(VALU_DEP_2) | instskip(NEXT) | instid1(VALU_DEP_2)
	v_add_co_u32 v6, vcc_lo, v4, s2
	v_add_co_ci_u32_e32 v7, vcc_lo, s3, v5, vcc_lo
	v_dual_mov_b32 v5, v1 :: v_dual_mov_b32 v4, v0
	s_mov_b32 s2, 0
	.p2align	6
.LBB752_146:                            ; =>This Inner Loop Header: Depth=1
	s_delay_alu instid0(VALU_DEP_1) | instskip(NEXT) | instid1(VALU_DEP_2)
	v_lshlrev_b32_e32 v1, 3, v4
	v_lshlrev_b64 v[10:11], 3, v[4:5]
	v_dual_mov_b32 v5, v3 :: v_dual_mov_b32 v4, v2
	v_cmp_le_u64_e32 vcc_lo, v[13:14], v[2:3]
	v_add_nc_u32_e32 v2, 0x80, v2
	ds_load_b64 v[8:9], v1
	v_add_co_u32 v10, s0, v6, v10
	s_delay_alu instid0(VALU_DEP_1)
	v_add_co_ci_u32_e64 v11, s0, v7, v11, s0
	s_or_b32 s2, vcc_lo, s2
	s_waitcnt lgkmcnt(0)
	global_store_b64 v[10:11], v[8:9], off
	s_and_not1_b32 exec_lo, exec_lo, s2
	s_cbranch_execnz .LBB752_146
.LBB752_147:
	s_or_b32 exec_lo, exec_lo, s1
	v_cmp_eq_u32_e32 vcc_lo, 0, v0
	s_and_b32 s0, vcc_lo, s14
	s_delay_alu instid0(SALU_CYCLE_1)
	s_and_saveexec_b32 s1, s0
	s_cbranch_execz .LBB752_88
.LBB752_148:
	v_add_co_u32 v0, vcc_lo, v15, v13
	v_add_co_ci_u32_e32 v1, vcc_lo, v16, v14, vcc_lo
	v_mov_b32_e32 v2, 0
	s_delay_alu instid0(VALU_DEP_3) | instskip(NEXT) | instid1(VALU_DEP_3)
	v_add_co_u32 v0, vcc_lo, v0, s6
	v_add_co_ci_u32_e32 v1, vcc_lo, s7, v1, vcc_lo
	global_store_b64 v2, v[0:1], s[4:5]
	s_nop 0
	s_sendmsg sendmsg(MSG_DEALLOC_VGPRS)
	s_endpgm
	.section	.rodata,"a",@progbits
	.p2align	6, 0x0
	.amdhsa_kernel _ZN7rocprim17ROCPRIM_400000_NS6detail17trampoline_kernelINS0_14default_configENS1_25partition_config_selectorILNS1_17partition_subalgoE5ElNS0_10empty_typeEbEEZZNS1_14partition_implILS5_5ELb0ES3_mN6hipcub16HIPCUB_304000_NS21CountingInputIteratorIllEEPS6_NSA_22TransformInputIteratorIbN2at6native12_GLOBAL__N_19NonZeroOpIbEEPKblEENS0_5tupleIJPlS6_EEENSN_IJSD_SD_EEES6_PiJS6_EEE10hipError_tPvRmT3_T4_T5_T6_T7_T9_mT8_P12ihipStream_tbDpT10_ENKUlT_T0_E_clISt17integral_constantIbLb1EES1A_IbLb0EEEEDaS16_S17_EUlS16_E_NS1_11comp_targetILNS1_3genE9ELNS1_11target_archE1100ELNS1_3gpuE3ELNS1_3repE0EEENS1_30default_config_static_selectorELNS0_4arch9wavefront6targetE0EEEvT1_
		.amdhsa_group_segment_fixed_size 6160
		.amdhsa_private_segment_fixed_size 0
		.amdhsa_kernarg_size 120
		.amdhsa_user_sgpr_count 15
		.amdhsa_user_sgpr_dispatch_ptr 0
		.amdhsa_user_sgpr_queue_ptr 0
		.amdhsa_user_sgpr_kernarg_segment_ptr 1
		.amdhsa_user_sgpr_dispatch_id 0
		.amdhsa_user_sgpr_private_segment_size 0
		.amdhsa_wavefront_size32 1
		.amdhsa_uses_dynamic_stack 0
		.amdhsa_enable_private_segment 0
		.amdhsa_system_sgpr_workgroup_id_x 1
		.amdhsa_system_sgpr_workgroup_id_y 0
		.amdhsa_system_sgpr_workgroup_id_z 0
		.amdhsa_system_sgpr_workgroup_info 0
		.amdhsa_system_vgpr_workitem_id 0
		.amdhsa_next_free_vgpr 57
		.amdhsa_next_free_sgpr 20
		.amdhsa_reserve_vcc 1
		.amdhsa_float_round_mode_32 0
		.amdhsa_float_round_mode_16_64 0
		.amdhsa_float_denorm_mode_32 3
		.amdhsa_float_denorm_mode_16_64 3
		.amdhsa_dx10_clamp 1
		.amdhsa_ieee_mode 1
		.amdhsa_fp16_overflow 0
		.amdhsa_workgroup_processor_mode 1
		.amdhsa_memory_ordered 1
		.amdhsa_forward_progress 0
		.amdhsa_shared_vgpr_count 0
		.amdhsa_exception_fp_ieee_invalid_op 0
		.amdhsa_exception_fp_denorm_src 0
		.amdhsa_exception_fp_ieee_div_zero 0
		.amdhsa_exception_fp_ieee_overflow 0
		.amdhsa_exception_fp_ieee_underflow 0
		.amdhsa_exception_fp_ieee_inexact 0
		.amdhsa_exception_int_div_zero 0
	.end_amdhsa_kernel
	.section	.text._ZN7rocprim17ROCPRIM_400000_NS6detail17trampoline_kernelINS0_14default_configENS1_25partition_config_selectorILNS1_17partition_subalgoE5ElNS0_10empty_typeEbEEZZNS1_14partition_implILS5_5ELb0ES3_mN6hipcub16HIPCUB_304000_NS21CountingInputIteratorIllEEPS6_NSA_22TransformInputIteratorIbN2at6native12_GLOBAL__N_19NonZeroOpIbEEPKblEENS0_5tupleIJPlS6_EEENSN_IJSD_SD_EEES6_PiJS6_EEE10hipError_tPvRmT3_T4_T5_T6_T7_T9_mT8_P12ihipStream_tbDpT10_ENKUlT_T0_E_clISt17integral_constantIbLb1EES1A_IbLb0EEEEDaS16_S17_EUlS16_E_NS1_11comp_targetILNS1_3genE9ELNS1_11target_archE1100ELNS1_3gpuE3ELNS1_3repE0EEENS1_30default_config_static_selectorELNS0_4arch9wavefront6targetE0EEEvT1_,"axG",@progbits,_ZN7rocprim17ROCPRIM_400000_NS6detail17trampoline_kernelINS0_14default_configENS1_25partition_config_selectorILNS1_17partition_subalgoE5ElNS0_10empty_typeEbEEZZNS1_14partition_implILS5_5ELb0ES3_mN6hipcub16HIPCUB_304000_NS21CountingInputIteratorIllEEPS6_NSA_22TransformInputIteratorIbN2at6native12_GLOBAL__N_19NonZeroOpIbEEPKblEENS0_5tupleIJPlS6_EEENSN_IJSD_SD_EEES6_PiJS6_EEE10hipError_tPvRmT3_T4_T5_T6_T7_T9_mT8_P12ihipStream_tbDpT10_ENKUlT_T0_E_clISt17integral_constantIbLb1EES1A_IbLb0EEEEDaS16_S17_EUlS16_E_NS1_11comp_targetILNS1_3genE9ELNS1_11target_archE1100ELNS1_3gpuE3ELNS1_3repE0EEENS1_30default_config_static_selectorELNS0_4arch9wavefront6targetE0EEEvT1_,comdat
.Lfunc_end752:
	.size	_ZN7rocprim17ROCPRIM_400000_NS6detail17trampoline_kernelINS0_14default_configENS1_25partition_config_selectorILNS1_17partition_subalgoE5ElNS0_10empty_typeEbEEZZNS1_14partition_implILS5_5ELb0ES3_mN6hipcub16HIPCUB_304000_NS21CountingInputIteratorIllEEPS6_NSA_22TransformInputIteratorIbN2at6native12_GLOBAL__N_19NonZeroOpIbEEPKblEENS0_5tupleIJPlS6_EEENSN_IJSD_SD_EEES6_PiJS6_EEE10hipError_tPvRmT3_T4_T5_T6_T7_T9_mT8_P12ihipStream_tbDpT10_ENKUlT_T0_E_clISt17integral_constantIbLb1EES1A_IbLb0EEEEDaS16_S17_EUlS16_E_NS1_11comp_targetILNS1_3genE9ELNS1_11target_archE1100ELNS1_3gpuE3ELNS1_3repE0EEENS1_30default_config_static_selectorELNS0_4arch9wavefront6targetE0EEEvT1_, .Lfunc_end752-_ZN7rocprim17ROCPRIM_400000_NS6detail17trampoline_kernelINS0_14default_configENS1_25partition_config_selectorILNS1_17partition_subalgoE5ElNS0_10empty_typeEbEEZZNS1_14partition_implILS5_5ELb0ES3_mN6hipcub16HIPCUB_304000_NS21CountingInputIteratorIllEEPS6_NSA_22TransformInputIteratorIbN2at6native12_GLOBAL__N_19NonZeroOpIbEEPKblEENS0_5tupleIJPlS6_EEENSN_IJSD_SD_EEES6_PiJS6_EEE10hipError_tPvRmT3_T4_T5_T6_T7_T9_mT8_P12ihipStream_tbDpT10_ENKUlT_T0_E_clISt17integral_constantIbLb1EES1A_IbLb0EEEEDaS16_S17_EUlS16_E_NS1_11comp_targetILNS1_3genE9ELNS1_11target_archE1100ELNS1_3gpuE3ELNS1_3repE0EEENS1_30default_config_static_selectorELNS0_4arch9wavefront6targetE0EEEvT1_
                                        ; -- End function
	.section	.AMDGPU.csdata,"",@progbits
; Kernel info:
; codeLenInByte = 6268
; NumSgprs: 22
; NumVgprs: 57
; ScratchSize: 0
; MemoryBound: 0
; FloatMode: 240
; IeeeMode: 1
; LDSByteSize: 6160 bytes/workgroup (compile time only)
; SGPRBlocks: 2
; VGPRBlocks: 7
; NumSGPRsForWavesPerEU: 22
; NumVGPRsForWavesPerEU: 57
; Occupancy: 16
; WaveLimiterHint : 1
; COMPUTE_PGM_RSRC2:SCRATCH_EN: 0
; COMPUTE_PGM_RSRC2:USER_SGPR: 15
; COMPUTE_PGM_RSRC2:TRAP_HANDLER: 0
; COMPUTE_PGM_RSRC2:TGID_X_EN: 1
; COMPUTE_PGM_RSRC2:TGID_Y_EN: 0
; COMPUTE_PGM_RSRC2:TGID_Z_EN: 0
; COMPUTE_PGM_RSRC2:TIDIG_COMP_CNT: 0
	.section	.text._ZN7rocprim17ROCPRIM_400000_NS6detail17trampoline_kernelINS0_14default_configENS1_25partition_config_selectorILNS1_17partition_subalgoE5ElNS0_10empty_typeEbEEZZNS1_14partition_implILS5_5ELb0ES3_mN6hipcub16HIPCUB_304000_NS21CountingInputIteratorIllEEPS6_NSA_22TransformInputIteratorIbN2at6native12_GLOBAL__N_19NonZeroOpIbEEPKblEENS0_5tupleIJPlS6_EEENSN_IJSD_SD_EEES6_PiJS6_EEE10hipError_tPvRmT3_T4_T5_T6_T7_T9_mT8_P12ihipStream_tbDpT10_ENKUlT_T0_E_clISt17integral_constantIbLb1EES1A_IbLb0EEEEDaS16_S17_EUlS16_E_NS1_11comp_targetILNS1_3genE8ELNS1_11target_archE1030ELNS1_3gpuE2ELNS1_3repE0EEENS1_30default_config_static_selectorELNS0_4arch9wavefront6targetE0EEEvT1_,"axG",@progbits,_ZN7rocprim17ROCPRIM_400000_NS6detail17trampoline_kernelINS0_14default_configENS1_25partition_config_selectorILNS1_17partition_subalgoE5ElNS0_10empty_typeEbEEZZNS1_14partition_implILS5_5ELb0ES3_mN6hipcub16HIPCUB_304000_NS21CountingInputIteratorIllEEPS6_NSA_22TransformInputIteratorIbN2at6native12_GLOBAL__N_19NonZeroOpIbEEPKblEENS0_5tupleIJPlS6_EEENSN_IJSD_SD_EEES6_PiJS6_EEE10hipError_tPvRmT3_T4_T5_T6_T7_T9_mT8_P12ihipStream_tbDpT10_ENKUlT_T0_E_clISt17integral_constantIbLb1EES1A_IbLb0EEEEDaS16_S17_EUlS16_E_NS1_11comp_targetILNS1_3genE8ELNS1_11target_archE1030ELNS1_3gpuE2ELNS1_3repE0EEENS1_30default_config_static_selectorELNS0_4arch9wavefront6targetE0EEEvT1_,comdat
	.globl	_ZN7rocprim17ROCPRIM_400000_NS6detail17trampoline_kernelINS0_14default_configENS1_25partition_config_selectorILNS1_17partition_subalgoE5ElNS0_10empty_typeEbEEZZNS1_14partition_implILS5_5ELb0ES3_mN6hipcub16HIPCUB_304000_NS21CountingInputIteratorIllEEPS6_NSA_22TransformInputIteratorIbN2at6native12_GLOBAL__N_19NonZeroOpIbEEPKblEENS0_5tupleIJPlS6_EEENSN_IJSD_SD_EEES6_PiJS6_EEE10hipError_tPvRmT3_T4_T5_T6_T7_T9_mT8_P12ihipStream_tbDpT10_ENKUlT_T0_E_clISt17integral_constantIbLb1EES1A_IbLb0EEEEDaS16_S17_EUlS16_E_NS1_11comp_targetILNS1_3genE8ELNS1_11target_archE1030ELNS1_3gpuE2ELNS1_3repE0EEENS1_30default_config_static_selectorELNS0_4arch9wavefront6targetE0EEEvT1_ ; -- Begin function _ZN7rocprim17ROCPRIM_400000_NS6detail17trampoline_kernelINS0_14default_configENS1_25partition_config_selectorILNS1_17partition_subalgoE5ElNS0_10empty_typeEbEEZZNS1_14partition_implILS5_5ELb0ES3_mN6hipcub16HIPCUB_304000_NS21CountingInputIteratorIllEEPS6_NSA_22TransformInputIteratorIbN2at6native12_GLOBAL__N_19NonZeroOpIbEEPKblEENS0_5tupleIJPlS6_EEENSN_IJSD_SD_EEES6_PiJS6_EEE10hipError_tPvRmT3_T4_T5_T6_T7_T9_mT8_P12ihipStream_tbDpT10_ENKUlT_T0_E_clISt17integral_constantIbLb1EES1A_IbLb0EEEEDaS16_S17_EUlS16_E_NS1_11comp_targetILNS1_3genE8ELNS1_11target_archE1030ELNS1_3gpuE2ELNS1_3repE0EEENS1_30default_config_static_selectorELNS0_4arch9wavefront6targetE0EEEvT1_
	.p2align	8
	.type	_ZN7rocprim17ROCPRIM_400000_NS6detail17trampoline_kernelINS0_14default_configENS1_25partition_config_selectorILNS1_17partition_subalgoE5ElNS0_10empty_typeEbEEZZNS1_14partition_implILS5_5ELb0ES3_mN6hipcub16HIPCUB_304000_NS21CountingInputIteratorIllEEPS6_NSA_22TransformInputIteratorIbN2at6native12_GLOBAL__N_19NonZeroOpIbEEPKblEENS0_5tupleIJPlS6_EEENSN_IJSD_SD_EEES6_PiJS6_EEE10hipError_tPvRmT3_T4_T5_T6_T7_T9_mT8_P12ihipStream_tbDpT10_ENKUlT_T0_E_clISt17integral_constantIbLb1EES1A_IbLb0EEEEDaS16_S17_EUlS16_E_NS1_11comp_targetILNS1_3genE8ELNS1_11target_archE1030ELNS1_3gpuE2ELNS1_3repE0EEENS1_30default_config_static_selectorELNS0_4arch9wavefront6targetE0EEEvT1_,@function
_ZN7rocprim17ROCPRIM_400000_NS6detail17trampoline_kernelINS0_14default_configENS1_25partition_config_selectorILNS1_17partition_subalgoE5ElNS0_10empty_typeEbEEZZNS1_14partition_implILS5_5ELb0ES3_mN6hipcub16HIPCUB_304000_NS21CountingInputIteratorIllEEPS6_NSA_22TransformInputIteratorIbN2at6native12_GLOBAL__N_19NonZeroOpIbEEPKblEENS0_5tupleIJPlS6_EEENSN_IJSD_SD_EEES6_PiJS6_EEE10hipError_tPvRmT3_T4_T5_T6_T7_T9_mT8_P12ihipStream_tbDpT10_ENKUlT_T0_E_clISt17integral_constantIbLb1EES1A_IbLb0EEEEDaS16_S17_EUlS16_E_NS1_11comp_targetILNS1_3genE8ELNS1_11target_archE1030ELNS1_3gpuE2ELNS1_3repE0EEENS1_30default_config_static_selectorELNS0_4arch9wavefront6targetE0EEEvT1_: ; @_ZN7rocprim17ROCPRIM_400000_NS6detail17trampoline_kernelINS0_14default_configENS1_25partition_config_selectorILNS1_17partition_subalgoE5ElNS0_10empty_typeEbEEZZNS1_14partition_implILS5_5ELb0ES3_mN6hipcub16HIPCUB_304000_NS21CountingInputIteratorIllEEPS6_NSA_22TransformInputIteratorIbN2at6native12_GLOBAL__N_19NonZeroOpIbEEPKblEENS0_5tupleIJPlS6_EEENSN_IJSD_SD_EEES6_PiJS6_EEE10hipError_tPvRmT3_T4_T5_T6_T7_T9_mT8_P12ihipStream_tbDpT10_ENKUlT_T0_E_clISt17integral_constantIbLb1EES1A_IbLb0EEEEDaS16_S17_EUlS16_E_NS1_11comp_targetILNS1_3genE8ELNS1_11target_archE1030ELNS1_3gpuE2ELNS1_3repE0EEENS1_30default_config_static_selectorELNS0_4arch9wavefront6targetE0EEEvT1_
; %bb.0:
	.section	.rodata,"a",@progbits
	.p2align	6, 0x0
	.amdhsa_kernel _ZN7rocprim17ROCPRIM_400000_NS6detail17trampoline_kernelINS0_14default_configENS1_25partition_config_selectorILNS1_17partition_subalgoE5ElNS0_10empty_typeEbEEZZNS1_14partition_implILS5_5ELb0ES3_mN6hipcub16HIPCUB_304000_NS21CountingInputIteratorIllEEPS6_NSA_22TransformInputIteratorIbN2at6native12_GLOBAL__N_19NonZeroOpIbEEPKblEENS0_5tupleIJPlS6_EEENSN_IJSD_SD_EEES6_PiJS6_EEE10hipError_tPvRmT3_T4_T5_T6_T7_T9_mT8_P12ihipStream_tbDpT10_ENKUlT_T0_E_clISt17integral_constantIbLb1EES1A_IbLb0EEEEDaS16_S17_EUlS16_E_NS1_11comp_targetILNS1_3genE8ELNS1_11target_archE1030ELNS1_3gpuE2ELNS1_3repE0EEENS1_30default_config_static_selectorELNS0_4arch9wavefront6targetE0EEEvT1_
		.amdhsa_group_segment_fixed_size 0
		.amdhsa_private_segment_fixed_size 0
		.amdhsa_kernarg_size 120
		.amdhsa_user_sgpr_count 15
		.amdhsa_user_sgpr_dispatch_ptr 0
		.amdhsa_user_sgpr_queue_ptr 0
		.amdhsa_user_sgpr_kernarg_segment_ptr 1
		.amdhsa_user_sgpr_dispatch_id 0
		.amdhsa_user_sgpr_private_segment_size 0
		.amdhsa_wavefront_size32 1
		.amdhsa_uses_dynamic_stack 0
		.amdhsa_enable_private_segment 0
		.amdhsa_system_sgpr_workgroup_id_x 1
		.amdhsa_system_sgpr_workgroup_id_y 0
		.amdhsa_system_sgpr_workgroup_id_z 0
		.amdhsa_system_sgpr_workgroup_info 0
		.amdhsa_system_vgpr_workitem_id 0
		.amdhsa_next_free_vgpr 1
		.amdhsa_next_free_sgpr 1
		.amdhsa_reserve_vcc 0
		.amdhsa_float_round_mode_32 0
		.amdhsa_float_round_mode_16_64 0
		.amdhsa_float_denorm_mode_32 3
		.amdhsa_float_denorm_mode_16_64 3
		.amdhsa_dx10_clamp 1
		.amdhsa_ieee_mode 1
		.amdhsa_fp16_overflow 0
		.amdhsa_workgroup_processor_mode 1
		.amdhsa_memory_ordered 1
		.amdhsa_forward_progress 0
		.amdhsa_shared_vgpr_count 0
		.amdhsa_exception_fp_ieee_invalid_op 0
		.amdhsa_exception_fp_denorm_src 0
		.amdhsa_exception_fp_ieee_div_zero 0
		.amdhsa_exception_fp_ieee_overflow 0
		.amdhsa_exception_fp_ieee_underflow 0
		.amdhsa_exception_fp_ieee_inexact 0
		.amdhsa_exception_int_div_zero 0
	.end_amdhsa_kernel
	.section	.text._ZN7rocprim17ROCPRIM_400000_NS6detail17trampoline_kernelINS0_14default_configENS1_25partition_config_selectorILNS1_17partition_subalgoE5ElNS0_10empty_typeEbEEZZNS1_14partition_implILS5_5ELb0ES3_mN6hipcub16HIPCUB_304000_NS21CountingInputIteratorIllEEPS6_NSA_22TransformInputIteratorIbN2at6native12_GLOBAL__N_19NonZeroOpIbEEPKblEENS0_5tupleIJPlS6_EEENSN_IJSD_SD_EEES6_PiJS6_EEE10hipError_tPvRmT3_T4_T5_T6_T7_T9_mT8_P12ihipStream_tbDpT10_ENKUlT_T0_E_clISt17integral_constantIbLb1EES1A_IbLb0EEEEDaS16_S17_EUlS16_E_NS1_11comp_targetILNS1_3genE8ELNS1_11target_archE1030ELNS1_3gpuE2ELNS1_3repE0EEENS1_30default_config_static_selectorELNS0_4arch9wavefront6targetE0EEEvT1_,"axG",@progbits,_ZN7rocprim17ROCPRIM_400000_NS6detail17trampoline_kernelINS0_14default_configENS1_25partition_config_selectorILNS1_17partition_subalgoE5ElNS0_10empty_typeEbEEZZNS1_14partition_implILS5_5ELb0ES3_mN6hipcub16HIPCUB_304000_NS21CountingInputIteratorIllEEPS6_NSA_22TransformInputIteratorIbN2at6native12_GLOBAL__N_19NonZeroOpIbEEPKblEENS0_5tupleIJPlS6_EEENSN_IJSD_SD_EEES6_PiJS6_EEE10hipError_tPvRmT3_T4_T5_T6_T7_T9_mT8_P12ihipStream_tbDpT10_ENKUlT_T0_E_clISt17integral_constantIbLb1EES1A_IbLb0EEEEDaS16_S17_EUlS16_E_NS1_11comp_targetILNS1_3genE8ELNS1_11target_archE1030ELNS1_3gpuE2ELNS1_3repE0EEENS1_30default_config_static_selectorELNS0_4arch9wavefront6targetE0EEEvT1_,comdat
.Lfunc_end753:
	.size	_ZN7rocprim17ROCPRIM_400000_NS6detail17trampoline_kernelINS0_14default_configENS1_25partition_config_selectorILNS1_17partition_subalgoE5ElNS0_10empty_typeEbEEZZNS1_14partition_implILS5_5ELb0ES3_mN6hipcub16HIPCUB_304000_NS21CountingInputIteratorIllEEPS6_NSA_22TransformInputIteratorIbN2at6native12_GLOBAL__N_19NonZeroOpIbEEPKblEENS0_5tupleIJPlS6_EEENSN_IJSD_SD_EEES6_PiJS6_EEE10hipError_tPvRmT3_T4_T5_T6_T7_T9_mT8_P12ihipStream_tbDpT10_ENKUlT_T0_E_clISt17integral_constantIbLb1EES1A_IbLb0EEEEDaS16_S17_EUlS16_E_NS1_11comp_targetILNS1_3genE8ELNS1_11target_archE1030ELNS1_3gpuE2ELNS1_3repE0EEENS1_30default_config_static_selectorELNS0_4arch9wavefront6targetE0EEEvT1_, .Lfunc_end753-_ZN7rocprim17ROCPRIM_400000_NS6detail17trampoline_kernelINS0_14default_configENS1_25partition_config_selectorILNS1_17partition_subalgoE5ElNS0_10empty_typeEbEEZZNS1_14partition_implILS5_5ELb0ES3_mN6hipcub16HIPCUB_304000_NS21CountingInputIteratorIllEEPS6_NSA_22TransformInputIteratorIbN2at6native12_GLOBAL__N_19NonZeroOpIbEEPKblEENS0_5tupleIJPlS6_EEENSN_IJSD_SD_EEES6_PiJS6_EEE10hipError_tPvRmT3_T4_T5_T6_T7_T9_mT8_P12ihipStream_tbDpT10_ENKUlT_T0_E_clISt17integral_constantIbLb1EES1A_IbLb0EEEEDaS16_S17_EUlS16_E_NS1_11comp_targetILNS1_3genE8ELNS1_11target_archE1030ELNS1_3gpuE2ELNS1_3repE0EEENS1_30default_config_static_selectorELNS0_4arch9wavefront6targetE0EEEvT1_
                                        ; -- End function
	.section	.AMDGPU.csdata,"",@progbits
; Kernel info:
; codeLenInByte = 0
; NumSgprs: 0
; NumVgprs: 0
; ScratchSize: 0
; MemoryBound: 0
; FloatMode: 240
; IeeeMode: 1
; LDSByteSize: 0 bytes/workgroup (compile time only)
; SGPRBlocks: 0
; VGPRBlocks: 0
; NumSGPRsForWavesPerEU: 1
; NumVGPRsForWavesPerEU: 1
; Occupancy: 16
; WaveLimiterHint : 0
; COMPUTE_PGM_RSRC2:SCRATCH_EN: 0
; COMPUTE_PGM_RSRC2:USER_SGPR: 15
; COMPUTE_PGM_RSRC2:TRAP_HANDLER: 0
; COMPUTE_PGM_RSRC2:TGID_X_EN: 1
; COMPUTE_PGM_RSRC2:TGID_Y_EN: 0
; COMPUTE_PGM_RSRC2:TGID_Z_EN: 0
; COMPUTE_PGM_RSRC2:TIDIG_COMP_CNT: 0
	.section	.text._ZN7rocprim17ROCPRIM_400000_NS6detail17trampoline_kernelINS0_14default_configENS1_25partition_config_selectorILNS1_17partition_subalgoE5ElNS0_10empty_typeEbEEZZNS1_14partition_implILS5_5ELb0ES3_mN6hipcub16HIPCUB_304000_NS21CountingInputIteratorIllEEPS6_NSA_22TransformInputIteratorIbN2at6native12_GLOBAL__N_19NonZeroOpIbEEPKblEENS0_5tupleIJPlS6_EEENSN_IJSD_SD_EEES6_PiJS6_EEE10hipError_tPvRmT3_T4_T5_T6_T7_T9_mT8_P12ihipStream_tbDpT10_ENKUlT_T0_E_clISt17integral_constantIbLb0EES1A_IbLb1EEEEDaS16_S17_EUlS16_E_NS1_11comp_targetILNS1_3genE0ELNS1_11target_archE4294967295ELNS1_3gpuE0ELNS1_3repE0EEENS1_30default_config_static_selectorELNS0_4arch9wavefront6targetE0EEEvT1_,"axG",@progbits,_ZN7rocprim17ROCPRIM_400000_NS6detail17trampoline_kernelINS0_14default_configENS1_25partition_config_selectorILNS1_17partition_subalgoE5ElNS0_10empty_typeEbEEZZNS1_14partition_implILS5_5ELb0ES3_mN6hipcub16HIPCUB_304000_NS21CountingInputIteratorIllEEPS6_NSA_22TransformInputIteratorIbN2at6native12_GLOBAL__N_19NonZeroOpIbEEPKblEENS0_5tupleIJPlS6_EEENSN_IJSD_SD_EEES6_PiJS6_EEE10hipError_tPvRmT3_T4_T5_T6_T7_T9_mT8_P12ihipStream_tbDpT10_ENKUlT_T0_E_clISt17integral_constantIbLb0EES1A_IbLb1EEEEDaS16_S17_EUlS16_E_NS1_11comp_targetILNS1_3genE0ELNS1_11target_archE4294967295ELNS1_3gpuE0ELNS1_3repE0EEENS1_30default_config_static_selectorELNS0_4arch9wavefront6targetE0EEEvT1_,comdat
	.globl	_ZN7rocprim17ROCPRIM_400000_NS6detail17trampoline_kernelINS0_14default_configENS1_25partition_config_selectorILNS1_17partition_subalgoE5ElNS0_10empty_typeEbEEZZNS1_14partition_implILS5_5ELb0ES3_mN6hipcub16HIPCUB_304000_NS21CountingInputIteratorIllEEPS6_NSA_22TransformInputIteratorIbN2at6native12_GLOBAL__N_19NonZeroOpIbEEPKblEENS0_5tupleIJPlS6_EEENSN_IJSD_SD_EEES6_PiJS6_EEE10hipError_tPvRmT3_T4_T5_T6_T7_T9_mT8_P12ihipStream_tbDpT10_ENKUlT_T0_E_clISt17integral_constantIbLb0EES1A_IbLb1EEEEDaS16_S17_EUlS16_E_NS1_11comp_targetILNS1_3genE0ELNS1_11target_archE4294967295ELNS1_3gpuE0ELNS1_3repE0EEENS1_30default_config_static_selectorELNS0_4arch9wavefront6targetE0EEEvT1_ ; -- Begin function _ZN7rocprim17ROCPRIM_400000_NS6detail17trampoline_kernelINS0_14default_configENS1_25partition_config_selectorILNS1_17partition_subalgoE5ElNS0_10empty_typeEbEEZZNS1_14partition_implILS5_5ELb0ES3_mN6hipcub16HIPCUB_304000_NS21CountingInputIteratorIllEEPS6_NSA_22TransformInputIteratorIbN2at6native12_GLOBAL__N_19NonZeroOpIbEEPKblEENS0_5tupleIJPlS6_EEENSN_IJSD_SD_EEES6_PiJS6_EEE10hipError_tPvRmT3_T4_T5_T6_T7_T9_mT8_P12ihipStream_tbDpT10_ENKUlT_T0_E_clISt17integral_constantIbLb0EES1A_IbLb1EEEEDaS16_S17_EUlS16_E_NS1_11comp_targetILNS1_3genE0ELNS1_11target_archE4294967295ELNS1_3gpuE0ELNS1_3repE0EEENS1_30default_config_static_selectorELNS0_4arch9wavefront6targetE0EEEvT1_
	.p2align	8
	.type	_ZN7rocprim17ROCPRIM_400000_NS6detail17trampoline_kernelINS0_14default_configENS1_25partition_config_selectorILNS1_17partition_subalgoE5ElNS0_10empty_typeEbEEZZNS1_14partition_implILS5_5ELb0ES3_mN6hipcub16HIPCUB_304000_NS21CountingInputIteratorIllEEPS6_NSA_22TransformInputIteratorIbN2at6native12_GLOBAL__N_19NonZeroOpIbEEPKblEENS0_5tupleIJPlS6_EEENSN_IJSD_SD_EEES6_PiJS6_EEE10hipError_tPvRmT3_T4_T5_T6_T7_T9_mT8_P12ihipStream_tbDpT10_ENKUlT_T0_E_clISt17integral_constantIbLb0EES1A_IbLb1EEEEDaS16_S17_EUlS16_E_NS1_11comp_targetILNS1_3genE0ELNS1_11target_archE4294967295ELNS1_3gpuE0ELNS1_3repE0EEENS1_30default_config_static_selectorELNS0_4arch9wavefront6targetE0EEEvT1_,@function
_ZN7rocprim17ROCPRIM_400000_NS6detail17trampoline_kernelINS0_14default_configENS1_25partition_config_selectorILNS1_17partition_subalgoE5ElNS0_10empty_typeEbEEZZNS1_14partition_implILS5_5ELb0ES3_mN6hipcub16HIPCUB_304000_NS21CountingInputIteratorIllEEPS6_NSA_22TransformInputIteratorIbN2at6native12_GLOBAL__N_19NonZeroOpIbEEPKblEENS0_5tupleIJPlS6_EEENSN_IJSD_SD_EEES6_PiJS6_EEE10hipError_tPvRmT3_T4_T5_T6_T7_T9_mT8_P12ihipStream_tbDpT10_ENKUlT_T0_E_clISt17integral_constantIbLb0EES1A_IbLb1EEEEDaS16_S17_EUlS16_E_NS1_11comp_targetILNS1_3genE0ELNS1_11target_archE4294967295ELNS1_3gpuE0ELNS1_3repE0EEENS1_30default_config_static_selectorELNS0_4arch9wavefront6targetE0EEEvT1_: ; @_ZN7rocprim17ROCPRIM_400000_NS6detail17trampoline_kernelINS0_14default_configENS1_25partition_config_selectorILNS1_17partition_subalgoE5ElNS0_10empty_typeEbEEZZNS1_14partition_implILS5_5ELb0ES3_mN6hipcub16HIPCUB_304000_NS21CountingInputIteratorIllEEPS6_NSA_22TransformInputIteratorIbN2at6native12_GLOBAL__N_19NonZeroOpIbEEPKblEENS0_5tupleIJPlS6_EEENSN_IJSD_SD_EEES6_PiJS6_EEE10hipError_tPvRmT3_T4_T5_T6_T7_T9_mT8_P12ihipStream_tbDpT10_ENKUlT_T0_E_clISt17integral_constantIbLb0EES1A_IbLb1EEEEDaS16_S17_EUlS16_E_NS1_11comp_targetILNS1_3genE0ELNS1_11target_archE4294967295ELNS1_3gpuE0ELNS1_3repE0EEENS1_30default_config_static_selectorELNS0_4arch9wavefront6targetE0EEEvT1_
; %bb.0:
	.section	.rodata,"a",@progbits
	.p2align	6, 0x0
	.amdhsa_kernel _ZN7rocprim17ROCPRIM_400000_NS6detail17trampoline_kernelINS0_14default_configENS1_25partition_config_selectorILNS1_17partition_subalgoE5ElNS0_10empty_typeEbEEZZNS1_14partition_implILS5_5ELb0ES3_mN6hipcub16HIPCUB_304000_NS21CountingInputIteratorIllEEPS6_NSA_22TransformInputIteratorIbN2at6native12_GLOBAL__N_19NonZeroOpIbEEPKblEENS0_5tupleIJPlS6_EEENSN_IJSD_SD_EEES6_PiJS6_EEE10hipError_tPvRmT3_T4_T5_T6_T7_T9_mT8_P12ihipStream_tbDpT10_ENKUlT_T0_E_clISt17integral_constantIbLb0EES1A_IbLb1EEEEDaS16_S17_EUlS16_E_NS1_11comp_targetILNS1_3genE0ELNS1_11target_archE4294967295ELNS1_3gpuE0ELNS1_3repE0EEENS1_30default_config_static_selectorELNS0_4arch9wavefront6targetE0EEEvT1_
		.amdhsa_group_segment_fixed_size 0
		.amdhsa_private_segment_fixed_size 0
		.amdhsa_kernarg_size 136
		.amdhsa_user_sgpr_count 15
		.amdhsa_user_sgpr_dispatch_ptr 0
		.amdhsa_user_sgpr_queue_ptr 0
		.amdhsa_user_sgpr_kernarg_segment_ptr 1
		.amdhsa_user_sgpr_dispatch_id 0
		.amdhsa_user_sgpr_private_segment_size 0
		.amdhsa_wavefront_size32 1
		.amdhsa_uses_dynamic_stack 0
		.amdhsa_enable_private_segment 0
		.amdhsa_system_sgpr_workgroup_id_x 1
		.amdhsa_system_sgpr_workgroup_id_y 0
		.amdhsa_system_sgpr_workgroup_id_z 0
		.amdhsa_system_sgpr_workgroup_info 0
		.amdhsa_system_vgpr_workitem_id 0
		.amdhsa_next_free_vgpr 1
		.amdhsa_next_free_sgpr 1
		.amdhsa_reserve_vcc 0
		.amdhsa_float_round_mode_32 0
		.amdhsa_float_round_mode_16_64 0
		.amdhsa_float_denorm_mode_32 3
		.amdhsa_float_denorm_mode_16_64 3
		.amdhsa_dx10_clamp 1
		.amdhsa_ieee_mode 1
		.amdhsa_fp16_overflow 0
		.amdhsa_workgroup_processor_mode 1
		.amdhsa_memory_ordered 1
		.amdhsa_forward_progress 0
		.amdhsa_shared_vgpr_count 0
		.amdhsa_exception_fp_ieee_invalid_op 0
		.amdhsa_exception_fp_denorm_src 0
		.amdhsa_exception_fp_ieee_div_zero 0
		.amdhsa_exception_fp_ieee_overflow 0
		.amdhsa_exception_fp_ieee_underflow 0
		.amdhsa_exception_fp_ieee_inexact 0
		.amdhsa_exception_int_div_zero 0
	.end_amdhsa_kernel
	.section	.text._ZN7rocprim17ROCPRIM_400000_NS6detail17trampoline_kernelINS0_14default_configENS1_25partition_config_selectorILNS1_17partition_subalgoE5ElNS0_10empty_typeEbEEZZNS1_14partition_implILS5_5ELb0ES3_mN6hipcub16HIPCUB_304000_NS21CountingInputIteratorIllEEPS6_NSA_22TransformInputIteratorIbN2at6native12_GLOBAL__N_19NonZeroOpIbEEPKblEENS0_5tupleIJPlS6_EEENSN_IJSD_SD_EEES6_PiJS6_EEE10hipError_tPvRmT3_T4_T5_T6_T7_T9_mT8_P12ihipStream_tbDpT10_ENKUlT_T0_E_clISt17integral_constantIbLb0EES1A_IbLb1EEEEDaS16_S17_EUlS16_E_NS1_11comp_targetILNS1_3genE0ELNS1_11target_archE4294967295ELNS1_3gpuE0ELNS1_3repE0EEENS1_30default_config_static_selectorELNS0_4arch9wavefront6targetE0EEEvT1_,"axG",@progbits,_ZN7rocprim17ROCPRIM_400000_NS6detail17trampoline_kernelINS0_14default_configENS1_25partition_config_selectorILNS1_17partition_subalgoE5ElNS0_10empty_typeEbEEZZNS1_14partition_implILS5_5ELb0ES3_mN6hipcub16HIPCUB_304000_NS21CountingInputIteratorIllEEPS6_NSA_22TransformInputIteratorIbN2at6native12_GLOBAL__N_19NonZeroOpIbEEPKblEENS0_5tupleIJPlS6_EEENSN_IJSD_SD_EEES6_PiJS6_EEE10hipError_tPvRmT3_T4_T5_T6_T7_T9_mT8_P12ihipStream_tbDpT10_ENKUlT_T0_E_clISt17integral_constantIbLb0EES1A_IbLb1EEEEDaS16_S17_EUlS16_E_NS1_11comp_targetILNS1_3genE0ELNS1_11target_archE4294967295ELNS1_3gpuE0ELNS1_3repE0EEENS1_30default_config_static_selectorELNS0_4arch9wavefront6targetE0EEEvT1_,comdat
.Lfunc_end754:
	.size	_ZN7rocprim17ROCPRIM_400000_NS6detail17trampoline_kernelINS0_14default_configENS1_25partition_config_selectorILNS1_17partition_subalgoE5ElNS0_10empty_typeEbEEZZNS1_14partition_implILS5_5ELb0ES3_mN6hipcub16HIPCUB_304000_NS21CountingInputIteratorIllEEPS6_NSA_22TransformInputIteratorIbN2at6native12_GLOBAL__N_19NonZeroOpIbEEPKblEENS0_5tupleIJPlS6_EEENSN_IJSD_SD_EEES6_PiJS6_EEE10hipError_tPvRmT3_T4_T5_T6_T7_T9_mT8_P12ihipStream_tbDpT10_ENKUlT_T0_E_clISt17integral_constantIbLb0EES1A_IbLb1EEEEDaS16_S17_EUlS16_E_NS1_11comp_targetILNS1_3genE0ELNS1_11target_archE4294967295ELNS1_3gpuE0ELNS1_3repE0EEENS1_30default_config_static_selectorELNS0_4arch9wavefront6targetE0EEEvT1_, .Lfunc_end754-_ZN7rocprim17ROCPRIM_400000_NS6detail17trampoline_kernelINS0_14default_configENS1_25partition_config_selectorILNS1_17partition_subalgoE5ElNS0_10empty_typeEbEEZZNS1_14partition_implILS5_5ELb0ES3_mN6hipcub16HIPCUB_304000_NS21CountingInputIteratorIllEEPS6_NSA_22TransformInputIteratorIbN2at6native12_GLOBAL__N_19NonZeroOpIbEEPKblEENS0_5tupleIJPlS6_EEENSN_IJSD_SD_EEES6_PiJS6_EEE10hipError_tPvRmT3_T4_T5_T6_T7_T9_mT8_P12ihipStream_tbDpT10_ENKUlT_T0_E_clISt17integral_constantIbLb0EES1A_IbLb1EEEEDaS16_S17_EUlS16_E_NS1_11comp_targetILNS1_3genE0ELNS1_11target_archE4294967295ELNS1_3gpuE0ELNS1_3repE0EEENS1_30default_config_static_selectorELNS0_4arch9wavefront6targetE0EEEvT1_
                                        ; -- End function
	.section	.AMDGPU.csdata,"",@progbits
; Kernel info:
; codeLenInByte = 0
; NumSgprs: 0
; NumVgprs: 0
; ScratchSize: 0
; MemoryBound: 0
; FloatMode: 240
; IeeeMode: 1
; LDSByteSize: 0 bytes/workgroup (compile time only)
; SGPRBlocks: 0
; VGPRBlocks: 0
; NumSGPRsForWavesPerEU: 1
; NumVGPRsForWavesPerEU: 1
; Occupancy: 16
; WaveLimiterHint : 0
; COMPUTE_PGM_RSRC2:SCRATCH_EN: 0
; COMPUTE_PGM_RSRC2:USER_SGPR: 15
; COMPUTE_PGM_RSRC2:TRAP_HANDLER: 0
; COMPUTE_PGM_RSRC2:TGID_X_EN: 1
; COMPUTE_PGM_RSRC2:TGID_Y_EN: 0
; COMPUTE_PGM_RSRC2:TGID_Z_EN: 0
; COMPUTE_PGM_RSRC2:TIDIG_COMP_CNT: 0
	.section	.text._ZN7rocprim17ROCPRIM_400000_NS6detail17trampoline_kernelINS0_14default_configENS1_25partition_config_selectorILNS1_17partition_subalgoE5ElNS0_10empty_typeEbEEZZNS1_14partition_implILS5_5ELb0ES3_mN6hipcub16HIPCUB_304000_NS21CountingInputIteratorIllEEPS6_NSA_22TransformInputIteratorIbN2at6native12_GLOBAL__N_19NonZeroOpIbEEPKblEENS0_5tupleIJPlS6_EEENSN_IJSD_SD_EEES6_PiJS6_EEE10hipError_tPvRmT3_T4_T5_T6_T7_T9_mT8_P12ihipStream_tbDpT10_ENKUlT_T0_E_clISt17integral_constantIbLb0EES1A_IbLb1EEEEDaS16_S17_EUlS16_E_NS1_11comp_targetILNS1_3genE5ELNS1_11target_archE942ELNS1_3gpuE9ELNS1_3repE0EEENS1_30default_config_static_selectorELNS0_4arch9wavefront6targetE0EEEvT1_,"axG",@progbits,_ZN7rocprim17ROCPRIM_400000_NS6detail17trampoline_kernelINS0_14default_configENS1_25partition_config_selectorILNS1_17partition_subalgoE5ElNS0_10empty_typeEbEEZZNS1_14partition_implILS5_5ELb0ES3_mN6hipcub16HIPCUB_304000_NS21CountingInputIteratorIllEEPS6_NSA_22TransformInputIteratorIbN2at6native12_GLOBAL__N_19NonZeroOpIbEEPKblEENS0_5tupleIJPlS6_EEENSN_IJSD_SD_EEES6_PiJS6_EEE10hipError_tPvRmT3_T4_T5_T6_T7_T9_mT8_P12ihipStream_tbDpT10_ENKUlT_T0_E_clISt17integral_constantIbLb0EES1A_IbLb1EEEEDaS16_S17_EUlS16_E_NS1_11comp_targetILNS1_3genE5ELNS1_11target_archE942ELNS1_3gpuE9ELNS1_3repE0EEENS1_30default_config_static_selectorELNS0_4arch9wavefront6targetE0EEEvT1_,comdat
	.globl	_ZN7rocprim17ROCPRIM_400000_NS6detail17trampoline_kernelINS0_14default_configENS1_25partition_config_selectorILNS1_17partition_subalgoE5ElNS0_10empty_typeEbEEZZNS1_14partition_implILS5_5ELb0ES3_mN6hipcub16HIPCUB_304000_NS21CountingInputIteratorIllEEPS6_NSA_22TransformInputIteratorIbN2at6native12_GLOBAL__N_19NonZeroOpIbEEPKblEENS0_5tupleIJPlS6_EEENSN_IJSD_SD_EEES6_PiJS6_EEE10hipError_tPvRmT3_T4_T5_T6_T7_T9_mT8_P12ihipStream_tbDpT10_ENKUlT_T0_E_clISt17integral_constantIbLb0EES1A_IbLb1EEEEDaS16_S17_EUlS16_E_NS1_11comp_targetILNS1_3genE5ELNS1_11target_archE942ELNS1_3gpuE9ELNS1_3repE0EEENS1_30default_config_static_selectorELNS0_4arch9wavefront6targetE0EEEvT1_ ; -- Begin function _ZN7rocprim17ROCPRIM_400000_NS6detail17trampoline_kernelINS0_14default_configENS1_25partition_config_selectorILNS1_17partition_subalgoE5ElNS0_10empty_typeEbEEZZNS1_14partition_implILS5_5ELb0ES3_mN6hipcub16HIPCUB_304000_NS21CountingInputIteratorIllEEPS6_NSA_22TransformInputIteratorIbN2at6native12_GLOBAL__N_19NonZeroOpIbEEPKblEENS0_5tupleIJPlS6_EEENSN_IJSD_SD_EEES6_PiJS6_EEE10hipError_tPvRmT3_T4_T5_T6_T7_T9_mT8_P12ihipStream_tbDpT10_ENKUlT_T0_E_clISt17integral_constantIbLb0EES1A_IbLb1EEEEDaS16_S17_EUlS16_E_NS1_11comp_targetILNS1_3genE5ELNS1_11target_archE942ELNS1_3gpuE9ELNS1_3repE0EEENS1_30default_config_static_selectorELNS0_4arch9wavefront6targetE0EEEvT1_
	.p2align	8
	.type	_ZN7rocprim17ROCPRIM_400000_NS6detail17trampoline_kernelINS0_14default_configENS1_25partition_config_selectorILNS1_17partition_subalgoE5ElNS0_10empty_typeEbEEZZNS1_14partition_implILS5_5ELb0ES3_mN6hipcub16HIPCUB_304000_NS21CountingInputIteratorIllEEPS6_NSA_22TransformInputIteratorIbN2at6native12_GLOBAL__N_19NonZeroOpIbEEPKblEENS0_5tupleIJPlS6_EEENSN_IJSD_SD_EEES6_PiJS6_EEE10hipError_tPvRmT3_T4_T5_T6_T7_T9_mT8_P12ihipStream_tbDpT10_ENKUlT_T0_E_clISt17integral_constantIbLb0EES1A_IbLb1EEEEDaS16_S17_EUlS16_E_NS1_11comp_targetILNS1_3genE5ELNS1_11target_archE942ELNS1_3gpuE9ELNS1_3repE0EEENS1_30default_config_static_selectorELNS0_4arch9wavefront6targetE0EEEvT1_,@function
_ZN7rocprim17ROCPRIM_400000_NS6detail17trampoline_kernelINS0_14default_configENS1_25partition_config_selectorILNS1_17partition_subalgoE5ElNS0_10empty_typeEbEEZZNS1_14partition_implILS5_5ELb0ES3_mN6hipcub16HIPCUB_304000_NS21CountingInputIteratorIllEEPS6_NSA_22TransformInputIteratorIbN2at6native12_GLOBAL__N_19NonZeroOpIbEEPKblEENS0_5tupleIJPlS6_EEENSN_IJSD_SD_EEES6_PiJS6_EEE10hipError_tPvRmT3_T4_T5_T6_T7_T9_mT8_P12ihipStream_tbDpT10_ENKUlT_T0_E_clISt17integral_constantIbLb0EES1A_IbLb1EEEEDaS16_S17_EUlS16_E_NS1_11comp_targetILNS1_3genE5ELNS1_11target_archE942ELNS1_3gpuE9ELNS1_3repE0EEENS1_30default_config_static_selectorELNS0_4arch9wavefront6targetE0EEEvT1_: ; @_ZN7rocprim17ROCPRIM_400000_NS6detail17trampoline_kernelINS0_14default_configENS1_25partition_config_selectorILNS1_17partition_subalgoE5ElNS0_10empty_typeEbEEZZNS1_14partition_implILS5_5ELb0ES3_mN6hipcub16HIPCUB_304000_NS21CountingInputIteratorIllEEPS6_NSA_22TransformInputIteratorIbN2at6native12_GLOBAL__N_19NonZeroOpIbEEPKblEENS0_5tupleIJPlS6_EEENSN_IJSD_SD_EEES6_PiJS6_EEE10hipError_tPvRmT3_T4_T5_T6_T7_T9_mT8_P12ihipStream_tbDpT10_ENKUlT_T0_E_clISt17integral_constantIbLb0EES1A_IbLb1EEEEDaS16_S17_EUlS16_E_NS1_11comp_targetILNS1_3genE5ELNS1_11target_archE942ELNS1_3gpuE9ELNS1_3repE0EEENS1_30default_config_static_selectorELNS0_4arch9wavefront6targetE0EEEvT1_
; %bb.0:
	.section	.rodata,"a",@progbits
	.p2align	6, 0x0
	.amdhsa_kernel _ZN7rocprim17ROCPRIM_400000_NS6detail17trampoline_kernelINS0_14default_configENS1_25partition_config_selectorILNS1_17partition_subalgoE5ElNS0_10empty_typeEbEEZZNS1_14partition_implILS5_5ELb0ES3_mN6hipcub16HIPCUB_304000_NS21CountingInputIteratorIllEEPS6_NSA_22TransformInputIteratorIbN2at6native12_GLOBAL__N_19NonZeroOpIbEEPKblEENS0_5tupleIJPlS6_EEENSN_IJSD_SD_EEES6_PiJS6_EEE10hipError_tPvRmT3_T4_T5_T6_T7_T9_mT8_P12ihipStream_tbDpT10_ENKUlT_T0_E_clISt17integral_constantIbLb0EES1A_IbLb1EEEEDaS16_S17_EUlS16_E_NS1_11comp_targetILNS1_3genE5ELNS1_11target_archE942ELNS1_3gpuE9ELNS1_3repE0EEENS1_30default_config_static_selectorELNS0_4arch9wavefront6targetE0EEEvT1_
		.amdhsa_group_segment_fixed_size 0
		.amdhsa_private_segment_fixed_size 0
		.amdhsa_kernarg_size 136
		.amdhsa_user_sgpr_count 15
		.amdhsa_user_sgpr_dispatch_ptr 0
		.amdhsa_user_sgpr_queue_ptr 0
		.amdhsa_user_sgpr_kernarg_segment_ptr 1
		.amdhsa_user_sgpr_dispatch_id 0
		.amdhsa_user_sgpr_private_segment_size 0
		.amdhsa_wavefront_size32 1
		.amdhsa_uses_dynamic_stack 0
		.amdhsa_enable_private_segment 0
		.amdhsa_system_sgpr_workgroup_id_x 1
		.amdhsa_system_sgpr_workgroup_id_y 0
		.amdhsa_system_sgpr_workgroup_id_z 0
		.amdhsa_system_sgpr_workgroup_info 0
		.amdhsa_system_vgpr_workitem_id 0
		.amdhsa_next_free_vgpr 1
		.amdhsa_next_free_sgpr 1
		.amdhsa_reserve_vcc 0
		.amdhsa_float_round_mode_32 0
		.amdhsa_float_round_mode_16_64 0
		.amdhsa_float_denorm_mode_32 3
		.amdhsa_float_denorm_mode_16_64 3
		.amdhsa_dx10_clamp 1
		.amdhsa_ieee_mode 1
		.amdhsa_fp16_overflow 0
		.amdhsa_workgroup_processor_mode 1
		.amdhsa_memory_ordered 1
		.amdhsa_forward_progress 0
		.amdhsa_shared_vgpr_count 0
		.amdhsa_exception_fp_ieee_invalid_op 0
		.amdhsa_exception_fp_denorm_src 0
		.amdhsa_exception_fp_ieee_div_zero 0
		.amdhsa_exception_fp_ieee_overflow 0
		.amdhsa_exception_fp_ieee_underflow 0
		.amdhsa_exception_fp_ieee_inexact 0
		.amdhsa_exception_int_div_zero 0
	.end_amdhsa_kernel
	.section	.text._ZN7rocprim17ROCPRIM_400000_NS6detail17trampoline_kernelINS0_14default_configENS1_25partition_config_selectorILNS1_17partition_subalgoE5ElNS0_10empty_typeEbEEZZNS1_14partition_implILS5_5ELb0ES3_mN6hipcub16HIPCUB_304000_NS21CountingInputIteratorIllEEPS6_NSA_22TransformInputIteratorIbN2at6native12_GLOBAL__N_19NonZeroOpIbEEPKblEENS0_5tupleIJPlS6_EEENSN_IJSD_SD_EEES6_PiJS6_EEE10hipError_tPvRmT3_T4_T5_T6_T7_T9_mT8_P12ihipStream_tbDpT10_ENKUlT_T0_E_clISt17integral_constantIbLb0EES1A_IbLb1EEEEDaS16_S17_EUlS16_E_NS1_11comp_targetILNS1_3genE5ELNS1_11target_archE942ELNS1_3gpuE9ELNS1_3repE0EEENS1_30default_config_static_selectorELNS0_4arch9wavefront6targetE0EEEvT1_,"axG",@progbits,_ZN7rocprim17ROCPRIM_400000_NS6detail17trampoline_kernelINS0_14default_configENS1_25partition_config_selectorILNS1_17partition_subalgoE5ElNS0_10empty_typeEbEEZZNS1_14partition_implILS5_5ELb0ES3_mN6hipcub16HIPCUB_304000_NS21CountingInputIteratorIllEEPS6_NSA_22TransformInputIteratorIbN2at6native12_GLOBAL__N_19NonZeroOpIbEEPKblEENS0_5tupleIJPlS6_EEENSN_IJSD_SD_EEES6_PiJS6_EEE10hipError_tPvRmT3_T4_T5_T6_T7_T9_mT8_P12ihipStream_tbDpT10_ENKUlT_T0_E_clISt17integral_constantIbLb0EES1A_IbLb1EEEEDaS16_S17_EUlS16_E_NS1_11comp_targetILNS1_3genE5ELNS1_11target_archE942ELNS1_3gpuE9ELNS1_3repE0EEENS1_30default_config_static_selectorELNS0_4arch9wavefront6targetE0EEEvT1_,comdat
.Lfunc_end755:
	.size	_ZN7rocprim17ROCPRIM_400000_NS6detail17trampoline_kernelINS0_14default_configENS1_25partition_config_selectorILNS1_17partition_subalgoE5ElNS0_10empty_typeEbEEZZNS1_14partition_implILS5_5ELb0ES3_mN6hipcub16HIPCUB_304000_NS21CountingInputIteratorIllEEPS6_NSA_22TransformInputIteratorIbN2at6native12_GLOBAL__N_19NonZeroOpIbEEPKblEENS0_5tupleIJPlS6_EEENSN_IJSD_SD_EEES6_PiJS6_EEE10hipError_tPvRmT3_T4_T5_T6_T7_T9_mT8_P12ihipStream_tbDpT10_ENKUlT_T0_E_clISt17integral_constantIbLb0EES1A_IbLb1EEEEDaS16_S17_EUlS16_E_NS1_11comp_targetILNS1_3genE5ELNS1_11target_archE942ELNS1_3gpuE9ELNS1_3repE0EEENS1_30default_config_static_selectorELNS0_4arch9wavefront6targetE0EEEvT1_, .Lfunc_end755-_ZN7rocprim17ROCPRIM_400000_NS6detail17trampoline_kernelINS0_14default_configENS1_25partition_config_selectorILNS1_17partition_subalgoE5ElNS0_10empty_typeEbEEZZNS1_14partition_implILS5_5ELb0ES3_mN6hipcub16HIPCUB_304000_NS21CountingInputIteratorIllEEPS6_NSA_22TransformInputIteratorIbN2at6native12_GLOBAL__N_19NonZeroOpIbEEPKblEENS0_5tupleIJPlS6_EEENSN_IJSD_SD_EEES6_PiJS6_EEE10hipError_tPvRmT3_T4_T5_T6_T7_T9_mT8_P12ihipStream_tbDpT10_ENKUlT_T0_E_clISt17integral_constantIbLb0EES1A_IbLb1EEEEDaS16_S17_EUlS16_E_NS1_11comp_targetILNS1_3genE5ELNS1_11target_archE942ELNS1_3gpuE9ELNS1_3repE0EEENS1_30default_config_static_selectorELNS0_4arch9wavefront6targetE0EEEvT1_
                                        ; -- End function
	.section	.AMDGPU.csdata,"",@progbits
; Kernel info:
; codeLenInByte = 0
; NumSgprs: 0
; NumVgprs: 0
; ScratchSize: 0
; MemoryBound: 0
; FloatMode: 240
; IeeeMode: 1
; LDSByteSize: 0 bytes/workgroup (compile time only)
; SGPRBlocks: 0
; VGPRBlocks: 0
; NumSGPRsForWavesPerEU: 1
; NumVGPRsForWavesPerEU: 1
; Occupancy: 16
; WaveLimiterHint : 0
; COMPUTE_PGM_RSRC2:SCRATCH_EN: 0
; COMPUTE_PGM_RSRC2:USER_SGPR: 15
; COMPUTE_PGM_RSRC2:TRAP_HANDLER: 0
; COMPUTE_PGM_RSRC2:TGID_X_EN: 1
; COMPUTE_PGM_RSRC2:TGID_Y_EN: 0
; COMPUTE_PGM_RSRC2:TGID_Z_EN: 0
; COMPUTE_PGM_RSRC2:TIDIG_COMP_CNT: 0
	.section	.text._ZN7rocprim17ROCPRIM_400000_NS6detail17trampoline_kernelINS0_14default_configENS1_25partition_config_selectorILNS1_17partition_subalgoE5ElNS0_10empty_typeEbEEZZNS1_14partition_implILS5_5ELb0ES3_mN6hipcub16HIPCUB_304000_NS21CountingInputIteratorIllEEPS6_NSA_22TransformInputIteratorIbN2at6native12_GLOBAL__N_19NonZeroOpIbEEPKblEENS0_5tupleIJPlS6_EEENSN_IJSD_SD_EEES6_PiJS6_EEE10hipError_tPvRmT3_T4_T5_T6_T7_T9_mT8_P12ihipStream_tbDpT10_ENKUlT_T0_E_clISt17integral_constantIbLb0EES1A_IbLb1EEEEDaS16_S17_EUlS16_E_NS1_11comp_targetILNS1_3genE4ELNS1_11target_archE910ELNS1_3gpuE8ELNS1_3repE0EEENS1_30default_config_static_selectorELNS0_4arch9wavefront6targetE0EEEvT1_,"axG",@progbits,_ZN7rocprim17ROCPRIM_400000_NS6detail17trampoline_kernelINS0_14default_configENS1_25partition_config_selectorILNS1_17partition_subalgoE5ElNS0_10empty_typeEbEEZZNS1_14partition_implILS5_5ELb0ES3_mN6hipcub16HIPCUB_304000_NS21CountingInputIteratorIllEEPS6_NSA_22TransformInputIteratorIbN2at6native12_GLOBAL__N_19NonZeroOpIbEEPKblEENS0_5tupleIJPlS6_EEENSN_IJSD_SD_EEES6_PiJS6_EEE10hipError_tPvRmT3_T4_T5_T6_T7_T9_mT8_P12ihipStream_tbDpT10_ENKUlT_T0_E_clISt17integral_constantIbLb0EES1A_IbLb1EEEEDaS16_S17_EUlS16_E_NS1_11comp_targetILNS1_3genE4ELNS1_11target_archE910ELNS1_3gpuE8ELNS1_3repE0EEENS1_30default_config_static_selectorELNS0_4arch9wavefront6targetE0EEEvT1_,comdat
	.globl	_ZN7rocprim17ROCPRIM_400000_NS6detail17trampoline_kernelINS0_14default_configENS1_25partition_config_selectorILNS1_17partition_subalgoE5ElNS0_10empty_typeEbEEZZNS1_14partition_implILS5_5ELb0ES3_mN6hipcub16HIPCUB_304000_NS21CountingInputIteratorIllEEPS6_NSA_22TransformInputIteratorIbN2at6native12_GLOBAL__N_19NonZeroOpIbEEPKblEENS0_5tupleIJPlS6_EEENSN_IJSD_SD_EEES6_PiJS6_EEE10hipError_tPvRmT3_T4_T5_T6_T7_T9_mT8_P12ihipStream_tbDpT10_ENKUlT_T0_E_clISt17integral_constantIbLb0EES1A_IbLb1EEEEDaS16_S17_EUlS16_E_NS1_11comp_targetILNS1_3genE4ELNS1_11target_archE910ELNS1_3gpuE8ELNS1_3repE0EEENS1_30default_config_static_selectorELNS0_4arch9wavefront6targetE0EEEvT1_ ; -- Begin function _ZN7rocprim17ROCPRIM_400000_NS6detail17trampoline_kernelINS0_14default_configENS1_25partition_config_selectorILNS1_17partition_subalgoE5ElNS0_10empty_typeEbEEZZNS1_14partition_implILS5_5ELb0ES3_mN6hipcub16HIPCUB_304000_NS21CountingInputIteratorIllEEPS6_NSA_22TransformInputIteratorIbN2at6native12_GLOBAL__N_19NonZeroOpIbEEPKblEENS0_5tupleIJPlS6_EEENSN_IJSD_SD_EEES6_PiJS6_EEE10hipError_tPvRmT3_T4_T5_T6_T7_T9_mT8_P12ihipStream_tbDpT10_ENKUlT_T0_E_clISt17integral_constantIbLb0EES1A_IbLb1EEEEDaS16_S17_EUlS16_E_NS1_11comp_targetILNS1_3genE4ELNS1_11target_archE910ELNS1_3gpuE8ELNS1_3repE0EEENS1_30default_config_static_selectorELNS0_4arch9wavefront6targetE0EEEvT1_
	.p2align	8
	.type	_ZN7rocprim17ROCPRIM_400000_NS6detail17trampoline_kernelINS0_14default_configENS1_25partition_config_selectorILNS1_17partition_subalgoE5ElNS0_10empty_typeEbEEZZNS1_14partition_implILS5_5ELb0ES3_mN6hipcub16HIPCUB_304000_NS21CountingInputIteratorIllEEPS6_NSA_22TransformInputIteratorIbN2at6native12_GLOBAL__N_19NonZeroOpIbEEPKblEENS0_5tupleIJPlS6_EEENSN_IJSD_SD_EEES6_PiJS6_EEE10hipError_tPvRmT3_T4_T5_T6_T7_T9_mT8_P12ihipStream_tbDpT10_ENKUlT_T0_E_clISt17integral_constantIbLb0EES1A_IbLb1EEEEDaS16_S17_EUlS16_E_NS1_11comp_targetILNS1_3genE4ELNS1_11target_archE910ELNS1_3gpuE8ELNS1_3repE0EEENS1_30default_config_static_selectorELNS0_4arch9wavefront6targetE0EEEvT1_,@function
_ZN7rocprim17ROCPRIM_400000_NS6detail17trampoline_kernelINS0_14default_configENS1_25partition_config_selectorILNS1_17partition_subalgoE5ElNS0_10empty_typeEbEEZZNS1_14partition_implILS5_5ELb0ES3_mN6hipcub16HIPCUB_304000_NS21CountingInputIteratorIllEEPS6_NSA_22TransformInputIteratorIbN2at6native12_GLOBAL__N_19NonZeroOpIbEEPKblEENS0_5tupleIJPlS6_EEENSN_IJSD_SD_EEES6_PiJS6_EEE10hipError_tPvRmT3_T4_T5_T6_T7_T9_mT8_P12ihipStream_tbDpT10_ENKUlT_T0_E_clISt17integral_constantIbLb0EES1A_IbLb1EEEEDaS16_S17_EUlS16_E_NS1_11comp_targetILNS1_3genE4ELNS1_11target_archE910ELNS1_3gpuE8ELNS1_3repE0EEENS1_30default_config_static_selectorELNS0_4arch9wavefront6targetE0EEEvT1_: ; @_ZN7rocprim17ROCPRIM_400000_NS6detail17trampoline_kernelINS0_14default_configENS1_25partition_config_selectorILNS1_17partition_subalgoE5ElNS0_10empty_typeEbEEZZNS1_14partition_implILS5_5ELb0ES3_mN6hipcub16HIPCUB_304000_NS21CountingInputIteratorIllEEPS6_NSA_22TransformInputIteratorIbN2at6native12_GLOBAL__N_19NonZeroOpIbEEPKblEENS0_5tupleIJPlS6_EEENSN_IJSD_SD_EEES6_PiJS6_EEE10hipError_tPvRmT3_T4_T5_T6_T7_T9_mT8_P12ihipStream_tbDpT10_ENKUlT_T0_E_clISt17integral_constantIbLb0EES1A_IbLb1EEEEDaS16_S17_EUlS16_E_NS1_11comp_targetILNS1_3genE4ELNS1_11target_archE910ELNS1_3gpuE8ELNS1_3repE0EEENS1_30default_config_static_selectorELNS0_4arch9wavefront6targetE0EEEvT1_
; %bb.0:
	.section	.rodata,"a",@progbits
	.p2align	6, 0x0
	.amdhsa_kernel _ZN7rocprim17ROCPRIM_400000_NS6detail17trampoline_kernelINS0_14default_configENS1_25partition_config_selectorILNS1_17partition_subalgoE5ElNS0_10empty_typeEbEEZZNS1_14partition_implILS5_5ELb0ES3_mN6hipcub16HIPCUB_304000_NS21CountingInputIteratorIllEEPS6_NSA_22TransformInputIteratorIbN2at6native12_GLOBAL__N_19NonZeroOpIbEEPKblEENS0_5tupleIJPlS6_EEENSN_IJSD_SD_EEES6_PiJS6_EEE10hipError_tPvRmT3_T4_T5_T6_T7_T9_mT8_P12ihipStream_tbDpT10_ENKUlT_T0_E_clISt17integral_constantIbLb0EES1A_IbLb1EEEEDaS16_S17_EUlS16_E_NS1_11comp_targetILNS1_3genE4ELNS1_11target_archE910ELNS1_3gpuE8ELNS1_3repE0EEENS1_30default_config_static_selectorELNS0_4arch9wavefront6targetE0EEEvT1_
		.amdhsa_group_segment_fixed_size 0
		.amdhsa_private_segment_fixed_size 0
		.amdhsa_kernarg_size 136
		.amdhsa_user_sgpr_count 15
		.amdhsa_user_sgpr_dispatch_ptr 0
		.amdhsa_user_sgpr_queue_ptr 0
		.amdhsa_user_sgpr_kernarg_segment_ptr 1
		.amdhsa_user_sgpr_dispatch_id 0
		.amdhsa_user_sgpr_private_segment_size 0
		.amdhsa_wavefront_size32 1
		.amdhsa_uses_dynamic_stack 0
		.amdhsa_enable_private_segment 0
		.amdhsa_system_sgpr_workgroup_id_x 1
		.amdhsa_system_sgpr_workgroup_id_y 0
		.amdhsa_system_sgpr_workgroup_id_z 0
		.amdhsa_system_sgpr_workgroup_info 0
		.amdhsa_system_vgpr_workitem_id 0
		.amdhsa_next_free_vgpr 1
		.amdhsa_next_free_sgpr 1
		.amdhsa_reserve_vcc 0
		.amdhsa_float_round_mode_32 0
		.amdhsa_float_round_mode_16_64 0
		.amdhsa_float_denorm_mode_32 3
		.amdhsa_float_denorm_mode_16_64 3
		.amdhsa_dx10_clamp 1
		.amdhsa_ieee_mode 1
		.amdhsa_fp16_overflow 0
		.amdhsa_workgroup_processor_mode 1
		.amdhsa_memory_ordered 1
		.amdhsa_forward_progress 0
		.amdhsa_shared_vgpr_count 0
		.amdhsa_exception_fp_ieee_invalid_op 0
		.amdhsa_exception_fp_denorm_src 0
		.amdhsa_exception_fp_ieee_div_zero 0
		.amdhsa_exception_fp_ieee_overflow 0
		.amdhsa_exception_fp_ieee_underflow 0
		.amdhsa_exception_fp_ieee_inexact 0
		.amdhsa_exception_int_div_zero 0
	.end_amdhsa_kernel
	.section	.text._ZN7rocprim17ROCPRIM_400000_NS6detail17trampoline_kernelINS0_14default_configENS1_25partition_config_selectorILNS1_17partition_subalgoE5ElNS0_10empty_typeEbEEZZNS1_14partition_implILS5_5ELb0ES3_mN6hipcub16HIPCUB_304000_NS21CountingInputIteratorIllEEPS6_NSA_22TransformInputIteratorIbN2at6native12_GLOBAL__N_19NonZeroOpIbEEPKblEENS0_5tupleIJPlS6_EEENSN_IJSD_SD_EEES6_PiJS6_EEE10hipError_tPvRmT3_T4_T5_T6_T7_T9_mT8_P12ihipStream_tbDpT10_ENKUlT_T0_E_clISt17integral_constantIbLb0EES1A_IbLb1EEEEDaS16_S17_EUlS16_E_NS1_11comp_targetILNS1_3genE4ELNS1_11target_archE910ELNS1_3gpuE8ELNS1_3repE0EEENS1_30default_config_static_selectorELNS0_4arch9wavefront6targetE0EEEvT1_,"axG",@progbits,_ZN7rocprim17ROCPRIM_400000_NS6detail17trampoline_kernelINS0_14default_configENS1_25partition_config_selectorILNS1_17partition_subalgoE5ElNS0_10empty_typeEbEEZZNS1_14partition_implILS5_5ELb0ES3_mN6hipcub16HIPCUB_304000_NS21CountingInputIteratorIllEEPS6_NSA_22TransformInputIteratorIbN2at6native12_GLOBAL__N_19NonZeroOpIbEEPKblEENS0_5tupleIJPlS6_EEENSN_IJSD_SD_EEES6_PiJS6_EEE10hipError_tPvRmT3_T4_T5_T6_T7_T9_mT8_P12ihipStream_tbDpT10_ENKUlT_T0_E_clISt17integral_constantIbLb0EES1A_IbLb1EEEEDaS16_S17_EUlS16_E_NS1_11comp_targetILNS1_3genE4ELNS1_11target_archE910ELNS1_3gpuE8ELNS1_3repE0EEENS1_30default_config_static_selectorELNS0_4arch9wavefront6targetE0EEEvT1_,comdat
.Lfunc_end756:
	.size	_ZN7rocprim17ROCPRIM_400000_NS6detail17trampoline_kernelINS0_14default_configENS1_25partition_config_selectorILNS1_17partition_subalgoE5ElNS0_10empty_typeEbEEZZNS1_14partition_implILS5_5ELb0ES3_mN6hipcub16HIPCUB_304000_NS21CountingInputIteratorIllEEPS6_NSA_22TransformInputIteratorIbN2at6native12_GLOBAL__N_19NonZeroOpIbEEPKblEENS0_5tupleIJPlS6_EEENSN_IJSD_SD_EEES6_PiJS6_EEE10hipError_tPvRmT3_T4_T5_T6_T7_T9_mT8_P12ihipStream_tbDpT10_ENKUlT_T0_E_clISt17integral_constantIbLb0EES1A_IbLb1EEEEDaS16_S17_EUlS16_E_NS1_11comp_targetILNS1_3genE4ELNS1_11target_archE910ELNS1_3gpuE8ELNS1_3repE0EEENS1_30default_config_static_selectorELNS0_4arch9wavefront6targetE0EEEvT1_, .Lfunc_end756-_ZN7rocprim17ROCPRIM_400000_NS6detail17trampoline_kernelINS0_14default_configENS1_25partition_config_selectorILNS1_17partition_subalgoE5ElNS0_10empty_typeEbEEZZNS1_14partition_implILS5_5ELb0ES3_mN6hipcub16HIPCUB_304000_NS21CountingInputIteratorIllEEPS6_NSA_22TransformInputIteratorIbN2at6native12_GLOBAL__N_19NonZeroOpIbEEPKblEENS0_5tupleIJPlS6_EEENSN_IJSD_SD_EEES6_PiJS6_EEE10hipError_tPvRmT3_T4_T5_T6_T7_T9_mT8_P12ihipStream_tbDpT10_ENKUlT_T0_E_clISt17integral_constantIbLb0EES1A_IbLb1EEEEDaS16_S17_EUlS16_E_NS1_11comp_targetILNS1_3genE4ELNS1_11target_archE910ELNS1_3gpuE8ELNS1_3repE0EEENS1_30default_config_static_selectorELNS0_4arch9wavefront6targetE0EEEvT1_
                                        ; -- End function
	.section	.AMDGPU.csdata,"",@progbits
; Kernel info:
; codeLenInByte = 0
; NumSgprs: 0
; NumVgprs: 0
; ScratchSize: 0
; MemoryBound: 0
; FloatMode: 240
; IeeeMode: 1
; LDSByteSize: 0 bytes/workgroup (compile time only)
; SGPRBlocks: 0
; VGPRBlocks: 0
; NumSGPRsForWavesPerEU: 1
; NumVGPRsForWavesPerEU: 1
; Occupancy: 15
; WaveLimiterHint : 0
; COMPUTE_PGM_RSRC2:SCRATCH_EN: 0
; COMPUTE_PGM_RSRC2:USER_SGPR: 15
; COMPUTE_PGM_RSRC2:TRAP_HANDLER: 0
; COMPUTE_PGM_RSRC2:TGID_X_EN: 1
; COMPUTE_PGM_RSRC2:TGID_Y_EN: 0
; COMPUTE_PGM_RSRC2:TGID_Z_EN: 0
; COMPUTE_PGM_RSRC2:TIDIG_COMP_CNT: 0
	.section	.text._ZN7rocprim17ROCPRIM_400000_NS6detail17trampoline_kernelINS0_14default_configENS1_25partition_config_selectorILNS1_17partition_subalgoE5ElNS0_10empty_typeEbEEZZNS1_14partition_implILS5_5ELb0ES3_mN6hipcub16HIPCUB_304000_NS21CountingInputIteratorIllEEPS6_NSA_22TransformInputIteratorIbN2at6native12_GLOBAL__N_19NonZeroOpIbEEPKblEENS0_5tupleIJPlS6_EEENSN_IJSD_SD_EEES6_PiJS6_EEE10hipError_tPvRmT3_T4_T5_T6_T7_T9_mT8_P12ihipStream_tbDpT10_ENKUlT_T0_E_clISt17integral_constantIbLb0EES1A_IbLb1EEEEDaS16_S17_EUlS16_E_NS1_11comp_targetILNS1_3genE3ELNS1_11target_archE908ELNS1_3gpuE7ELNS1_3repE0EEENS1_30default_config_static_selectorELNS0_4arch9wavefront6targetE0EEEvT1_,"axG",@progbits,_ZN7rocprim17ROCPRIM_400000_NS6detail17trampoline_kernelINS0_14default_configENS1_25partition_config_selectorILNS1_17partition_subalgoE5ElNS0_10empty_typeEbEEZZNS1_14partition_implILS5_5ELb0ES3_mN6hipcub16HIPCUB_304000_NS21CountingInputIteratorIllEEPS6_NSA_22TransformInputIteratorIbN2at6native12_GLOBAL__N_19NonZeroOpIbEEPKblEENS0_5tupleIJPlS6_EEENSN_IJSD_SD_EEES6_PiJS6_EEE10hipError_tPvRmT3_T4_T5_T6_T7_T9_mT8_P12ihipStream_tbDpT10_ENKUlT_T0_E_clISt17integral_constantIbLb0EES1A_IbLb1EEEEDaS16_S17_EUlS16_E_NS1_11comp_targetILNS1_3genE3ELNS1_11target_archE908ELNS1_3gpuE7ELNS1_3repE0EEENS1_30default_config_static_selectorELNS0_4arch9wavefront6targetE0EEEvT1_,comdat
	.globl	_ZN7rocprim17ROCPRIM_400000_NS6detail17trampoline_kernelINS0_14default_configENS1_25partition_config_selectorILNS1_17partition_subalgoE5ElNS0_10empty_typeEbEEZZNS1_14partition_implILS5_5ELb0ES3_mN6hipcub16HIPCUB_304000_NS21CountingInputIteratorIllEEPS6_NSA_22TransformInputIteratorIbN2at6native12_GLOBAL__N_19NonZeroOpIbEEPKblEENS0_5tupleIJPlS6_EEENSN_IJSD_SD_EEES6_PiJS6_EEE10hipError_tPvRmT3_T4_T5_T6_T7_T9_mT8_P12ihipStream_tbDpT10_ENKUlT_T0_E_clISt17integral_constantIbLb0EES1A_IbLb1EEEEDaS16_S17_EUlS16_E_NS1_11comp_targetILNS1_3genE3ELNS1_11target_archE908ELNS1_3gpuE7ELNS1_3repE0EEENS1_30default_config_static_selectorELNS0_4arch9wavefront6targetE0EEEvT1_ ; -- Begin function _ZN7rocprim17ROCPRIM_400000_NS6detail17trampoline_kernelINS0_14default_configENS1_25partition_config_selectorILNS1_17partition_subalgoE5ElNS0_10empty_typeEbEEZZNS1_14partition_implILS5_5ELb0ES3_mN6hipcub16HIPCUB_304000_NS21CountingInputIteratorIllEEPS6_NSA_22TransformInputIteratorIbN2at6native12_GLOBAL__N_19NonZeroOpIbEEPKblEENS0_5tupleIJPlS6_EEENSN_IJSD_SD_EEES6_PiJS6_EEE10hipError_tPvRmT3_T4_T5_T6_T7_T9_mT8_P12ihipStream_tbDpT10_ENKUlT_T0_E_clISt17integral_constantIbLb0EES1A_IbLb1EEEEDaS16_S17_EUlS16_E_NS1_11comp_targetILNS1_3genE3ELNS1_11target_archE908ELNS1_3gpuE7ELNS1_3repE0EEENS1_30default_config_static_selectorELNS0_4arch9wavefront6targetE0EEEvT1_
	.p2align	8
	.type	_ZN7rocprim17ROCPRIM_400000_NS6detail17trampoline_kernelINS0_14default_configENS1_25partition_config_selectorILNS1_17partition_subalgoE5ElNS0_10empty_typeEbEEZZNS1_14partition_implILS5_5ELb0ES3_mN6hipcub16HIPCUB_304000_NS21CountingInputIteratorIllEEPS6_NSA_22TransformInputIteratorIbN2at6native12_GLOBAL__N_19NonZeroOpIbEEPKblEENS0_5tupleIJPlS6_EEENSN_IJSD_SD_EEES6_PiJS6_EEE10hipError_tPvRmT3_T4_T5_T6_T7_T9_mT8_P12ihipStream_tbDpT10_ENKUlT_T0_E_clISt17integral_constantIbLb0EES1A_IbLb1EEEEDaS16_S17_EUlS16_E_NS1_11comp_targetILNS1_3genE3ELNS1_11target_archE908ELNS1_3gpuE7ELNS1_3repE0EEENS1_30default_config_static_selectorELNS0_4arch9wavefront6targetE0EEEvT1_,@function
_ZN7rocprim17ROCPRIM_400000_NS6detail17trampoline_kernelINS0_14default_configENS1_25partition_config_selectorILNS1_17partition_subalgoE5ElNS0_10empty_typeEbEEZZNS1_14partition_implILS5_5ELb0ES3_mN6hipcub16HIPCUB_304000_NS21CountingInputIteratorIllEEPS6_NSA_22TransformInputIteratorIbN2at6native12_GLOBAL__N_19NonZeroOpIbEEPKblEENS0_5tupleIJPlS6_EEENSN_IJSD_SD_EEES6_PiJS6_EEE10hipError_tPvRmT3_T4_T5_T6_T7_T9_mT8_P12ihipStream_tbDpT10_ENKUlT_T0_E_clISt17integral_constantIbLb0EES1A_IbLb1EEEEDaS16_S17_EUlS16_E_NS1_11comp_targetILNS1_3genE3ELNS1_11target_archE908ELNS1_3gpuE7ELNS1_3repE0EEENS1_30default_config_static_selectorELNS0_4arch9wavefront6targetE0EEEvT1_: ; @_ZN7rocprim17ROCPRIM_400000_NS6detail17trampoline_kernelINS0_14default_configENS1_25partition_config_selectorILNS1_17partition_subalgoE5ElNS0_10empty_typeEbEEZZNS1_14partition_implILS5_5ELb0ES3_mN6hipcub16HIPCUB_304000_NS21CountingInputIteratorIllEEPS6_NSA_22TransformInputIteratorIbN2at6native12_GLOBAL__N_19NonZeroOpIbEEPKblEENS0_5tupleIJPlS6_EEENSN_IJSD_SD_EEES6_PiJS6_EEE10hipError_tPvRmT3_T4_T5_T6_T7_T9_mT8_P12ihipStream_tbDpT10_ENKUlT_T0_E_clISt17integral_constantIbLb0EES1A_IbLb1EEEEDaS16_S17_EUlS16_E_NS1_11comp_targetILNS1_3genE3ELNS1_11target_archE908ELNS1_3gpuE7ELNS1_3repE0EEENS1_30default_config_static_selectorELNS0_4arch9wavefront6targetE0EEEvT1_
; %bb.0:
	.section	.rodata,"a",@progbits
	.p2align	6, 0x0
	.amdhsa_kernel _ZN7rocprim17ROCPRIM_400000_NS6detail17trampoline_kernelINS0_14default_configENS1_25partition_config_selectorILNS1_17partition_subalgoE5ElNS0_10empty_typeEbEEZZNS1_14partition_implILS5_5ELb0ES3_mN6hipcub16HIPCUB_304000_NS21CountingInputIteratorIllEEPS6_NSA_22TransformInputIteratorIbN2at6native12_GLOBAL__N_19NonZeroOpIbEEPKblEENS0_5tupleIJPlS6_EEENSN_IJSD_SD_EEES6_PiJS6_EEE10hipError_tPvRmT3_T4_T5_T6_T7_T9_mT8_P12ihipStream_tbDpT10_ENKUlT_T0_E_clISt17integral_constantIbLb0EES1A_IbLb1EEEEDaS16_S17_EUlS16_E_NS1_11comp_targetILNS1_3genE3ELNS1_11target_archE908ELNS1_3gpuE7ELNS1_3repE0EEENS1_30default_config_static_selectorELNS0_4arch9wavefront6targetE0EEEvT1_
		.amdhsa_group_segment_fixed_size 0
		.amdhsa_private_segment_fixed_size 0
		.amdhsa_kernarg_size 136
		.amdhsa_user_sgpr_count 15
		.amdhsa_user_sgpr_dispatch_ptr 0
		.amdhsa_user_sgpr_queue_ptr 0
		.amdhsa_user_sgpr_kernarg_segment_ptr 1
		.amdhsa_user_sgpr_dispatch_id 0
		.amdhsa_user_sgpr_private_segment_size 0
		.amdhsa_wavefront_size32 1
		.amdhsa_uses_dynamic_stack 0
		.amdhsa_enable_private_segment 0
		.amdhsa_system_sgpr_workgroup_id_x 1
		.amdhsa_system_sgpr_workgroup_id_y 0
		.amdhsa_system_sgpr_workgroup_id_z 0
		.amdhsa_system_sgpr_workgroup_info 0
		.amdhsa_system_vgpr_workitem_id 0
		.amdhsa_next_free_vgpr 1
		.amdhsa_next_free_sgpr 1
		.amdhsa_reserve_vcc 0
		.amdhsa_float_round_mode_32 0
		.amdhsa_float_round_mode_16_64 0
		.amdhsa_float_denorm_mode_32 3
		.amdhsa_float_denorm_mode_16_64 3
		.amdhsa_dx10_clamp 1
		.amdhsa_ieee_mode 1
		.amdhsa_fp16_overflow 0
		.amdhsa_workgroup_processor_mode 1
		.amdhsa_memory_ordered 1
		.amdhsa_forward_progress 0
		.amdhsa_shared_vgpr_count 0
		.amdhsa_exception_fp_ieee_invalid_op 0
		.amdhsa_exception_fp_denorm_src 0
		.amdhsa_exception_fp_ieee_div_zero 0
		.amdhsa_exception_fp_ieee_overflow 0
		.amdhsa_exception_fp_ieee_underflow 0
		.amdhsa_exception_fp_ieee_inexact 0
		.amdhsa_exception_int_div_zero 0
	.end_amdhsa_kernel
	.section	.text._ZN7rocprim17ROCPRIM_400000_NS6detail17trampoline_kernelINS0_14default_configENS1_25partition_config_selectorILNS1_17partition_subalgoE5ElNS0_10empty_typeEbEEZZNS1_14partition_implILS5_5ELb0ES3_mN6hipcub16HIPCUB_304000_NS21CountingInputIteratorIllEEPS6_NSA_22TransformInputIteratorIbN2at6native12_GLOBAL__N_19NonZeroOpIbEEPKblEENS0_5tupleIJPlS6_EEENSN_IJSD_SD_EEES6_PiJS6_EEE10hipError_tPvRmT3_T4_T5_T6_T7_T9_mT8_P12ihipStream_tbDpT10_ENKUlT_T0_E_clISt17integral_constantIbLb0EES1A_IbLb1EEEEDaS16_S17_EUlS16_E_NS1_11comp_targetILNS1_3genE3ELNS1_11target_archE908ELNS1_3gpuE7ELNS1_3repE0EEENS1_30default_config_static_selectorELNS0_4arch9wavefront6targetE0EEEvT1_,"axG",@progbits,_ZN7rocprim17ROCPRIM_400000_NS6detail17trampoline_kernelINS0_14default_configENS1_25partition_config_selectorILNS1_17partition_subalgoE5ElNS0_10empty_typeEbEEZZNS1_14partition_implILS5_5ELb0ES3_mN6hipcub16HIPCUB_304000_NS21CountingInputIteratorIllEEPS6_NSA_22TransformInputIteratorIbN2at6native12_GLOBAL__N_19NonZeroOpIbEEPKblEENS0_5tupleIJPlS6_EEENSN_IJSD_SD_EEES6_PiJS6_EEE10hipError_tPvRmT3_T4_T5_T6_T7_T9_mT8_P12ihipStream_tbDpT10_ENKUlT_T0_E_clISt17integral_constantIbLb0EES1A_IbLb1EEEEDaS16_S17_EUlS16_E_NS1_11comp_targetILNS1_3genE3ELNS1_11target_archE908ELNS1_3gpuE7ELNS1_3repE0EEENS1_30default_config_static_selectorELNS0_4arch9wavefront6targetE0EEEvT1_,comdat
.Lfunc_end757:
	.size	_ZN7rocprim17ROCPRIM_400000_NS6detail17trampoline_kernelINS0_14default_configENS1_25partition_config_selectorILNS1_17partition_subalgoE5ElNS0_10empty_typeEbEEZZNS1_14partition_implILS5_5ELb0ES3_mN6hipcub16HIPCUB_304000_NS21CountingInputIteratorIllEEPS6_NSA_22TransformInputIteratorIbN2at6native12_GLOBAL__N_19NonZeroOpIbEEPKblEENS0_5tupleIJPlS6_EEENSN_IJSD_SD_EEES6_PiJS6_EEE10hipError_tPvRmT3_T4_T5_T6_T7_T9_mT8_P12ihipStream_tbDpT10_ENKUlT_T0_E_clISt17integral_constantIbLb0EES1A_IbLb1EEEEDaS16_S17_EUlS16_E_NS1_11comp_targetILNS1_3genE3ELNS1_11target_archE908ELNS1_3gpuE7ELNS1_3repE0EEENS1_30default_config_static_selectorELNS0_4arch9wavefront6targetE0EEEvT1_, .Lfunc_end757-_ZN7rocprim17ROCPRIM_400000_NS6detail17trampoline_kernelINS0_14default_configENS1_25partition_config_selectorILNS1_17partition_subalgoE5ElNS0_10empty_typeEbEEZZNS1_14partition_implILS5_5ELb0ES3_mN6hipcub16HIPCUB_304000_NS21CountingInputIteratorIllEEPS6_NSA_22TransformInputIteratorIbN2at6native12_GLOBAL__N_19NonZeroOpIbEEPKblEENS0_5tupleIJPlS6_EEENSN_IJSD_SD_EEES6_PiJS6_EEE10hipError_tPvRmT3_T4_T5_T6_T7_T9_mT8_P12ihipStream_tbDpT10_ENKUlT_T0_E_clISt17integral_constantIbLb0EES1A_IbLb1EEEEDaS16_S17_EUlS16_E_NS1_11comp_targetILNS1_3genE3ELNS1_11target_archE908ELNS1_3gpuE7ELNS1_3repE0EEENS1_30default_config_static_selectorELNS0_4arch9wavefront6targetE0EEEvT1_
                                        ; -- End function
	.section	.AMDGPU.csdata,"",@progbits
; Kernel info:
; codeLenInByte = 0
; NumSgprs: 0
; NumVgprs: 0
; ScratchSize: 0
; MemoryBound: 0
; FloatMode: 240
; IeeeMode: 1
; LDSByteSize: 0 bytes/workgroup (compile time only)
; SGPRBlocks: 0
; VGPRBlocks: 0
; NumSGPRsForWavesPerEU: 1
; NumVGPRsForWavesPerEU: 1
; Occupancy: 16
; WaveLimiterHint : 0
; COMPUTE_PGM_RSRC2:SCRATCH_EN: 0
; COMPUTE_PGM_RSRC2:USER_SGPR: 15
; COMPUTE_PGM_RSRC2:TRAP_HANDLER: 0
; COMPUTE_PGM_RSRC2:TGID_X_EN: 1
; COMPUTE_PGM_RSRC2:TGID_Y_EN: 0
; COMPUTE_PGM_RSRC2:TGID_Z_EN: 0
; COMPUTE_PGM_RSRC2:TIDIG_COMP_CNT: 0
	.section	.text._ZN7rocprim17ROCPRIM_400000_NS6detail17trampoline_kernelINS0_14default_configENS1_25partition_config_selectorILNS1_17partition_subalgoE5ElNS0_10empty_typeEbEEZZNS1_14partition_implILS5_5ELb0ES3_mN6hipcub16HIPCUB_304000_NS21CountingInputIteratorIllEEPS6_NSA_22TransformInputIteratorIbN2at6native12_GLOBAL__N_19NonZeroOpIbEEPKblEENS0_5tupleIJPlS6_EEENSN_IJSD_SD_EEES6_PiJS6_EEE10hipError_tPvRmT3_T4_T5_T6_T7_T9_mT8_P12ihipStream_tbDpT10_ENKUlT_T0_E_clISt17integral_constantIbLb0EES1A_IbLb1EEEEDaS16_S17_EUlS16_E_NS1_11comp_targetILNS1_3genE2ELNS1_11target_archE906ELNS1_3gpuE6ELNS1_3repE0EEENS1_30default_config_static_selectorELNS0_4arch9wavefront6targetE0EEEvT1_,"axG",@progbits,_ZN7rocprim17ROCPRIM_400000_NS6detail17trampoline_kernelINS0_14default_configENS1_25partition_config_selectorILNS1_17partition_subalgoE5ElNS0_10empty_typeEbEEZZNS1_14partition_implILS5_5ELb0ES3_mN6hipcub16HIPCUB_304000_NS21CountingInputIteratorIllEEPS6_NSA_22TransformInputIteratorIbN2at6native12_GLOBAL__N_19NonZeroOpIbEEPKblEENS0_5tupleIJPlS6_EEENSN_IJSD_SD_EEES6_PiJS6_EEE10hipError_tPvRmT3_T4_T5_T6_T7_T9_mT8_P12ihipStream_tbDpT10_ENKUlT_T0_E_clISt17integral_constantIbLb0EES1A_IbLb1EEEEDaS16_S17_EUlS16_E_NS1_11comp_targetILNS1_3genE2ELNS1_11target_archE906ELNS1_3gpuE6ELNS1_3repE0EEENS1_30default_config_static_selectorELNS0_4arch9wavefront6targetE0EEEvT1_,comdat
	.globl	_ZN7rocprim17ROCPRIM_400000_NS6detail17trampoline_kernelINS0_14default_configENS1_25partition_config_selectorILNS1_17partition_subalgoE5ElNS0_10empty_typeEbEEZZNS1_14partition_implILS5_5ELb0ES3_mN6hipcub16HIPCUB_304000_NS21CountingInputIteratorIllEEPS6_NSA_22TransformInputIteratorIbN2at6native12_GLOBAL__N_19NonZeroOpIbEEPKblEENS0_5tupleIJPlS6_EEENSN_IJSD_SD_EEES6_PiJS6_EEE10hipError_tPvRmT3_T4_T5_T6_T7_T9_mT8_P12ihipStream_tbDpT10_ENKUlT_T0_E_clISt17integral_constantIbLb0EES1A_IbLb1EEEEDaS16_S17_EUlS16_E_NS1_11comp_targetILNS1_3genE2ELNS1_11target_archE906ELNS1_3gpuE6ELNS1_3repE0EEENS1_30default_config_static_selectorELNS0_4arch9wavefront6targetE0EEEvT1_ ; -- Begin function _ZN7rocprim17ROCPRIM_400000_NS6detail17trampoline_kernelINS0_14default_configENS1_25partition_config_selectorILNS1_17partition_subalgoE5ElNS0_10empty_typeEbEEZZNS1_14partition_implILS5_5ELb0ES3_mN6hipcub16HIPCUB_304000_NS21CountingInputIteratorIllEEPS6_NSA_22TransformInputIteratorIbN2at6native12_GLOBAL__N_19NonZeroOpIbEEPKblEENS0_5tupleIJPlS6_EEENSN_IJSD_SD_EEES6_PiJS6_EEE10hipError_tPvRmT3_T4_T5_T6_T7_T9_mT8_P12ihipStream_tbDpT10_ENKUlT_T0_E_clISt17integral_constantIbLb0EES1A_IbLb1EEEEDaS16_S17_EUlS16_E_NS1_11comp_targetILNS1_3genE2ELNS1_11target_archE906ELNS1_3gpuE6ELNS1_3repE0EEENS1_30default_config_static_selectorELNS0_4arch9wavefront6targetE0EEEvT1_
	.p2align	8
	.type	_ZN7rocprim17ROCPRIM_400000_NS6detail17trampoline_kernelINS0_14default_configENS1_25partition_config_selectorILNS1_17partition_subalgoE5ElNS0_10empty_typeEbEEZZNS1_14partition_implILS5_5ELb0ES3_mN6hipcub16HIPCUB_304000_NS21CountingInputIteratorIllEEPS6_NSA_22TransformInputIteratorIbN2at6native12_GLOBAL__N_19NonZeroOpIbEEPKblEENS0_5tupleIJPlS6_EEENSN_IJSD_SD_EEES6_PiJS6_EEE10hipError_tPvRmT3_T4_T5_T6_T7_T9_mT8_P12ihipStream_tbDpT10_ENKUlT_T0_E_clISt17integral_constantIbLb0EES1A_IbLb1EEEEDaS16_S17_EUlS16_E_NS1_11comp_targetILNS1_3genE2ELNS1_11target_archE906ELNS1_3gpuE6ELNS1_3repE0EEENS1_30default_config_static_selectorELNS0_4arch9wavefront6targetE0EEEvT1_,@function
_ZN7rocprim17ROCPRIM_400000_NS6detail17trampoline_kernelINS0_14default_configENS1_25partition_config_selectorILNS1_17partition_subalgoE5ElNS0_10empty_typeEbEEZZNS1_14partition_implILS5_5ELb0ES3_mN6hipcub16HIPCUB_304000_NS21CountingInputIteratorIllEEPS6_NSA_22TransformInputIteratorIbN2at6native12_GLOBAL__N_19NonZeroOpIbEEPKblEENS0_5tupleIJPlS6_EEENSN_IJSD_SD_EEES6_PiJS6_EEE10hipError_tPvRmT3_T4_T5_T6_T7_T9_mT8_P12ihipStream_tbDpT10_ENKUlT_T0_E_clISt17integral_constantIbLb0EES1A_IbLb1EEEEDaS16_S17_EUlS16_E_NS1_11comp_targetILNS1_3genE2ELNS1_11target_archE906ELNS1_3gpuE6ELNS1_3repE0EEENS1_30default_config_static_selectorELNS0_4arch9wavefront6targetE0EEEvT1_: ; @_ZN7rocprim17ROCPRIM_400000_NS6detail17trampoline_kernelINS0_14default_configENS1_25partition_config_selectorILNS1_17partition_subalgoE5ElNS0_10empty_typeEbEEZZNS1_14partition_implILS5_5ELb0ES3_mN6hipcub16HIPCUB_304000_NS21CountingInputIteratorIllEEPS6_NSA_22TransformInputIteratorIbN2at6native12_GLOBAL__N_19NonZeroOpIbEEPKblEENS0_5tupleIJPlS6_EEENSN_IJSD_SD_EEES6_PiJS6_EEE10hipError_tPvRmT3_T4_T5_T6_T7_T9_mT8_P12ihipStream_tbDpT10_ENKUlT_T0_E_clISt17integral_constantIbLb0EES1A_IbLb1EEEEDaS16_S17_EUlS16_E_NS1_11comp_targetILNS1_3genE2ELNS1_11target_archE906ELNS1_3gpuE6ELNS1_3repE0EEENS1_30default_config_static_selectorELNS0_4arch9wavefront6targetE0EEEvT1_
; %bb.0:
	.section	.rodata,"a",@progbits
	.p2align	6, 0x0
	.amdhsa_kernel _ZN7rocprim17ROCPRIM_400000_NS6detail17trampoline_kernelINS0_14default_configENS1_25partition_config_selectorILNS1_17partition_subalgoE5ElNS0_10empty_typeEbEEZZNS1_14partition_implILS5_5ELb0ES3_mN6hipcub16HIPCUB_304000_NS21CountingInputIteratorIllEEPS6_NSA_22TransformInputIteratorIbN2at6native12_GLOBAL__N_19NonZeroOpIbEEPKblEENS0_5tupleIJPlS6_EEENSN_IJSD_SD_EEES6_PiJS6_EEE10hipError_tPvRmT3_T4_T5_T6_T7_T9_mT8_P12ihipStream_tbDpT10_ENKUlT_T0_E_clISt17integral_constantIbLb0EES1A_IbLb1EEEEDaS16_S17_EUlS16_E_NS1_11comp_targetILNS1_3genE2ELNS1_11target_archE906ELNS1_3gpuE6ELNS1_3repE0EEENS1_30default_config_static_selectorELNS0_4arch9wavefront6targetE0EEEvT1_
		.amdhsa_group_segment_fixed_size 0
		.amdhsa_private_segment_fixed_size 0
		.amdhsa_kernarg_size 136
		.amdhsa_user_sgpr_count 15
		.amdhsa_user_sgpr_dispatch_ptr 0
		.amdhsa_user_sgpr_queue_ptr 0
		.amdhsa_user_sgpr_kernarg_segment_ptr 1
		.amdhsa_user_sgpr_dispatch_id 0
		.amdhsa_user_sgpr_private_segment_size 0
		.amdhsa_wavefront_size32 1
		.amdhsa_uses_dynamic_stack 0
		.amdhsa_enable_private_segment 0
		.amdhsa_system_sgpr_workgroup_id_x 1
		.amdhsa_system_sgpr_workgroup_id_y 0
		.amdhsa_system_sgpr_workgroup_id_z 0
		.amdhsa_system_sgpr_workgroup_info 0
		.amdhsa_system_vgpr_workitem_id 0
		.amdhsa_next_free_vgpr 1
		.amdhsa_next_free_sgpr 1
		.amdhsa_reserve_vcc 0
		.amdhsa_float_round_mode_32 0
		.amdhsa_float_round_mode_16_64 0
		.amdhsa_float_denorm_mode_32 3
		.amdhsa_float_denorm_mode_16_64 3
		.amdhsa_dx10_clamp 1
		.amdhsa_ieee_mode 1
		.amdhsa_fp16_overflow 0
		.amdhsa_workgroup_processor_mode 1
		.amdhsa_memory_ordered 1
		.amdhsa_forward_progress 0
		.amdhsa_shared_vgpr_count 0
		.amdhsa_exception_fp_ieee_invalid_op 0
		.amdhsa_exception_fp_denorm_src 0
		.amdhsa_exception_fp_ieee_div_zero 0
		.amdhsa_exception_fp_ieee_overflow 0
		.amdhsa_exception_fp_ieee_underflow 0
		.amdhsa_exception_fp_ieee_inexact 0
		.amdhsa_exception_int_div_zero 0
	.end_amdhsa_kernel
	.section	.text._ZN7rocprim17ROCPRIM_400000_NS6detail17trampoline_kernelINS0_14default_configENS1_25partition_config_selectorILNS1_17partition_subalgoE5ElNS0_10empty_typeEbEEZZNS1_14partition_implILS5_5ELb0ES3_mN6hipcub16HIPCUB_304000_NS21CountingInputIteratorIllEEPS6_NSA_22TransformInputIteratorIbN2at6native12_GLOBAL__N_19NonZeroOpIbEEPKblEENS0_5tupleIJPlS6_EEENSN_IJSD_SD_EEES6_PiJS6_EEE10hipError_tPvRmT3_T4_T5_T6_T7_T9_mT8_P12ihipStream_tbDpT10_ENKUlT_T0_E_clISt17integral_constantIbLb0EES1A_IbLb1EEEEDaS16_S17_EUlS16_E_NS1_11comp_targetILNS1_3genE2ELNS1_11target_archE906ELNS1_3gpuE6ELNS1_3repE0EEENS1_30default_config_static_selectorELNS0_4arch9wavefront6targetE0EEEvT1_,"axG",@progbits,_ZN7rocprim17ROCPRIM_400000_NS6detail17trampoline_kernelINS0_14default_configENS1_25partition_config_selectorILNS1_17partition_subalgoE5ElNS0_10empty_typeEbEEZZNS1_14partition_implILS5_5ELb0ES3_mN6hipcub16HIPCUB_304000_NS21CountingInputIteratorIllEEPS6_NSA_22TransformInputIteratorIbN2at6native12_GLOBAL__N_19NonZeroOpIbEEPKblEENS0_5tupleIJPlS6_EEENSN_IJSD_SD_EEES6_PiJS6_EEE10hipError_tPvRmT3_T4_T5_T6_T7_T9_mT8_P12ihipStream_tbDpT10_ENKUlT_T0_E_clISt17integral_constantIbLb0EES1A_IbLb1EEEEDaS16_S17_EUlS16_E_NS1_11comp_targetILNS1_3genE2ELNS1_11target_archE906ELNS1_3gpuE6ELNS1_3repE0EEENS1_30default_config_static_selectorELNS0_4arch9wavefront6targetE0EEEvT1_,comdat
.Lfunc_end758:
	.size	_ZN7rocprim17ROCPRIM_400000_NS6detail17trampoline_kernelINS0_14default_configENS1_25partition_config_selectorILNS1_17partition_subalgoE5ElNS0_10empty_typeEbEEZZNS1_14partition_implILS5_5ELb0ES3_mN6hipcub16HIPCUB_304000_NS21CountingInputIteratorIllEEPS6_NSA_22TransformInputIteratorIbN2at6native12_GLOBAL__N_19NonZeroOpIbEEPKblEENS0_5tupleIJPlS6_EEENSN_IJSD_SD_EEES6_PiJS6_EEE10hipError_tPvRmT3_T4_T5_T6_T7_T9_mT8_P12ihipStream_tbDpT10_ENKUlT_T0_E_clISt17integral_constantIbLb0EES1A_IbLb1EEEEDaS16_S17_EUlS16_E_NS1_11comp_targetILNS1_3genE2ELNS1_11target_archE906ELNS1_3gpuE6ELNS1_3repE0EEENS1_30default_config_static_selectorELNS0_4arch9wavefront6targetE0EEEvT1_, .Lfunc_end758-_ZN7rocprim17ROCPRIM_400000_NS6detail17trampoline_kernelINS0_14default_configENS1_25partition_config_selectorILNS1_17partition_subalgoE5ElNS0_10empty_typeEbEEZZNS1_14partition_implILS5_5ELb0ES3_mN6hipcub16HIPCUB_304000_NS21CountingInputIteratorIllEEPS6_NSA_22TransformInputIteratorIbN2at6native12_GLOBAL__N_19NonZeroOpIbEEPKblEENS0_5tupleIJPlS6_EEENSN_IJSD_SD_EEES6_PiJS6_EEE10hipError_tPvRmT3_T4_T5_T6_T7_T9_mT8_P12ihipStream_tbDpT10_ENKUlT_T0_E_clISt17integral_constantIbLb0EES1A_IbLb1EEEEDaS16_S17_EUlS16_E_NS1_11comp_targetILNS1_3genE2ELNS1_11target_archE906ELNS1_3gpuE6ELNS1_3repE0EEENS1_30default_config_static_selectorELNS0_4arch9wavefront6targetE0EEEvT1_
                                        ; -- End function
	.section	.AMDGPU.csdata,"",@progbits
; Kernel info:
; codeLenInByte = 0
; NumSgprs: 0
; NumVgprs: 0
; ScratchSize: 0
; MemoryBound: 0
; FloatMode: 240
; IeeeMode: 1
; LDSByteSize: 0 bytes/workgroup (compile time only)
; SGPRBlocks: 0
; VGPRBlocks: 0
; NumSGPRsForWavesPerEU: 1
; NumVGPRsForWavesPerEU: 1
; Occupancy: 16
; WaveLimiterHint : 0
; COMPUTE_PGM_RSRC2:SCRATCH_EN: 0
; COMPUTE_PGM_RSRC2:USER_SGPR: 15
; COMPUTE_PGM_RSRC2:TRAP_HANDLER: 0
; COMPUTE_PGM_RSRC2:TGID_X_EN: 1
; COMPUTE_PGM_RSRC2:TGID_Y_EN: 0
; COMPUTE_PGM_RSRC2:TGID_Z_EN: 0
; COMPUTE_PGM_RSRC2:TIDIG_COMP_CNT: 0
	.section	.text._ZN7rocprim17ROCPRIM_400000_NS6detail17trampoline_kernelINS0_14default_configENS1_25partition_config_selectorILNS1_17partition_subalgoE5ElNS0_10empty_typeEbEEZZNS1_14partition_implILS5_5ELb0ES3_mN6hipcub16HIPCUB_304000_NS21CountingInputIteratorIllEEPS6_NSA_22TransformInputIteratorIbN2at6native12_GLOBAL__N_19NonZeroOpIbEEPKblEENS0_5tupleIJPlS6_EEENSN_IJSD_SD_EEES6_PiJS6_EEE10hipError_tPvRmT3_T4_T5_T6_T7_T9_mT8_P12ihipStream_tbDpT10_ENKUlT_T0_E_clISt17integral_constantIbLb0EES1A_IbLb1EEEEDaS16_S17_EUlS16_E_NS1_11comp_targetILNS1_3genE10ELNS1_11target_archE1200ELNS1_3gpuE4ELNS1_3repE0EEENS1_30default_config_static_selectorELNS0_4arch9wavefront6targetE0EEEvT1_,"axG",@progbits,_ZN7rocprim17ROCPRIM_400000_NS6detail17trampoline_kernelINS0_14default_configENS1_25partition_config_selectorILNS1_17partition_subalgoE5ElNS0_10empty_typeEbEEZZNS1_14partition_implILS5_5ELb0ES3_mN6hipcub16HIPCUB_304000_NS21CountingInputIteratorIllEEPS6_NSA_22TransformInputIteratorIbN2at6native12_GLOBAL__N_19NonZeroOpIbEEPKblEENS0_5tupleIJPlS6_EEENSN_IJSD_SD_EEES6_PiJS6_EEE10hipError_tPvRmT3_T4_T5_T6_T7_T9_mT8_P12ihipStream_tbDpT10_ENKUlT_T0_E_clISt17integral_constantIbLb0EES1A_IbLb1EEEEDaS16_S17_EUlS16_E_NS1_11comp_targetILNS1_3genE10ELNS1_11target_archE1200ELNS1_3gpuE4ELNS1_3repE0EEENS1_30default_config_static_selectorELNS0_4arch9wavefront6targetE0EEEvT1_,comdat
	.globl	_ZN7rocprim17ROCPRIM_400000_NS6detail17trampoline_kernelINS0_14default_configENS1_25partition_config_selectorILNS1_17partition_subalgoE5ElNS0_10empty_typeEbEEZZNS1_14partition_implILS5_5ELb0ES3_mN6hipcub16HIPCUB_304000_NS21CountingInputIteratorIllEEPS6_NSA_22TransformInputIteratorIbN2at6native12_GLOBAL__N_19NonZeroOpIbEEPKblEENS0_5tupleIJPlS6_EEENSN_IJSD_SD_EEES6_PiJS6_EEE10hipError_tPvRmT3_T4_T5_T6_T7_T9_mT8_P12ihipStream_tbDpT10_ENKUlT_T0_E_clISt17integral_constantIbLb0EES1A_IbLb1EEEEDaS16_S17_EUlS16_E_NS1_11comp_targetILNS1_3genE10ELNS1_11target_archE1200ELNS1_3gpuE4ELNS1_3repE0EEENS1_30default_config_static_selectorELNS0_4arch9wavefront6targetE0EEEvT1_ ; -- Begin function _ZN7rocprim17ROCPRIM_400000_NS6detail17trampoline_kernelINS0_14default_configENS1_25partition_config_selectorILNS1_17partition_subalgoE5ElNS0_10empty_typeEbEEZZNS1_14partition_implILS5_5ELb0ES3_mN6hipcub16HIPCUB_304000_NS21CountingInputIteratorIllEEPS6_NSA_22TransformInputIteratorIbN2at6native12_GLOBAL__N_19NonZeroOpIbEEPKblEENS0_5tupleIJPlS6_EEENSN_IJSD_SD_EEES6_PiJS6_EEE10hipError_tPvRmT3_T4_T5_T6_T7_T9_mT8_P12ihipStream_tbDpT10_ENKUlT_T0_E_clISt17integral_constantIbLb0EES1A_IbLb1EEEEDaS16_S17_EUlS16_E_NS1_11comp_targetILNS1_3genE10ELNS1_11target_archE1200ELNS1_3gpuE4ELNS1_3repE0EEENS1_30default_config_static_selectorELNS0_4arch9wavefront6targetE0EEEvT1_
	.p2align	8
	.type	_ZN7rocprim17ROCPRIM_400000_NS6detail17trampoline_kernelINS0_14default_configENS1_25partition_config_selectorILNS1_17partition_subalgoE5ElNS0_10empty_typeEbEEZZNS1_14partition_implILS5_5ELb0ES3_mN6hipcub16HIPCUB_304000_NS21CountingInputIteratorIllEEPS6_NSA_22TransformInputIteratorIbN2at6native12_GLOBAL__N_19NonZeroOpIbEEPKblEENS0_5tupleIJPlS6_EEENSN_IJSD_SD_EEES6_PiJS6_EEE10hipError_tPvRmT3_T4_T5_T6_T7_T9_mT8_P12ihipStream_tbDpT10_ENKUlT_T0_E_clISt17integral_constantIbLb0EES1A_IbLb1EEEEDaS16_S17_EUlS16_E_NS1_11comp_targetILNS1_3genE10ELNS1_11target_archE1200ELNS1_3gpuE4ELNS1_3repE0EEENS1_30default_config_static_selectorELNS0_4arch9wavefront6targetE0EEEvT1_,@function
_ZN7rocprim17ROCPRIM_400000_NS6detail17trampoline_kernelINS0_14default_configENS1_25partition_config_selectorILNS1_17partition_subalgoE5ElNS0_10empty_typeEbEEZZNS1_14partition_implILS5_5ELb0ES3_mN6hipcub16HIPCUB_304000_NS21CountingInputIteratorIllEEPS6_NSA_22TransformInputIteratorIbN2at6native12_GLOBAL__N_19NonZeroOpIbEEPKblEENS0_5tupleIJPlS6_EEENSN_IJSD_SD_EEES6_PiJS6_EEE10hipError_tPvRmT3_T4_T5_T6_T7_T9_mT8_P12ihipStream_tbDpT10_ENKUlT_T0_E_clISt17integral_constantIbLb0EES1A_IbLb1EEEEDaS16_S17_EUlS16_E_NS1_11comp_targetILNS1_3genE10ELNS1_11target_archE1200ELNS1_3gpuE4ELNS1_3repE0EEENS1_30default_config_static_selectorELNS0_4arch9wavefront6targetE0EEEvT1_: ; @_ZN7rocprim17ROCPRIM_400000_NS6detail17trampoline_kernelINS0_14default_configENS1_25partition_config_selectorILNS1_17partition_subalgoE5ElNS0_10empty_typeEbEEZZNS1_14partition_implILS5_5ELb0ES3_mN6hipcub16HIPCUB_304000_NS21CountingInputIteratorIllEEPS6_NSA_22TransformInputIteratorIbN2at6native12_GLOBAL__N_19NonZeroOpIbEEPKblEENS0_5tupleIJPlS6_EEENSN_IJSD_SD_EEES6_PiJS6_EEE10hipError_tPvRmT3_T4_T5_T6_T7_T9_mT8_P12ihipStream_tbDpT10_ENKUlT_T0_E_clISt17integral_constantIbLb0EES1A_IbLb1EEEEDaS16_S17_EUlS16_E_NS1_11comp_targetILNS1_3genE10ELNS1_11target_archE1200ELNS1_3gpuE4ELNS1_3repE0EEENS1_30default_config_static_selectorELNS0_4arch9wavefront6targetE0EEEvT1_
; %bb.0:
	.section	.rodata,"a",@progbits
	.p2align	6, 0x0
	.amdhsa_kernel _ZN7rocprim17ROCPRIM_400000_NS6detail17trampoline_kernelINS0_14default_configENS1_25partition_config_selectorILNS1_17partition_subalgoE5ElNS0_10empty_typeEbEEZZNS1_14partition_implILS5_5ELb0ES3_mN6hipcub16HIPCUB_304000_NS21CountingInputIteratorIllEEPS6_NSA_22TransformInputIteratorIbN2at6native12_GLOBAL__N_19NonZeroOpIbEEPKblEENS0_5tupleIJPlS6_EEENSN_IJSD_SD_EEES6_PiJS6_EEE10hipError_tPvRmT3_T4_T5_T6_T7_T9_mT8_P12ihipStream_tbDpT10_ENKUlT_T0_E_clISt17integral_constantIbLb0EES1A_IbLb1EEEEDaS16_S17_EUlS16_E_NS1_11comp_targetILNS1_3genE10ELNS1_11target_archE1200ELNS1_3gpuE4ELNS1_3repE0EEENS1_30default_config_static_selectorELNS0_4arch9wavefront6targetE0EEEvT1_
		.amdhsa_group_segment_fixed_size 0
		.amdhsa_private_segment_fixed_size 0
		.amdhsa_kernarg_size 136
		.amdhsa_user_sgpr_count 15
		.amdhsa_user_sgpr_dispatch_ptr 0
		.amdhsa_user_sgpr_queue_ptr 0
		.amdhsa_user_sgpr_kernarg_segment_ptr 1
		.amdhsa_user_sgpr_dispatch_id 0
		.amdhsa_user_sgpr_private_segment_size 0
		.amdhsa_wavefront_size32 1
		.amdhsa_uses_dynamic_stack 0
		.amdhsa_enable_private_segment 0
		.amdhsa_system_sgpr_workgroup_id_x 1
		.amdhsa_system_sgpr_workgroup_id_y 0
		.amdhsa_system_sgpr_workgroup_id_z 0
		.amdhsa_system_sgpr_workgroup_info 0
		.amdhsa_system_vgpr_workitem_id 0
		.amdhsa_next_free_vgpr 1
		.amdhsa_next_free_sgpr 1
		.amdhsa_reserve_vcc 0
		.amdhsa_float_round_mode_32 0
		.amdhsa_float_round_mode_16_64 0
		.amdhsa_float_denorm_mode_32 3
		.amdhsa_float_denorm_mode_16_64 3
		.amdhsa_dx10_clamp 1
		.amdhsa_ieee_mode 1
		.amdhsa_fp16_overflow 0
		.amdhsa_workgroup_processor_mode 1
		.amdhsa_memory_ordered 1
		.amdhsa_forward_progress 0
		.amdhsa_shared_vgpr_count 0
		.amdhsa_exception_fp_ieee_invalid_op 0
		.amdhsa_exception_fp_denorm_src 0
		.amdhsa_exception_fp_ieee_div_zero 0
		.amdhsa_exception_fp_ieee_overflow 0
		.amdhsa_exception_fp_ieee_underflow 0
		.amdhsa_exception_fp_ieee_inexact 0
		.amdhsa_exception_int_div_zero 0
	.end_amdhsa_kernel
	.section	.text._ZN7rocprim17ROCPRIM_400000_NS6detail17trampoline_kernelINS0_14default_configENS1_25partition_config_selectorILNS1_17partition_subalgoE5ElNS0_10empty_typeEbEEZZNS1_14partition_implILS5_5ELb0ES3_mN6hipcub16HIPCUB_304000_NS21CountingInputIteratorIllEEPS6_NSA_22TransformInputIteratorIbN2at6native12_GLOBAL__N_19NonZeroOpIbEEPKblEENS0_5tupleIJPlS6_EEENSN_IJSD_SD_EEES6_PiJS6_EEE10hipError_tPvRmT3_T4_T5_T6_T7_T9_mT8_P12ihipStream_tbDpT10_ENKUlT_T0_E_clISt17integral_constantIbLb0EES1A_IbLb1EEEEDaS16_S17_EUlS16_E_NS1_11comp_targetILNS1_3genE10ELNS1_11target_archE1200ELNS1_3gpuE4ELNS1_3repE0EEENS1_30default_config_static_selectorELNS0_4arch9wavefront6targetE0EEEvT1_,"axG",@progbits,_ZN7rocprim17ROCPRIM_400000_NS6detail17trampoline_kernelINS0_14default_configENS1_25partition_config_selectorILNS1_17partition_subalgoE5ElNS0_10empty_typeEbEEZZNS1_14partition_implILS5_5ELb0ES3_mN6hipcub16HIPCUB_304000_NS21CountingInputIteratorIllEEPS6_NSA_22TransformInputIteratorIbN2at6native12_GLOBAL__N_19NonZeroOpIbEEPKblEENS0_5tupleIJPlS6_EEENSN_IJSD_SD_EEES6_PiJS6_EEE10hipError_tPvRmT3_T4_T5_T6_T7_T9_mT8_P12ihipStream_tbDpT10_ENKUlT_T0_E_clISt17integral_constantIbLb0EES1A_IbLb1EEEEDaS16_S17_EUlS16_E_NS1_11comp_targetILNS1_3genE10ELNS1_11target_archE1200ELNS1_3gpuE4ELNS1_3repE0EEENS1_30default_config_static_selectorELNS0_4arch9wavefront6targetE0EEEvT1_,comdat
.Lfunc_end759:
	.size	_ZN7rocprim17ROCPRIM_400000_NS6detail17trampoline_kernelINS0_14default_configENS1_25partition_config_selectorILNS1_17partition_subalgoE5ElNS0_10empty_typeEbEEZZNS1_14partition_implILS5_5ELb0ES3_mN6hipcub16HIPCUB_304000_NS21CountingInputIteratorIllEEPS6_NSA_22TransformInputIteratorIbN2at6native12_GLOBAL__N_19NonZeroOpIbEEPKblEENS0_5tupleIJPlS6_EEENSN_IJSD_SD_EEES6_PiJS6_EEE10hipError_tPvRmT3_T4_T5_T6_T7_T9_mT8_P12ihipStream_tbDpT10_ENKUlT_T0_E_clISt17integral_constantIbLb0EES1A_IbLb1EEEEDaS16_S17_EUlS16_E_NS1_11comp_targetILNS1_3genE10ELNS1_11target_archE1200ELNS1_3gpuE4ELNS1_3repE0EEENS1_30default_config_static_selectorELNS0_4arch9wavefront6targetE0EEEvT1_, .Lfunc_end759-_ZN7rocprim17ROCPRIM_400000_NS6detail17trampoline_kernelINS0_14default_configENS1_25partition_config_selectorILNS1_17partition_subalgoE5ElNS0_10empty_typeEbEEZZNS1_14partition_implILS5_5ELb0ES3_mN6hipcub16HIPCUB_304000_NS21CountingInputIteratorIllEEPS6_NSA_22TransformInputIteratorIbN2at6native12_GLOBAL__N_19NonZeroOpIbEEPKblEENS0_5tupleIJPlS6_EEENSN_IJSD_SD_EEES6_PiJS6_EEE10hipError_tPvRmT3_T4_T5_T6_T7_T9_mT8_P12ihipStream_tbDpT10_ENKUlT_T0_E_clISt17integral_constantIbLb0EES1A_IbLb1EEEEDaS16_S17_EUlS16_E_NS1_11comp_targetILNS1_3genE10ELNS1_11target_archE1200ELNS1_3gpuE4ELNS1_3repE0EEENS1_30default_config_static_selectorELNS0_4arch9wavefront6targetE0EEEvT1_
                                        ; -- End function
	.section	.AMDGPU.csdata,"",@progbits
; Kernel info:
; codeLenInByte = 0
; NumSgprs: 0
; NumVgprs: 0
; ScratchSize: 0
; MemoryBound: 0
; FloatMode: 240
; IeeeMode: 1
; LDSByteSize: 0 bytes/workgroup (compile time only)
; SGPRBlocks: 0
; VGPRBlocks: 0
; NumSGPRsForWavesPerEU: 1
; NumVGPRsForWavesPerEU: 1
; Occupancy: 16
; WaveLimiterHint : 0
; COMPUTE_PGM_RSRC2:SCRATCH_EN: 0
; COMPUTE_PGM_RSRC2:USER_SGPR: 15
; COMPUTE_PGM_RSRC2:TRAP_HANDLER: 0
; COMPUTE_PGM_RSRC2:TGID_X_EN: 1
; COMPUTE_PGM_RSRC2:TGID_Y_EN: 0
; COMPUTE_PGM_RSRC2:TGID_Z_EN: 0
; COMPUTE_PGM_RSRC2:TIDIG_COMP_CNT: 0
	.section	.text._ZN7rocprim17ROCPRIM_400000_NS6detail17trampoline_kernelINS0_14default_configENS1_25partition_config_selectorILNS1_17partition_subalgoE5ElNS0_10empty_typeEbEEZZNS1_14partition_implILS5_5ELb0ES3_mN6hipcub16HIPCUB_304000_NS21CountingInputIteratorIllEEPS6_NSA_22TransformInputIteratorIbN2at6native12_GLOBAL__N_19NonZeroOpIbEEPKblEENS0_5tupleIJPlS6_EEENSN_IJSD_SD_EEES6_PiJS6_EEE10hipError_tPvRmT3_T4_T5_T6_T7_T9_mT8_P12ihipStream_tbDpT10_ENKUlT_T0_E_clISt17integral_constantIbLb0EES1A_IbLb1EEEEDaS16_S17_EUlS16_E_NS1_11comp_targetILNS1_3genE9ELNS1_11target_archE1100ELNS1_3gpuE3ELNS1_3repE0EEENS1_30default_config_static_selectorELNS0_4arch9wavefront6targetE0EEEvT1_,"axG",@progbits,_ZN7rocprim17ROCPRIM_400000_NS6detail17trampoline_kernelINS0_14default_configENS1_25partition_config_selectorILNS1_17partition_subalgoE5ElNS0_10empty_typeEbEEZZNS1_14partition_implILS5_5ELb0ES3_mN6hipcub16HIPCUB_304000_NS21CountingInputIteratorIllEEPS6_NSA_22TransformInputIteratorIbN2at6native12_GLOBAL__N_19NonZeroOpIbEEPKblEENS0_5tupleIJPlS6_EEENSN_IJSD_SD_EEES6_PiJS6_EEE10hipError_tPvRmT3_T4_T5_T6_T7_T9_mT8_P12ihipStream_tbDpT10_ENKUlT_T0_E_clISt17integral_constantIbLb0EES1A_IbLb1EEEEDaS16_S17_EUlS16_E_NS1_11comp_targetILNS1_3genE9ELNS1_11target_archE1100ELNS1_3gpuE3ELNS1_3repE0EEENS1_30default_config_static_selectorELNS0_4arch9wavefront6targetE0EEEvT1_,comdat
	.globl	_ZN7rocprim17ROCPRIM_400000_NS6detail17trampoline_kernelINS0_14default_configENS1_25partition_config_selectorILNS1_17partition_subalgoE5ElNS0_10empty_typeEbEEZZNS1_14partition_implILS5_5ELb0ES3_mN6hipcub16HIPCUB_304000_NS21CountingInputIteratorIllEEPS6_NSA_22TransformInputIteratorIbN2at6native12_GLOBAL__N_19NonZeroOpIbEEPKblEENS0_5tupleIJPlS6_EEENSN_IJSD_SD_EEES6_PiJS6_EEE10hipError_tPvRmT3_T4_T5_T6_T7_T9_mT8_P12ihipStream_tbDpT10_ENKUlT_T0_E_clISt17integral_constantIbLb0EES1A_IbLb1EEEEDaS16_S17_EUlS16_E_NS1_11comp_targetILNS1_3genE9ELNS1_11target_archE1100ELNS1_3gpuE3ELNS1_3repE0EEENS1_30default_config_static_selectorELNS0_4arch9wavefront6targetE0EEEvT1_ ; -- Begin function _ZN7rocprim17ROCPRIM_400000_NS6detail17trampoline_kernelINS0_14default_configENS1_25partition_config_selectorILNS1_17partition_subalgoE5ElNS0_10empty_typeEbEEZZNS1_14partition_implILS5_5ELb0ES3_mN6hipcub16HIPCUB_304000_NS21CountingInputIteratorIllEEPS6_NSA_22TransformInputIteratorIbN2at6native12_GLOBAL__N_19NonZeroOpIbEEPKblEENS0_5tupleIJPlS6_EEENSN_IJSD_SD_EEES6_PiJS6_EEE10hipError_tPvRmT3_T4_T5_T6_T7_T9_mT8_P12ihipStream_tbDpT10_ENKUlT_T0_E_clISt17integral_constantIbLb0EES1A_IbLb1EEEEDaS16_S17_EUlS16_E_NS1_11comp_targetILNS1_3genE9ELNS1_11target_archE1100ELNS1_3gpuE3ELNS1_3repE0EEENS1_30default_config_static_selectorELNS0_4arch9wavefront6targetE0EEEvT1_
	.p2align	8
	.type	_ZN7rocprim17ROCPRIM_400000_NS6detail17trampoline_kernelINS0_14default_configENS1_25partition_config_selectorILNS1_17partition_subalgoE5ElNS0_10empty_typeEbEEZZNS1_14partition_implILS5_5ELb0ES3_mN6hipcub16HIPCUB_304000_NS21CountingInputIteratorIllEEPS6_NSA_22TransformInputIteratorIbN2at6native12_GLOBAL__N_19NonZeroOpIbEEPKblEENS0_5tupleIJPlS6_EEENSN_IJSD_SD_EEES6_PiJS6_EEE10hipError_tPvRmT3_T4_T5_T6_T7_T9_mT8_P12ihipStream_tbDpT10_ENKUlT_T0_E_clISt17integral_constantIbLb0EES1A_IbLb1EEEEDaS16_S17_EUlS16_E_NS1_11comp_targetILNS1_3genE9ELNS1_11target_archE1100ELNS1_3gpuE3ELNS1_3repE0EEENS1_30default_config_static_selectorELNS0_4arch9wavefront6targetE0EEEvT1_,@function
_ZN7rocprim17ROCPRIM_400000_NS6detail17trampoline_kernelINS0_14default_configENS1_25partition_config_selectorILNS1_17partition_subalgoE5ElNS0_10empty_typeEbEEZZNS1_14partition_implILS5_5ELb0ES3_mN6hipcub16HIPCUB_304000_NS21CountingInputIteratorIllEEPS6_NSA_22TransformInputIteratorIbN2at6native12_GLOBAL__N_19NonZeroOpIbEEPKblEENS0_5tupleIJPlS6_EEENSN_IJSD_SD_EEES6_PiJS6_EEE10hipError_tPvRmT3_T4_T5_T6_T7_T9_mT8_P12ihipStream_tbDpT10_ENKUlT_T0_E_clISt17integral_constantIbLb0EES1A_IbLb1EEEEDaS16_S17_EUlS16_E_NS1_11comp_targetILNS1_3genE9ELNS1_11target_archE1100ELNS1_3gpuE3ELNS1_3repE0EEENS1_30default_config_static_selectorELNS0_4arch9wavefront6targetE0EEEvT1_: ; @_ZN7rocprim17ROCPRIM_400000_NS6detail17trampoline_kernelINS0_14default_configENS1_25partition_config_selectorILNS1_17partition_subalgoE5ElNS0_10empty_typeEbEEZZNS1_14partition_implILS5_5ELb0ES3_mN6hipcub16HIPCUB_304000_NS21CountingInputIteratorIllEEPS6_NSA_22TransformInputIteratorIbN2at6native12_GLOBAL__N_19NonZeroOpIbEEPKblEENS0_5tupleIJPlS6_EEENSN_IJSD_SD_EEES6_PiJS6_EEE10hipError_tPvRmT3_T4_T5_T6_T7_T9_mT8_P12ihipStream_tbDpT10_ENKUlT_T0_E_clISt17integral_constantIbLb0EES1A_IbLb1EEEEDaS16_S17_EUlS16_E_NS1_11comp_targetILNS1_3genE9ELNS1_11target_archE1100ELNS1_3gpuE3ELNS1_3repE0EEENS1_30default_config_static_selectorELNS0_4arch9wavefront6targetE0EEEvT1_
; %bb.0:
	s_clause 0x4
	s_load_b64 s[18:19], s[0:1], 0x20
	s_load_b64 s[12:13], s[0:1], 0x30
	;; [unrolled: 1-line block ×3, first 2 shown]
	s_load_b128 s[4:7], s[0:1], 0x48
	s_load_b64 s[14:15], s[0:1], 0x68
	v_cmp_eq_u32_e64 s2, 0, v0
	s_delay_alu instid0(VALU_DEP_1)
	s_and_saveexec_b32 s3, s2
	s_cbranch_execz .LBB760_4
; %bb.1:
	s_mov_b32 s9, exec_lo
	s_mov_b32 s8, exec_lo
	v_mbcnt_lo_u32_b32 v1, s9, 0
                                        ; implicit-def: $vgpr2
	s_delay_alu instid0(VALU_DEP_1)
	v_cmpx_eq_u32_e32 0, v1
	s_cbranch_execz .LBB760_3
; %bb.2:
	s_load_b64 s[10:11], s[0:1], 0x78
	s_bcnt1_i32_b32 s9, s9
	s_delay_alu instid0(SALU_CYCLE_1)
	v_dual_mov_b32 v2, 0 :: v_dual_mov_b32 v3, s9
	s_waitcnt lgkmcnt(0)
	global_atomic_add_u32 v2, v2, v3, s[10:11] glc
.LBB760_3:
	s_or_b32 exec_lo, exec_lo, s8
	s_waitcnt vmcnt(0)
	v_readfirstlane_b32 s8, v2
	s_delay_alu instid0(VALU_DEP_1)
	v_dual_mov_b32 v2, 0 :: v_dual_add_nc_u32 v1, s8, v1
	ds_store_b32 v2, v1
.LBB760_4:
	s_or_b32 exec_lo, exec_lo, s3
	v_mov_b32_e32 v1, 0
	s_clause 0x1
	s_load_b128 s[8:11], s[0:1], 0x8
	s_load_b32 s0, s[0:1], 0x70
	s_waitcnt lgkmcnt(0)
	s_barrier
	buffer_gl0_inv
	ds_load_b32 v3, v1
	s_waitcnt lgkmcnt(0)
	s_barrier
	buffer_gl0_inv
	global_load_b64 v[1:2], v1, s[6:7]
	s_add_u32 s1, s10, s8
	s_mul_i32 s20, s0, 0x300
	s_addc_u32 s21, s11, s9
	s_add_i32 s0, s0, -1
	s_add_u32 s6, s10, s20
	v_readfirstlane_b32 s9, v3
	s_addc_u32 s7, s11, 0
	s_delay_alu instid0(SALU_CYCLE_1) | instskip(SKIP_1) | instid1(VALU_DEP_2)
	v_cmp_ge_u64_e64 s6, s[6:7], s[16:17]
	s_mov_b32 s17, -1
	s_cmp_eq_u32 s9, s0
	s_mul_i32 s0, s9, 0x300
	s_cselect_b32 s3, -1, 0
	s_delay_alu instid0(VALU_DEP_1) | instid1(SALU_CYCLE_1)
	s_and_b32 s6, s6, s3
	s_delay_alu instid0(SALU_CYCLE_1) | instskip(NEXT) | instid1(SALU_CYCLE_1)
	s_xor_b32 s8, s6, -1
	s_and_b32 vcc_lo, exec_lo, s8
	s_waitcnt vmcnt(0)
	v_readfirstlane_b32 s6, v1
	v_readfirstlane_b32 s7, v2
	s_cbranch_vccz .LBB760_6
; %bb.5:
	s_add_u32 s17, s0, s1
	s_addc_u32 s22, 0, s21
	v_add_co_u32 v1, s17, s17, v0
	s_delay_alu instid0(VALU_DEP_1) | instskip(SKIP_1) | instid1(VALU_DEP_3)
	v_add_co_ci_u32_e64 v2, null, s22, 0, s17
	v_lshlrev_b32_e32 v13, 3, v0
	v_add_co_u32 v3, vcc_lo, 0x80, v1
	s_delay_alu instid0(VALU_DEP_3)
	v_add_co_ci_u32_e32 v4, vcc_lo, 0, v2, vcc_lo
	v_add_co_u32 v5, vcc_lo, 0x100, v1
	v_add_co_ci_u32_e32 v6, vcc_lo, 0, v2, vcc_lo
	v_add_co_u32 v7, vcc_lo, 0x180, v1
	v_add_co_ci_u32_e32 v8, vcc_lo, 0, v2, vcc_lo
	v_add_co_u32 v9, vcc_lo, 0x200, v1
	v_add_co_ci_u32_e32 v10, vcc_lo, 0, v2, vcc_lo
	v_add_co_u32 v11, vcc_lo, 0x280, v1
	v_add_co_ci_u32_e32 v12, vcc_lo, 0, v2, vcc_lo
	ds_store_2addr_stride64_b64 v13, v[1:2], v[3:4] offset1:2
	ds_store_2addr_stride64_b64 v13, v[5:6], v[7:8] offset0:4 offset1:6
	ds_store_2addr_stride64_b64 v13, v[9:10], v[11:12] offset0:8 offset1:10
	s_waitcnt lgkmcnt(0)
	s_mov_b32 s17, 0
	s_barrier
.LBB760_6:
	v_or_b32_e32 v17, 0x100, v0
	v_or_b32_e32 v16, 0x180, v0
	;; [unrolled: 1-line block ×4, first 2 shown]
	s_and_not1_b32 vcc_lo, exec_lo, s17
	s_cbranch_vccnz .LBB760_8
; %bb.7:
	v_or_b32_e32 v3, 0x80, v0
	s_add_u32 s1, s1, s0
	s_addc_u32 s17, s21, 0
	v_add_co_u32 v1, s21, s1, v0
	s_delay_alu instid0(VALU_DEP_1) | instskip(SKIP_1) | instid1(VALU_DEP_1)
	v_add_co_ci_u32_e64 v2, null, s17, 0, s21
	v_add_co_u32 v3, s21, s1, v3
	v_add_co_ci_u32_e64 v4, null, s17, 0, s21
	v_add_co_u32 v5, s21, s1, v17
	s_delay_alu instid0(VALU_DEP_1) | instskip(SKIP_1) | instid1(VALU_DEP_1)
	v_add_co_ci_u32_e64 v6, null, s17, 0, s21
	v_add_co_u32 v7, s21, s1, v16
	v_add_co_ci_u32_e64 v8, null, s17, 0, s21
	v_add_co_u32 v9, s21, s1, v14
	v_lshlrev_b32_e32 v15, 3, v0
	v_add_co_u32 v11, s1, s1, v13
	v_add_co_ci_u32_e64 v10, null, s17, 0, s21
	v_add_co_ci_u32_e64 v12, null, s17, 0, s1
	ds_store_2addr_stride64_b64 v15, v[1:2], v[3:4] offset1:2
	ds_store_2addr_stride64_b64 v15, v[5:6], v[7:8] offset0:4 offset1:6
	ds_store_2addr_stride64_b64 v15, v[9:10], v[11:12] offset0:8 offset1:10
	s_waitcnt lgkmcnt(0)
	s_barrier
.LBB760_8:
	v_mul_u32_u24_e32 v1, 6, v0
	buffer_gl0_inv
	s_add_u32 s1, s18, s10
	s_addc_u32 s11, s19, s11
	s_add_u32 s0, s1, s0
	v_lshlrev_b32_e32 v15, 3, v1
	s_addc_u32 s1, s11, 0
	s_and_b32 vcc_lo, exec_lo, s8
	s_mov_b32 s11, -1
	ds_load_b128 v[9:12], v15
	ds_load_b128 v[5:8], v15 offset:16
	ds_load_b128 v[1:4], v15 offset:32
	s_waitcnt lgkmcnt(0)
	s_barrier
	buffer_gl0_inv
	s_cbranch_vccz .LBB760_10
; %bb.9:
	s_clause 0x5
	global_load_u8 v18, v0, s[0:1]
	global_load_u8 v19, v0, s[0:1] offset:128
	global_load_u8 v20, v0, s[0:1] offset:256
	;; [unrolled: 1-line block ×5, first 2 shown]
	s_mov_b32 s11, 0
	s_waitcnt vmcnt(5)
	ds_store_b8 v0, v18
	s_waitcnt vmcnt(4)
	ds_store_b8 v0, v19 offset:128
	s_waitcnt vmcnt(3)
	ds_store_b8 v0, v20 offset:256
	;; [unrolled: 2-line block ×5, first 2 shown]
	s_waitcnt lgkmcnt(0)
	s_barrier
.LBB760_10:
	s_and_not1_b32 vcc_lo, exec_lo, s11
	s_cbranch_vccnz .LBB760_24
; %bb.11:
	s_add_i32 s20, s20, s10
	v_dual_mov_b32 v18, 0 :: v_dual_mov_b32 v19, 0
	s_sub_i32 s10, s16, s20
	s_mov_b32 s11, exec_lo
	s_addk_i32 s10, 0x300
	s_delay_alu instid0(SALU_CYCLE_1)
	v_cmpx_gt_u32_e64 s10, v0
	s_cbranch_execz .LBB760_13
; %bb.12:
	global_load_u8 v19, v0, s[0:1]
.LBB760_13:
	s_or_b32 exec_lo, exec_lo, s11
	v_or_b32_e32 v20, 0x80, v0
	s_mov_b32 s11, exec_lo
	s_delay_alu instid0(VALU_DEP_1)
	v_cmpx_gt_u32_e64 s10, v20
	s_cbranch_execz .LBB760_15
; %bb.14:
	global_load_u8 v18, v0, s[0:1] offset:128
.LBB760_15:
	s_or_b32 exec_lo, exec_lo, s11
	v_cmp_gt_u32_e32 vcc_lo, s10, v17
	v_dual_mov_b32 v17, 0 :: v_dual_mov_b32 v20, 0
	s_and_saveexec_b32 s11, vcc_lo
	s_cbranch_execz .LBB760_17
; %bb.16:
	global_load_u8 v20, v0, s[0:1] offset:256
.LBB760_17:
	s_or_b32 exec_lo, exec_lo, s11
	s_delay_alu instid0(SALU_CYCLE_1)
	s_mov_b32 s11, exec_lo
	v_cmpx_gt_u32_e64 s10, v16
	s_cbranch_execz .LBB760_19
; %bb.18:
	global_load_u8 v17, v0, s[0:1] offset:384
.LBB760_19:
	s_or_b32 exec_lo, exec_lo, s11
	v_cmp_gt_u32_e32 vcc_lo, s10, v14
	v_mov_b32_e32 v14, 0
	v_mov_b32_e32 v16, 0
	s_and_saveexec_b32 s11, vcc_lo
	s_cbranch_execz .LBB760_21
; %bb.20:
	global_load_u8 v16, v0, s[0:1] offset:512
.LBB760_21:
	s_or_b32 exec_lo, exec_lo, s11
	v_cmp_gt_u32_e32 vcc_lo, s10, v13
	s_and_saveexec_b32 s10, vcc_lo
	s_cbranch_execz .LBB760_23
; %bb.22:
	global_load_u8 v14, v0, s[0:1] offset:640
.LBB760_23:
	s_or_b32 exec_lo, exec_lo, s10
	s_waitcnt vmcnt(0)
	ds_store_b8 v0, v19
	ds_store_b8 v0, v18 offset:128
	ds_store_b8 v0, v20 offset:256
	;; [unrolled: 1-line block ×5, first 2 shown]
	s_waitcnt lgkmcnt(0)
	s_barrier
.LBB760_24:
	v_mad_i32_i24 v43, 0xffffffd6, v0, v15
	buffer_gl0_inv
	v_mbcnt_lo_u32_b32 v42, -1, 0
	s_cmp_lg_u32 s9, 0
	s_mov_b32 s1, -1
	ds_load_u16 v36, v43
	ds_load_u16 v33, v43 offset:2
	ds_load_u16 v31, v43 offset:4
	v_mov_b32_e32 v14, 0
	v_and_b32_e32 v44, 15, v42
	s_waitcnt lgkmcnt(0)
	s_barrier
	buffer_gl0_inv
	v_and_b32_e32 v41, 0xff, v36
	v_lshrrev_b16 v34, 8, v36
	v_lshrrev_b16 v35, 8, v33
	v_and_b32_e32 v39, 0xff, v33
	v_lshrrev_b16 v32, 8, v31
	v_and_b32_e32 v37, 0xff, v31
	v_and_b32_e32 v40, 0xffff, v34
	;; [unrolled: 1-line block ×3, first 2 shown]
	s_delay_alu instid0(VALU_DEP_4) | instskip(NEXT) | instid1(VALU_DEP_3)
	v_and_b32_e32 v16, 0xffff, v32
	v_add_co_u32 v13, s0, v40, v41
	s_delay_alu instid0(VALU_DEP_1) | instskip(SKIP_1) | instid1(VALU_DEP_3)
	v_add_co_ci_u32_e64 v15, null, 0, 0, s0
	v_cmp_ne_u32_e64 s0, 0, v44
	v_add_co_u32 v13, vcc_lo, v13, v39
	s_delay_alu instid0(VALU_DEP_3) | instskip(NEXT) | instid1(VALU_DEP_2)
	v_add_co_ci_u32_e32 v15, vcc_lo, 0, v15, vcc_lo
	v_add_co_u32 v13, vcc_lo, v13, v38
	s_delay_alu instid0(VALU_DEP_2) | instskip(NEXT) | instid1(VALU_DEP_2)
	v_add_co_ci_u32_e32 v15, vcc_lo, 0, v15, vcc_lo
	v_add_co_u32 v13, vcc_lo, v13, v37
	s_delay_alu instid0(VALU_DEP_2) | instskip(NEXT) | instid1(VALU_DEP_2)
	v_add_co_ci_u32_e32 v15, vcc_lo, 0, v15, vcc_lo
	v_add_co_u32 v21, vcc_lo, v13, v16
	s_delay_alu instid0(VALU_DEP_2)
	v_add_co_ci_u32_e32 v22, vcc_lo, 0, v15, vcc_lo
	s_cbranch_scc0 .LBB760_88
; %bb.25:
	s_delay_alu instid0(VALU_DEP_2)
	v_mov_b32_e32 v15, v21
	v_mov_b32_dpp v13, v21 row_shr:1 row_mask:0xf bank_mask:0xf
	v_mov_b32_dpp v18, v14 row_shr:1 row_mask:0xf bank_mask:0xf
	v_dual_mov_b32 v17, v21 :: v_dual_mov_b32 v16, v22
	s_and_saveexec_b32 s1, s0
; %bb.26:
	s_delay_alu instid0(VALU_DEP_3) | instskip(SKIP_1) | instid1(VALU_DEP_2)
	v_add_co_u32 v17, vcc_lo, v21, v13
	v_add_co_ci_u32_e32 v14, vcc_lo, 0, v22, vcc_lo
	v_add_co_u32 v13, vcc_lo, 0, v17
	s_delay_alu instid0(VALU_DEP_2) | instskip(NEXT) | instid1(VALU_DEP_1)
	v_add_co_ci_u32_e32 v14, vcc_lo, v18, v14, vcc_lo
	v_dual_mov_b32 v16, v14 :: v_dual_mov_b32 v15, v13
; %bb.27:
	s_or_b32 exec_lo, exec_lo, s1
	v_mov_b32_dpp v13, v17 row_shr:2 row_mask:0xf bank_mask:0xf
	v_mov_b32_dpp v18, v14 row_shr:2 row_mask:0xf bank_mask:0xf
	s_mov_b32 s1, exec_lo
	v_cmpx_lt_u32_e32 1, v44
; %bb.28:
	s_delay_alu instid0(VALU_DEP_3) | instskip(SKIP_1) | instid1(VALU_DEP_2)
	v_add_co_u32 v17, vcc_lo, v15, v13
	v_add_co_ci_u32_e32 v14, vcc_lo, 0, v16, vcc_lo
	v_add_co_u32 v13, vcc_lo, 0, v17
	s_delay_alu instid0(VALU_DEP_2) | instskip(NEXT) | instid1(VALU_DEP_1)
	v_add_co_ci_u32_e32 v14, vcc_lo, v18, v14, vcc_lo
	v_dual_mov_b32 v16, v14 :: v_dual_mov_b32 v15, v13
; %bb.29:
	s_or_b32 exec_lo, exec_lo, s1
	v_mov_b32_dpp v13, v17 row_shr:4 row_mask:0xf bank_mask:0xf
	v_mov_b32_dpp v18, v14 row_shr:4 row_mask:0xf bank_mask:0xf
	s_mov_b32 s1, exec_lo
	v_cmpx_lt_u32_e32 3, v44
	;; [unrolled: 14-line block ×3, first 2 shown]
; %bb.32:
	s_delay_alu instid0(VALU_DEP_3) | instskip(SKIP_1) | instid1(VALU_DEP_2)
	v_add_co_u32 v17, vcc_lo, v15, v18
	v_add_co_ci_u32_e32 v14, vcc_lo, 0, v16, vcc_lo
	v_add_co_u32 v15, vcc_lo, 0, v17
	s_delay_alu instid0(VALU_DEP_2) | instskip(NEXT) | instid1(VALU_DEP_1)
	v_add_co_ci_u32_e32 v16, vcc_lo, v13, v14, vcc_lo
	v_mov_b32_e32 v14, v16
; %bb.33:
	s_or_b32 exec_lo, exec_lo, s1
	ds_swizzle_b32 v13, v17 offset:swizzle(BROADCAST,32,15)
	ds_swizzle_b32 v18, v14 offset:swizzle(BROADCAST,32,15)
	v_and_b32_e32 v19, 16, v42
	s_mov_b32 s1, exec_lo
	s_delay_alu instid0(VALU_DEP_1)
	v_cmpx_ne_u32_e32 0, v19
	s_cbranch_execz .LBB760_35
; %bb.34:
	s_waitcnt lgkmcnt(1)
	v_add_co_u32 v17, vcc_lo, v15, v13
	v_add_co_ci_u32_e32 v14, vcc_lo, 0, v16, vcc_lo
	s_delay_alu instid0(VALU_DEP_2) | instskip(SKIP_1) | instid1(VALU_DEP_2)
	v_add_co_u32 v13, vcc_lo, 0, v17
	s_waitcnt lgkmcnt(0)
	v_add_co_ci_u32_e32 v14, vcc_lo, v18, v14, vcc_lo
	s_delay_alu instid0(VALU_DEP_1)
	v_dual_mov_b32 v16, v14 :: v_dual_mov_b32 v15, v13
.LBB760_35:
	s_or_b32 exec_lo, exec_lo, s1
	s_waitcnt lgkmcnt(0)
	v_or_b32_e32 v18, 31, v0
	v_lshrrev_b32_e32 v13, 5, v0
	s_mov_b32 s1, exec_lo
	s_delay_alu instid0(VALU_DEP_2)
	v_cmpx_eq_u32_e64 v18, v0
	s_cbranch_execz .LBB760_37
; %bb.36:
	s_delay_alu instid0(VALU_DEP_2)
	v_lshlrev_b32_e32 v18, 3, v13
	ds_store_b64 v18, v[15:16]
.LBB760_37:
	s_or_b32 exec_lo, exec_lo, s1
	s_delay_alu instid0(SALU_CYCLE_1)
	s_mov_b32 s1, exec_lo
	s_waitcnt lgkmcnt(0)
	s_barrier
	buffer_gl0_inv
	v_cmpx_gt_u32_e32 4, v0
	s_cbranch_execz .LBB760_43
; %bb.38:
	v_lshlrev_b32_e32 v18, 3, v0
	s_mov_b32 s10, exec_lo
	ds_load_b64 v[15:16], v18
	s_waitcnt lgkmcnt(0)
	v_dual_mov_b32 v20, v15 :: v_dual_and_b32 v19, 3, v42
	v_mov_b32_dpp v24, v15 row_shr:1 row_mask:0xf bank_mask:0xf
	v_mov_b32_dpp v23, v16 row_shr:1 row_mask:0xf bank_mask:0xf
	s_delay_alu instid0(VALU_DEP_3)
	v_cmpx_ne_u32_e32 0, v19
; %bb.39:
	s_delay_alu instid0(VALU_DEP_3) | instskip(SKIP_1) | instid1(VALU_DEP_2)
	v_add_co_u32 v20, vcc_lo, v15, v24
	v_add_co_ci_u32_e32 v16, vcc_lo, 0, v16, vcc_lo
	v_add_co_u32 v15, vcc_lo, 0, v20
	s_delay_alu instid0(VALU_DEP_2)
	v_add_co_ci_u32_e32 v16, vcc_lo, v23, v16, vcc_lo
; %bb.40:
	s_or_b32 exec_lo, exec_lo, s10
	v_mov_b32_dpp v23, v20 row_shr:2 row_mask:0xf bank_mask:0xf
	s_delay_alu instid0(VALU_DEP_2)
	v_mov_b32_dpp v20, v16 row_shr:2 row_mask:0xf bank_mask:0xf
	s_mov_b32 s10, exec_lo
	v_cmpx_lt_u32_e32 1, v19
; %bb.41:
	s_delay_alu instid0(VALU_DEP_3) | instskip(SKIP_1) | instid1(VALU_DEP_2)
	v_add_co_u32 v15, vcc_lo, v15, v23
	v_add_co_ci_u32_e32 v16, vcc_lo, 0, v16, vcc_lo
	v_add_co_u32 v15, vcc_lo, v15, 0
	s_delay_alu instid0(VALU_DEP_2)
	v_add_co_ci_u32_e32 v16, vcc_lo, v16, v20, vcc_lo
; %bb.42:
	s_or_b32 exec_lo, exec_lo, s10
	ds_store_b64 v18, v[15:16]
.LBB760_43:
	s_or_b32 exec_lo, exec_lo, s1
	v_cmp_gt_u32_e32 vcc_lo, 32, v0
	s_mov_b32 s10, exec_lo
	s_waitcnt lgkmcnt(0)
	s_barrier
	buffer_gl0_inv
                                        ; implicit-def: $vgpr23_vgpr24
	v_cmpx_lt_u32_e32 31, v0
	s_cbranch_execz .LBB760_45
; %bb.44:
	v_lshl_add_u32 v13, v13, 3, -8
	ds_load_b64 v[23:24], v13
	s_waitcnt lgkmcnt(0)
	v_add_co_u32 v17, s1, v17, v23
	s_delay_alu instid0(VALU_DEP_1)
	v_add_co_ci_u32_e64 v14, s1, v14, v24, s1
.LBB760_45:
	s_or_b32 exec_lo, exec_lo, s10
	v_add_nc_u32_e32 v13, -1, v42
	s_delay_alu instid0(VALU_DEP_1) | instskip(NEXT) | instid1(VALU_DEP_1)
	v_cmp_gt_i32_e64 s1, 0, v13
	v_cndmask_b32_e64 v13, v13, v42, s1
	v_cmp_eq_u32_e64 s1, 0, v42
	s_delay_alu instid0(VALU_DEP_2)
	v_lshlrev_b32_e32 v13, 2, v13
	ds_bpermute_b32 v29, v13, v17
	ds_bpermute_b32 v30, v13, v14
	s_and_saveexec_b32 s10, vcc_lo
	s_cbranch_execz .LBB760_83
; %bb.46:
	v_mov_b32_e32 v16, 0
	ds_load_b64 v[13:14], v16 offset:24
	s_and_saveexec_b32 s11, s1
	s_cbranch_execz .LBB760_48
; %bb.47:
	s_add_i32 s16, s9, 32
	s_mov_b32 s17, 0
	s_delay_alu instid0(SALU_CYCLE_1) | instskip(NEXT) | instid1(SALU_CYCLE_1)
	s_lshl_b64 s[16:17], s[16:17], 4
	s_add_u32 s16, s14, s16
	s_addc_u32 s17, s15, s17
	s_delay_alu instid0(SALU_CYCLE_1)
	v_dual_mov_b32 v15, 1 :: v_dual_mov_b32 v18, s17
	v_mov_b32_e32 v17, s16
	s_waitcnt lgkmcnt(0)
	;;#ASMSTART
	global_store_dwordx4 v[17:18], v[13:16] off	
s_waitcnt vmcnt(0)
	;;#ASMEND
.LBB760_48:
	s_or_b32 exec_lo, exec_lo, s11
	v_xad_u32 v25, v42, -1, s9
	s_mov_b32 s16, 0
	s_mov_b32 s11, exec_lo
	s_delay_alu instid0(VALU_DEP_1) | instskip(NEXT) | instid1(VALU_DEP_1)
	v_add_nc_u32_e32 v15, 32, v25
	v_lshlrev_b64 v[15:16], 4, v[15:16]
	s_delay_alu instid0(VALU_DEP_1) | instskip(NEXT) | instid1(VALU_DEP_2)
	v_add_co_u32 v15, vcc_lo, s14, v15
	v_add_co_ci_u32_e32 v16, vcc_lo, s15, v16, vcc_lo
	;;#ASMSTART
	global_load_dwordx4 v[17:20], v[15:16] off glc	
s_waitcnt vmcnt(0)
	;;#ASMEND
	v_and_b32_e32 v20, 0xff, v18
	v_and_b32_e32 v26, 0xff00, v18
	v_or3_b32 v17, v17, 0, 0
	v_and_b32_e32 v27, 0xff000000, v18
	v_and_b32_e32 v18, 0xff0000, v18
	s_delay_alu instid0(VALU_DEP_4) | instskip(SKIP_2) | instid1(VALU_DEP_3)
	v_or3_b32 v20, 0, v20, v26
	v_and_b32_e32 v26, 0xff, v19
	v_or3_b32 v17, v17, 0, 0
	v_or3_b32 v18, v20, v18, v27
	s_delay_alu instid0(VALU_DEP_3)
	v_cmpx_eq_u16_e32 0, v26
	s_cbranch_execz .LBB760_51
.LBB760_49:                             ; =>This Inner Loop Header: Depth=1
	;;#ASMSTART
	global_load_dwordx4 v[17:20], v[15:16] off glc	
s_waitcnt vmcnt(0)
	;;#ASMEND
	v_and_b32_e32 v20, 0xff, v19
	s_delay_alu instid0(VALU_DEP_1) | instskip(SKIP_1) | instid1(SALU_CYCLE_1)
	v_cmp_ne_u16_e32 vcc_lo, 0, v20
	s_or_b32 s16, vcc_lo, s16
	s_and_not1_b32 exec_lo, exec_lo, s16
	s_cbranch_execnz .LBB760_49
; %bb.50:
	s_or_b32 exec_lo, exec_lo, s16
.LBB760_51:
	s_delay_alu instid0(SALU_CYCLE_1)
	s_or_b32 exec_lo, exec_lo, s11
	v_cmp_ne_u32_e32 vcc_lo, 31, v42
	v_and_b32_e32 v16, 0xff, v19
	v_lshlrev_b32_e64 v46, v42, -1
	s_mov_b32 s11, exec_lo
	v_add_co_ci_u32_e32 v15, vcc_lo, 0, v42, vcc_lo
	s_delay_alu instid0(VALU_DEP_3) | instskip(NEXT) | instid1(VALU_DEP_2)
	v_cmp_eq_u16_e32 vcc_lo, 2, v16
	v_dual_mov_b32 v16, v17 :: v_dual_lshlrev_b32 v45, 2, v15
	v_and_or_b32 v15, vcc_lo, v46, 0x80000000
	ds_bpermute_b32 v26, v45, v17
	ds_bpermute_b32 v20, v45, v18
	v_ctz_i32_b32_e32 v15, v15
	s_delay_alu instid0(VALU_DEP_1)
	v_cmpx_lt_u32_e64 v42, v15
	s_cbranch_execz .LBB760_53
; %bb.52:
	s_waitcnt lgkmcnt(1)
	v_add_co_u32 v16, vcc_lo, v17, v26
	v_add_co_ci_u32_e32 v18, vcc_lo, 0, v18, vcc_lo
	s_delay_alu instid0(VALU_DEP_2) | instskip(SKIP_1) | instid1(VALU_DEP_2)
	v_add_co_u32 v17, vcc_lo, 0, v16
	s_waitcnt lgkmcnt(0)
	v_add_co_ci_u32_e32 v18, vcc_lo, v20, v18, vcc_lo
.LBB760_53:
	s_or_b32 exec_lo, exec_lo, s11
	v_cmp_gt_u32_e32 vcc_lo, 30, v42
	v_add_nc_u32_e32 v48, 2, v42
	s_mov_b32 s11, exec_lo
	s_waitcnt lgkmcnt(0)
	v_cndmask_b32_e64 v20, 0, 1, vcc_lo
	s_delay_alu instid0(VALU_DEP_1) | instskip(NEXT) | instid1(VALU_DEP_1)
	v_lshlrev_b32_e32 v20, 1, v20
	v_add_lshl_u32 v47, v20, v42, 2
	ds_bpermute_b32 v26, v47, v16
	ds_bpermute_b32 v20, v47, v18
	v_cmpx_le_u32_e64 v48, v15
	s_cbranch_execz .LBB760_55
; %bb.54:
	s_waitcnt lgkmcnt(1)
	v_add_co_u32 v16, vcc_lo, v17, v26
	v_add_co_ci_u32_e32 v18, vcc_lo, 0, v18, vcc_lo
	s_delay_alu instid0(VALU_DEP_2) | instskip(SKIP_1) | instid1(VALU_DEP_2)
	v_add_co_u32 v17, vcc_lo, 0, v16
	s_waitcnt lgkmcnt(0)
	v_add_co_ci_u32_e32 v18, vcc_lo, v20, v18, vcc_lo
.LBB760_55:
	s_or_b32 exec_lo, exec_lo, s11
	v_cmp_gt_u32_e32 vcc_lo, 28, v42
	v_add_nc_u32_e32 v50, 4, v42
	s_mov_b32 s11, exec_lo
	s_waitcnt lgkmcnt(0)
	v_cndmask_b32_e64 v20, 0, 1, vcc_lo
	s_delay_alu instid0(VALU_DEP_1) | instskip(NEXT) | instid1(VALU_DEP_1)
	v_lshlrev_b32_e32 v20, 2, v20
	v_add_lshl_u32 v49, v20, v42, 2
	ds_bpermute_b32 v26, v49, v16
	ds_bpermute_b32 v20, v49, v18
	v_cmpx_le_u32_e64 v50, v15
	;; [unrolled: 22-line block ×4, first 2 shown]
	s_cbranch_execz .LBB760_61
; %bb.60:
	s_waitcnt lgkmcnt(1)
	v_add_co_u32 v15, vcc_lo, v17, v20
	v_add_co_ci_u32_e32 v18, vcc_lo, 0, v18, vcc_lo
	s_delay_alu instid0(VALU_DEP_2) | instskip(SKIP_1) | instid1(VALU_DEP_2)
	v_add_co_u32 v17, vcc_lo, v15, 0
	s_waitcnt lgkmcnt(0)
	v_add_co_ci_u32_e32 v18, vcc_lo, v18, v16, vcc_lo
.LBB760_61:
	s_or_b32 exec_lo, exec_lo, s11
	v_mov_b32_e32 v26, 0
	s_branch .LBB760_63
.LBB760_62:                             ;   in Loop: Header=BB760_63 Depth=1
	s_or_b32 exec_lo, exec_lo, s11
	v_add_co_u32 v17, vcc_lo, v17, v15
	v_subrev_nc_u32_e32 v25, 32, v25
	v_add_co_ci_u32_e32 v18, vcc_lo, v18, v16, vcc_lo
.LBB760_63:                             ; =>This Loop Header: Depth=1
                                        ;     Child Loop BB760_66 Depth 2
	v_and_b32_e32 v15, 0xff, v19
	s_delay_alu instid0(VALU_DEP_1) | instskip(SKIP_2) | instid1(VALU_DEP_1)
	v_cmp_ne_u16_e32 vcc_lo, 2, v15
	v_cndmask_b32_e64 v15, 0, 1, vcc_lo
	;;#ASMSTART
	;;#ASMEND
	v_cmp_ne_u32_e32 vcc_lo, 0, v15
	s_waitcnt lgkmcnt(0)
	v_dual_mov_b32 v15, v17 :: v_dual_mov_b32 v16, v18
	s_cmp_lg_u32 vcc_lo, exec_lo
	s_cbranch_scc1 .LBB760_78
; %bb.64:                               ;   in Loop: Header=BB760_63 Depth=1
	v_lshlrev_b64 v[17:18], 4, v[25:26]
	s_mov_b32 s11, exec_lo
	s_delay_alu instid0(VALU_DEP_1) | instskip(NEXT) | instid1(VALU_DEP_2)
	v_add_co_u32 v27, vcc_lo, s14, v17
	v_add_co_ci_u32_e32 v28, vcc_lo, s15, v18, vcc_lo
	;;#ASMSTART
	global_load_dwordx4 v[17:20], v[27:28] off glc	
s_waitcnt vmcnt(0)
	;;#ASMEND
	v_and_b32_e32 v20, 0xff, v18
	v_and_b32_e32 v55, 0xff00, v18
	v_or3_b32 v17, v17, 0, 0
	v_and_b32_e32 v56, 0xff000000, v18
	v_and_b32_e32 v18, 0xff0000, v18
	s_delay_alu instid0(VALU_DEP_4) | instskip(SKIP_2) | instid1(VALU_DEP_3)
	v_or3_b32 v20, 0, v20, v55
	v_and_b32_e32 v55, 0xff, v19
	v_or3_b32 v17, v17, 0, 0
	v_or3_b32 v18, v20, v18, v56
	s_delay_alu instid0(VALU_DEP_3)
	v_cmpx_eq_u16_e32 0, v55
	s_cbranch_execz .LBB760_68
; %bb.65:                               ;   in Loop: Header=BB760_63 Depth=1
	s_mov_b32 s16, 0
.LBB760_66:                             ;   Parent Loop BB760_63 Depth=1
                                        ; =>  This Inner Loop Header: Depth=2
	;;#ASMSTART
	global_load_dwordx4 v[17:20], v[27:28] off glc	
s_waitcnt vmcnt(0)
	;;#ASMEND
	v_and_b32_e32 v20, 0xff, v19
	s_delay_alu instid0(VALU_DEP_1) | instskip(SKIP_1) | instid1(SALU_CYCLE_1)
	v_cmp_ne_u16_e32 vcc_lo, 0, v20
	s_or_b32 s16, vcc_lo, s16
	s_and_not1_b32 exec_lo, exec_lo, s16
	s_cbranch_execnz .LBB760_66
; %bb.67:                               ;   in Loop: Header=BB760_63 Depth=1
	s_or_b32 exec_lo, exec_lo, s16
.LBB760_68:                             ;   in Loop: Header=BB760_63 Depth=1
	s_delay_alu instid0(SALU_CYCLE_1)
	s_or_b32 exec_lo, exec_lo, s11
	v_dual_mov_b32 v27, v17 :: v_dual_and_b32 v20, 0xff, v19
	ds_bpermute_b32 v55, v45, v17
	ds_bpermute_b32 v28, v45, v18
	s_mov_b32 s11, exec_lo
	v_cmp_eq_u16_e32 vcc_lo, 2, v20
	v_and_or_b32 v20, vcc_lo, v46, 0x80000000
	s_delay_alu instid0(VALU_DEP_1) | instskip(NEXT) | instid1(VALU_DEP_1)
	v_ctz_i32_b32_e32 v20, v20
	v_cmpx_lt_u32_e64 v42, v20
	s_cbranch_execz .LBB760_70
; %bb.69:                               ;   in Loop: Header=BB760_63 Depth=1
	s_waitcnt lgkmcnt(1)
	v_add_co_u32 v27, vcc_lo, v17, v55
	v_add_co_ci_u32_e32 v18, vcc_lo, 0, v18, vcc_lo
	s_delay_alu instid0(VALU_DEP_2) | instskip(SKIP_1) | instid1(VALU_DEP_2)
	v_add_co_u32 v17, vcc_lo, 0, v27
	s_waitcnt lgkmcnt(0)
	v_add_co_ci_u32_e32 v18, vcc_lo, v28, v18, vcc_lo
.LBB760_70:                             ;   in Loop: Header=BB760_63 Depth=1
	s_or_b32 exec_lo, exec_lo, s11
	s_waitcnt lgkmcnt(1)
	ds_bpermute_b32 v55, v47, v27
	s_waitcnt lgkmcnt(1)
	ds_bpermute_b32 v28, v47, v18
	s_mov_b32 s11, exec_lo
	v_cmpx_le_u32_e64 v48, v20
	s_cbranch_execz .LBB760_72
; %bb.71:                               ;   in Loop: Header=BB760_63 Depth=1
	s_waitcnt lgkmcnt(1)
	v_add_co_u32 v27, vcc_lo, v17, v55
	v_add_co_ci_u32_e32 v18, vcc_lo, 0, v18, vcc_lo
	s_delay_alu instid0(VALU_DEP_2) | instskip(SKIP_1) | instid1(VALU_DEP_2)
	v_add_co_u32 v17, vcc_lo, 0, v27
	s_waitcnt lgkmcnt(0)
	v_add_co_ci_u32_e32 v18, vcc_lo, v28, v18, vcc_lo
.LBB760_72:                             ;   in Loop: Header=BB760_63 Depth=1
	s_or_b32 exec_lo, exec_lo, s11
	s_waitcnt lgkmcnt(1)
	ds_bpermute_b32 v55, v49, v27
	s_waitcnt lgkmcnt(1)
	ds_bpermute_b32 v28, v49, v18
	s_mov_b32 s11, exec_lo
	v_cmpx_le_u32_e64 v50, v20
	;; [unrolled: 17-line block ×3, first 2 shown]
	s_cbranch_execz .LBB760_76
; %bb.75:                               ;   in Loop: Header=BB760_63 Depth=1
	s_waitcnt lgkmcnt(1)
	v_add_co_u32 v27, vcc_lo, v17, v55
	v_add_co_ci_u32_e32 v18, vcc_lo, 0, v18, vcc_lo
	s_delay_alu instid0(VALU_DEP_2) | instskip(SKIP_1) | instid1(VALU_DEP_2)
	v_add_co_u32 v17, vcc_lo, 0, v27
	s_waitcnt lgkmcnt(0)
	v_add_co_ci_u32_e32 v18, vcc_lo, v28, v18, vcc_lo
.LBB760_76:                             ;   in Loop: Header=BB760_63 Depth=1
	s_or_b32 exec_lo, exec_lo, s11
	s_waitcnt lgkmcnt(0)
	ds_bpermute_b32 v28, v53, v27
	ds_bpermute_b32 v27, v53, v18
	s_mov_b32 s11, exec_lo
	v_cmpx_le_u32_e64 v54, v20
	s_cbranch_execz .LBB760_62
; %bb.77:                               ;   in Loop: Header=BB760_63 Depth=1
	s_waitcnt lgkmcnt(1)
	v_add_co_u32 v17, vcc_lo, v17, v28
	v_add_co_ci_u32_e32 v18, vcc_lo, 0, v18, vcc_lo
	s_delay_alu instid0(VALU_DEP_2) | instskip(SKIP_1) | instid1(VALU_DEP_2)
	v_add_co_u32 v17, vcc_lo, v17, 0
	s_waitcnt lgkmcnt(0)
	v_add_co_ci_u32_e32 v18, vcc_lo, v18, v27, vcc_lo
	s_branch .LBB760_62
.LBB760_78:                             ;   in Loop: Header=BB760_63 Depth=1
                                        ; implicit-def: $vgpr17_vgpr18
	s_cbranch_execz .LBB760_63
; %bb.79:
	s_and_saveexec_b32 s11, s1
	s_cbranch_execz .LBB760_81
; %bb.80:
	s_add_i32 s16, s9, 32
	s_mov_b32 s17, 0
	v_add_co_u32 v17, vcc_lo, v15, v13
	s_lshl_b64 s[16:17], s[16:17], 4
	v_dual_mov_b32 v19, 2 :: v_dual_mov_b32 v20, 0
	s_add_u32 s16, s14, s16
	s_addc_u32 s17, s15, s17
	v_add_co_ci_u32_e32 v18, vcc_lo, v16, v14, vcc_lo
	v_dual_mov_b32 v26, s17 :: v_dual_mov_b32 v25, s16
	;;#ASMSTART
	global_store_dwordx4 v[25:26], v[17:20] off	
s_waitcnt vmcnt(0)
	;;#ASMEND
	ds_store_b128 v20, v[13:16] offset:6144
.LBB760_81:
	s_or_b32 exec_lo, exec_lo, s11
	s_delay_alu instid0(SALU_CYCLE_1)
	s_and_b32 exec_lo, exec_lo, s2
	s_cbranch_execz .LBB760_83
; %bb.82:
	v_mov_b32_e32 v13, 0
	ds_store_b64 v13, v[15:16] offset:24
.LBB760_83:
	s_or_b32 exec_lo, exec_lo, s10
	v_mov_b32_e32 v15, 0
	s_waitcnt lgkmcnt(0)
	s_barrier
	buffer_gl0_inv
	v_cndmask_b32_e64 v16, v29, v23, s1
	ds_load_b64 v[13:14], v15 offset:24
	v_cndmask_b32_e64 v17, v30, v24, s1
	s_waitcnt lgkmcnt(0)
	s_barrier
	v_cndmask_b32_e64 v16, v16, 0, s2
	buffer_gl0_inv
	v_cndmask_b32_e64 v17, v17, 0, s2
	v_add_co_u32 v29, vcc_lo, v13, v16
	s_delay_alu instid0(VALU_DEP_2) | instskip(SKIP_3) | instid1(VALU_DEP_2)
	v_add_co_ci_u32_e32 v30, vcc_lo, v14, v17, vcc_lo
	ds_load_b128 v[13:16], v15 offset:6144
	v_add_co_u32 v27, vcc_lo, v29, v41
	v_add_co_ci_u32_e32 v28, vcc_lo, 0, v30, vcc_lo
	v_add_co_u32 v25, vcc_lo, v27, v40
	s_delay_alu instid0(VALU_DEP_2) | instskip(NEXT) | instid1(VALU_DEP_2)
	v_add_co_ci_u32_e32 v26, vcc_lo, 0, v28, vcc_lo
	v_add_co_u32 v23, vcc_lo, v25, v39
	s_delay_alu instid0(VALU_DEP_2) | instskip(NEXT) | instid1(VALU_DEP_2)
	v_add_co_ci_u32_e32 v24, vcc_lo, 0, v26, vcc_lo
	v_add_co_u32 v19, vcc_lo, v23, v38
	s_delay_alu instid0(VALU_DEP_2) | instskip(NEXT) | instid1(VALU_DEP_2)
	v_add_co_ci_u32_e32 v20, vcc_lo, 0, v24, vcc_lo
	v_add_co_u32 v17, vcc_lo, v19, v37
	s_delay_alu instid0(VALU_DEP_2)
	v_add_co_ci_u32_e32 v18, vcc_lo, 0, v20, vcc_lo
.LBB760_84:
	s_waitcnt lgkmcnt(0)
	v_cmp_gt_u64_e32 vcc_lo, 0x81, v[13:14]
	s_mov_b32 s0, -1
	s_cbranch_vccnz .LBB760_112
.LBB760_85:
	s_and_b32 vcc_lo, exec_lo, s0
	s_cbranch_vccnz .LBB760_131
.LBB760_86:
	s_and_b32 s0, s2, s3
	s_delay_alu instid0(SALU_CYCLE_1)
	s_and_saveexec_b32 s1, s0
	s_cbranch_execnz .LBB760_147
.LBB760_87:
	s_nop 0
	s_sendmsg sendmsg(MSG_DEALLOC_VGPRS)
	s_endpgm
.LBB760_88:
                                        ; kill: def $vgpr13_vgpr14 killed $sgpr0_sgpr1 killed $exec
                                        ; implicit-def: $vgpr17_vgpr18
                                        ; implicit-def: $vgpr19_vgpr20
                                        ; implicit-def: $vgpr23_vgpr24
                                        ; implicit-def: $vgpr25_vgpr26
                                        ; implicit-def: $vgpr27_vgpr28
                                        ; implicit-def: $vgpr29_vgpr30
                                        ; implicit-def: $vgpr15_vgpr16
	s_and_b32 vcc_lo, exec_lo, s1
	s_cbranch_vccz .LBB760_84
; %bb.89:
	s_waitcnt lgkmcnt(0)
	v_dual_mov_b32 v14, 0 :: v_dual_mov_b32 v15, v21
	v_mov_b32_dpp v16, v21 row_shr:1 row_mask:0xf bank_mask:0xf
	s_delay_alu instid0(VALU_DEP_2)
	v_mov_b32_dpp v13, v14 row_shr:1 row_mask:0xf bank_mask:0xf
	s_and_saveexec_b32 s1, s0
; %bb.90:
	s_delay_alu instid0(VALU_DEP_2) | instskip(SKIP_1) | instid1(VALU_DEP_2)
	v_add_co_u32 v15, vcc_lo, v21, v16
	v_add_co_ci_u32_e32 v14, vcc_lo, 0, v22, vcc_lo
	v_add_co_u32 v21, vcc_lo, 0, v15
	s_delay_alu instid0(VALU_DEP_2) | instskip(NEXT) | instid1(VALU_DEP_1)
	v_add_co_ci_u32_e32 v22, vcc_lo, v13, v14, vcc_lo
	v_mov_b32_e32 v14, v22
; %bb.91:
	s_or_b32 exec_lo, exec_lo, s1
	v_mov_b32_dpp v13, v15 row_shr:2 row_mask:0xf bank_mask:0xf
	s_delay_alu instid0(VALU_DEP_2)
	v_mov_b32_dpp v16, v14 row_shr:2 row_mask:0xf bank_mask:0xf
	s_mov_b32 s0, exec_lo
	v_cmpx_lt_u32_e32 1, v44
; %bb.92:
	s_delay_alu instid0(VALU_DEP_3) | instskip(SKIP_1) | instid1(VALU_DEP_2)
	v_add_co_u32 v15, vcc_lo, v21, v13
	v_add_co_ci_u32_e32 v14, vcc_lo, 0, v22, vcc_lo
	v_add_co_u32 v13, vcc_lo, 0, v15
	s_delay_alu instid0(VALU_DEP_2) | instskip(NEXT) | instid1(VALU_DEP_1)
	v_add_co_ci_u32_e32 v14, vcc_lo, v16, v14, vcc_lo
	v_dual_mov_b32 v22, v14 :: v_dual_mov_b32 v21, v13
; %bb.93:
	s_or_b32 exec_lo, exec_lo, s0
	v_mov_b32_dpp v13, v15 row_shr:4 row_mask:0xf bank_mask:0xf
	v_mov_b32_dpp v16, v14 row_shr:4 row_mask:0xf bank_mask:0xf
	s_mov_b32 s0, exec_lo
	v_cmpx_lt_u32_e32 3, v44
; %bb.94:
	s_delay_alu instid0(VALU_DEP_3) | instskip(SKIP_1) | instid1(VALU_DEP_2)
	v_add_co_u32 v15, vcc_lo, v21, v13
	v_add_co_ci_u32_e32 v14, vcc_lo, 0, v22, vcc_lo
	v_add_co_u32 v13, vcc_lo, 0, v15
	s_delay_alu instid0(VALU_DEP_2) | instskip(NEXT) | instid1(VALU_DEP_1)
	v_add_co_ci_u32_e32 v14, vcc_lo, v16, v14, vcc_lo
	v_dual_mov_b32 v22, v14 :: v_dual_mov_b32 v21, v13
; %bb.95:
	s_or_b32 exec_lo, exec_lo, s0
	v_mov_b32_dpp v16, v15 row_shr:8 row_mask:0xf bank_mask:0xf
	v_mov_b32_dpp v13, v14 row_shr:8 row_mask:0xf bank_mask:0xf
	s_mov_b32 s0, exec_lo
	v_cmpx_lt_u32_e32 7, v44
; %bb.96:
	s_delay_alu instid0(VALU_DEP_3) | instskip(SKIP_1) | instid1(VALU_DEP_2)
	v_add_co_u32 v15, vcc_lo, v21, v16
	v_add_co_ci_u32_e32 v14, vcc_lo, 0, v22, vcc_lo
	v_add_co_u32 v21, vcc_lo, 0, v15
	s_delay_alu instid0(VALU_DEP_2) | instskip(NEXT) | instid1(VALU_DEP_1)
	v_add_co_ci_u32_e32 v22, vcc_lo, v13, v14, vcc_lo
	v_mov_b32_e32 v14, v22
; %bb.97:
	s_or_b32 exec_lo, exec_lo, s0
	ds_swizzle_b32 v15, v15 offset:swizzle(BROADCAST,32,15)
	ds_swizzle_b32 v13, v14 offset:swizzle(BROADCAST,32,15)
	v_and_b32_e32 v14, 16, v42
	s_mov_b32 s0, exec_lo
	s_delay_alu instid0(VALU_DEP_1)
	v_cmpx_ne_u32_e32 0, v14
	s_cbranch_execz .LBB760_99
; %bb.98:
	s_waitcnt lgkmcnt(1)
	v_add_co_u32 v14, vcc_lo, v21, v15
	v_add_co_ci_u32_e32 v15, vcc_lo, 0, v22, vcc_lo
	s_delay_alu instid0(VALU_DEP_2) | instskip(SKIP_1) | instid1(VALU_DEP_2)
	v_add_co_u32 v21, vcc_lo, v14, 0
	s_waitcnt lgkmcnt(0)
	v_add_co_ci_u32_e32 v22, vcc_lo, v15, v13, vcc_lo
.LBB760_99:
	s_or_b32 exec_lo, exec_lo, s0
	s_waitcnt lgkmcnt(0)
	v_or_b32_e32 v13, 31, v0
	v_lshrrev_b32_e32 v15, 5, v0
	s_mov_b32 s0, exec_lo
	s_delay_alu instid0(VALU_DEP_2)
	v_cmpx_eq_u32_e64 v13, v0
	s_cbranch_execz .LBB760_101
; %bb.100:
	s_delay_alu instid0(VALU_DEP_2)
	v_lshlrev_b32_e32 v13, 3, v15
	ds_store_b64 v13, v[21:22]
.LBB760_101:
	s_or_b32 exec_lo, exec_lo, s0
	s_delay_alu instid0(SALU_CYCLE_1)
	s_mov_b32 s0, exec_lo
	s_waitcnt lgkmcnt(0)
	s_barrier
	buffer_gl0_inv
	v_cmpx_gt_u32_e32 4, v0
	s_cbranch_execz .LBB760_107
; %bb.102:
	v_lshlrev_b32_e32 v13, 1, v0
	s_mov_b32 s1, exec_lo
	s_delay_alu instid0(VALU_DEP_1)
	v_add_nc_u32_e32 v16, v43, v13
	ds_load_b64 v[13:14], v16
	s_waitcnt lgkmcnt(0)
	v_dual_mov_b32 v18, v13 :: v_dual_and_b32 v17, 3, v42
	v_mov_b32_dpp v20, v13 row_shr:1 row_mask:0xf bank_mask:0xf
	v_mov_b32_dpp v19, v14 row_shr:1 row_mask:0xf bank_mask:0xf
	s_delay_alu instid0(VALU_DEP_3)
	v_cmpx_ne_u32_e32 0, v17
; %bb.103:
	s_delay_alu instid0(VALU_DEP_3) | instskip(SKIP_1) | instid1(VALU_DEP_2)
	v_add_co_u32 v18, vcc_lo, v13, v20
	v_add_co_ci_u32_e32 v14, vcc_lo, 0, v14, vcc_lo
	v_add_co_u32 v13, vcc_lo, 0, v18
	s_delay_alu instid0(VALU_DEP_2)
	v_add_co_ci_u32_e32 v14, vcc_lo, v19, v14, vcc_lo
; %bb.104:
	s_or_b32 exec_lo, exec_lo, s1
	v_mov_b32_dpp v19, v18 row_shr:2 row_mask:0xf bank_mask:0xf
	s_delay_alu instid0(VALU_DEP_2)
	v_mov_b32_dpp v18, v14 row_shr:2 row_mask:0xf bank_mask:0xf
	s_mov_b32 s1, exec_lo
	v_cmpx_lt_u32_e32 1, v17
; %bb.105:
	s_delay_alu instid0(VALU_DEP_3) | instskip(SKIP_1) | instid1(VALU_DEP_2)
	v_add_co_u32 v13, vcc_lo, v13, v19
	v_add_co_ci_u32_e32 v14, vcc_lo, 0, v14, vcc_lo
	v_add_co_u32 v13, vcc_lo, v13, 0
	s_delay_alu instid0(VALU_DEP_2)
	v_add_co_ci_u32_e32 v14, vcc_lo, v14, v18, vcc_lo
; %bb.106:
	s_or_b32 exec_lo, exec_lo, s1
	ds_store_b64 v16, v[13:14]
.LBB760_107:
	s_or_b32 exec_lo, exec_lo, s0
	v_mov_b32_e32 v17, 0
	v_mov_b32_e32 v18, 0
	s_mov_b32 s0, exec_lo
	s_waitcnt lgkmcnt(0)
	s_barrier
	buffer_gl0_inv
	v_cmpx_lt_u32_e32 31, v0
	s_cbranch_execz .LBB760_109
; %bb.108:
	v_lshl_add_u32 v13, v15, 3, -8
	ds_load_b64 v[17:18], v13
.LBB760_109:
	s_or_b32 exec_lo, exec_lo, s0
	v_dual_mov_b32 v16, 0 :: v_dual_add_nc_u32 v13, -1, v42
	s_delay_alu instid0(VALU_DEP_1) | instskip(SKIP_4) | instid1(VALU_DEP_3)
	v_cmp_gt_i32_e32 vcc_lo, 0, v13
	v_cndmask_b32_e32 v13, v13, v42, vcc_lo
	s_waitcnt lgkmcnt(0)
	v_add_co_u32 v14, vcc_lo, v17, v21
	v_add_co_ci_u32_e32 v15, vcc_lo, v18, v22, vcc_lo
	v_lshlrev_b32_e32 v13, 2, v13
	ds_bpermute_b32 v19, v13, v14
	ds_bpermute_b32 v20, v13, v15
	ds_load_b64 v[13:14], v16 offset:24
	s_and_saveexec_b32 s0, s2
	s_cbranch_execz .LBB760_111
; %bb.110:
	s_add_u32 s10, s14, 0x200
	s_addc_u32 s11, s15, 0
	s_delay_alu instid0(SALU_CYCLE_1)
	v_dual_mov_b32 v15, 2 :: v_dual_mov_b32 v22, s11
	v_mov_b32_e32 v21, s10
	s_waitcnt lgkmcnt(0)
	;;#ASMSTART
	global_store_dwordx4 v[21:22], v[13:16] off	
s_waitcnt vmcnt(0)
	;;#ASMEND
.LBB760_111:
	s_or_b32 exec_lo, exec_lo, s0
	v_cmp_eq_u32_e32 vcc_lo, 0, v42
	s_waitcnt lgkmcnt(0)
	s_barrier
	buffer_gl0_inv
	v_dual_cndmask_b32 v15, v19, v17 :: v_dual_cndmask_b32 v16, v20, v18
	s_delay_alu instid0(VALU_DEP_1) | instskip(NEXT) | instid1(VALU_DEP_2)
	v_cndmask_b32_e64 v29, v15, 0, s2
	v_cndmask_b32_e64 v30, v16, 0, s2
	v_mov_b32_e32 v15, 0
	v_mov_b32_e32 v16, 0
	s_delay_alu instid0(VALU_DEP_4) | instskip(NEXT) | instid1(VALU_DEP_4)
	v_add_co_u32 v27, vcc_lo, v29, v41
	v_add_co_ci_u32_e32 v28, vcc_lo, 0, v30, vcc_lo
	s_delay_alu instid0(VALU_DEP_2) | instskip(NEXT) | instid1(VALU_DEP_2)
	v_add_co_u32 v25, vcc_lo, v27, v40
	v_add_co_ci_u32_e32 v26, vcc_lo, 0, v28, vcc_lo
	s_delay_alu instid0(VALU_DEP_2) | instskip(NEXT) | instid1(VALU_DEP_2)
	;; [unrolled: 3-line block ×4, first 2 shown]
	v_add_co_u32 v17, vcc_lo, v19, v37
	v_add_co_ci_u32_e32 v18, vcc_lo, 0, v20, vcc_lo
	v_cmp_gt_u64_e32 vcc_lo, 0x81, v[13:14]
	s_mov_b32 s0, -1
	s_cbranch_vccz .LBB760_85
.LBB760_112:
	v_add_co_u32 v21, vcc_lo, v15, v13
	v_add_co_ci_u32_e32 v22, vcc_lo, v16, v14, vcc_lo
	s_delay_alu instid0(VALU_DEP_1) | instskip(SKIP_1) | instid1(SALU_CYCLE_1)
	v_cmp_lt_u64_e32 vcc_lo, v[29:30], v[21:22]
	s_or_b32 s1, s8, vcc_lo
	s_and_saveexec_b32 s0, s1
	s_cbranch_execz .LBB760_115
; %bb.113:
	v_and_b32_e32 v37, 1, v36
	s_delay_alu instid0(VALU_DEP_1)
	v_cmp_eq_u32_e32 vcc_lo, 1, v37
	s_and_b32 exec_lo, exec_lo, vcc_lo
	s_cbranch_execz .LBB760_115
; %bb.114:
	v_lshlrev_b64 v[37:38], 3, v[29:30]
	s_lshl_b64 s[10:11], s[6:7], 3
	s_delay_alu instid0(SALU_CYCLE_1) | instskip(SKIP_1) | instid1(VALU_DEP_1)
	s_add_u32 s1, s12, s10
	s_addc_u32 s9, s13, s11
	v_add_co_u32 v37, vcc_lo, s1, v37
	s_delay_alu instid0(VALU_DEP_2)
	v_add_co_ci_u32_e32 v38, vcc_lo, s9, v38, vcc_lo
	global_store_b64 v[37:38], v[9:10], off
.LBB760_115:
	s_or_b32 exec_lo, exec_lo, s0
	v_cmp_lt_u64_e32 vcc_lo, v[27:28], v[21:22]
	s_or_b32 s1, s8, vcc_lo
	s_delay_alu instid0(SALU_CYCLE_1)
	s_and_saveexec_b32 s0, s1
	s_cbranch_execz .LBB760_118
; %bb.116:
	v_and_b32_e32 v30, 1, v34
	s_delay_alu instid0(VALU_DEP_1)
	v_cmp_eq_u32_e32 vcc_lo, 1, v30
	s_and_b32 exec_lo, exec_lo, vcc_lo
	s_cbranch_execz .LBB760_118
; %bb.117:
	v_lshlrev_b64 v[37:38], 3, v[27:28]
	s_lshl_b64 s[10:11], s[6:7], 3
	s_delay_alu instid0(SALU_CYCLE_1) | instskip(SKIP_1) | instid1(VALU_DEP_1)
	s_add_u32 s1, s12, s10
	s_addc_u32 s9, s13, s11
	v_add_co_u32 v37, vcc_lo, s1, v37
	s_delay_alu instid0(VALU_DEP_2)
	v_add_co_ci_u32_e32 v38, vcc_lo, s9, v38, vcc_lo
	global_store_b64 v[37:38], v[11:12], off
.LBB760_118:
	s_or_b32 exec_lo, exec_lo, s0
	v_cmp_lt_u64_e32 vcc_lo, v[25:26], v[21:22]
	s_or_b32 s1, s8, vcc_lo
	s_delay_alu instid0(SALU_CYCLE_1)
	s_and_saveexec_b32 s0, s1
	s_cbranch_execz .LBB760_121
; %bb.119:
	v_and_b32_e32 v28, 1, v33
	s_delay_alu instid0(VALU_DEP_1)
	v_cmp_eq_u32_e32 vcc_lo, 1, v28
	s_and_b32 exec_lo, exec_lo, vcc_lo
	s_cbranch_execz .LBB760_121
; %bb.120:
	v_lshlrev_b64 v[37:38], 3, v[25:26]
	s_lshl_b64 s[10:11], s[6:7], 3
	s_delay_alu instid0(SALU_CYCLE_1) | instskip(SKIP_1) | instid1(VALU_DEP_1)
	s_add_u32 s1, s12, s10
	s_addc_u32 s9, s13, s11
	v_add_co_u32 v37, vcc_lo, s1, v37
	s_delay_alu instid0(VALU_DEP_2)
	v_add_co_ci_u32_e32 v38, vcc_lo, s9, v38, vcc_lo
	global_store_b64 v[37:38], v[5:6], off
.LBB760_121:
	s_or_b32 exec_lo, exec_lo, s0
	v_cmp_lt_u64_e32 vcc_lo, v[23:24], v[21:22]
	s_or_b32 s1, s8, vcc_lo
	s_delay_alu instid0(SALU_CYCLE_1)
	s_and_saveexec_b32 s0, s1
	s_cbranch_execz .LBB760_124
; %bb.122:
	v_and_b32_e32 v26, 1, v35
	s_delay_alu instid0(VALU_DEP_1)
	v_cmp_eq_u32_e32 vcc_lo, 1, v26
	s_and_b32 exec_lo, exec_lo, vcc_lo
	s_cbranch_execz .LBB760_124
; %bb.123:
	v_lshlrev_b64 v[37:38], 3, v[23:24]
	s_lshl_b64 s[10:11], s[6:7], 3
	s_delay_alu instid0(SALU_CYCLE_1) | instskip(SKIP_1) | instid1(VALU_DEP_1)
	s_add_u32 s1, s12, s10
	s_addc_u32 s9, s13, s11
	v_add_co_u32 v37, vcc_lo, s1, v37
	s_delay_alu instid0(VALU_DEP_2)
	v_add_co_ci_u32_e32 v38, vcc_lo, s9, v38, vcc_lo
	global_store_b64 v[37:38], v[7:8], off
.LBB760_124:
	s_or_b32 exec_lo, exec_lo, s0
	v_cmp_lt_u64_e32 vcc_lo, v[19:20], v[21:22]
	s_or_b32 s1, s8, vcc_lo
	s_delay_alu instid0(SALU_CYCLE_1)
	s_and_saveexec_b32 s0, s1
	s_cbranch_execz .LBB760_127
; %bb.125:
	v_and_b32_e32 v24, 1, v31
	s_delay_alu instid0(VALU_DEP_1)
	v_cmp_eq_u32_e32 vcc_lo, 1, v24
	s_and_b32 exec_lo, exec_lo, vcc_lo
	s_cbranch_execz .LBB760_127
; %bb.126:
	v_lshlrev_b64 v[37:38], 3, v[19:20]
	s_lshl_b64 s[10:11], s[6:7], 3
	s_delay_alu instid0(SALU_CYCLE_1) | instskip(SKIP_1) | instid1(VALU_DEP_1)
	s_add_u32 s1, s12, s10
	s_addc_u32 s9, s13, s11
	v_add_co_u32 v37, vcc_lo, s1, v37
	s_delay_alu instid0(VALU_DEP_2)
	v_add_co_ci_u32_e32 v38, vcc_lo, s9, v38, vcc_lo
	global_store_b64 v[37:38], v[1:2], off
.LBB760_127:
	s_or_b32 exec_lo, exec_lo, s0
	v_cmp_lt_u64_e32 vcc_lo, v[17:18], v[21:22]
	s_or_b32 s1, s8, vcc_lo
	s_delay_alu instid0(SALU_CYCLE_1)
	s_and_saveexec_b32 s0, s1
	s_cbranch_execz .LBB760_130
; %bb.128:
	v_and_b32_e32 v20, 1, v32
	s_delay_alu instid0(VALU_DEP_1)
	v_cmp_eq_u32_e32 vcc_lo, 1, v20
	s_and_b32 exec_lo, exec_lo, vcc_lo
	s_cbranch_execz .LBB760_130
; %bb.129:
	v_lshlrev_b64 v[20:21], 3, v[17:18]
	s_lshl_b64 s[8:9], s[6:7], 3
	s_delay_alu instid0(SALU_CYCLE_1) | instskip(SKIP_1) | instid1(VALU_DEP_1)
	s_add_u32 s1, s12, s8
	s_addc_u32 s8, s13, s9
	v_add_co_u32 v20, vcc_lo, s1, v20
	s_delay_alu instid0(VALU_DEP_2)
	v_add_co_ci_u32_e32 v21, vcc_lo, s8, v21, vcc_lo
	global_store_b64 v[20:21], v[3:4], off
.LBB760_130:
	s_or_b32 exec_lo, exec_lo, s0
	s_branch .LBB760_86
.LBB760_131:
	v_and_b32_e32 v18, 1, v36
	s_mov_b32 s0, exec_lo
	s_delay_alu instid0(VALU_DEP_1)
	v_cmpx_eq_u32_e32 1, v18
	s_cbranch_execz .LBB760_133
; %bb.132:
	v_sub_nc_u32_e32 v18, v29, v15
	s_delay_alu instid0(VALU_DEP_1)
	v_lshlrev_b32_e32 v18, 3, v18
	ds_store_b64 v18, v[9:10]
.LBB760_133:
	s_or_b32 exec_lo, exec_lo, s0
	v_and_b32_e32 v9, 1, v34
	s_mov_b32 s0, exec_lo
	s_delay_alu instid0(VALU_DEP_1)
	v_cmpx_eq_u32_e32 1, v9
	s_cbranch_execz .LBB760_135
; %bb.134:
	v_sub_nc_u32_e32 v9, v27, v15
	s_delay_alu instid0(VALU_DEP_1)
	v_lshlrev_b32_e32 v9, 3, v9
	ds_store_b64 v9, v[11:12]
.LBB760_135:
	s_or_b32 exec_lo, exec_lo, s0
	;; [unrolled: 12-line block ×6, first 2 shown]
	v_mov_b32_e32 v1, 0
	s_mov_b32 s1, exec_lo
	s_waitcnt lgkmcnt(0)
	s_waitcnt_vscnt null, 0x0
	s_barrier
	buffer_gl0_inv
	v_cmpx_gt_u64_e64 v[13:14], v[0:1]
	s_cbranch_execz .LBB760_146
; %bb.144:
	v_lshlrev_b64 v[4:5], 3, v[15:16]
	s_lshl_b64 s[8:9], s[6:7], 3
	v_dual_mov_b32 v3, v1 :: v_dual_mov_b32 v2, v0
	v_or_b32_e32 v0, 0x80, v0
	s_delay_alu instid0(VALU_DEP_3) | instskip(NEXT) | instid1(VALU_DEP_4)
	v_add_co_u32 v4, vcc_lo, s12, v4
	v_add_co_ci_u32_e32 v5, vcc_lo, s13, v5, vcc_lo
	s_delay_alu instid0(VALU_DEP_2) | instskip(NEXT) | instid1(VALU_DEP_2)
	v_add_co_u32 v4, vcc_lo, v4, s8
	v_add_co_ci_u32_e32 v5, vcc_lo, s9, v5, vcc_lo
	s_mov_b32 s8, 0
	.p2align	6
.LBB760_145:                            ; =>This Inner Loop Header: Depth=1
	v_lshlrev_b32_e32 v6, 3, v2
	v_lshlrev_b64 v[8:9], 3, v[2:3]
	v_mov_b32_e32 v3, v1
	v_cmp_le_u64_e32 vcc_lo, v[13:14], v[0:1]
	v_mov_b32_e32 v2, v0
	ds_load_b64 v[6:7], v6
	v_add_nc_u32_e32 v0, 0x80, v0
	v_add_co_u32 v8, s0, v4, v8
	s_delay_alu instid0(VALU_DEP_1)
	v_add_co_ci_u32_e64 v9, s0, v5, v9, s0
	s_or_b32 s8, vcc_lo, s8
	s_waitcnt lgkmcnt(0)
	global_store_b64 v[8:9], v[6:7], off
	s_and_not1_b32 exec_lo, exec_lo, s8
	s_cbranch_execnz .LBB760_145
.LBB760_146:
	s_or_b32 exec_lo, exec_lo, s1
	s_and_b32 s0, s2, s3
	s_delay_alu instid0(SALU_CYCLE_1)
	s_and_saveexec_b32 s1, s0
	s_cbranch_execz .LBB760_87
.LBB760_147:
	v_add_co_u32 v0, vcc_lo, v15, v13
	v_add_co_ci_u32_e32 v1, vcc_lo, v16, v14, vcc_lo
	v_mov_b32_e32 v2, 0
	s_delay_alu instid0(VALU_DEP_3) | instskip(NEXT) | instid1(VALU_DEP_3)
	v_add_co_u32 v0, vcc_lo, v0, s6
	v_add_co_ci_u32_e32 v1, vcc_lo, s7, v1, vcc_lo
	global_store_b64 v2, v[0:1], s[4:5]
	s_nop 0
	s_sendmsg sendmsg(MSG_DEALLOC_VGPRS)
	s_endpgm
	.section	.rodata,"a",@progbits
	.p2align	6, 0x0
	.amdhsa_kernel _ZN7rocprim17ROCPRIM_400000_NS6detail17trampoline_kernelINS0_14default_configENS1_25partition_config_selectorILNS1_17partition_subalgoE5ElNS0_10empty_typeEbEEZZNS1_14partition_implILS5_5ELb0ES3_mN6hipcub16HIPCUB_304000_NS21CountingInputIteratorIllEEPS6_NSA_22TransformInputIteratorIbN2at6native12_GLOBAL__N_19NonZeroOpIbEEPKblEENS0_5tupleIJPlS6_EEENSN_IJSD_SD_EEES6_PiJS6_EEE10hipError_tPvRmT3_T4_T5_T6_T7_T9_mT8_P12ihipStream_tbDpT10_ENKUlT_T0_E_clISt17integral_constantIbLb0EES1A_IbLb1EEEEDaS16_S17_EUlS16_E_NS1_11comp_targetILNS1_3genE9ELNS1_11target_archE1100ELNS1_3gpuE3ELNS1_3repE0EEENS1_30default_config_static_selectorELNS0_4arch9wavefront6targetE0EEEvT1_
		.amdhsa_group_segment_fixed_size 6160
		.amdhsa_private_segment_fixed_size 0
		.amdhsa_kernarg_size 136
		.amdhsa_user_sgpr_count 15
		.amdhsa_user_sgpr_dispatch_ptr 0
		.amdhsa_user_sgpr_queue_ptr 0
		.amdhsa_user_sgpr_kernarg_segment_ptr 1
		.amdhsa_user_sgpr_dispatch_id 0
		.amdhsa_user_sgpr_private_segment_size 0
		.amdhsa_wavefront_size32 1
		.amdhsa_uses_dynamic_stack 0
		.amdhsa_enable_private_segment 0
		.amdhsa_system_sgpr_workgroup_id_x 1
		.amdhsa_system_sgpr_workgroup_id_y 0
		.amdhsa_system_sgpr_workgroup_id_z 0
		.amdhsa_system_sgpr_workgroup_info 0
		.amdhsa_system_vgpr_workitem_id 0
		.amdhsa_next_free_vgpr 57
		.amdhsa_next_free_sgpr 23
		.amdhsa_reserve_vcc 1
		.amdhsa_float_round_mode_32 0
		.amdhsa_float_round_mode_16_64 0
		.amdhsa_float_denorm_mode_32 3
		.amdhsa_float_denorm_mode_16_64 3
		.amdhsa_dx10_clamp 1
		.amdhsa_ieee_mode 1
		.amdhsa_fp16_overflow 0
		.amdhsa_workgroup_processor_mode 1
		.amdhsa_memory_ordered 1
		.amdhsa_forward_progress 0
		.amdhsa_shared_vgpr_count 0
		.amdhsa_exception_fp_ieee_invalid_op 0
		.amdhsa_exception_fp_denorm_src 0
		.amdhsa_exception_fp_ieee_div_zero 0
		.amdhsa_exception_fp_ieee_overflow 0
		.amdhsa_exception_fp_ieee_underflow 0
		.amdhsa_exception_fp_ieee_inexact 0
		.amdhsa_exception_int_div_zero 0
	.end_amdhsa_kernel
	.section	.text._ZN7rocprim17ROCPRIM_400000_NS6detail17trampoline_kernelINS0_14default_configENS1_25partition_config_selectorILNS1_17partition_subalgoE5ElNS0_10empty_typeEbEEZZNS1_14partition_implILS5_5ELb0ES3_mN6hipcub16HIPCUB_304000_NS21CountingInputIteratorIllEEPS6_NSA_22TransformInputIteratorIbN2at6native12_GLOBAL__N_19NonZeroOpIbEEPKblEENS0_5tupleIJPlS6_EEENSN_IJSD_SD_EEES6_PiJS6_EEE10hipError_tPvRmT3_T4_T5_T6_T7_T9_mT8_P12ihipStream_tbDpT10_ENKUlT_T0_E_clISt17integral_constantIbLb0EES1A_IbLb1EEEEDaS16_S17_EUlS16_E_NS1_11comp_targetILNS1_3genE9ELNS1_11target_archE1100ELNS1_3gpuE3ELNS1_3repE0EEENS1_30default_config_static_selectorELNS0_4arch9wavefront6targetE0EEEvT1_,"axG",@progbits,_ZN7rocprim17ROCPRIM_400000_NS6detail17trampoline_kernelINS0_14default_configENS1_25partition_config_selectorILNS1_17partition_subalgoE5ElNS0_10empty_typeEbEEZZNS1_14partition_implILS5_5ELb0ES3_mN6hipcub16HIPCUB_304000_NS21CountingInputIteratorIllEEPS6_NSA_22TransformInputIteratorIbN2at6native12_GLOBAL__N_19NonZeroOpIbEEPKblEENS0_5tupleIJPlS6_EEENSN_IJSD_SD_EEES6_PiJS6_EEE10hipError_tPvRmT3_T4_T5_T6_T7_T9_mT8_P12ihipStream_tbDpT10_ENKUlT_T0_E_clISt17integral_constantIbLb0EES1A_IbLb1EEEEDaS16_S17_EUlS16_E_NS1_11comp_targetILNS1_3genE9ELNS1_11target_archE1100ELNS1_3gpuE3ELNS1_3repE0EEENS1_30default_config_static_selectorELNS0_4arch9wavefront6targetE0EEEvT1_,comdat
.Lfunc_end760:
	.size	_ZN7rocprim17ROCPRIM_400000_NS6detail17trampoline_kernelINS0_14default_configENS1_25partition_config_selectorILNS1_17partition_subalgoE5ElNS0_10empty_typeEbEEZZNS1_14partition_implILS5_5ELb0ES3_mN6hipcub16HIPCUB_304000_NS21CountingInputIteratorIllEEPS6_NSA_22TransformInputIteratorIbN2at6native12_GLOBAL__N_19NonZeroOpIbEEPKblEENS0_5tupleIJPlS6_EEENSN_IJSD_SD_EEES6_PiJS6_EEE10hipError_tPvRmT3_T4_T5_T6_T7_T9_mT8_P12ihipStream_tbDpT10_ENKUlT_T0_E_clISt17integral_constantIbLb0EES1A_IbLb1EEEEDaS16_S17_EUlS16_E_NS1_11comp_targetILNS1_3genE9ELNS1_11target_archE1100ELNS1_3gpuE3ELNS1_3repE0EEENS1_30default_config_static_selectorELNS0_4arch9wavefront6targetE0EEEvT1_, .Lfunc_end760-_ZN7rocprim17ROCPRIM_400000_NS6detail17trampoline_kernelINS0_14default_configENS1_25partition_config_selectorILNS1_17partition_subalgoE5ElNS0_10empty_typeEbEEZZNS1_14partition_implILS5_5ELb0ES3_mN6hipcub16HIPCUB_304000_NS21CountingInputIteratorIllEEPS6_NSA_22TransformInputIteratorIbN2at6native12_GLOBAL__N_19NonZeroOpIbEEPKblEENS0_5tupleIJPlS6_EEENSN_IJSD_SD_EEES6_PiJS6_EEE10hipError_tPvRmT3_T4_T5_T6_T7_T9_mT8_P12ihipStream_tbDpT10_ENKUlT_T0_E_clISt17integral_constantIbLb0EES1A_IbLb1EEEEDaS16_S17_EUlS16_E_NS1_11comp_targetILNS1_3genE9ELNS1_11target_archE1100ELNS1_3gpuE3ELNS1_3repE0EEENS1_30default_config_static_selectorELNS0_4arch9wavefront6targetE0EEEvT1_
                                        ; -- End function
	.section	.AMDGPU.csdata,"",@progbits
; Kernel info:
; codeLenInByte = 6304
; NumSgprs: 25
; NumVgprs: 57
; ScratchSize: 0
; MemoryBound: 0
; FloatMode: 240
; IeeeMode: 1
; LDSByteSize: 6160 bytes/workgroup (compile time only)
; SGPRBlocks: 3
; VGPRBlocks: 7
; NumSGPRsForWavesPerEU: 25
; NumVGPRsForWavesPerEU: 57
; Occupancy: 16
; WaveLimiterHint : 1
; COMPUTE_PGM_RSRC2:SCRATCH_EN: 0
; COMPUTE_PGM_RSRC2:USER_SGPR: 15
; COMPUTE_PGM_RSRC2:TRAP_HANDLER: 0
; COMPUTE_PGM_RSRC2:TGID_X_EN: 1
; COMPUTE_PGM_RSRC2:TGID_Y_EN: 0
; COMPUTE_PGM_RSRC2:TGID_Z_EN: 0
; COMPUTE_PGM_RSRC2:TIDIG_COMP_CNT: 0
	.section	.text._ZN7rocprim17ROCPRIM_400000_NS6detail17trampoline_kernelINS0_14default_configENS1_25partition_config_selectorILNS1_17partition_subalgoE5ElNS0_10empty_typeEbEEZZNS1_14partition_implILS5_5ELb0ES3_mN6hipcub16HIPCUB_304000_NS21CountingInputIteratorIllEEPS6_NSA_22TransformInputIteratorIbN2at6native12_GLOBAL__N_19NonZeroOpIbEEPKblEENS0_5tupleIJPlS6_EEENSN_IJSD_SD_EEES6_PiJS6_EEE10hipError_tPvRmT3_T4_T5_T6_T7_T9_mT8_P12ihipStream_tbDpT10_ENKUlT_T0_E_clISt17integral_constantIbLb0EES1A_IbLb1EEEEDaS16_S17_EUlS16_E_NS1_11comp_targetILNS1_3genE8ELNS1_11target_archE1030ELNS1_3gpuE2ELNS1_3repE0EEENS1_30default_config_static_selectorELNS0_4arch9wavefront6targetE0EEEvT1_,"axG",@progbits,_ZN7rocprim17ROCPRIM_400000_NS6detail17trampoline_kernelINS0_14default_configENS1_25partition_config_selectorILNS1_17partition_subalgoE5ElNS0_10empty_typeEbEEZZNS1_14partition_implILS5_5ELb0ES3_mN6hipcub16HIPCUB_304000_NS21CountingInputIteratorIllEEPS6_NSA_22TransformInputIteratorIbN2at6native12_GLOBAL__N_19NonZeroOpIbEEPKblEENS0_5tupleIJPlS6_EEENSN_IJSD_SD_EEES6_PiJS6_EEE10hipError_tPvRmT3_T4_T5_T6_T7_T9_mT8_P12ihipStream_tbDpT10_ENKUlT_T0_E_clISt17integral_constantIbLb0EES1A_IbLb1EEEEDaS16_S17_EUlS16_E_NS1_11comp_targetILNS1_3genE8ELNS1_11target_archE1030ELNS1_3gpuE2ELNS1_3repE0EEENS1_30default_config_static_selectorELNS0_4arch9wavefront6targetE0EEEvT1_,comdat
	.globl	_ZN7rocprim17ROCPRIM_400000_NS6detail17trampoline_kernelINS0_14default_configENS1_25partition_config_selectorILNS1_17partition_subalgoE5ElNS0_10empty_typeEbEEZZNS1_14partition_implILS5_5ELb0ES3_mN6hipcub16HIPCUB_304000_NS21CountingInputIteratorIllEEPS6_NSA_22TransformInputIteratorIbN2at6native12_GLOBAL__N_19NonZeroOpIbEEPKblEENS0_5tupleIJPlS6_EEENSN_IJSD_SD_EEES6_PiJS6_EEE10hipError_tPvRmT3_T4_T5_T6_T7_T9_mT8_P12ihipStream_tbDpT10_ENKUlT_T0_E_clISt17integral_constantIbLb0EES1A_IbLb1EEEEDaS16_S17_EUlS16_E_NS1_11comp_targetILNS1_3genE8ELNS1_11target_archE1030ELNS1_3gpuE2ELNS1_3repE0EEENS1_30default_config_static_selectorELNS0_4arch9wavefront6targetE0EEEvT1_ ; -- Begin function _ZN7rocprim17ROCPRIM_400000_NS6detail17trampoline_kernelINS0_14default_configENS1_25partition_config_selectorILNS1_17partition_subalgoE5ElNS0_10empty_typeEbEEZZNS1_14partition_implILS5_5ELb0ES3_mN6hipcub16HIPCUB_304000_NS21CountingInputIteratorIllEEPS6_NSA_22TransformInputIteratorIbN2at6native12_GLOBAL__N_19NonZeroOpIbEEPKblEENS0_5tupleIJPlS6_EEENSN_IJSD_SD_EEES6_PiJS6_EEE10hipError_tPvRmT3_T4_T5_T6_T7_T9_mT8_P12ihipStream_tbDpT10_ENKUlT_T0_E_clISt17integral_constantIbLb0EES1A_IbLb1EEEEDaS16_S17_EUlS16_E_NS1_11comp_targetILNS1_3genE8ELNS1_11target_archE1030ELNS1_3gpuE2ELNS1_3repE0EEENS1_30default_config_static_selectorELNS0_4arch9wavefront6targetE0EEEvT1_
	.p2align	8
	.type	_ZN7rocprim17ROCPRIM_400000_NS6detail17trampoline_kernelINS0_14default_configENS1_25partition_config_selectorILNS1_17partition_subalgoE5ElNS0_10empty_typeEbEEZZNS1_14partition_implILS5_5ELb0ES3_mN6hipcub16HIPCUB_304000_NS21CountingInputIteratorIllEEPS6_NSA_22TransformInputIteratorIbN2at6native12_GLOBAL__N_19NonZeroOpIbEEPKblEENS0_5tupleIJPlS6_EEENSN_IJSD_SD_EEES6_PiJS6_EEE10hipError_tPvRmT3_T4_T5_T6_T7_T9_mT8_P12ihipStream_tbDpT10_ENKUlT_T0_E_clISt17integral_constantIbLb0EES1A_IbLb1EEEEDaS16_S17_EUlS16_E_NS1_11comp_targetILNS1_3genE8ELNS1_11target_archE1030ELNS1_3gpuE2ELNS1_3repE0EEENS1_30default_config_static_selectorELNS0_4arch9wavefront6targetE0EEEvT1_,@function
_ZN7rocprim17ROCPRIM_400000_NS6detail17trampoline_kernelINS0_14default_configENS1_25partition_config_selectorILNS1_17partition_subalgoE5ElNS0_10empty_typeEbEEZZNS1_14partition_implILS5_5ELb0ES3_mN6hipcub16HIPCUB_304000_NS21CountingInputIteratorIllEEPS6_NSA_22TransformInputIteratorIbN2at6native12_GLOBAL__N_19NonZeroOpIbEEPKblEENS0_5tupleIJPlS6_EEENSN_IJSD_SD_EEES6_PiJS6_EEE10hipError_tPvRmT3_T4_T5_T6_T7_T9_mT8_P12ihipStream_tbDpT10_ENKUlT_T0_E_clISt17integral_constantIbLb0EES1A_IbLb1EEEEDaS16_S17_EUlS16_E_NS1_11comp_targetILNS1_3genE8ELNS1_11target_archE1030ELNS1_3gpuE2ELNS1_3repE0EEENS1_30default_config_static_selectorELNS0_4arch9wavefront6targetE0EEEvT1_: ; @_ZN7rocprim17ROCPRIM_400000_NS6detail17trampoline_kernelINS0_14default_configENS1_25partition_config_selectorILNS1_17partition_subalgoE5ElNS0_10empty_typeEbEEZZNS1_14partition_implILS5_5ELb0ES3_mN6hipcub16HIPCUB_304000_NS21CountingInputIteratorIllEEPS6_NSA_22TransformInputIteratorIbN2at6native12_GLOBAL__N_19NonZeroOpIbEEPKblEENS0_5tupleIJPlS6_EEENSN_IJSD_SD_EEES6_PiJS6_EEE10hipError_tPvRmT3_T4_T5_T6_T7_T9_mT8_P12ihipStream_tbDpT10_ENKUlT_T0_E_clISt17integral_constantIbLb0EES1A_IbLb1EEEEDaS16_S17_EUlS16_E_NS1_11comp_targetILNS1_3genE8ELNS1_11target_archE1030ELNS1_3gpuE2ELNS1_3repE0EEENS1_30default_config_static_selectorELNS0_4arch9wavefront6targetE0EEEvT1_
; %bb.0:
	.section	.rodata,"a",@progbits
	.p2align	6, 0x0
	.amdhsa_kernel _ZN7rocprim17ROCPRIM_400000_NS6detail17trampoline_kernelINS0_14default_configENS1_25partition_config_selectorILNS1_17partition_subalgoE5ElNS0_10empty_typeEbEEZZNS1_14partition_implILS5_5ELb0ES3_mN6hipcub16HIPCUB_304000_NS21CountingInputIteratorIllEEPS6_NSA_22TransformInputIteratorIbN2at6native12_GLOBAL__N_19NonZeroOpIbEEPKblEENS0_5tupleIJPlS6_EEENSN_IJSD_SD_EEES6_PiJS6_EEE10hipError_tPvRmT3_T4_T5_T6_T7_T9_mT8_P12ihipStream_tbDpT10_ENKUlT_T0_E_clISt17integral_constantIbLb0EES1A_IbLb1EEEEDaS16_S17_EUlS16_E_NS1_11comp_targetILNS1_3genE8ELNS1_11target_archE1030ELNS1_3gpuE2ELNS1_3repE0EEENS1_30default_config_static_selectorELNS0_4arch9wavefront6targetE0EEEvT1_
		.amdhsa_group_segment_fixed_size 0
		.amdhsa_private_segment_fixed_size 0
		.amdhsa_kernarg_size 136
		.amdhsa_user_sgpr_count 15
		.amdhsa_user_sgpr_dispatch_ptr 0
		.amdhsa_user_sgpr_queue_ptr 0
		.amdhsa_user_sgpr_kernarg_segment_ptr 1
		.amdhsa_user_sgpr_dispatch_id 0
		.amdhsa_user_sgpr_private_segment_size 0
		.amdhsa_wavefront_size32 1
		.amdhsa_uses_dynamic_stack 0
		.amdhsa_enable_private_segment 0
		.amdhsa_system_sgpr_workgroup_id_x 1
		.amdhsa_system_sgpr_workgroup_id_y 0
		.amdhsa_system_sgpr_workgroup_id_z 0
		.amdhsa_system_sgpr_workgroup_info 0
		.amdhsa_system_vgpr_workitem_id 0
		.amdhsa_next_free_vgpr 1
		.amdhsa_next_free_sgpr 1
		.amdhsa_reserve_vcc 0
		.amdhsa_float_round_mode_32 0
		.amdhsa_float_round_mode_16_64 0
		.amdhsa_float_denorm_mode_32 3
		.amdhsa_float_denorm_mode_16_64 3
		.amdhsa_dx10_clamp 1
		.amdhsa_ieee_mode 1
		.amdhsa_fp16_overflow 0
		.amdhsa_workgroup_processor_mode 1
		.amdhsa_memory_ordered 1
		.amdhsa_forward_progress 0
		.amdhsa_shared_vgpr_count 0
		.amdhsa_exception_fp_ieee_invalid_op 0
		.amdhsa_exception_fp_denorm_src 0
		.amdhsa_exception_fp_ieee_div_zero 0
		.amdhsa_exception_fp_ieee_overflow 0
		.amdhsa_exception_fp_ieee_underflow 0
		.amdhsa_exception_fp_ieee_inexact 0
		.amdhsa_exception_int_div_zero 0
	.end_amdhsa_kernel
	.section	.text._ZN7rocprim17ROCPRIM_400000_NS6detail17trampoline_kernelINS0_14default_configENS1_25partition_config_selectorILNS1_17partition_subalgoE5ElNS0_10empty_typeEbEEZZNS1_14partition_implILS5_5ELb0ES3_mN6hipcub16HIPCUB_304000_NS21CountingInputIteratorIllEEPS6_NSA_22TransformInputIteratorIbN2at6native12_GLOBAL__N_19NonZeroOpIbEEPKblEENS0_5tupleIJPlS6_EEENSN_IJSD_SD_EEES6_PiJS6_EEE10hipError_tPvRmT3_T4_T5_T6_T7_T9_mT8_P12ihipStream_tbDpT10_ENKUlT_T0_E_clISt17integral_constantIbLb0EES1A_IbLb1EEEEDaS16_S17_EUlS16_E_NS1_11comp_targetILNS1_3genE8ELNS1_11target_archE1030ELNS1_3gpuE2ELNS1_3repE0EEENS1_30default_config_static_selectorELNS0_4arch9wavefront6targetE0EEEvT1_,"axG",@progbits,_ZN7rocprim17ROCPRIM_400000_NS6detail17trampoline_kernelINS0_14default_configENS1_25partition_config_selectorILNS1_17partition_subalgoE5ElNS0_10empty_typeEbEEZZNS1_14partition_implILS5_5ELb0ES3_mN6hipcub16HIPCUB_304000_NS21CountingInputIteratorIllEEPS6_NSA_22TransformInputIteratorIbN2at6native12_GLOBAL__N_19NonZeroOpIbEEPKblEENS0_5tupleIJPlS6_EEENSN_IJSD_SD_EEES6_PiJS6_EEE10hipError_tPvRmT3_T4_T5_T6_T7_T9_mT8_P12ihipStream_tbDpT10_ENKUlT_T0_E_clISt17integral_constantIbLb0EES1A_IbLb1EEEEDaS16_S17_EUlS16_E_NS1_11comp_targetILNS1_3genE8ELNS1_11target_archE1030ELNS1_3gpuE2ELNS1_3repE0EEENS1_30default_config_static_selectorELNS0_4arch9wavefront6targetE0EEEvT1_,comdat
.Lfunc_end761:
	.size	_ZN7rocprim17ROCPRIM_400000_NS6detail17trampoline_kernelINS0_14default_configENS1_25partition_config_selectorILNS1_17partition_subalgoE5ElNS0_10empty_typeEbEEZZNS1_14partition_implILS5_5ELb0ES3_mN6hipcub16HIPCUB_304000_NS21CountingInputIteratorIllEEPS6_NSA_22TransformInputIteratorIbN2at6native12_GLOBAL__N_19NonZeroOpIbEEPKblEENS0_5tupleIJPlS6_EEENSN_IJSD_SD_EEES6_PiJS6_EEE10hipError_tPvRmT3_T4_T5_T6_T7_T9_mT8_P12ihipStream_tbDpT10_ENKUlT_T0_E_clISt17integral_constantIbLb0EES1A_IbLb1EEEEDaS16_S17_EUlS16_E_NS1_11comp_targetILNS1_3genE8ELNS1_11target_archE1030ELNS1_3gpuE2ELNS1_3repE0EEENS1_30default_config_static_selectorELNS0_4arch9wavefront6targetE0EEEvT1_, .Lfunc_end761-_ZN7rocprim17ROCPRIM_400000_NS6detail17trampoline_kernelINS0_14default_configENS1_25partition_config_selectorILNS1_17partition_subalgoE5ElNS0_10empty_typeEbEEZZNS1_14partition_implILS5_5ELb0ES3_mN6hipcub16HIPCUB_304000_NS21CountingInputIteratorIllEEPS6_NSA_22TransformInputIteratorIbN2at6native12_GLOBAL__N_19NonZeroOpIbEEPKblEENS0_5tupleIJPlS6_EEENSN_IJSD_SD_EEES6_PiJS6_EEE10hipError_tPvRmT3_T4_T5_T6_T7_T9_mT8_P12ihipStream_tbDpT10_ENKUlT_T0_E_clISt17integral_constantIbLb0EES1A_IbLb1EEEEDaS16_S17_EUlS16_E_NS1_11comp_targetILNS1_3genE8ELNS1_11target_archE1030ELNS1_3gpuE2ELNS1_3repE0EEENS1_30default_config_static_selectorELNS0_4arch9wavefront6targetE0EEEvT1_
                                        ; -- End function
	.section	.AMDGPU.csdata,"",@progbits
; Kernel info:
; codeLenInByte = 0
; NumSgprs: 0
; NumVgprs: 0
; ScratchSize: 0
; MemoryBound: 0
; FloatMode: 240
; IeeeMode: 1
; LDSByteSize: 0 bytes/workgroup (compile time only)
; SGPRBlocks: 0
; VGPRBlocks: 0
; NumSGPRsForWavesPerEU: 1
; NumVGPRsForWavesPerEU: 1
; Occupancy: 16
; WaveLimiterHint : 0
; COMPUTE_PGM_RSRC2:SCRATCH_EN: 0
; COMPUTE_PGM_RSRC2:USER_SGPR: 15
; COMPUTE_PGM_RSRC2:TRAP_HANDLER: 0
; COMPUTE_PGM_RSRC2:TGID_X_EN: 1
; COMPUTE_PGM_RSRC2:TGID_Y_EN: 0
; COMPUTE_PGM_RSRC2:TGID_Z_EN: 0
; COMPUTE_PGM_RSRC2:TIDIG_COMP_CNT: 0
	.section	.text._ZN7rocprim17ROCPRIM_400000_NS6detail17trampoline_kernelINS0_14default_configENS1_22reduce_config_selectorIiEEZNS1_11reduce_implILb1ES3_PiS7_iN6hipcub16HIPCUB_304000_NS6detail34convert_binary_result_type_wrapperINS9_3SumENS9_22TransformInputIteratorIbN2at6native12_GLOBAL__N_19NonZeroOpIN3c108BFloat16EEEPKSJ_lEEiEEEE10hipError_tPvRmT1_T2_T3_mT4_P12ihipStream_tbEUlT_E0_NS1_11comp_targetILNS1_3genE0ELNS1_11target_archE4294967295ELNS1_3gpuE0ELNS1_3repE0EEENS1_30default_config_static_selectorELNS0_4arch9wavefront6targetE0EEEvSS_,"axG",@progbits,_ZN7rocprim17ROCPRIM_400000_NS6detail17trampoline_kernelINS0_14default_configENS1_22reduce_config_selectorIiEEZNS1_11reduce_implILb1ES3_PiS7_iN6hipcub16HIPCUB_304000_NS6detail34convert_binary_result_type_wrapperINS9_3SumENS9_22TransformInputIteratorIbN2at6native12_GLOBAL__N_19NonZeroOpIN3c108BFloat16EEEPKSJ_lEEiEEEE10hipError_tPvRmT1_T2_T3_mT4_P12ihipStream_tbEUlT_E0_NS1_11comp_targetILNS1_3genE0ELNS1_11target_archE4294967295ELNS1_3gpuE0ELNS1_3repE0EEENS1_30default_config_static_selectorELNS0_4arch9wavefront6targetE0EEEvSS_,comdat
	.globl	_ZN7rocprim17ROCPRIM_400000_NS6detail17trampoline_kernelINS0_14default_configENS1_22reduce_config_selectorIiEEZNS1_11reduce_implILb1ES3_PiS7_iN6hipcub16HIPCUB_304000_NS6detail34convert_binary_result_type_wrapperINS9_3SumENS9_22TransformInputIteratorIbN2at6native12_GLOBAL__N_19NonZeroOpIN3c108BFloat16EEEPKSJ_lEEiEEEE10hipError_tPvRmT1_T2_T3_mT4_P12ihipStream_tbEUlT_E0_NS1_11comp_targetILNS1_3genE0ELNS1_11target_archE4294967295ELNS1_3gpuE0ELNS1_3repE0EEENS1_30default_config_static_selectorELNS0_4arch9wavefront6targetE0EEEvSS_ ; -- Begin function _ZN7rocprim17ROCPRIM_400000_NS6detail17trampoline_kernelINS0_14default_configENS1_22reduce_config_selectorIiEEZNS1_11reduce_implILb1ES3_PiS7_iN6hipcub16HIPCUB_304000_NS6detail34convert_binary_result_type_wrapperINS9_3SumENS9_22TransformInputIteratorIbN2at6native12_GLOBAL__N_19NonZeroOpIN3c108BFloat16EEEPKSJ_lEEiEEEE10hipError_tPvRmT1_T2_T3_mT4_P12ihipStream_tbEUlT_E0_NS1_11comp_targetILNS1_3genE0ELNS1_11target_archE4294967295ELNS1_3gpuE0ELNS1_3repE0EEENS1_30default_config_static_selectorELNS0_4arch9wavefront6targetE0EEEvSS_
	.p2align	8
	.type	_ZN7rocprim17ROCPRIM_400000_NS6detail17trampoline_kernelINS0_14default_configENS1_22reduce_config_selectorIiEEZNS1_11reduce_implILb1ES3_PiS7_iN6hipcub16HIPCUB_304000_NS6detail34convert_binary_result_type_wrapperINS9_3SumENS9_22TransformInputIteratorIbN2at6native12_GLOBAL__N_19NonZeroOpIN3c108BFloat16EEEPKSJ_lEEiEEEE10hipError_tPvRmT1_T2_T3_mT4_P12ihipStream_tbEUlT_E0_NS1_11comp_targetILNS1_3genE0ELNS1_11target_archE4294967295ELNS1_3gpuE0ELNS1_3repE0EEENS1_30default_config_static_selectorELNS0_4arch9wavefront6targetE0EEEvSS_,@function
_ZN7rocprim17ROCPRIM_400000_NS6detail17trampoline_kernelINS0_14default_configENS1_22reduce_config_selectorIiEEZNS1_11reduce_implILb1ES3_PiS7_iN6hipcub16HIPCUB_304000_NS6detail34convert_binary_result_type_wrapperINS9_3SumENS9_22TransformInputIteratorIbN2at6native12_GLOBAL__N_19NonZeroOpIN3c108BFloat16EEEPKSJ_lEEiEEEE10hipError_tPvRmT1_T2_T3_mT4_P12ihipStream_tbEUlT_E0_NS1_11comp_targetILNS1_3genE0ELNS1_11target_archE4294967295ELNS1_3gpuE0ELNS1_3repE0EEENS1_30default_config_static_selectorELNS0_4arch9wavefront6targetE0EEEvSS_: ; @_ZN7rocprim17ROCPRIM_400000_NS6detail17trampoline_kernelINS0_14default_configENS1_22reduce_config_selectorIiEEZNS1_11reduce_implILb1ES3_PiS7_iN6hipcub16HIPCUB_304000_NS6detail34convert_binary_result_type_wrapperINS9_3SumENS9_22TransformInputIteratorIbN2at6native12_GLOBAL__N_19NonZeroOpIN3c108BFloat16EEEPKSJ_lEEiEEEE10hipError_tPvRmT1_T2_T3_mT4_P12ihipStream_tbEUlT_E0_NS1_11comp_targetILNS1_3genE0ELNS1_11target_archE4294967295ELNS1_3gpuE0ELNS1_3repE0EEENS1_30default_config_static_selectorELNS0_4arch9wavefront6targetE0EEEvSS_
; %bb.0:
	.section	.rodata,"a",@progbits
	.p2align	6, 0x0
	.amdhsa_kernel _ZN7rocprim17ROCPRIM_400000_NS6detail17trampoline_kernelINS0_14default_configENS1_22reduce_config_selectorIiEEZNS1_11reduce_implILb1ES3_PiS7_iN6hipcub16HIPCUB_304000_NS6detail34convert_binary_result_type_wrapperINS9_3SumENS9_22TransformInputIteratorIbN2at6native12_GLOBAL__N_19NonZeroOpIN3c108BFloat16EEEPKSJ_lEEiEEEE10hipError_tPvRmT1_T2_T3_mT4_P12ihipStream_tbEUlT_E0_NS1_11comp_targetILNS1_3genE0ELNS1_11target_archE4294967295ELNS1_3gpuE0ELNS1_3repE0EEENS1_30default_config_static_selectorELNS0_4arch9wavefront6targetE0EEEvSS_
		.amdhsa_group_segment_fixed_size 0
		.amdhsa_private_segment_fixed_size 0
		.amdhsa_kernarg_size 56
		.amdhsa_user_sgpr_count 15
		.amdhsa_user_sgpr_dispatch_ptr 0
		.amdhsa_user_sgpr_queue_ptr 0
		.amdhsa_user_sgpr_kernarg_segment_ptr 1
		.amdhsa_user_sgpr_dispatch_id 0
		.amdhsa_user_sgpr_private_segment_size 0
		.amdhsa_wavefront_size32 1
		.amdhsa_uses_dynamic_stack 0
		.amdhsa_enable_private_segment 0
		.amdhsa_system_sgpr_workgroup_id_x 1
		.amdhsa_system_sgpr_workgroup_id_y 0
		.amdhsa_system_sgpr_workgroup_id_z 0
		.amdhsa_system_sgpr_workgroup_info 0
		.amdhsa_system_vgpr_workitem_id 0
		.amdhsa_next_free_vgpr 1
		.amdhsa_next_free_sgpr 1
		.amdhsa_reserve_vcc 0
		.amdhsa_float_round_mode_32 0
		.amdhsa_float_round_mode_16_64 0
		.amdhsa_float_denorm_mode_32 3
		.amdhsa_float_denorm_mode_16_64 3
		.amdhsa_dx10_clamp 1
		.amdhsa_ieee_mode 1
		.amdhsa_fp16_overflow 0
		.amdhsa_workgroup_processor_mode 1
		.amdhsa_memory_ordered 1
		.amdhsa_forward_progress 0
		.amdhsa_shared_vgpr_count 0
		.amdhsa_exception_fp_ieee_invalid_op 0
		.amdhsa_exception_fp_denorm_src 0
		.amdhsa_exception_fp_ieee_div_zero 0
		.amdhsa_exception_fp_ieee_overflow 0
		.amdhsa_exception_fp_ieee_underflow 0
		.amdhsa_exception_fp_ieee_inexact 0
		.amdhsa_exception_int_div_zero 0
	.end_amdhsa_kernel
	.section	.text._ZN7rocprim17ROCPRIM_400000_NS6detail17trampoline_kernelINS0_14default_configENS1_22reduce_config_selectorIiEEZNS1_11reduce_implILb1ES3_PiS7_iN6hipcub16HIPCUB_304000_NS6detail34convert_binary_result_type_wrapperINS9_3SumENS9_22TransformInputIteratorIbN2at6native12_GLOBAL__N_19NonZeroOpIN3c108BFloat16EEEPKSJ_lEEiEEEE10hipError_tPvRmT1_T2_T3_mT4_P12ihipStream_tbEUlT_E0_NS1_11comp_targetILNS1_3genE0ELNS1_11target_archE4294967295ELNS1_3gpuE0ELNS1_3repE0EEENS1_30default_config_static_selectorELNS0_4arch9wavefront6targetE0EEEvSS_,"axG",@progbits,_ZN7rocprim17ROCPRIM_400000_NS6detail17trampoline_kernelINS0_14default_configENS1_22reduce_config_selectorIiEEZNS1_11reduce_implILb1ES3_PiS7_iN6hipcub16HIPCUB_304000_NS6detail34convert_binary_result_type_wrapperINS9_3SumENS9_22TransformInputIteratorIbN2at6native12_GLOBAL__N_19NonZeroOpIN3c108BFloat16EEEPKSJ_lEEiEEEE10hipError_tPvRmT1_T2_T3_mT4_P12ihipStream_tbEUlT_E0_NS1_11comp_targetILNS1_3genE0ELNS1_11target_archE4294967295ELNS1_3gpuE0ELNS1_3repE0EEENS1_30default_config_static_selectorELNS0_4arch9wavefront6targetE0EEEvSS_,comdat
.Lfunc_end762:
	.size	_ZN7rocprim17ROCPRIM_400000_NS6detail17trampoline_kernelINS0_14default_configENS1_22reduce_config_selectorIiEEZNS1_11reduce_implILb1ES3_PiS7_iN6hipcub16HIPCUB_304000_NS6detail34convert_binary_result_type_wrapperINS9_3SumENS9_22TransformInputIteratorIbN2at6native12_GLOBAL__N_19NonZeroOpIN3c108BFloat16EEEPKSJ_lEEiEEEE10hipError_tPvRmT1_T2_T3_mT4_P12ihipStream_tbEUlT_E0_NS1_11comp_targetILNS1_3genE0ELNS1_11target_archE4294967295ELNS1_3gpuE0ELNS1_3repE0EEENS1_30default_config_static_selectorELNS0_4arch9wavefront6targetE0EEEvSS_, .Lfunc_end762-_ZN7rocprim17ROCPRIM_400000_NS6detail17trampoline_kernelINS0_14default_configENS1_22reduce_config_selectorIiEEZNS1_11reduce_implILb1ES3_PiS7_iN6hipcub16HIPCUB_304000_NS6detail34convert_binary_result_type_wrapperINS9_3SumENS9_22TransformInputIteratorIbN2at6native12_GLOBAL__N_19NonZeroOpIN3c108BFloat16EEEPKSJ_lEEiEEEE10hipError_tPvRmT1_T2_T3_mT4_P12ihipStream_tbEUlT_E0_NS1_11comp_targetILNS1_3genE0ELNS1_11target_archE4294967295ELNS1_3gpuE0ELNS1_3repE0EEENS1_30default_config_static_selectorELNS0_4arch9wavefront6targetE0EEEvSS_
                                        ; -- End function
	.section	.AMDGPU.csdata,"",@progbits
; Kernel info:
; codeLenInByte = 0
; NumSgprs: 0
; NumVgprs: 0
; ScratchSize: 0
; MemoryBound: 0
; FloatMode: 240
; IeeeMode: 1
; LDSByteSize: 0 bytes/workgroup (compile time only)
; SGPRBlocks: 0
; VGPRBlocks: 0
; NumSGPRsForWavesPerEU: 1
; NumVGPRsForWavesPerEU: 1
; Occupancy: 16
; WaveLimiterHint : 0
; COMPUTE_PGM_RSRC2:SCRATCH_EN: 0
; COMPUTE_PGM_RSRC2:USER_SGPR: 15
; COMPUTE_PGM_RSRC2:TRAP_HANDLER: 0
; COMPUTE_PGM_RSRC2:TGID_X_EN: 1
; COMPUTE_PGM_RSRC2:TGID_Y_EN: 0
; COMPUTE_PGM_RSRC2:TGID_Z_EN: 0
; COMPUTE_PGM_RSRC2:TIDIG_COMP_CNT: 0
	.section	.text._ZN7rocprim17ROCPRIM_400000_NS6detail17trampoline_kernelINS0_14default_configENS1_22reduce_config_selectorIiEEZNS1_11reduce_implILb1ES3_PiS7_iN6hipcub16HIPCUB_304000_NS6detail34convert_binary_result_type_wrapperINS9_3SumENS9_22TransformInputIteratorIbN2at6native12_GLOBAL__N_19NonZeroOpIN3c108BFloat16EEEPKSJ_lEEiEEEE10hipError_tPvRmT1_T2_T3_mT4_P12ihipStream_tbEUlT_E0_NS1_11comp_targetILNS1_3genE5ELNS1_11target_archE942ELNS1_3gpuE9ELNS1_3repE0EEENS1_30default_config_static_selectorELNS0_4arch9wavefront6targetE0EEEvSS_,"axG",@progbits,_ZN7rocprim17ROCPRIM_400000_NS6detail17trampoline_kernelINS0_14default_configENS1_22reduce_config_selectorIiEEZNS1_11reduce_implILb1ES3_PiS7_iN6hipcub16HIPCUB_304000_NS6detail34convert_binary_result_type_wrapperINS9_3SumENS9_22TransformInputIteratorIbN2at6native12_GLOBAL__N_19NonZeroOpIN3c108BFloat16EEEPKSJ_lEEiEEEE10hipError_tPvRmT1_T2_T3_mT4_P12ihipStream_tbEUlT_E0_NS1_11comp_targetILNS1_3genE5ELNS1_11target_archE942ELNS1_3gpuE9ELNS1_3repE0EEENS1_30default_config_static_selectorELNS0_4arch9wavefront6targetE0EEEvSS_,comdat
	.globl	_ZN7rocprim17ROCPRIM_400000_NS6detail17trampoline_kernelINS0_14default_configENS1_22reduce_config_selectorIiEEZNS1_11reduce_implILb1ES3_PiS7_iN6hipcub16HIPCUB_304000_NS6detail34convert_binary_result_type_wrapperINS9_3SumENS9_22TransformInputIteratorIbN2at6native12_GLOBAL__N_19NonZeroOpIN3c108BFloat16EEEPKSJ_lEEiEEEE10hipError_tPvRmT1_T2_T3_mT4_P12ihipStream_tbEUlT_E0_NS1_11comp_targetILNS1_3genE5ELNS1_11target_archE942ELNS1_3gpuE9ELNS1_3repE0EEENS1_30default_config_static_selectorELNS0_4arch9wavefront6targetE0EEEvSS_ ; -- Begin function _ZN7rocprim17ROCPRIM_400000_NS6detail17trampoline_kernelINS0_14default_configENS1_22reduce_config_selectorIiEEZNS1_11reduce_implILb1ES3_PiS7_iN6hipcub16HIPCUB_304000_NS6detail34convert_binary_result_type_wrapperINS9_3SumENS9_22TransformInputIteratorIbN2at6native12_GLOBAL__N_19NonZeroOpIN3c108BFloat16EEEPKSJ_lEEiEEEE10hipError_tPvRmT1_T2_T3_mT4_P12ihipStream_tbEUlT_E0_NS1_11comp_targetILNS1_3genE5ELNS1_11target_archE942ELNS1_3gpuE9ELNS1_3repE0EEENS1_30default_config_static_selectorELNS0_4arch9wavefront6targetE0EEEvSS_
	.p2align	8
	.type	_ZN7rocprim17ROCPRIM_400000_NS6detail17trampoline_kernelINS0_14default_configENS1_22reduce_config_selectorIiEEZNS1_11reduce_implILb1ES3_PiS7_iN6hipcub16HIPCUB_304000_NS6detail34convert_binary_result_type_wrapperINS9_3SumENS9_22TransformInputIteratorIbN2at6native12_GLOBAL__N_19NonZeroOpIN3c108BFloat16EEEPKSJ_lEEiEEEE10hipError_tPvRmT1_T2_T3_mT4_P12ihipStream_tbEUlT_E0_NS1_11comp_targetILNS1_3genE5ELNS1_11target_archE942ELNS1_3gpuE9ELNS1_3repE0EEENS1_30default_config_static_selectorELNS0_4arch9wavefront6targetE0EEEvSS_,@function
_ZN7rocprim17ROCPRIM_400000_NS6detail17trampoline_kernelINS0_14default_configENS1_22reduce_config_selectorIiEEZNS1_11reduce_implILb1ES3_PiS7_iN6hipcub16HIPCUB_304000_NS6detail34convert_binary_result_type_wrapperINS9_3SumENS9_22TransformInputIteratorIbN2at6native12_GLOBAL__N_19NonZeroOpIN3c108BFloat16EEEPKSJ_lEEiEEEE10hipError_tPvRmT1_T2_T3_mT4_P12ihipStream_tbEUlT_E0_NS1_11comp_targetILNS1_3genE5ELNS1_11target_archE942ELNS1_3gpuE9ELNS1_3repE0EEENS1_30default_config_static_selectorELNS0_4arch9wavefront6targetE0EEEvSS_: ; @_ZN7rocprim17ROCPRIM_400000_NS6detail17trampoline_kernelINS0_14default_configENS1_22reduce_config_selectorIiEEZNS1_11reduce_implILb1ES3_PiS7_iN6hipcub16HIPCUB_304000_NS6detail34convert_binary_result_type_wrapperINS9_3SumENS9_22TransformInputIteratorIbN2at6native12_GLOBAL__N_19NonZeroOpIN3c108BFloat16EEEPKSJ_lEEiEEEE10hipError_tPvRmT1_T2_T3_mT4_P12ihipStream_tbEUlT_E0_NS1_11comp_targetILNS1_3genE5ELNS1_11target_archE942ELNS1_3gpuE9ELNS1_3repE0EEENS1_30default_config_static_selectorELNS0_4arch9wavefront6targetE0EEEvSS_
; %bb.0:
	.section	.rodata,"a",@progbits
	.p2align	6, 0x0
	.amdhsa_kernel _ZN7rocprim17ROCPRIM_400000_NS6detail17trampoline_kernelINS0_14default_configENS1_22reduce_config_selectorIiEEZNS1_11reduce_implILb1ES3_PiS7_iN6hipcub16HIPCUB_304000_NS6detail34convert_binary_result_type_wrapperINS9_3SumENS9_22TransformInputIteratorIbN2at6native12_GLOBAL__N_19NonZeroOpIN3c108BFloat16EEEPKSJ_lEEiEEEE10hipError_tPvRmT1_T2_T3_mT4_P12ihipStream_tbEUlT_E0_NS1_11comp_targetILNS1_3genE5ELNS1_11target_archE942ELNS1_3gpuE9ELNS1_3repE0EEENS1_30default_config_static_selectorELNS0_4arch9wavefront6targetE0EEEvSS_
		.amdhsa_group_segment_fixed_size 0
		.amdhsa_private_segment_fixed_size 0
		.amdhsa_kernarg_size 56
		.amdhsa_user_sgpr_count 15
		.amdhsa_user_sgpr_dispatch_ptr 0
		.amdhsa_user_sgpr_queue_ptr 0
		.amdhsa_user_sgpr_kernarg_segment_ptr 1
		.amdhsa_user_sgpr_dispatch_id 0
		.amdhsa_user_sgpr_private_segment_size 0
		.amdhsa_wavefront_size32 1
		.amdhsa_uses_dynamic_stack 0
		.amdhsa_enable_private_segment 0
		.amdhsa_system_sgpr_workgroup_id_x 1
		.amdhsa_system_sgpr_workgroup_id_y 0
		.amdhsa_system_sgpr_workgroup_id_z 0
		.amdhsa_system_sgpr_workgroup_info 0
		.amdhsa_system_vgpr_workitem_id 0
		.amdhsa_next_free_vgpr 1
		.amdhsa_next_free_sgpr 1
		.amdhsa_reserve_vcc 0
		.amdhsa_float_round_mode_32 0
		.amdhsa_float_round_mode_16_64 0
		.amdhsa_float_denorm_mode_32 3
		.amdhsa_float_denorm_mode_16_64 3
		.amdhsa_dx10_clamp 1
		.amdhsa_ieee_mode 1
		.amdhsa_fp16_overflow 0
		.amdhsa_workgroup_processor_mode 1
		.amdhsa_memory_ordered 1
		.amdhsa_forward_progress 0
		.amdhsa_shared_vgpr_count 0
		.amdhsa_exception_fp_ieee_invalid_op 0
		.amdhsa_exception_fp_denorm_src 0
		.amdhsa_exception_fp_ieee_div_zero 0
		.amdhsa_exception_fp_ieee_overflow 0
		.amdhsa_exception_fp_ieee_underflow 0
		.amdhsa_exception_fp_ieee_inexact 0
		.amdhsa_exception_int_div_zero 0
	.end_amdhsa_kernel
	.section	.text._ZN7rocprim17ROCPRIM_400000_NS6detail17trampoline_kernelINS0_14default_configENS1_22reduce_config_selectorIiEEZNS1_11reduce_implILb1ES3_PiS7_iN6hipcub16HIPCUB_304000_NS6detail34convert_binary_result_type_wrapperINS9_3SumENS9_22TransformInputIteratorIbN2at6native12_GLOBAL__N_19NonZeroOpIN3c108BFloat16EEEPKSJ_lEEiEEEE10hipError_tPvRmT1_T2_T3_mT4_P12ihipStream_tbEUlT_E0_NS1_11comp_targetILNS1_3genE5ELNS1_11target_archE942ELNS1_3gpuE9ELNS1_3repE0EEENS1_30default_config_static_selectorELNS0_4arch9wavefront6targetE0EEEvSS_,"axG",@progbits,_ZN7rocprim17ROCPRIM_400000_NS6detail17trampoline_kernelINS0_14default_configENS1_22reduce_config_selectorIiEEZNS1_11reduce_implILb1ES3_PiS7_iN6hipcub16HIPCUB_304000_NS6detail34convert_binary_result_type_wrapperINS9_3SumENS9_22TransformInputIteratorIbN2at6native12_GLOBAL__N_19NonZeroOpIN3c108BFloat16EEEPKSJ_lEEiEEEE10hipError_tPvRmT1_T2_T3_mT4_P12ihipStream_tbEUlT_E0_NS1_11comp_targetILNS1_3genE5ELNS1_11target_archE942ELNS1_3gpuE9ELNS1_3repE0EEENS1_30default_config_static_selectorELNS0_4arch9wavefront6targetE0EEEvSS_,comdat
.Lfunc_end763:
	.size	_ZN7rocprim17ROCPRIM_400000_NS6detail17trampoline_kernelINS0_14default_configENS1_22reduce_config_selectorIiEEZNS1_11reduce_implILb1ES3_PiS7_iN6hipcub16HIPCUB_304000_NS6detail34convert_binary_result_type_wrapperINS9_3SumENS9_22TransformInputIteratorIbN2at6native12_GLOBAL__N_19NonZeroOpIN3c108BFloat16EEEPKSJ_lEEiEEEE10hipError_tPvRmT1_T2_T3_mT4_P12ihipStream_tbEUlT_E0_NS1_11comp_targetILNS1_3genE5ELNS1_11target_archE942ELNS1_3gpuE9ELNS1_3repE0EEENS1_30default_config_static_selectorELNS0_4arch9wavefront6targetE0EEEvSS_, .Lfunc_end763-_ZN7rocprim17ROCPRIM_400000_NS6detail17trampoline_kernelINS0_14default_configENS1_22reduce_config_selectorIiEEZNS1_11reduce_implILb1ES3_PiS7_iN6hipcub16HIPCUB_304000_NS6detail34convert_binary_result_type_wrapperINS9_3SumENS9_22TransformInputIteratorIbN2at6native12_GLOBAL__N_19NonZeroOpIN3c108BFloat16EEEPKSJ_lEEiEEEE10hipError_tPvRmT1_T2_T3_mT4_P12ihipStream_tbEUlT_E0_NS1_11comp_targetILNS1_3genE5ELNS1_11target_archE942ELNS1_3gpuE9ELNS1_3repE0EEENS1_30default_config_static_selectorELNS0_4arch9wavefront6targetE0EEEvSS_
                                        ; -- End function
	.section	.AMDGPU.csdata,"",@progbits
; Kernel info:
; codeLenInByte = 0
; NumSgprs: 0
; NumVgprs: 0
; ScratchSize: 0
; MemoryBound: 0
; FloatMode: 240
; IeeeMode: 1
; LDSByteSize: 0 bytes/workgroup (compile time only)
; SGPRBlocks: 0
; VGPRBlocks: 0
; NumSGPRsForWavesPerEU: 1
; NumVGPRsForWavesPerEU: 1
; Occupancy: 16
; WaveLimiterHint : 0
; COMPUTE_PGM_RSRC2:SCRATCH_EN: 0
; COMPUTE_PGM_RSRC2:USER_SGPR: 15
; COMPUTE_PGM_RSRC2:TRAP_HANDLER: 0
; COMPUTE_PGM_RSRC2:TGID_X_EN: 1
; COMPUTE_PGM_RSRC2:TGID_Y_EN: 0
; COMPUTE_PGM_RSRC2:TGID_Z_EN: 0
; COMPUTE_PGM_RSRC2:TIDIG_COMP_CNT: 0
	.section	.text._ZN7rocprim17ROCPRIM_400000_NS6detail17trampoline_kernelINS0_14default_configENS1_22reduce_config_selectorIiEEZNS1_11reduce_implILb1ES3_PiS7_iN6hipcub16HIPCUB_304000_NS6detail34convert_binary_result_type_wrapperINS9_3SumENS9_22TransformInputIteratorIbN2at6native12_GLOBAL__N_19NonZeroOpIN3c108BFloat16EEEPKSJ_lEEiEEEE10hipError_tPvRmT1_T2_T3_mT4_P12ihipStream_tbEUlT_E0_NS1_11comp_targetILNS1_3genE4ELNS1_11target_archE910ELNS1_3gpuE8ELNS1_3repE0EEENS1_30default_config_static_selectorELNS0_4arch9wavefront6targetE0EEEvSS_,"axG",@progbits,_ZN7rocprim17ROCPRIM_400000_NS6detail17trampoline_kernelINS0_14default_configENS1_22reduce_config_selectorIiEEZNS1_11reduce_implILb1ES3_PiS7_iN6hipcub16HIPCUB_304000_NS6detail34convert_binary_result_type_wrapperINS9_3SumENS9_22TransformInputIteratorIbN2at6native12_GLOBAL__N_19NonZeroOpIN3c108BFloat16EEEPKSJ_lEEiEEEE10hipError_tPvRmT1_T2_T3_mT4_P12ihipStream_tbEUlT_E0_NS1_11comp_targetILNS1_3genE4ELNS1_11target_archE910ELNS1_3gpuE8ELNS1_3repE0EEENS1_30default_config_static_selectorELNS0_4arch9wavefront6targetE0EEEvSS_,comdat
	.globl	_ZN7rocprim17ROCPRIM_400000_NS6detail17trampoline_kernelINS0_14default_configENS1_22reduce_config_selectorIiEEZNS1_11reduce_implILb1ES3_PiS7_iN6hipcub16HIPCUB_304000_NS6detail34convert_binary_result_type_wrapperINS9_3SumENS9_22TransformInputIteratorIbN2at6native12_GLOBAL__N_19NonZeroOpIN3c108BFloat16EEEPKSJ_lEEiEEEE10hipError_tPvRmT1_T2_T3_mT4_P12ihipStream_tbEUlT_E0_NS1_11comp_targetILNS1_3genE4ELNS1_11target_archE910ELNS1_3gpuE8ELNS1_3repE0EEENS1_30default_config_static_selectorELNS0_4arch9wavefront6targetE0EEEvSS_ ; -- Begin function _ZN7rocprim17ROCPRIM_400000_NS6detail17trampoline_kernelINS0_14default_configENS1_22reduce_config_selectorIiEEZNS1_11reduce_implILb1ES3_PiS7_iN6hipcub16HIPCUB_304000_NS6detail34convert_binary_result_type_wrapperINS9_3SumENS9_22TransformInputIteratorIbN2at6native12_GLOBAL__N_19NonZeroOpIN3c108BFloat16EEEPKSJ_lEEiEEEE10hipError_tPvRmT1_T2_T3_mT4_P12ihipStream_tbEUlT_E0_NS1_11comp_targetILNS1_3genE4ELNS1_11target_archE910ELNS1_3gpuE8ELNS1_3repE0EEENS1_30default_config_static_selectorELNS0_4arch9wavefront6targetE0EEEvSS_
	.p2align	8
	.type	_ZN7rocprim17ROCPRIM_400000_NS6detail17trampoline_kernelINS0_14default_configENS1_22reduce_config_selectorIiEEZNS1_11reduce_implILb1ES3_PiS7_iN6hipcub16HIPCUB_304000_NS6detail34convert_binary_result_type_wrapperINS9_3SumENS9_22TransformInputIteratorIbN2at6native12_GLOBAL__N_19NonZeroOpIN3c108BFloat16EEEPKSJ_lEEiEEEE10hipError_tPvRmT1_T2_T3_mT4_P12ihipStream_tbEUlT_E0_NS1_11comp_targetILNS1_3genE4ELNS1_11target_archE910ELNS1_3gpuE8ELNS1_3repE0EEENS1_30default_config_static_selectorELNS0_4arch9wavefront6targetE0EEEvSS_,@function
_ZN7rocprim17ROCPRIM_400000_NS6detail17trampoline_kernelINS0_14default_configENS1_22reduce_config_selectorIiEEZNS1_11reduce_implILb1ES3_PiS7_iN6hipcub16HIPCUB_304000_NS6detail34convert_binary_result_type_wrapperINS9_3SumENS9_22TransformInputIteratorIbN2at6native12_GLOBAL__N_19NonZeroOpIN3c108BFloat16EEEPKSJ_lEEiEEEE10hipError_tPvRmT1_T2_T3_mT4_P12ihipStream_tbEUlT_E0_NS1_11comp_targetILNS1_3genE4ELNS1_11target_archE910ELNS1_3gpuE8ELNS1_3repE0EEENS1_30default_config_static_selectorELNS0_4arch9wavefront6targetE0EEEvSS_: ; @_ZN7rocprim17ROCPRIM_400000_NS6detail17trampoline_kernelINS0_14default_configENS1_22reduce_config_selectorIiEEZNS1_11reduce_implILb1ES3_PiS7_iN6hipcub16HIPCUB_304000_NS6detail34convert_binary_result_type_wrapperINS9_3SumENS9_22TransformInputIteratorIbN2at6native12_GLOBAL__N_19NonZeroOpIN3c108BFloat16EEEPKSJ_lEEiEEEE10hipError_tPvRmT1_T2_T3_mT4_P12ihipStream_tbEUlT_E0_NS1_11comp_targetILNS1_3genE4ELNS1_11target_archE910ELNS1_3gpuE8ELNS1_3repE0EEENS1_30default_config_static_selectorELNS0_4arch9wavefront6targetE0EEEvSS_
; %bb.0:
	.section	.rodata,"a",@progbits
	.p2align	6, 0x0
	.amdhsa_kernel _ZN7rocprim17ROCPRIM_400000_NS6detail17trampoline_kernelINS0_14default_configENS1_22reduce_config_selectorIiEEZNS1_11reduce_implILb1ES3_PiS7_iN6hipcub16HIPCUB_304000_NS6detail34convert_binary_result_type_wrapperINS9_3SumENS9_22TransformInputIteratorIbN2at6native12_GLOBAL__N_19NonZeroOpIN3c108BFloat16EEEPKSJ_lEEiEEEE10hipError_tPvRmT1_T2_T3_mT4_P12ihipStream_tbEUlT_E0_NS1_11comp_targetILNS1_3genE4ELNS1_11target_archE910ELNS1_3gpuE8ELNS1_3repE0EEENS1_30default_config_static_selectorELNS0_4arch9wavefront6targetE0EEEvSS_
		.amdhsa_group_segment_fixed_size 0
		.amdhsa_private_segment_fixed_size 0
		.amdhsa_kernarg_size 56
		.amdhsa_user_sgpr_count 15
		.amdhsa_user_sgpr_dispatch_ptr 0
		.amdhsa_user_sgpr_queue_ptr 0
		.amdhsa_user_sgpr_kernarg_segment_ptr 1
		.amdhsa_user_sgpr_dispatch_id 0
		.amdhsa_user_sgpr_private_segment_size 0
		.amdhsa_wavefront_size32 1
		.amdhsa_uses_dynamic_stack 0
		.amdhsa_enable_private_segment 0
		.amdhsa_system_sgpr_workgroup_id_x 1
		.amdhsa_system_sgpr_workgroup_id_y 0
		.amdhsa_system_sgpr_workgroup_id_z 0
		.amdhsa_system_sgpr_workgroup_info 0
		.amdhsa_system_vgpr_workitem_id 0
		.amdhsa_next_free_vgpr 1
		.amdhsa_next_free_sgpr 1
		.amdhsa_reserve_vcc 0
		.amdhsa_float_round_mode_32 0
		.amdhsa_float_round_mode_16_64 0
		.amdhsa_float_denorm_mode_32 3
		.amdhsa_float_denorm_mode_16_64 3
		.amdhsa_dx10_clamp 1
		.amdhsa_ieee_mode 1
		.amdhsa_fp16_overflow 0
		.amdhsa_workgroup_processor_mode 1
		.amdhsa_memory_ordered 1
		.amdhsa_forward_progress 0
		.amdhsa_shared_vgpr_count 0
		.amdhsa_exception_fp_ieee_invalid_op 0
		.amdhsa_exception_fp_denorm_src 0
		.amdhsa_exception_fp_ieee_div_zero 0
		.amdhsa_exception_fp_ieee_overflow 0
		.amdhsa_exception_fp_ieee_underflow 0
		.amdhsa_exception_fp_ieee_inexact 0
		.amdhsa_exception_int_div_zero 0
	.end_amdhsa_kernel
	.section	.text._ZN7rocprim17ROCPRIM_400000_NS6detail17trampoline_kernelINS0_14default_configENS1_22reduce_config_selectorIiEEZNS1_11reduce_implILb1ES3_PiS7_iN6hipcub16HIPCUB_304000_NS6detail34convert_binary_result_type_wrapperINS9_3SumENS9_22TransformInputIteratorIbN2at6native12_GLOBAL__N_19NonZeroOpIN3c108BFloat16EEEPKSJ_lEEiEEEE10hipError_tPvRmT1_T2_T3_mT4_P12ihipStream_tbEUlT_E0_NS1_11comp_targetILNS1_3genE4ELNS1_11target_archE910ELNS1_3gpuE8ELNS1_3repE0EEENS1_30default_config_static_selectorELNS0_4arch9wavefront6targetE0EEEvSS_,"axG",@progbits,_ZN7rocprim17ROCPRIM_400000_NS6detail17trampoline_kernelINS0_14default_configENS1_22reduce_config_selectorIiEEZNS1_11reduce_implILb1ES3_PiS7_iN6hipcub16HIPCUB_304000_NS6detail34convert_binary_result_type_wrapperINS9_3SumENS9_22TransformInputIteratorIbN2at6native12_GLOBAL__N_19NonZeroOpIN3c108BFloat16EEEPKSJ_lEEiEEEE10hipError_tPvRmT1_T2_T3_mT4_P12ihipStream_tbEUlT_E0_NS1_11comp_targetILNS1_3genE4ELNS1_11target_archE910ELNS1_3gpuE8ELNS1_3repE0EEENS1_30default_config_static_selectorELNS0_4arch9wavefront6targetE0EEEvSS_,comdat
.Lfunc_end764:
	.size	_ZN7rocprim17ROCPRIM_400000_NS6detail17trampoline_kernelINS0_14default_configENS1_22reduce_config_selectorIiEEZNS1_11reduce_implILb1ES3_PiS7_iN6hipcub16HIPCUB_304000_NS6detail34convert_binary_result_type_wrapperINS9_3SumENS9_22TransformInputIteratorIbN2at6native12_GLOBAL__N_19NonZeroOpIN3c108BFloat16EEEPKSJ_lEEiEEEE10hipError_tPvRmT1_T2_T3_mT4_P12ihipStream_tbEUlT_E0_NS1_11comp_targetILNS1_3genE4ELNS1_11target_archE910ELNS1_3gpuE8ELNS1_3repE0EEENS1_30default_config_static_selectorELNS0_4arch9wavefront6targetE0EEEvSS_, .Lfunc_end764-_ZN7rocprim17ROCPRIM_400000_NS6detail17trampoline_kernelINS0_14default_configENS1_22reduce_config_selectorIiEEZNS1_11reduce_implILb1ES3_PiS7_iN6hipcub16HIPCUB_304000_NS6detail34convert_binary_result_type_wrapperINS9_3SumENS9_22TransformInputIteratorIbN2at6native12_GLOBAL__N_19NonZeroOpIN3c108BFloat16EEEPKSJ_lEEiEEEE10hipError_tPvRmT1_T2_T3_mT4_P12ihipStream_tbEUlT_E0_NS1_11comp_targetILNS1_3genE4ELNS1_11target_archE910ELNS1_3gpuE8ELNS1_3repE0EEENS1_30default_config_static_selectorELNS0_4arch9wavefront6targetE0EEEvSS_
                                        ; -- End function
	.section	.AMDGPU.csdata,"",@progbits
; Kernel info:
; codeLenInByte = 0
; NumSgprs: 0
; NumVgprs: 0
; ScratchSize: 0
; MemoryBound: 0
; FloatMode: 240
; IeeeMode: 1
; LDSByteSize: 0 bytes/workgroup (compile time only)
; SGPRBlocks: 0
; VGPRBlocks: 0
; NumSGPRsForWavesPerEU: 1
; NumVGPRsForWavesPerEU: 1
; Occupancy: 16
; WaveLimiterHint : 0
; COMPUTE_PGM_RSRC2:SCRATCH_EN: 0
; COMPUTE_PGM_RSRC2:USER_SGPR: 15
; COMPUTE_PGM_RSRC2:TRAP_HANDLER: 0
; COMPUTE_PGM_RSRC2:TGID_X_EN: 1
; COMPUTE_PGM_RSRC2:TGID_Y_EN: 0
; COMPUTE_PGM_RSRC2:TGID_Z_EN: 0
; COMPUTE_PGM_RSRC2:TIDIG_COMP_CNT: 0
	.section	.text._ZN7rocprim17ROCPRIM_400000_NS6detail17trampoline_kernelINS0_14default_configENS1_22reduce_config_selectorIiEEZNS1_11reduce_implILb1ES3_PiS7_iN6hipcub16HIPCUB_304000_NS6detail34convert_binary_result_type_wrapperINS9_3SumENS9_22TransformInputIteratorIbN2at6native12_GLOBAL__N_19NonZeroOpIN3c108BFloat16EEEPKSJ_lEEiEEEE10hipError_tPvRmT1_T2_T3_mT4_P12ihipStream_tbEUlT_E0_NS1_11comp_targetILNS1_3genE3ELNS1_11target_archE908ELNS1_3gpuE7ELNS1_3repE0EEENS1_30default_config_static_selectorELNS0_4arch9wavefront6targetE0EEEvSS_,"axG",@progbits,_ZN7rocprim17ROCPRIM_400000_NS6detail17trampoline_kernelINS0_14default_configENS1_22reduce_config_selectorIiEEZNS1_11reduce_implILb1ES3_PiS7_iN6hipcub16HIPCUB_304000_NS6detail34convert_binary_result_type_wrapperINS9_3SumENS9_22TransformInputIteratorIbN2at6native12_GLOBAL__N_19NonZeroOpIN3c108BFloat16EEEPKSJ_lEEiEEEE10hipError_tPvRmT1_T2_T3_mT4_P12ihipStream_tbEUlT_E0_NS1_11comp_targetILNS1_3genE3ELNS1_11target_archE908ELNS1_3gpuE7ELNS1_3repE0EEENS1_30default_config_static_selectorELNS0_4arch9wavefront6targetE0EEEvSS_,comdat
	.globl	_ZN7rocprim17ROCPRIM_400000_NS6detail17trampoline_kernelINS0_14default_configENS1_22reduce_config_selectorIiEEZNS1_11reduce_implILb1ES3_PiS7_iN6hipcub16HIPCUB_304000_NS6detail34convert_binary_result_type_wrapperINS9_3SumENS9_22TransformInputIteratorIbN2at6native12_GLOBAL__N_19NonZeroOpIN3c108BFloat16EEEPKSJ_lEEiEEEE10hipError_tPvRmT1_T2_T3_mT4_P12ihipStream_tbEUlT_E0_NS1_11comp_targetILNS1_3genE3ELNS1_11target_archE908ELNS1_3gpuE7ELNS1_3repE0EEENS1_30default_config_static_selectorELNS0_4arch9wavefront6targetE0EEEvSS_ ; -- Begin function _ZN7rocprim17ROCPRIM_400000_NS6detail17trampoline_kernelINS0_14default_configENS1_22reduce_config_selectorIiEEZNS1_11reduce_implILb1ES3_PiS7_iN6hipcub16HIPCUB_304000_NS6detail34convert_binary_result_type_wrapperINS9_3SumENS9_22TransformInputIteratorIbN2at6native12_GLOBAL__N_19NonZeroOpIN3c108BFloat16EEEPKSJ_lEEiEEEE10hipError_tPvRmT1_T2_T3_mT4_P12ihipStream_tbEUlT_E0_NS1_11comp_targetILNS1_3genE3ELNS1_11target_archE908ELNS1_3gpuE7ELNS1_3repE0EEENS1_30default_config_static_selectorELNS0_4arch9wavefront6targetE0EEEvSS_
	.p2align	8
	.type	_ZN7rocprim17ROCPRIM_400000_NS6detail17trampoline_kernelINS0_14default_configENS1_22reduce_config_selectorIiEEZNS1_11reduce_implILb1ES3_PiS7_iN6hipcub16HIPCUB_304000_NS6detail34convert_binary_result_type_wrapperINS9_3SumENS9_22TransformInputIteratorIbN2at6native12_GLOBAL__N_19NonZeroOpIN3c108BFloat16EEEPKSJ_lEEiEEEE10hipError_tPvRmT1_T2_T3_mT4_P12ihipStream_tbEUlT_E0_NS1_11comp_targetILNS1_3genE3ELNS1_11target_archE908ELNS1_3gpuE7ELNS1_3repE0EEENS1_30default_config_static_selectorELNS0_4arch9wavefront6targetE0EEEvSS_,@function
_ZN7rocprim17ROCPRIM_400000_NS6detail17trampoline_kernelINS0_14default_configENS1_22reduce_config_selectorIiEEZNS1_11reduce_implILb1ES3_PiS7_iN6hipcub16HIPCUB_304000_NS6detail34convert_binary_result_type_wrapperINS9_3SumENS9_22TransformInputIteratorIbN2at6native12_GLOBAL__N_19NonZeroOpIN3c108BFloat16EEEPKSJ_lEEiEEEE10hipError_tPvRmT1_T2_T3_mT4_P12ihipStream_tbEUlT_E0_NS1_11comp_targetILNS1_3genE3ELNS1_11target_archE908ELNS1_3gpuE7ELNS1_3repE0EEENS1_30default_config_static_selectorELNS0_4arch9wavefront6targetE0EEEvSS_: ; @_ZN7rocprim17ROCPRIM_400000_NS6detail17trampoline_kernelINS0_14default_configENS1_22reduce_config_selectorIiEEZNS1_11reduce_implILb1ES3_PiS7_iN6hipcub16HIPCUB_304000_NS6detail34convert_binary_result_type_wrapperINS9_3SumENS9_22TransformInputIteratorIbN2at6native12_GLOBAL__N_19NonZeroOpIN3c108BFloat16EEEPKSJ_lEEiEEEE10hipError_tPvRmT1_T2_T3_mT4_P12ihipStream_tbEUlT_E0_NS1_11comp_targetILNS1_3genE3ELNS1_11target_archE908ELNS1_3gpuE7ELNS1_3repE0EEENS1_30default_config_static_selectorELNS0_4arch9wavefront6targetE0EEEvSS_
; %bb.0:
	.section	.rodata,"a",@progbits
	.p2align	6, 0x0
	.amdhsa_kernel _ZN7rocprim17ROCPRIM_400000_NS6detail17trampoline_kernelINS0_14default_configENS1_22reduce_config_selectorIiEEZNS1_11reduce_implILb1ES3_PiS7_iN6hipcub16HIPCUB_304000_NS6detail34convert_binary_result_type_wrapperINS9_3SumENS9_22TransformInputIteratorIbN2at6native12_GLOBAL__N_19NonZeroOpIN3c108BFloat16EEEPKSJ_lEEiEEEE10hipError_tPvRmT1_T2_T3_mT4_P12ihipStream_tbEUlT_E0_NS1_11comp_targetILNS1_3genE3ELNS1_11target_archE908ELNS1_3gpuE7ELNS1_3repE0EEENS1_30default_config_static_selectorELNS0_4arch9wavefront6targetE0EEEvSS_
		.amdhsa_group_segment_fixed_size 0
		.amdhsa_private_segment_fixed_size 0
		.amdhsa_kernarg_size 56
		.amdhsa_user_sgpr_count 15
		.amdhsa_user_sgpr_dispatch_ptr 0
		.amdhsa_user_sgpr_queue_ptr 0
		.amdhsa_user_sgpr_kernarg_segment_ptr 1
		.amdhsa_user_sgpr_dispatch_id 0
		.amdhsa_user_sgpr_private_segment_size 0
		.amdhsa_wavefront_size32 1
		.amdhsa_uses_dynamic_stack 0
		.amdhsa_enable_private_segment 0
		.amdhsa_system_sgpr_workgroup_id_x 1
		.amdhsa_system_sgpr_workgroup_id_y 0
		.amdhsa_system_sgpr_workgroup_id_z 0
		.amdhsa_system_sgpr_workgroup_info 0
		.amdhsa_system_vgpr_workitem_id 0
		.amdhsa_next_free_vgpr 1
		.amdhsa_next_free_sgpr 1
		.amdhsa_reserve_vcc 0
		.amdhsa_float_round_mode_32 0
		.amdhsa_float_round_mode_16_64 0
		.amdhsa_float_denorm_mode_32 3
		.amdhsa_float_denorm_mode_16_64 3
		.amdhsa_dx10_clamp 1
		.amdhsa_ieee_mode 1
		.amdhsa_fp16_overflow 0
		.amdhsa_workgroup_processor_mode 1
		.amdhsa_memory_ordered 1
		.amdhsa_forward_progress 0
		.amdhsa_shared_vgpr_count 0
		.amdhsa_exception_fp_ieee_invalid_op 0
		.amdhsa_exception_fp_denorm_src 0
		.amdhsa_exception_fp_ieee_div_zero 0
		.amdhsa_exception_fp_ieee_overflow 0
		.amdhsa_exception_fp_ieee_underflow 0
		.amdhsa_exception_fp_ieee_inexact 0
		.amdhsa_exception_int_div_zero 0
	.end_amdhsa_kernel
	.section	.text._ZN7rocprim17ROCPRIM_400000_NS6detail17trampoline_kernelINS0_14default_configENS1_22reduce_config_selectorIiEEZNS1_11reduce_implILb1ES3_PiS7_iN6hipcub16HIPCUB_304000_NS6detail34convert_binary_result_type_wrapperINS9_3SumENS9_22TransformInputIteratorIbN2at6native12_GLOBAL__N_19NonZeroOpIN3c108BFloat16EEEPKSJ_lEEiEEEE10hipError_tPvRmT1_T2_T3_mT4_P12ihipStream_tbEUlT_E0_NS1_11comp_targetILNS1_3genE3ELNS1_11target_archE908ELNS1_3gpuE7ELNS1_3repE0EEENS1_30default_config_static_selectorELNS0_4arch9wavefront6targetE0EEEvSS_,"axG",@progbits,_ZN7rocprim17ROCPRIM_400000_NS6detail17trampoline_kernelINS0_14default_configENS1_22reduce_config_selectorIiEEZNS1_11reduce_implILb1ES3_PiS7_iN6hipcub16HIPCUB_304000_NS6detail34convert_binary_result_type_wrapperINS9_3SumENS9_22TransformInputIteratorIbN2at6native12_GLOBAL__N_19NonZeroOpIN3c108BFloat16EEEPKSJ_lEEiEEEE10hipError_tPvRmT1_T2_T3_mT4_P12ihipStream_tbEUlT_E0_NS1_11comp_targetILNS1_3genE3ELNS1_11target_archE908ELNS1_3gpuE7ELNS1_3repE0EEENS1_30default_config_static_selectorELNS0_4arch9wavefront6targetE0EEEvSS_,comdat
.Lfunc_end765:
	.size	_ZN7rocprim17ROCPRIM_400000_NS6detail17trampoline_kernelINS0_14default_configENS1_22reduce_config_selectorIiEEZNS1_11reduce_implILb1ES3_PiS7_iN6hipcub16HIPCUB_304000_NS6detail34convert_binary_result_type_wrapperINS9_3SumENS9_22TransformInputIteratorIbN2at6native12_GLOBAL__N_19NonZeroOpIN3c108BFloat16EEEPKSJ_lEEiEEEE10hipError_tPvRmT1_T2_T3_mT4_P12ihipStream_tbEUlT_E0_NS1_11comp_targetILNS1_3genE3ELNS1_11target_archE908ELNS1_3gpuE7ELNS1_3repE0EEENS1_30default_config_static_selectorELNS0_4arch9wavefront6targetE0EEEvSS_, .Lfunc_end765-_ZN7rocprim17ROCPRIM_400000_NS6detail17trampoline_kernelINS0_14default_configENS1_22reduce_config_selectorIiEEZNS1_11reduce_implILb1ES3_PiS7_iN6hipcub16HIPCUB_304000_NS6detail34convert_binary_result_type_wrapperINS9_3SumENS9_22TransformInputIteratorIbN2at6native12_GLOBAL__N_19NonZeroOpIN3c108BFloat16EEEPKSJ_lEEiEEEE10hipError_tPvRmT1_T2_T3_mT4_P12ihipStream_tbEUlT_E0_NS1_11comp_targetILNS1_3genE3ELNS1_11target_archE908ELNS1_3gpuE7ELNS1_3repE0EEENS1_30default_config_static_selectorELNS0_4arch9wavefront6targetE0EEEvSS_
                                        ; -- End function
	.section	.AMDGPU.csdata,"",@progbits
; Kernel info:
; codeLenInByte = 0
; NumSgprs: 0
; NumVgprs: 0
; ScratchSize: 0
; MemoryBound: 0
; FloatMode: 240
; IeeeMode: 1
; LDSByteSize: 0 bytes/workgroup (compile time only)
; SGPRBlocks: 0
; VGPRBlocks: 0
; NumSGPRsForWavesPerEU: 1
; NumVGPRsForWavesPerEU: 1
; Occupancy: 16
; WaveLimiterHint : 0
; COMPUTE_PGM_RSRC2:SCRATCH_EN: 0
; COMPUTE_PGM_RSRC2:USER_SGPR: 15
; COMPUTE_PGM_RSRC2:TRAP_HANDLER: 0
; COMPUTE_PGM_RSRC2:TGID_X_EN: 1
; COMPUTE_PGM_RSRC2:TGID_Y_EN: 0
; COMPUTE_PGM_RSRC2:TGID_Z_EN: 0
; COMPUTE_PGM_RSRC2:TIDIG_COMP_CNT: 0
	.section	.text._ZN7rocprim17ROCPRIM_400000_NS6detail17trampoline_kernelINS0_14default_configENS1_22reduce_config_selectorIiEEZNS1_11reduce_implILb1ES3_PiS7_iN6hipcub16HIPCUB_304000_NS6detail34convert_binary_result_type_wrapperINS9_3SumENS9_22TransformInputIteratorIbN2at6native12_GLOBAL__N_19NonZeroOpIN3c108BFloat16EEEPKSJ_lEEiEEEE10hipError_tPvRmT1_T2_T3_mT4_P12ihipStream_tbEUlT_E0_NS1_11comp_targetILNS1_3genE2ELNS1_11target_archE906ELNS1_3gpuE6ELNS1_3repE0EEENS1_30default_config_static_selectorELNS0_4arch9wavefront6targetE0EEEvSS_,"axG",@progbits,_ZN7rocprim17ROCPRIM_400000_NS6detail17trampoline_kernelINS0_14default_configENS1_22reduce_config_selectorIiEEZNS1_11reduce_implILb1ES3_PiS7_iN6hipcub16HIPCUB_304000_NS6detail34convert_binary_result_type_wrapperINS9_3SumENS9_22TransformInputIteratorIbN2at6native12_GLOBAL__N_19NonZeroOpIN3c108BFloat16EEEPKSJ_lEEiEEEE10hipError_tPvRmT1_T2_T3_mT4_P12ihipStream_tbEUlT_E0_NS1_11comp_targetILNS1_3genE2ELNS1_11target_archE906ELNS1_3gpuE6ELNS1_3repE0EEENS1_30default_config_static_selectorELNS0_4arch9wavefront6targetE0EEEvSS_,comdat
	.globl	_ZN7rocprim17ROCPRIM_400000_NS6detail17trampoline_kernelINS0_14default_configENS1_22reduce_config_selectorIiEEZNS1_11reduce_implILb1ES3_PiS7_iN6hipcub16HIPCUB_304000_NS6detail34convert_binary_result_type_wrapperINS9_3SumENS9_22TransformInputIteratorIbN2at6native12_GLOBAL__N_19NonZeroOpIN3c108BFloat16EEEPKSJ_lEEiEEEE10hipError_tPvRmT1_T2_T3_mT4_P12ihipStream_tbEUlT_E0_NS1_11comp_targetILNS1_3genE2ELNS1_11target_archE906ELNS1_3gpuE6ELNS1_3repE0EEENS1_30default_config_static_selectorELNS0_4arch9wavefront6targetE0EEEvSS_ ; -- Begin function _ZN7rocprim17ROCPRIM_400000_NS6detail17trampoline_kernelINS0_14default_configENS1_22reduce_config_selectorIiEEZNS1_11reduce_implILb1ES3_PiS7_iN6hipcub16HIPCUB_304000_NS6detail34convert_binary_result_type_wrapperINS9_3SumENS9_22TransformInputIteratorIbN2at6native12_GLOBAL__N_19NonZeroOpIN3c108BFloat16EEEPKSJ_lEEiEEEE10hipError_tPvRmT1_T2_T3_mT4_P12ihipStream_tbEUlT_E0_NS1_11comp_targetILNS1_3genE2ELNS1_11target_archE906ELNS1_3gpuE6ELNS1_3repE0EEENS1_30default_config_static_selectorELNS0_4arch9wavefront6targetE0EEEvSS_
	.p2align	8
	.type	_ZN7rocprim17ROCPRIM_400000_NS6detail17trampoline_kernelINS0_14default_configENS1_22reduce_config_selectorIiEEZNS1_11reduce_implILb1ES3_PiS7_iN6hipcub16HIPCUB_304000_NS6detail34convert_binary_result_type_wrapperINS9_3SumENS9_22TransformInputIteratorIbN2at6native12_GLOBAL__N_19NonZeroOpIN3c108BFloat16EEEPKSJ_lEEiEEEE10hipError_tPvRmT1_T2_T3_mT4_P12ihipStream_tbEUlT_E0_NS1_11comp_targetILNS1_3genE2ELNS1_11target_archE906ELNS1_3gpuE6ELNS1_3repE0EEENS1_30default_config_static_selectorELNS0_4arch9wavefront6targetE0EEEvSS_,@function
_ZN7rocprim17ROCPRIM_400000_NS6detail17trampoline_kernelINS0_14default_configENS1_22reduce_config_selectorIiEEZNS1_11reduce_implILb1ES3_PiS7_iN6hipcub16HIPCUB_304000_NS6detail34convert_binary_result_type_wrapperINS9_3SumENS9_22TransformInputIteratorIbN2at6native12_GLOBAL__N_19NonZeroOpIN3c108BFloat16EEEPKSJ_lEEiEEEE10hipError_tPvRmT1_T2_T3_mT4_P12ihipStream_tbEUlT_E0_NS1_11comp_targetILNS1_3genE2ELNS1_11target_archE906ELNS1_3gpuE6ELNS1_3repE0EEENS1_30default_config_static_selectorELNS0_4arch9wavefront6targetE0EEEvSS_: ; @_ZN7rocprim17ROCPRIM_400000_NS6detail17trampoline_kernelINS0_14default_configENS1_22reduce_config_selectorIiEEZNS1_11reduce_implILb1ES3_PiS7_iN6hipcub16HIPCUB_304000_NS6detail34convert_binary_result_type_wrapperINS9_3SumENS9_22TransformInputIteratorIbN2at6native12_GLOBAL__N_19NonZeroOpIN3c108BFloat16EEEPKSJ_lEEiEEEE10hipError_tPvRmT1_T2_T3_mT4_P12ihipStream_tbEUlT_E0_NS1_11comp_targetILNS1_3genE2ELNS1_11target_archE906ELNS1_3gpuE6ELNS1_3repE0EEENS1_30default_config_static_selectorELNS0_4arch9wavefront6targetE0EEEvSS_
; %bb.0:
	.section	.rodata,"a",@progbits
	.p2align	6, 0x0
	.amdhsa_kernel _ZN7rocprim17ROCPRIM_400000_NS6detail17trampoline_kernelINS0_14default_configENS1_22reduce_config_selectorIiEEZNS1_11reduce_implILb1ES3_PiS7_iN6hipcub16HIPCUB_304000_NS6detail34convert_binary_result_type_wrapperINS9_3SumENS9_22TransformInputIteratorIbN2at6native12_GLOBAL__N_19NonZeroOpIN3c108BFloat16EEEPKSJ_lEEiEEEE10hipError_tPvRmT1_T2_T3_mT4_P12ihipStream_tbEUlT_E0_NS1_11comp_targetILNS1_3genE2ELNS1_11target_archE906ELNS1_3gpuE6ELNS1_3repE0EEENS1_30default_config_static_selectorELNS0_4arch9wavefront6targetE0EEEvSS_
		.amdhsa_group_segment_fixed_size 0
		.amdhsa_private_segment_fixed_size 0
		.amdhsa_kernarg_size 56
		.amdhsa_user_sgpr_count 15
		.amdhsa_user_sgpr_dispatch_ptr 0
		.amdhsa_user_sgpr_queue_ptr 0
		.amdhsa_user_sgpr_kernarg_segment_ptr 1
		.amdhsa_user_sgpr_dispatch_id 0
		.amdhsa_user_sgpr_private_segment_size 0
		.amdhsa_wavefront_size32 1
		.amdhsa_uses_dynamic_stack 0
		.amdhsa_enable_private_segment 0
		.amdhsa_system_sgpr_workgroup_id_x 1
		.amdhsa_system_sgpr_workgroup_id_y 0
		.amdhsa_system_sgpr_workgroup_id_z 0
		.amdhsa_system_sgpr_workgroup_info 0
		.amdhsa_system_vgpr_workitem_id 0
		.amdhsa_next_free_vgpr 1
		.amdhsa_next_free_sgpr 1
		.amdhsa_reserve_vcc 0
		.amdhsa_float_round_mode_32 0
		.amdhsa_float_round_mode_16_64 0
		.amdhsa_float_denorm_mode_32 3
		.amdhsa_float_denorm_mode_16_64 3
		.amdhsa_dx10_clamp 1
		.amdhsa_ieee_mode 1
		.amdhsa_fp16_overflow 0
		.amdhsa_workgroup_processor_mode 1
		.amdhsa_memory_ordered 1
		.amdhsa_forward_progress 0
		.amdhsa_shared_vgpr_count 0
		.amdhsa_exception_fp_ieee_invalid_op 0
		.amdhsa_exception_fp_denorm_src 0
		.amdhsa_exception_fp_ieee_div_zero 0
		.amdhsa_exception_fp_ieee_overflow 0
		.amdhsa_exception_fp_ieee_underflow 0
		.amdhsa_exception_fp_ieee_inexact 0
		.amdhsa_exception_int_div_zero 0
	.end_amdhsa_kernel
	.section	.text._ZN7rocprim17ROCPRIM_400000_NS6detail17trampoline_kernelINS0_14default_configENS1_22reduce_config_selectorIiEEZNS1_11reduce_implILb1ES3_PiS7_iN6hipcub16HIPCUB_304000_NS6detail34convert_binary_result_type_wrapperINS9_3SumENS9_22TransformInputIteratorIbN2at6native12_GLOBAL__N_19NonZeroOpIN3c108BFloat16EEEPKSJ_lEEiEEEE10hipError_tPvRmT1_T2_T3_mT4_P12ihipStream_tbEUlT_E0_NS1_11comp_targetILNS1_3genE2ELNS1_11target_archE906ELNS1_3gpuE6ELNS1_3repE0EEENS1_30default_config_static_selectorELNS0_4arch9wavefront6targetE0EEEvSS_,"axG",@progbits,_ZN7rocprim17ROCPRIM_400000_NS6detail17trampoline_kernelINS0_14default_configENS1_22reduce_config_selectorIiEEZNS1_11reduce_implILb1ES3_PiS7_iN6hipcub16HIPCUB_304000_NS6detail34convert_binary_result_type_wrapperINS9_3SumENS9_22TransformInputIteratorIbN2at6native12_GLOBAL__N_19NonZeroOpIN3c108BFloat16EEEPKSJ_lEEiEEEE10hipError_tPvRmT1_T2_T3_mT4_P12ihipStream_tbEUlT_E0_NS1_11comp_targetILNS1_3genE2ELNS1_11target_archE906ELNS1_3gpuE6ELNS1_3repE0EEENS1_30default_config_static_selectorELNS0_4arch9wavefront6targetE0EEEvSS_,comdat
.Lfunc_end766:
	.size	_ZN7rocprim17ROCPRIM_400000_NS6detail17trampoline_kernelINS0_14default_configENS1_22reduce_config_selectorIiEEZNS1_11reduce_implILb1ES3_PiS7_iN6hipcub16HIPCUB_304000_NS6detail34convert_binary_result_type_wrapperINS9_3SumENS9_22TransformInputIteratorIbN2at6native12_GLOBAL__N_19NonZeroOpIN3c108BFloat16EEEPKSJ_lEEiEEEE10hipError_tPvRmT1_T2_T3_mT4_P12ihipStream_tbEUlT_E0_NS1_11comp_targetILNS1_3genE2ELNS1_11target_archE906ELNS1_3gpuE6ELNS1_3repE0EEENS1_30default_config_static_selectorELNS0_4arch9wavefront6targetE0EEEvSS_, .Lfunc_end766-_ZN7rocprim17ROCPRIM_400000_NS6detail17trampoline_kernelINS0_14default_configENS1_22reduce_config_selectorIiEEZNS1_11reduce_implILb1ES3_PiS7_iN6hipcub16HIPCUB_304000_NS6detail34convert_binary_result_type_wrapperINS9_3SumENS9_22TransformInputIteratorIbN2at6native12_GLOBAL__N_19NonZeroOpIN3c108BFloat16EEEPKSJ_lEEiEEEE10hipError_tPvRmT1_T2_T3_mT4_P12ihipStream_tbEUlT_E0_NS1_11comp_targetILNS1_3genE2ELNS1_11target_archE906ELNS1_3gpuE6ELNS1_3repE0EEENS1_30default_config_static_selectorELNS0_4arch9wavefront6targetE0EEEvSS_
                                        ; -- End function
	.section	.AMDGPU.csdata,"",@progbits
; Kernel info:
; codeLenInByte = 0
; NumSgprs: 0
; NumVgprs: 0
; ScratchSize: 0
; MemoryBound: 0
; FloatMode: 240
; IeeeMode: 1
; LDSByteSize: 0 bytes/workgroup (compile time only)
; SGPRBlocks: 0
; VGPRBlocks: 0
; NumSGPRsForWavesPerEU: 1
; NumVGPRsForWavesPerEU: 1
; Occupancy: 16
; WaveLimiterHint : 0
; COMPUTE_PGM_RSRC2:SCRATCH_EN: 0
; COMPUTE_PGM_RSRC2:USER_SGPR: 15
; COMPUTE_PGM_RSRC2:TRAP_HANDLER: 0
; COMPUTE_PGM_RSRC2:TGID_X_EN: 1
; COMPUTE_PGM_RSRC2:TGID_Y_EN: 0
; COMPUTE_PGM_RSRC2:TGID_Z_EN: 0
; COMPUTE_PGM_RSRC2:TIDIG_COMP_CNT: 0
	.section	.text._ZN7rocprim17ROCPRIM_400000_NS6detail17trampoline_kernelINS0_14default_configENS1_22reduce_config_selectorIiEEZNS1_11reduce_implILb1ES3_PiS7_iN6hipcub16HIPCUB_304000_NS6detail34convert_binary_result_type_wrapperINS9_3SumENS9_22TransformInputIteratorIbN2at6native12_GLOBAL__N_19NonZeroOpIN3c108BFloat16EEEPKSJ_lEEiEEEE10hipError_tPvRmT1_T2_T3_mT4_P12ihipStream_tbEUlT_E0_NS1_11comp_targetILNS1_3genE10ELNS1_11target_archE1201ELNS1_3gpuE5ELNS1_3repE0EEENS1_30default_config_static_selectorELNS0_4arch9wavefront6targetE0EEEvSS_,"axG",@progbits,_ZN7rocprim17ROCPRIM_400000_NS6detail17trampoline_kernelINS0_14default_configENS1_22reduce_config_selectorIiEEZNS1_11reduce_implILb1ES3_PiS7_iN6hipcub16HIPCUB_304000_NS6detail34convert_binary_result_type_wrapperINS9_3SumENS9_22TransformInputIteratorIbN2at6native12_GLOBAL__N_19NonZeroOpIN3c108BFloat16EEEPKSJ_lEEiEEEE10hipError_tPvRmT1_T2_T3_mT4_P12ihipStream_tbEUlT_E0_NS1_11comp_targetILNS1_3genE10ELNS1_11target_archE1201ELNS1_3gpuE5ELNS1_3repE0EEENS1_30default_config_static_selectorELNS0_4arch9wavefront6targetE0EEEvSS_,comdat
	.globl	_ZN7rocprim17ROCPRIM_400000_NS6detail17trampoline_kernelINS0_14default_configENS1_22reduce_config_selectorIiEEZNS1_11reduce_implILb1ES3_PiS7_iN6hipcub16HIPCUB_304000_NS6detail34convert_binary_result_type_wrapperINS9_3SumENS9_22TransformInputIteratorIbN2at6native12_GLOBAL__N_19NonZeroOpIN3c108BFloat16EEEPKSJ_lEEiEEEE10hipError_tPvRmT1_T2_T3_mT4_P12ihipStream_tbEUlT_E0_NS1_11comp_targetILNS1_3genE10ELNS1_11target_archE1201ELNS1_3gpuE5ELNS1_3repE0EEENS1_30default_config_static_selectorELNS0_4arch9wavefront6targetE0EEEvSS_ ; -- Begin function _ZN7rocprim17ROCPRIM_400000_NS6detail17trampoline_kernelINS0_14default_configENS1_22reduce_config_selectorIiEEZNS1_11reduce_implILb1ES3_PiS7_iN6hipcub16HIPCUB_304000_NS6detail34convert_binary_result_type_wrapperINS9_3SumENS9_22TransformInputIteratorIbN2at6native12_GLOBAL__N_19NonZeroOpIN3c108BFloat16EEEPKSJ_lEEiEEEE10hipError_tPvRmT1_T2_T3_mT4_P12ihipStream_tbEUlT_E0_NS1_11comp_targetILNS1_3genE10ELNS1_11target_archE1201ELNS1_3gpuE5ELNS1_3repE0EEENS1_30default_config_static_selectorELNS0_4arch9wavefront6targetE0EEEvSS_
	.p2align	8
	.type	_ZN7rocprim17ROCPRIM_400000_NS6detail17trampoline_kernelINS0_14default_configENS1_22reduce_config_selectorIiEEZNS1_11reduce_implILb1ES3_PiS7_iN6hipcub16HIPCUB_304000_NS6detail34convert_binary_result_type_wrapperINS9_3SumENS9_22TransformInputIteratorIbN2at6native12_GLOBAL__N_19NonZeroOpIN3c108BFloat16EEEPKSJ_lEEiEEEE10hipError_tPvRmT1_T2_T3_mT4_P12ihipStream_tbEUlT_E0_NS1_11comp_targetILNS1_3genE10ELNS1_11target_archE1201ELNS1_3gpuE5ELNS1_3repE0EEENS1_30default_config_static_selectorELNS0_4arch9wavefront6targetE0EEEvSS_,@function
_ZN7rocprim17ROCPRIM_400000_NS6detail17trampoline_kernelINS0_14default_configENS1_22reduce_config_selectorIiEEZNS1_11reduce_implILb1ES3_PiS7_iN6hipcub16HIPCUB_304000_NS6detail34convert_binary_result_type_wrapperINS9_3SumENS9_22TransformInputIteratorIbN2at6native12_GLOBAL__N_19NonZeroOpIN3c108BFloat16EEEPKSJ_lEEiEEEE10hipError_tPvRmT1_T2_T3_mT4_P12ihipStream_tbEUlT_E0_NS1_11comp_targetILNS1_3genE10ELNS1_11target_archE1201ELNS1_3gpuE5ELNS1_3repE0EEENS1_30default_config_static_selectorELNS0_4arch9wavefront6targetE0EEEvSS_: ; @_ZN7rocprim17ROCPRIM_400000_NS6detail17trampoline_kernelINS0_14default_configENS1_22reduce_config_selectorIiEEZNS1_11reduce_implILb1ES3_PiS7_iN6hipcub16HIPCUB_304000_NS6detail34convert_binary_result_type_wrapperINS9_3SumENS9_22TransformInputIteratorIbN2at6native12_GLOBAL__N_19NonZeroOpIN3c108BFloat16EEEPKSJ_lEEiEEEE10hipError_tPvRmT1_T2_T3_mT4_P12ihipStream_tbEUlT_E0_NS1_11comp_targetILNS1_3genE10ELNS1_11target_archE1201ELNS1_3gpuE5ELNS1_3repE0EEENS1_30default_config_static_selectorELNS0_4arch9wavefront6targetE0EEEvSS_
; %bb.0:
	.section	.rodata,"a",@progbits
	.p2align	6, 0x0
	.amdhsa_kernel _ZN7rocprim17ROCPRIM_400000_NS6detail17trampoline_kernelINS0_14default_configENS1_22reduce_config_selectorIiEEZNS1_11reduce_implILb1ES3_PiS7_iN6hipcub16HIPCUB_304000_NS6detail34convert_binary_result_type_wrapperINS9_3SumENS9_22TransformInputIteratorIbN2at6native12_GLOBAL__N_19NonZeroOpIN3c108BFloat16EEEPKSJ_lEEiEEEE10hipError_tPvRmT1_T2_T3_mT4_P12ihipStream_tbEUlT_E0_NS1_11comp_targetILNS1_3genE10ELNS1_11target_archE1201ELNS1_3gpuE5ELNS1_3repE0EEENS1_30default_config_static_selectorELNS0_4arch9wavefront6targetE0EEEvSS_
		.amdhsa_group_segment_fixed_size 0
		.amdhsa_private_segment_fixed_size 0
		.amdhsa_kernarg_size 56
		.amdhsa_user_sgpr_count 15
		.amdhsa_user_sgpr_dispatch_ptr 0
		.amdhsa_user_sgpr_queue_ptr 0
		.amdhsa_user_sgpr_kernarg_segment_ptr 1
		.amdhsa_user_sgpr_dispatch_id 0
		.amdhsa_user_sgpr_private_segment_size 0
		.amdhsa_wavefront_size32 1
		.amdhsa_uses_dynamic_stack 0
		.amdhsa_enable_private_segment 0
		.amdhsa_system_sgpr_workgroup_id_x 1
		.amdhsa_system_sgpr_workgroup_id_y 0
		.amdhsa_system_sgpr_workgroup_id_z 0
		.amdhsa_system_sgpr_workgroup_info 0
		.amdhsa_system_vgpr_workitem_id 0
		.amdhsa_next_free_vgpr 1
		.amdhsa_next_free_sgpr 1
		.amdhsa_reserve_vcc 0
		.amdhsa_float_round_mode_32 0
		.amdhsa_float_round_mode_16_64 0
		.amdhsa_float_denorm_mode_32 3
		.amdhsa_float_denorm_mode_16_64 3
		.amdhsa_dx10_clamp 1
		.amdhsa_ieee_mode 1
		.amdhsa_fp16_overflow 0
		.amdhsa_workgroup_processor_mode 1
		.amdhsa_memory_ordered 1
		.amdhsa_forward_progress 0
		.amdhsa_shared_vgpr_count 0
		.amdhsa_exception_fp_ieee_invalid_op 0
		.amdhsa_exception_fp_denorm_src 0
		.amdhsa_exception_fp_ieee_div_zero 0
		.amdhsa_exception_fp_ieee_overflow 0
		.amdhsa_exception_fp_ieee_underflow 0
		.amdhsa_exception_fp_ieee_inexact 0
		.amdhsa_exception_int_div_zero 0
	.end_amdhsa_kernel
	.section	.text._ZN7rocprim17ROCPRIM_400000_NS6detail17trampoline_kernelINS0_14default_configENS1_22reduce_config_selectorIiEEZNS1_11reduce_implILb1ES3_PiS7_iN6hipcub16HIPCUB_304000_NS6detail34convert_binary_result_type_wrapperINS9_3SumENS9_22TransformInputIteratorIbN2at6native12_GLOBAL__N_19NonZeroOpIN3c108BFloat16EEEPKSJ_lEEiEEEE10hipError_tPvRmT1_T2_T3_mT4_P12ihipStream_tbEUlT_E0_NS1_11comp_targetILNS1_3genE10ELNS1_11target_archE1201ELNS1_3gpuE5ELNS1_3repE0EEENS1_30default_config_static_selectorELNS0_4arch9wavefront6targetE0EEEvSS_,"axG",@progbits,_ZN7rocprim17ROCPRIM_400000_NS6detail17trampoline_kernelINS0_14default_configENS1_22reduce_config_selectorIiEEZNS1_11reduce_implILb1ES3_PiS7_iN6hipcub16HIPCUB_304000_NS6detail34convert_binary_result_type_wrapperINS9_3SumENS9_22TransformInputIteratorIbN2at6native12_GLOBAL__N_19NonZeroOpIN3c108BFloat16EEEPKSJ_lEEiEEEE10hipError_tPvRmT1_T2_T3_mT4_P12ihipStream_tbEUlT_E0_NS1_11comp_targetILNS1_3genE10ELNS1_11target_archE1201ELNS1_3gpuE5ELNS1_3repE0EEENS1_30default_config_static_selectorELNS0_4arch9wavefront6targetE0EEEvSS_,comdat
.Lfunc_end767:
	.size	_ZN7rocprim17ROCPRIM_400000_NS6detail17trampoline_kernelINS0_14default_configENS1_22reduce_config_selectorIiEEZNS1_11reduce_implILb1ES3_PiS7_iN6hipcub16HIPCUB_304000_NS6detail34convert_binary_result_type_wrapperINS9_3SumENS9_22TransformInputIteratorIbN2at6native12_GLOBAL__N_19NonZeroOpIN3c108BFloat16EEEPKSJ_lEEiEEEE10hipError_tPvRmT1_T2_T3_mT4_P12ihipStream_tbEUlT_E0_NS1_11comp_targetILNS1_3genE10ELNS1_11target_archE1201ELNS1_3gpuE5ELNS1_3repE0EEENS1_30default_config_static_selectorELNS0_4arch9wavefront6targetE0EEEvSS_, .Lfunc_end767-_ZN7rocprim17ROCPRIM_400000_NS6detail17trampoline_kernelINS0_14default_configENS1_22reduce_config_selectorIiEEZNS1_11reduce_implILb1ES3_PiS7_iN6hipcub16HIPCUB_304000_NS6detail34convert_binary_result_type_wrapperINS9_3SumENS9_22TransformInputIteratorIbN2at6native12_GLOBAL__N_19NonZeroOpIN3c108BFloat16EEEPKSJ_lEEiEEEE10hipError_tPvRmT1_T2_T3_mT4_P12ihipStream_tbEUlT_E0_NS1_11comp_targetILNS1_3genE10ELNS1_11target_archE1201ELNS1_3gpuE5ELNS1_3repE0EEENS1_30default_config_static_selectorELNS0_4arch9wavefront6targetE0EEEvSS_
                                        ; -- End function
	.section	.AMDGPU.csdata,"",@progbits
; Kernel info:
; codeLenInByte = 0
; NumSgprs: 0
; NumVgprs: 0
; ScratchSize: 0
; MemoryBound: 0
; FloatMode: 240
; IeeeMode: 1
; LDSByteSize: 0 bytes/workgroup (compile time only)
; SGPRBlocks: 0
; VGPRBlocks: 0
; NumSGPRsForWavesPerEU: 1
; NumVGPRsForWavesPerEU: 1
; Occupancy: 16
; WaveLimiterHint : 0
; COMPUTE_PGM_RSRC2:SCRATCH_EN: 0
; COMPUTE_PGM_RSRC2:USER_SGPR: 15
; COMPUTE_PGM_RSRC2:TRAP_HANDLER: 0
; COMPUTE_PGM_RSRC2:TGID_X_EN: 1
; COMPUTE_PGM_RSRC2:TGID_Y_EN: 0
; COMPUTE_PGM_RSRC2:TGID_Z_EN: 0
; COMPUTE_PGM_RSRC2:TIDIG_COMP_CNT: 0
	.section	.text._ZN7rocprim17ROCPRIM_400000_NS6detail17trampoline_kernelINS0_14default_configENS1_22reduce_config_selectorIiEEZNS1_11reduce_implILb1ES3_PiS7_iN6hipcub16HIPCUB_304000_NS6detail34convert_binary_result_type_wrapperINS9_3SumENS9_22TransformInputIteratorIbN2at6native12_GLOBAL__N_19NonZeroOpIN3c108BFloat16EEEPKSJ_lEEiEEEE10hipError_tPvRmT1_T2_T3_mT4_P12ihipStream_tbEUlT_E0_NS1_11comp_targetILNS1_3genE10ELNS1_11target_archE1200ELNS1_3gpuE4ELNS1_3repE0EEENS1_30default_config_static_selectorELNS0_4arch9wavefront6targetE0EEEvSS_,"axG",@progbits,_ZN7rocprim17ROCPRIM_400000_NS6detail17trampoline_kernelINS0_14default_configENS1_22reduce_config_selectorIiEEZNS1_11reduce_implILb1ES3_PiS7_iN6hipcub16HIPCUB_304000_NS6detail34convert_binary_result_type_wrapperINS9_3SumENS9_22TransformInputIteratorIbN2at6native12_GLOBAL__N_19NonZeroOpIN3c108BFloat16EEEPKSJ_lEEiEEEE10hipError_tPvRmT1_T2_T3_mT4_P12ihipStream_tbEUlT_E0_NS1_11comp_targetILNS1_3genE10ELNS1_11target_archE1200ELNS1_3gpuE4ELNS1_3repE0EEENS1_30default_config_static_selectorELNS0_4arch9wavefront6targetE0EEEvSS_,comdat
	.globl	_ZN7rocprim17ROCPRIM_400000_NS6detail17trampoline_kernelINS0_14default_configENS1_22reduce_config_selectorIiEEZNS1_11reduce_implILb1ES3_PiS7_iN6hipcub16HIPCUB_304000_NS6detail34convert_binary_result_type_wrapperINS9_3SumENS9_22TransformInputIteratorIbN2at6native12_GLOBAL__N_19NonZeroOpIN3c108BFloat16EEEPKSJ_lEEiEEEE10hipError_tPvRmT1_T2_T3_mT4_P12ihipStream_tbEUlT_E0_NS1_11comp_targetILNS1_3genE10ELNS1_11target_archE1200ELNS1_3gpuE4ELNS1_3repE0EEENS1_30default_config_static_selectorELNS0_4arch9wavefront6targetE0EEEvSS_ ; -- Begin function _ZN7rocprim17ROCPRIM_400000_NS6detail17trampoline_kernelINS0_14default_configENS1_22reduce_config_selectorIiEEZNS1_11reduce_implILb1ES3_PiS7_iN6hipcub16HIPCUB_304000_NS6detail34convert_binary_result_type_wrapperINS9_3SumENS9_22TransformInputIteratorIbN2at6native12_GLOBAL__N_19NonZeroOpIN3c108BFloat16EEEPKSJ_lEEiEEEE10hipError_tPvRmT1_T2_T3_mT4_P12ihipStream_tbEUlT_E0_NS1_11comp_targetILNS1_3genE10ELNS1_11target_archE1200ELNS1_3gpuE4ELNS1_3repE0EEENS1_30default_config_static_selectorELNS0_4arch9wavefront6targetE0EEEvSS_
	.p2align	8
	.type	_ZN7rocprim17ROCPRIM_400000_NS6detail17trampoline_kernelINS0_14default_configENS1_22reduce_config_selectorIiEEZNS1_11reduce_implILb1ES3_PiS7_iN6hipcub16HIPCUB_304000_NS6detail34convert_binary_result_type_wrapperINS9_3SumENS9_22TransformInputIteratorIbN2at6native12_GLOBAL__N_19NonZeroOpIN3c108BFloat16EEEPKSJ_lEEiEEEE10hipError_tPvRmT1_T2_T3_mT4_P12ihipStream_tbEUlT_E0_NS1_11comp_targetILNS1_3genE10ELNS1_11target_archE1200ELNS1_3gpuE4ELNS1_3repE0EEENS1_30default_config_static_selectorELNS0_4arch9wavefront6targetE0EEEvSS_,@function
_ZN7rocprim17ROCPRIM_400000_NS6detail17trampoline_kernelINS0_14default_configENS1_22reduce_config_selectorIiEEZNS1_11reduce_implILb1ES3_PiS7_iN6hipcub16HIPCUB_304000_NS6detail34convert_binary_result_type_wrapperINS9_3SumENS9_22TransformInputIteratorIbN2at6native12_GLOBAL__N_19NonZeroOpIN3c108BFloat16EEEPKSJ_lEEiEEEE10hipError_tPvRmT1_T2_T3_mT4_P12ihipStream_tbEUlT_E0_NS1_11comp_targetILNS1_3genE10ELNS1_11target_archE1200ELNS1_3gpuE4ELNS1_3repE0EEENS1_30default_config_static_selectorELNS0_4arch9wavefront6targetE0EEEvSS_: ; @_ZN7rocprim17ROCPRIM_400000_NS6detail17trampoline_kernelINS0_14default_configENS1_22reduce_config_selectorIiEEZNS1_11reduce_implILb1ES3_PiS7_iN6hipcub16HIPCUB_304000_NS6detail34convert_binary_result_type_wrapperINS9_3SumENS9_22TransformInputIteratorIbN2at6native12_GLOBAL__N_19NonZeroOpIN3c108BFloat16EEEPKSJ_lEEiEEEE10hipError_tPvRmT1_T2_T3_mT4_P12ihipStream_tbEUlT_E0_NS1_11comp_targetILNS1_3genE10ELNS1_11target_archE1200ELNS1_3gpuE4ELNS1_3repE0EEENS1_30default_config_static_selectorELNS0_4arch9wavefront6targetE0EEEvSS_
; %bb.0:
	.section	.rodata,"a",@progbits
	.p2align	6, 0x0
	.amdhsa_kernel _ZN7rocprim17ROCPRIM_400000_NS6detail17trampoline_kernelINS0_14default_configENS1_22reduce_config_selectorIiEEZNS1_11reduce_implILb1ES3_PiS7_iN6hipcub16HIPCUB_304000_NS6detail34convert_binary_result_type_wrapperINS9_3SumENS9_22TransformInputIteratorIbN2at6native12_GLOBAL__N_19NonZeroOpIN3c108BFloat16EEEPKSJ_lEEiEEEE10hipError_tPvRmT1_T2_T3_mT4_P12ihipStream_tbEUlT_E0_NS1_11comp_targetILNS1_3genE10ELNS1_11target_archE1200ELNS1_3gpuE4ELNS1_3repE0EEENS1_30default_config_static_selectorELNS0_4arch9wavefront6targetE0EEEvSS_
		.amdhsa_group_segment_fixed_size 0
		.amdhsa_private_segment_fixed_size 0
		.amdhsa_kernarg_size 56
		.amdhsa_user_sgpr_count 15
		.amdhsa_user_sgpr_dispatch_ptr 0
		.amdhsa_user_sgpr_queue_ptr 0
		.amdhsa_user_sgpr_kernarg_segment_ptr 1
		.amdhsa_user_sgpr_dispatch_id 0
		.amdhsa_user_sgpr_private_segment_size 0
		.amdhsa_wavefront_size32 1
		.amdhsa_uses_dynamic_stack 0
		.amdhsa_enable_private_segment 0
		.amdhsa_system_sgpr_workgroup_id_x 1
		.amdhsa_system_sgpr_workgroup_id_y 0
		.amdhsa_system_sgpr_workgroup_id_z 0
		.amdhsa_system_sgpr_workgroup_info 0
		.amdhsa_system_vgpr_workitem_id 0
		.amdhsa_next_free_vgpr 1
		.amdhsa_next_free_sgpr 1
		.amdhsa_reserve_vcc 0
		.amdhsa_float_round_mode_32 0
		.amdhsa_float_round_mode_16_64 0
		.amdhsa_float_denorm_mode_32 3
		.amdhsa_float_denorm_mode_16_64 3
		.amdhsa_dx10_clamp 1
		.amdhsa_ieee_mode 1
		.amdhsa_fp16_overflow 0
		.amdhsa_workgroup_processor_mode 1
		.amdhsa_memory_ordered 1
		.amdhsa_forward_progress 0
		.amdhsa_shared_vgpr_count 0
		.amdhsa_exception_fp_ieee_invalid_op 0
		.amdhsa_exception_fp_denorm_src 0
		.amdhsa_exception_fp_ieee_div_zero 0
		.amdhsa_exception_fp_ieee_overflow 0
		.amdhsa_exception_fp_ieee_underflow 0
		.amdhsa_exception_fp_ieee_inexact 0
		.amdhsa_exception_int_div_zero 0
	.end_amdhsa_kernel
	.section	.text._ZN7rocprim17ROCPRIM_400000_NS6detail17trampoline_kernelINS0_14default_configENS1_22reduce_config_selectorIiEEZNS1_11reduce_implILb1ES3_PiS7_iN6hipcub16HIPCUB_304000_NS6detail34convert_binary_result_type_wrapperINS9_3SumENS9_22TransformInputIteratorIbN2at6native12_GLOBAL__N_19NonZeroOpIN3c108BFloat16EEEPKSJ_lEEiEEEE10hipError_tPvRmT1_T2_T3_mT4_P12ihipStream_tbEUlT_E0_NS1_11comp_targetILNS1_3genE10ELNS1_11target_archE1200ELNS1_3gpuE4ELNS1_3repE0EEENS1_30default_config_static_selectorELNS0_4arch9wavefront6targetE0EEEvSS_,"axG",@progbits,_ZN7rocprim17ROCPRIM_400000_NS6detail17trampoline_kernelINS0_14default_configENS1_22reduce_config_selectorIiEEZNS1_11reduce_implILb1ES3_PiS7_iN6hipcub16HIPCUB_304000_NS6detail34convert_binary_result_type_wrapperINS9_3SumENS9_22TransformInputIteratorIbN2at6native12_GLOBAL__N_19NonZeroOpIN3c108BFloat16EEEPKSJ_lEEiEEEE10hipError_tPvRmT1_T2_T3_mT4_P12ihipStream_tbEUlT_E0_NS1_11comp_targetILNS1_3genE10ELNS1_11target_archE1200ELNS1_3gpuE4ELNS1_3repE0EEENS1_30default_config_static_selectorELNS0_4arch9wavefront6targetE0EEEvSS_,comdat
.Lfunc_end768:
	.size	_ZN7rocprim17ROCPRIM_400000_NS6detail17trampoline_kernelINS0_14default_configENS1_22reduce_config_selectorIiEEZNS1_11reduce_implILb1ES3_PiS7_iN6hipcub16HIPCUB_304000_NS6detail34convert_binary_result_type_wrapperINS9_3SumENS9_22TransformInputIteratorIbN2at6native12_GLOBAL__N_19NonZeroOpIN3c108BFloat16EEEPKSJ_lEEiEEEE10hipError_tPvRmT1_T2_T3_mT4_P12ihipStream_tbEUlT_E0_NS1_11comp_targetILNS1_3genE10ELNS1_11target_archE1200ELNS1_3gpuE4ELNS1_3repE0EEENS1_30default_config_static_selectorELNS0_4arch9wavefront6targetE0EEEvSS_, .Lfunc_end768-_ZN7rocprim17ROCPRIM_400000_NS6detail17trampoline_kernelINS0_14default_configENS1_22reduce_config_selectorIiEEZNS1_11reduce_implILb1ES3_PiS7_iN6hipcub16HIPCUB_304000_NS6detail34convert_binary_result_type_wrapperINS9_3SumENS9_22TransformInputIteratorIbN2at6native12_GLOBAL__N_19NonZeroOpIN3c108BFloat16EEEPKSJ_lEEiEEEE10hipError_tPvRmT1_T2_T3_mT4_P12ihipStream_tbEUlT_E0_NS1_11comp_targetILNS1_3genE10ELNS1_11target_archE1200ELNS1_3gpuE4ELNS1_3repE0EEENS1_30default_config_static_selectorELNS0_4arch9wavefront6targetE0EEEvSS_
                                        ; -- End function
	.section	.AMDGPU.csdata,"",@progbits
; Kernel info:
; codeLenInByte = 0
; NumSgprs: 0
; NumVgprs: 0
; ScratchSize: 0
; MemoryBound: 0
; FloatMode: 240
; IeeeMode: 1
; LDSByteSize: 0 bytes/workgroup (compile time only)
; SGPRBlocks: 0
; VGPRBlocks: 0
; NumSGPRsForWavesPerEU: 1
; NumVGPRsForWavesPerEU: 1
; Occupancy: 16
; WaveLimiterHint : 0
; COMPUTE_PGM_RSRC2:SCRATCH_EN: 0
; COMPUTE_PGM_RSRC2:USER_SGPR: 15
; COMPUTE_PGM_RSRC2:TRAP_HANDLER: 0
; COMPUTE_PGM_RSRC2:TGID_X_EN: 1
; COMPUTE_PGM_RSRC2:TGID_Y_EN: 0
; COMPUTE_PGM_RSRC2:TGID_Z_EN: 0
; COMPUTE_PGM_RSRC2:TIDIG_COMP_CNT: 0
	.section	.text._ZN7rocprim17ROCPRIM_400000_NS6detail17trampoline_kernelINS0_14default_configENS1_22reduce_config_selectorIiEEZNS1_11reduce_implILb1ES3_PiS7_iN6hipcub16HIPCUB_304000_NS6detail34convert_binary_result_type_wrapperINS9_3SumENS9_22TransformInputIteratorIbN2at6native12_GLOBAL__N_19NonZeroOpIN3c108BFloat16EEEPKSJ_lEEiEEEE10hipError_tPvRmT1_T2_T3_mT4_P12ihipStream_tbEUlT_E0_NS1_11comp_targetILNS1_3genE9ELNS1_11target_archE1100ELNS1_3gpuE3ELNS1_3repE0EEENS1_30default_config_static_selectorELNS0_4arch9wavefront6targetE0EEEvSS_,"axG",@progbits,_ZN7rocprim17ROCPRIM_400000_NS6detail17trampoline_kernelINS0_14default_configENS1_22reduce_config_selectorIiEEZNS1_11reduce_implILb1ES3_PiS7_iN6hipcub16HIPCUB_304000_NS6detail34convert_binary_result_type_wrapperINS9_3SumENS9_22TransformInputIteratorIbN2at6native12_GLOBAL__N_19NonZeroOpIN3c108BFloat16EEEPKSJ_lEEiEEEE10hipError_tPvRmT1_T2_T3_mT4_P12ihipStream_tbEUlT_E0_NS1_11comp_targetILNS1_3genE9ELNS1_11target_archE1100ELNS1_3gpuE3ELNS1_3repE0EEENS1_30default_config_static_selectorELNS0_4arch9wavefront6targetE0EEEvSS_,comdat
	.globl	_ZN7rocprim17ROCPRIM_400000_NS6detail17trampoline_kernelINS0_14default_configENS1_22reduce_config_selectorIiEEZNS1_11reduce_implILb1ES3_PiS7_iN6hipcub16HIPCUB_304000_NS6detail34convert_binary_result_type_wrapperINS9_3SumENS9_22TransformInputIteratorIbN2at6native12_GLOBAL__N_19NonZeroOpIN3c108BFloat16EEEPKSJ_lEEiEEEE10hipError_tPvRmT1_T2_T3_mT4_P12ihipStream_tbEUlT_E0_NS1_11comp_targetILNS1_3genE9ELNS1_11target_archE1100ELNS1_3gpuE3ELNS1_3repE0EEENS1_30default_config_static_selectorELNS0_4arch9wavefront6targetE0EEEvSS_ ; -- Begin function _ZN7rocprim17ROCPRIM_400000_NS6detail17trampoline_kernelINS0_14default_configENS1_22reduce_config_selectorIiEEZNS1_11reduce_implILb1ES3_PiS7_iN6hipcub16HIPCUB_304000_NS6detail34convert_binary_result_type_wrapperINS9_3SumENS9_22TransformInputIteratorIbN2at6native12_GLOBAL__N_19NonZeroOpIN3c108BFloat16EEEPKSJ_lEEiEEEE10hipError_tPvRmT1_T2_T3_mT4_P12ihipStream_tbEUlT_E0_NS1_11comp_targetILNS1_3genE9ELNS1_11target_archE1100ELNS1_3gpuE3ELNS1_3repE0EEENS1_30default_config_static_selectorELNS0_4arch9wavefront6targetE0EEEvSS_
	.p2align	8
	.type	_ZN7rocprim17ROCPRIM_400000_NS6detail17trampoline_kernelINS0_14default_configENS1_22reduce_config_selectorIiEEZNS1_11reduce_implILb1ES3_PiS7_iN6hipcub16HIPCUB_304000_NS6detail34convert_binary_result_type_wrapperINS9_3SumENS9_22TransformInputIteratorIbN2at6native12_GLOBAL__N_19NonZeroOpIN3c108BFloat16EEEPKSJ_lEEiEEEE10hipError_tPvRmT1_T2_T3_mT4_P12ihipStream_tbEUlT_E0_NS1_11comp_targetILNS1_3genE9ELNS1_11target_archE1100ELNS1_3gpuE3ELNS1_3repE0EEENS1_30default_config_static_selectorELNS0_4arch9wavefront6targetE0EEEvSS_,@function
_ZN7rocprim17ROCPRIM_400000_NS6detail17trampoline_kernelINS0_14default_configENS1_22reduce_config_selectorIiEEZNS1_11reduce_implILb1ES3_PiS7_iN6hipcub16HIPCUB_304000_NS6detail34convert_binary_result_type_wrapperINS9_3SumENS9_22TransformInputIteratorIbN2at6native12_GLOBAL__N_19NonZeroOpIN3c108BFloat16EEEPKSJ_lEEiEEEE10hipError_tPvRmT1_T2_T3_mT4_P12ihipStream_tbEUlT_E0_NS1_11comp_targetILNS1_3genE9ELNS1_11target_archE1100ELNS1_3gpuE3ELNS1_3repE0EEENS1_30default_config_static_selectorELNS0_4arch9wavefront6targetE0EEEvSS_: ; @_ZN7rocprim17ROCPRIM_400000_NS6detail17trampoline_kernelINS0_14default_configENS1_22reduce_config_selectorIiEEZNS1_11reduce_implILb1ES3_PiS7_iN6hipcub16HIPCUB_304000_NS6detail34convert_binary_result_type_wrapperINS9_3SumENS9_22TransformInputIteratorIbN2at6native12_GLOBAL__N_19NonZeroOpIN3c108BFloat16EEEPKSJ_lEEiEEEE10hipError_tPvRmT1_T2_T3_mT4_P12ihipStream_tbEUlT_E0_NS1_11comp_targetILNS1_3genE9ELNS1_11target_archE1100ELNS1_3gpuE3ELNS1_3repE0EEENS1_30default_config_static_selectorELNS0_4arch9wavefront6targetE0EEEvSS_
; %bb.0:
	s_mov_b32 s16, s15
	s_clause 0x1
	s_load_b256 s[4:11], s[0:1], 0x0
	s_load_b128 s[12:15], s[0:1], 0x20
	s_mov_b32 s3, 0
	v_lshlrev_b32_e32 v10, 2, v0
	v_mbcnt_lo_u32_b32 v9, -1, 0
	s_mov_b32 s17, s3
	s_waitcnt lgkmcnt(0)
	s_lshl_b64 s[6:7], s[6:7], 2
	s_delay_alu instid0(SALU_CYCLE_1) | instskip(SKIP_4) | instid1(SALU_CYCLE_1)
	s_add_u32 s18, s4, s6
	s_addc_u32 s19, s5, s7
	s_lshl_b32 s2, s16, 11
	s_lshr_b64 s[6:7], s[8:9], 11
	s_lshl_b64 s[4:5], s[2:3], 2
	s_add_u32 s18, s18, s4
	s_addc_u32 s19, s19, s5
	s_cmp_lg_u64 s[6:7], s[16:17]
	s_cbranch_scc0 .LBB769_6
; %bb.1:
	v_add_co_u32 v1, s3, s18, v10
	s_clause 0x1
	global_load_b32 v3, v10, s[18:19]
	global_load_b32 v4, v10, s[18:19] offset:1024
	v_add_co_ci_u32_e64 v2, null, s19, 0, s3
	v_add_co_u32 v1, vcc_lo, 0x1000, v1
	s_mov_b32 s3, exec_lo
	s_delay_alu instid0(VALU_DEP_2)
	v_add_co_ci_u32_e32 v2, vcc_lo, 0, v2, vcc_lo
	s_clause 0x5
	global_load_b32 v5, v10, s[18:19] offset:2048
	global_load_b32 v6, v10, s[18:19] offset:3072
	global_load_b32 v7, v[1:2], off
	global_load_b32 v8, v[1:2], off offset:1024
	global_load_b32 v11, v[1:2], off offset:2048
	;; [unrolled: 1-line block ×3, first 2 shown]
	s_waitcnt vmcnt(6)
	v_dual_mov_b32 v3, 0 :: v_dual_add_nc_u32 v2, v4, v3
	s_waitcnt vmcnt(4)
	s_delay_alu instid0(VALU_DEP_1) | instskip(SKIP_1) | instid1(VALU_DEP_1)
	v_add3_u32 v2, v2, v5, v6
	s_waitcnt vmcnt(2)
	v_add3_u32 v2, v2, v7, v8
	s_waitcnt vmcnt(0)
	s_delay_alu instid0(VALU_DEP_1) | instskip(NEXT) | instid1(VALU_DEP_1)
	v_add3_u32 v1, v2, v11, v1
	v_mov_b32_dpp v2, v1 quad_perm:[1,0,3,2] row_mask:0xf bank_mask:0xf
	s_delay_alu instid0(VALU_DEP_1) | instskip(NEXT) | instid1(VALU_DEP_1)
	v_add_nc_u32_e32 v1, v2, v1
	v_mov_b32_dpp v2, v1 quad_perm:[2,3,0,1] row_mask:0xf bank_mask:0xf
	s_delay_alu instid0(VALU_DEP_1) | instskip(NEXT) | instid1(VALU_DEP_1)
	v_add_nc_u32_e32 v1, v1, v2
	v_mov_b32_dpp v2, v1 row_ror:4 row_mask:0xf bank_mask:0xf
	s_delay_alu instid0(VALU_DEP_1) | instskip(NEXT) | instid1(VALU_DEP_1)
	v_add_nc_u32_e32 v1, v1, v2
	v_mov_b32_dpp v2, v1 row_ror:8 row_mask:0xf bank_mask:0xf
	s_delay_alu instid0(VALU_DEP_1)
	v_add_nc_u32_e32 v1, v1, v2
	ds_swizzle_b32 v2, v1 offset:swizzle(BROADCAST,32,15)
	s_waitcnt lgkmcnt(0)
	v_add_nc_u32_e32 v1, v1, v2
	ds_bpermute_b32 v1, v3, v1 offset:124
	v_cmpx_eq_u32_e32 0, v9
	s_cbranch_execz .LBB769_3
; %bb.2:
	v_lshrrev_b32_e32 v2, 3, v0
	s_delay_alu instid0(VALU_DEP_1)
	v_and_b32_e32 v2, 28, v2
	s_waitcnt lgkmcnt(0)
	ds_store_b32 v2, v1
.LBB769_3:
	s_or_b32 exec_lo, exec_lo, s3
	s_delay_alu instid0(SALU_CYCLE_1)
	s_mov_b32 s3, exec_lo
	s_waitcnt lgkmcnt(0)
	s_barrier
	buffer_gl0_inv
	v_cmpx_gt_u32_e32 32, v0
	s_cbranch_execz .LBB769_5
; %bb.4:
	v_and_b32_e32 v1, 7, v9
	s_delay_alu instid0(VALU_DEP_1) | instskip(SKIP_4) | instid1(VALU_DEP_2)
	v_lshlrev_b32_e32 v2, 2, v1
	v_cmp_ne_u32_e32 vcc_lo, 7, v1
	ds_load_b32 v2, v2
	v_add_co_ci_u32_e32 v3, vcc_lo, 0, v9, vcc_lo
	v_cmp_gt_u32_e32 vcc_lo, 6, v1
	v_lshlrev_b32_e32 v3, 2, v3
	v_cndmask_b32_e64 v4, 0, 1, vcc_lo
	v_cmp_gt_u32_e32 vcc_lo, 4, v1
	s_delay_alu instid0(VALU_DEP_2) | instskip(SKIP_1) | instid1(VALU_DEP_2)
	v_lshlrev_b32_e32 v4, 1, v4
	v_cndmask_b32_e64 v1, 0, 1, vcc_lo
	v_add_lshl_u32 v4, v4, v9, 2
	s_delay_alu instid0(VALU_DEP_2)
	v_lshlrev_b32_e32 v1, 2, v1
	s_waitcnt lgkmcnt(0)
	ds_bpermute_b32 v3, v3, v2
	v_add_lshl_u32 v1, v1, v9, 2
	s_waitcnt lgkmcnt(0)
	v_add_nc_u32_e32 v2, v3, v2
	ds_bpermute_b32 v3, v4, v2
	s_waitcnt lgkmcnt(0)
	v_add_nc_u32_e32 v2, v3, v2
	ds_bpermute_b32 v1, v1, v2
	s_waitcnt lgkmcnt(0)
	v_add_nc_u32_e32 v1, v1, v2
.LBB769_5:
	s_or_b32 exec_lo, exec_lo, s3
	s_branch .LBB769_28
.LBB769_6:
                                        ; implicit-def: $vgpr1
	s_cbranch_execz .LBB769_28
; %bb.7:
	s_sub_i32 s20, s8, s2
	s_mov_b32 s2, exec_lo
                                        ; implicit-def: $vgpr1_vgpr2_vgpr3_vgpr4_vgpr5_vgpr6_vgpr7_vgpr8
	v_cmpx_gt_u32_e64 s20, v0
	s_cbranch_execz .LBB769_9
; %bb.8:
	global_load_b32 v1, v10, s[18:19]
.LBB769_9:
	s_or_b32 exec_lo, exec_lo, s2
	v_or_b32_e32 v11, 0x100, v0
	s_delay_alu instid0(VALU_DEP_1)
	v_cmp_gt_u32_e32 vcc_lo, s20, v11
	s_and_saveexec_b32 s2, vcc_lo
	s_cbranch_execz .LBB769_11
; %bb.10:
	global_load_b32 v2, v10, s[18:19] offset:1024
.LBB769_11:
	s_or_b32 exec_lo, exec_lo, s2
	v_or_b32_e32 v11, 0x200, v0
	s_delay_alu instid0(VALU_DEP_1) | instskip(NEXT) | instid1(VALU_DEP_1)
	v_cmp_gt_u32_e64 s2, s20, v11
	s_and_saveexec_b32 s3, s2
	s_cbranch_execz .LBB769_13
; %bb.12:
	global_load_b32 v3, v10, s[18:19] offset:2048
.LBB769_13:
	s_or_b32 exec_lo, exec_lo, s3
	v_or_b32_e32 v11, 0x300, v0
	s_delay_alu instid0(VALU_DEP_1) | instskip(NEXT) | instid1(VALU_DEP_1)
	v_cmp_gt_u32_e64 s3, s20, v11
	s_and_saveexec_b32 s4, s3
	;; [unrolled: 9-line block ×3, first 2 shown]
	s_cbranch_execz .LBB769_17
; %bb.16:
	v_lshlrev_b32_e32 v5, 2, v10
	global_load_b32 v5, v5, s[18:19]
.LBB769_17:
	s_or_b32 exec_lo, exec_lo, s5
	v_or_b32_e32 v10, 0x500, v0
	s_delay_alu instid0(VALU_DEP_1) | instskip(NEXT) | instid1(VALU_DEP_1)
	v_cmp_gt_u32_e64 s5, s20, v10
	s_and_saveexec_b32 s6, s5
	s_cbranch_execz .LBB769_19
; %bb.18:
	v_lshlrev_b32_e32 v6, 2, v10
	global_load_b32 v6, v6, s[18:19]
.LBB769_19:
	s_or_b32 exec_lo, exec_lo, s6
	v_or_b32_e32 v10, 0x600, v0
	s_delay_alu instid0(VALU_DEP_1) | instskip(NEXT) | instid1(VALU_DEP_1)
	v_cmp_gt_u32_e64 s6, s20, v10
	s_and_saveexec_b32 s7, s6
	;; [unrolled: 10-line block ×3, first 2 shown]
	s_cbranch_execz .LBB769_23
; %bb.22:
	v_lshlrev_b32_e32 v8, 2, v10
	global_load_b32 v8, v8, s[18:19]
.LBB769_23:
	s_or_b32 exec_lo, exec_lo, s21
	s_waitcnt vmcnt(0)
	v_cndmask_b32_e32 v2, 0, v2, vcc_lo
	v_cndmask_b32_e64 v3, 0, v3, s2
	v_cndmask_b32_e64 v4, 0, v4, s3
	v_cmp_ne_u32_e32 vcc_lo, 31, v9
	s_min_u32 s2, s20, 0x100
	v_add_nc_u32_e32 v1, v2, v1
	v_cndmask_b32_e64 v2, 0, v5, s4
	v_cndmask_b32_e64 v5, 0, v6, s5
	;; [unrolled: 1-line block ×3, first 2 shown]
	s_mov_b32 s3, exec_lo
	v_add3_u32 v1, v1, v3, v4
	v_cndmask_b32_e64 v3, 0, v8, s7
	v_add_co_ci_u32_e32 v4, vcc_lo, 0, v9, vcc_lo
	v_cmp_gt_u32_e32 vcc_lo, 30, v9
	s_delay_alu instid0(VALU_DEP_4) | instskip(NEXT) | instid1(VALU_DEP_3)
	v_add3_u32 v1, v1, v2, v5
	v_lshlrev_b32_e32 v2, 2, v4
	v_add_nc_u32_e32 v4, 1, v9
	v_cndmask_b32_e64 v5, 0, 1, vcc_lo
	s_delay_alu instid0(VALU_DEP_4) | instskip(SKIP_1) | instid1(VALU_DEP_3)
	v_add3_u32 v1, v1, v6, v3
	v_and_b32_e32 v3, 0xe0, v0
	v_lshlrev_b32_e32 v5, 1, v5
	ds_bpermute_b32 v2, v2, v1
	v_sub_nc_u32_e64 v3, s2, v3 clamp
	s_delay_alu instid0(VALU_DEP_1) | instskip(SKIP_4) | instid1(VALU_DEP_2)
	v_cmp_lt_u32_e32 vcc_lo, v4, v3
	v_add_lshl_u32 v4, v5, v9, 2
	s_waitcnt lgkmcnt(0)
	v_dual_cndmask_b32 v2, 0, v2 :: v_dual_add_nc_u32 v5, 2, v9
	v_cmp_gt_u32_e32 vcc_lo, 28, v9
	v_add_nc_u32_e32 v1, v1, v2
	ds_bpermute_b32 v2, v4, v1
	v_cndmask_b32_e64 v4, 0, 1, vcc_lo
	v_cmp_lt_u32_e32 vcc_lo, v5, v3
	v_add_nc_u32_e32 v5, 4, v9
	s_delay_alu instid0(VALU_DEP_3) | instskip(NEXT) | instid1(VALU_DEP_1)
	v_lshlrev_b32_e32 v4, 2, v4
	v_add_lshl_u32 v4, v4, v9, 2
	s_waitcnt lgkmcnt(0)
	v_cndmask_b32_e32 v2, 0, v2, vcc_lo
	v_cmp_gt_u32_e32 vcc_lo, 24, v9
	s_delay_alu instid0(VALU_DEP_2) | instskip(SKIP_4) | instid1(VALU_DEP_3)
	v_add_nc_u32_e32 v1, v1, v2
	ds_bpermute_b32 v2, v4, v1
	v_cndmask_b32_e64 v4, 0, 1, vcc_lo
	v_cmp_lt_u32_e32 vcc_lo, v5, v3
	v_add_nc_u32_e32 v5, 8, v9
	v_lshlrev_b32_e32 v4, 3, v4
	s_delay_alu instid0(VALU_DEP_1) | instskip(SKIP_3) | instid1(VALU_DEP_2)
	v_add_lshl_u32 v4, v4, v9, 2
	s_waitcnt lgkmcnt(0)
	v_cndmask_b32_e32 v2, 0, v2, vcc_lo
	v_cmp_gt_u32_e32 vcc_lo, 16, v9
	v_add_nc_u32_e32 v1, v1, v2
	ds_bpermute_b32 v2, v4, v1
	v_cndmask_b32_e64 v4, 0, 1, vcc_lo
	v_cmp_lt_u32_e32 vcc_lo, v5, v3
	s_delay_alu instid0(VALU_DEP_2) | instskip(NEXT) | instid1(VALU_DEP_1)
	v_lshlrev_b32_e32 v4, 4, v4
	v_add_lshl_u32 v4, v4, v9, 2
	s_waitcnt lgkmcnt(0)
	v_cndmask_b32_e32 v2, 0, v2, vcc_lo
	s_delay_alu instid0(VALU_DEP_1) | instskip(SKIP_2) | instid1(VALU_DEP_1)
	v_add_nc_u32_e32 v1, v1, v2
	ds_bpermute_b32 v2, v4, v1
	v_add_nc_u32_e32 v4, 16, v9
	v_cmp_lt_u32_e32 vcc_lo, v4, v3
	s_waitcnt lgkmcnt(0)
	v_cndmask_b32_e32 v2, 0, v2, vcc_lo
	s_delay_alu instid0(VALU_DEP_1)
	v_add_nc_u32_e32 v1, v1, v2
	v_cmpx_eq_u32_e32 0, v9
	s_cbranch_execz .LBB769_25
; %bb.24:
	v_lshrrev_b32_e32 v2, 3, v0
	s_delay_alu instid0(VALU_DEP_1)
	v_and_b32_e32 v2, 28, v2
	ds_store_b32 v2, v1 offset:32
.LBB769_25:
	s_or_b32 exec_lo, exec_lo, s3
	s_delay_alu instid0(SALU_CYCLE_1)
	s_mov_b32 s3, exec_lo
	s_waitcnt lgkmcnt(0)
	s_barrier
	buffer_gl0_inv
	v_cmpx_gt_u32_e32 8, v0
	s_cbranch_execz .LBB769_27
; %bb.26:
	v_lshlrev_b32_e32 v1, 2, v9
	v_and_b32_e32 v2, 7, v9
	s_add_i32 s2, s2, 31
	s_delay_alu instid0(SALU_CYCLE_1)
	s_lshr_b32 s2, s2, 5
	ds_load_b32 v1, v1 offset:32
	v_cmp_ne_u32_e32 vcc_lo, 7, v2
	v_add_nc_u32_e32 v5, 1, v2
	v_add_co_ci_u32_e32 v3, vcc_lo, 0, v9, vcc_lo
	v_cmp_gt_u32_e32 vcc_lo, 6, v2
	s_delay_alu instid0(VALU_DEP_2) | instskip(SKIP_2) | instid1(VALU_DEP_2)
	v_lshlrev_b32_e32 v3, 2, v3
	v_cndmask_b32_e64 v4, 0, 1, vcc_lo
	v_cmp_gt_u32_e32 vcc_lo, s2, v5
	v_lshlrev_b32_e32 v4, 1, v4
	s_waitcnt lgkmcnt(0)
	ds_bpermute_b32 v3, v3, v1
	v_add_lshl_u32 v4, v4, v9, 2
	s_waitcnt lgkmcnt(0)
	v_cndmask_b32_e32 v3, 0, v3, vcc_lo
	v_cmp_gt_u32_e32 vcc_lo, 4, v2
	s_delay_alu instid0(VALU_DEP_2) | instskip(SKIP_4) | instid1(VALU_DEP_2)
	v_add_nc_u32_e32 v1, v3, v1
	v_cndmask_b32_e64 v5, 0, 1, vcc_lo
	ds_bpermute_b32 v3, v4, v1
	v_add_nc_u32_e32 v4, 2, v2
	v_add_nc_u32_e32 v2, 4, v2
	v_cmp_gt_u32_e32 vcc_lo, s2, v4
	s_waitcnt lgkmcnt(0)
	v_dual_cndmask_b32 v3, 0, v3 :: v_dual_lshlrev_b32 v4, 2, v5
	s_delay_alu instid0(VALU_DEP_3) | instskip(NEXT) | instid1(VALU_DEP_2)
	v_cmp_gt_u32_e32 vcc_lo, s2, v2
	v_add_nc_u32_e32 v1, v1, v3
	s_delay_alu instid0(VALU_DEP_3) | instskip(SKIP_3) | instid1(VALU_DEP_1)
	v_add_lshl_u32 v3, v4, v9, 2
	ds_bpermute_b32 v3, v3, v1
	s_waitcnt lgkmcnt(0)
	v_cndmask_b32_e32 v2, 0, v3, vcc_lo
	v_add_nc_u32_e32 v1, v1, v2
.LBB769_27:
	s_or_b32 exec_lo, exec_lo, s3
.LBB769_28:
	s_load_b32 s0, s[0:1], 0x30
	s_mov_b32 s1, exec_lo
	v_cmpx_eq_u32_e32 0, v0
	s_cbranch_execz .LBB769_30
; %bb.29:
	s_mul_i32 s1, s14, s13
	s_mul_hi_u32 s2, s14, s12
	s_mul_i32 s3, s15, s12
	s_add_i32 s1, s2, s1
	s_mul_i32 s2, s14, s12
	s_add_i32 s3, s1, s3
	s_delay_alu instid0(SALU_CYCLE_1) | instskip(NEXT) | instid1(SALU_CYCLE_1)
	s_lshl_b64 s[2:3], s[2:3], 2
	s_add_u32 s2, s10, s2
	s_addc_u32 s3, s11, s3
	s_cmp_eq_u64 s[8:9], 0
	s_cselect_b32 s1, -1, 0
	s_waitcnt lgkmcnt(0)
	v_cndmask_b32_e64 v0, v1, s0, s1
	s_lshl_b64 s[0:1], s[16:17], 2
	v_mov_b32_e32 v1, 0
	s_add_u32 s0, s2, s0
	s_addc_u32 s1, s3, s1
	global_store_b32 v1, v0, s[0:1]
.LBB769_30:
	s_nop 0
	s_sendmsg sendmsg(MSG_DEALLOC_VGPRS)
	s_endpgm
	.section	.rodata,"a",@progbits
	.p2align	6, 0x0
	.amdhsa_kernel _ZN7rocprim17ROCPRIM_400000_NS6detail17trampoline_kernelINS0_14default_configENS1_22reduce_config_selectorIiEEZNS1_11reduce_implILb1ES3_PiS7_iN6hipcub16HIPCUB_304000_NS6detail34convert_binary_result_type_wrapperINS9_3SumENS9_22TransformInputIteratorIbN2at6native12_GLOBAL__N_19NonZeroOpIN3c108BFloat16EEEPKSJ_lEEiEEEE10hipError_tPvRmT1_T2_T3_mT4_P12ihipStream_tbEUlT_E0_NS1_11comp_targetILNS1_3genE9ELNS1_11target_archE1100ELNS1_3gpuE3ELNS1_3repE0EEENS1_30default_config_static_selectorELNS0_4arch9wavefront6targetE0EEEvSS_
		.amdhsa_group_segment_fixed_size 64
		.amdhsa_private_segment_fixed_size 0
		.amdhsa_kernarg_size 56
		.amdhsa_user_sgpr_count 15
		.amdhsa_user_sgpr_dispatch_ptr 0
		.amdhsa_user_sgpr_queue_ptr 0
		.amdhsa_user_sgpr_kernarg_segment_ptr 1
		.amdhsa_user_sgpr_dispatch_id 0
		.amdhsa_user_sgpr_private_segment_size 0
		.amdhsa_wavefront_size32 1
		.amdhsa_uses_dynamic_stack 0
		.amdhsa_enable_private_segment 0
		.amdhsa_system_sgpr_workgroup_id_x 1
		.amdhsa_system_sgpr_workgroup_id_y 0
		.amdhsa_system_sgpr_workgroup_id_z 0
		.amdhsa_system_sgpr_workgroup_info 0
		.amdhsa_system_vgpr_workitem_id 0
		.amdhsa_next_free_vgpr 12
		.amdhsa_next_free_sgpr 22
		.amdhsa_reserve_vcc 1
		.amdhsa_float_round_mode_32 0
		.amdhsa_float_round_mode_16_64 0
		.amdhsa_float_denorm_mode_32 3
		.amdhsa_float_denorm_mode_16_64 3
		.amdhsa_dx10_clamp 1
		.amdhsa_ieee_mode 1
		.amdhsa_fp16_overflow 0
		.amdhsa_workgroup_processor_mode 1
		.amdhsa_memory_ordered 1
		.amdhsa_forward_progress 0
		.amdhsa_shared_vgpr_count 0
		.amdhsa_exception_fp_ieee_invalid_op 0
		.amdhsa_exception_fp_denorm_src 0
		.amdhsa_exception_fp_ieee_div_zero 0
		.amdhsa_exception_fp_ieee_overflow 0
		.amdhsa_exception_fp_ieee_underflow 0
		.amdhsa_exception_fp_ieee_inexact 0
		.amdhsa_exception_int_div_zero 0
	.end_amdhsa_kernel
	.section	.text._ZN7rocprim17ROCPRIM_400000_NS6detail17trampoline_kernelINS0_14default_configENS1_22reduce_config_selectorIiEEZNS1_11reduce_implILb1ES3_PiS7_iN6hipcub16HIPCUB_304000_NS6detail34convert_binary_result_type_wrapperINS9_3SumENS9_22TransformInputIteratorIbN2at6native12_GLOBAL__N_19NonZeroOpIN3c108BFloat16EEEPKSJ_lEEiEEEE10hipError_tPvRmT1_T2_T3_mT4_P12ihipStream_tbEUlT_E0_NS1_11comp_targetILNS1_3genE9ELNS1_11target_archE1100ELNS1_3gpuE3ELNS1_3repE0EEENS1_30default_config_static_selectorELNS0_4arch9wavefront6targetE0EEEvSS_,"axG",@progbits,_ZN7rocprim17ROCPRIM_400000_NS6detail17trampoline_kernelINS0_14default_configENS1_22reduce_config_selectorIiEEZNS1_11reduce_implILb1ES3_PiS7_iN6hipcub16HIPCUB_304000_NS6detail34convert_binary_result_type_wrapperINS9_3SumENS9_22TransformInputIteratorIbN2at6native12_GLOBAL__N_19NonZeroOpIN3c108BFloat16EEEPKSJ_lEEiEEEE10hipError_tPvRmT1_T2_T3_mT4_P12ihipStream_tbEUlT_E0_NS1_11comp_targetILNS1_3genE9ELNS1_11target_archE1100ELNS1_3gpuE3ELNS1_3repE0EEENS1_30default_config_static_selectorELNS0_4arch9wavefront6targetE0EEEvSS_,comdat
.Lfunc_end769:
	.size	_ZN7rocprim17ROCPRIM_400000_NS6detail17trampoline_kernelINS0_14default_configENS1_22reduce_config_selectorIiEEZNS1_11reduce_implILb1ES3_PiS7_iN6hipcub16HIPCUB_304000_NS6detail34convert_binary_result_type_wrapperINS9_3SumENS9_22TransformInputIteratorIbN2at6native12_GLOBAL__N_19NonZeroOpIN3c108BFloat16EEEPKSJ_lEEiEEEE10hipError_tPvRmT1_T2_T3_mT4_P12ihipStream_tbEUlT_E0_NS1_11comp_targetILNS1_3genE9ELNS1_11target_archE1100ELNS1_3gpuE3ELNS1_3repE0EEENS1_30default_config_static_selectorELNS0_4arch9wavefront6targetE0EEEvSS_, .Lfunc_end769-_ZN7rocprim17ROCPRIM_400000_NS6detail17trampoline_kernelINS0_14default_configENS1_22reduce_config_selectorIiEEZNS1_11reduce_implILb1ES3_PiS7_iN6hipcub16HIPCUB_304000_NS6detail34convert_binary_result_type_wrapperINS9_3SumENS9_22TransformInputIteratorIbN2at6native12_GLOBAL__N_19NonZeroOpIN3c108BFloat16EEEPKSJ_lEEiEEEE10hipError_tPvRmT1_T2_T3_mT4_P12ihipStream_tbEUlT_E0_NS1_11comp_targetILNS1_3genE9ELNS1_11target_archE1100ELNS1_3gpuE3ELNS1_3repE0EEENS1_30default_config_static_selectorELNS0_4arch9wavefront6targetE0EEEvSS_
                                        ; -- End function
	.section	.AMDGPU.csdata,"",@progbits
; Kernel info:
; codeLenInByte = 1664
; NumSgprs: 24
; NumVgprs: 12
; ScratchSize: 0
; MemoryBound: 0
; FloatMode: 240
; IeeeMode: 1
; LDSByteSize: 64 bytes/workgroup (compile time only)
; SGPRBlocks: 2
; VGPRBlocks: 1
; NumSGPRsForWavesPerEU: 24
; NumVGPRsForWavesPerEU: 12
; Occupancy: 16
; WaveLimiterHint : 1
; COMPUTE_PGM_RSRC2:SCRATCH_EN: 0
; COMPUTE_PGM_RSRC2:USER_SGPR: 15
; COMPUTE_PGM_RSRC2:TRAP_HANDLER: 0
; COMPUTE_PGM_RSRC2:TGID_X_EN: 1
; COMPUTE_PGM_RSRC2:TGID_Y_EN: 0
; COMPUTE_PGM_RSRC2:TGID_Z_EN: 0
; COMPUTE_PGM_RSRC2:TIDIG_COMP_CNT: 0
	.section	.text._ZN7rocprim17ROCPRIM_400000_NS6detail17trampoline_kernelINS0_14default_configENS1_22reduce_config_selectorIiEEZNS1_11reduce_implILb1ES3_PiS7_iN6hipcub16HIPCUB_304000_NS6detail34convert_binary_result_type_wrapperINS9_3SumENS9_22TransformInputIteratorIbN2at6native12_GLOBAL__N_19NonZeroOpIN3c108BFloat16EEEPKSJ_lEEiEEEE10hipError_tPvRmT1_T2_T3_mT4_P12ihipStream_tbEUlT_E0_NS1_11comp_targetILNS1_3genE8ELNS1_11target_archE1030ELNS1_3gpuE2ELNS1_3repE0EEENS1_30default_config_static_selectorELNS0_4arch9wavefront6targetE0EEEvSS_,"axG",@progbits,_ZN7rocprim17ROCPRIM_400000_NS6detail17trampoline_kernelINS0_14default_configENS1_22reduce_config_selectorIiEEZNS1_11reduce_implILb1ES3_PiS7_iN6hipcub16HIPCUB_304000_NS6detail34convert_binary_result_type_wrapperINS9_3SumENS9_22TransformInputIteratorIbN2at6native12_GLOBAL__N_19NonZeroOpIN3c108BFloat16EEEPKSJ_lEEiEEEE10hipError_tPvRmT1_T2_T3_mT4_P12ihipStream_tbEUlT_E0_NS1_11comp_targetILNS1_3genE8ELNS1_11target_archE1030ELNS1_3gpuE2ELNS1_3repE0EEENS1_30default_config_static_selectorELNS0_4arch9wavefront6targetE0EEEvSS_,comdat
	.globl	_ZN7rocprim17ROCPRIM_400000_NS6detail17trampoline_kernelINS0_14default_configENS1_22reduce_config_selectorIiEEZNS1_11reduce_implILb1ES3_PiS7_iN6hipcub16HIPCUB_304000_NS6detail34convert_binary_result_type_wrapperINS9_3SumENS9_22TransformInputIteratorIbN2at6native12_GLOBAL__N_19NonZeroOpIN3c108BFloat16EEEPKSJ_lEEiEEEE10hipError_tPvRmT1_T2_T3_mT4_P12ihipStream_tbEUlT_E0_NS1_11comp_targetILNS1_3genE8ELNS1_11target_archE1030ELNS1_3gpuE2ELNS1_3repE0EEENS1_30default_config_static_selectorELNS0_4arch9wavefront6targetE0EEEvSS_ ; -- Begin function _ZN7rocprim17ROCPRIM_400000_NS6detail17trampoline_kernelINS0_14default_configENS1_22reduce_config_selectorIiEEZNS1_11reduce_implILb1ES3_PiS7_iN6hipcub16HIPCUB_304000_NS6detail34convert_binary_result_type_wrapperINS9_3SumENS9_22TransformInputIteratorIbN2at6native12_GLOBAL__N_19NonZeroOpIN3c108BFloat16EEEPKSJ_lEEiEEEE10hipError_tPvRmT1_T2_T3_mT4_P12ihipStream_tbEUlT_E0_NS1_11comp_targetILNS1_3genE8ELNS1_11target_archE1030ELNS1_3gpuE2ELNS1_3repE0EEENS1_30default_config_static_selectorELNS0_4arch9wavefront6targetE0EEEvSS_
	.p2align	8
	.type	_ZN7rocprim17ROCPRIM_400000_NS6detail17trampoline_kernelINS0_14default_configENS1_22reduce_config_selectorIiEEZNS1_11reduce_implILb1ES3_PiS7_iN6hipcub16HIPCUB_304000_NS6detail34convert_binary_result_type_wrapperINS9_3SumENS9_22TransformInputIteratorIbN2at6native12_GLOBAL__N_19NonZeroOpIN3c108BFloat16EEEPKSJ_lEEiEEEE10hipError_tPvRmT1_T2_T3_mT4_P12ihipStream_tbEUlT_E0_NS1_11comp_targetILNS1_3genE8ELNS1_11target_archE1030ELNS1_3gpuE2ELNS1_3repE0EEENS1_30default_config_static_selectorELNS0_4arch9wavefront6targetE0EEEvSS_,@function
_ZN7rocprim17ROCPRIM_400000_NS6detail17trampoline_kernelINS0_14default_configENS1_22reduce_config_selectorIiEEZNS1_11reduce_implILb1ES3_PiS7_iN6hipcub16HIPCUB_304000_NS6detail34convert_binary_result_type_wrapperINS9_3SumENS9_22TransformInputIteratorIbN2at6native12_GLOBAL__N_19NonZeroOpIN3c108BFloat16EEEPKSJ_lEEiEEEE10hipError_tPvRmT1_T2_T3_mT4_P12ihipStream_tbEUlT_E0_NS1_11comp_targetILNS1_3genE8ELNS1_11target_archE1030ELNS1_3gpuE2ELNS1_3repE0EEENS1_30default_config_static_selectorELNS0_4arch9wavefront6targetE0EEEvSS_: ; @_ZN7rocprim17ROCPRIM_400000_NS6detail17trampoline_kernelINS0_14default_configENS1_22reduce_config_selectorIiEEZNS1_11reduce_implILb1ES3_PiS7_iN6hipcub16HIPCUB_304000_NS6detail34convert_binary_result_type_wrapperINS9_3SumENS9_22TransformInputIteratorIbN2at6native12_GLOBAL__N_19NonZeroOpIN3c108BFloat16EEEPKSJ_lEEiEEEE10hipError_tPvRmT1_T2_T3_mT4_P12ihipStream_tbEUlT_E0_NS1_11comp_targetILNS1_3genE8ELNS1_11target_archE1030ELNS1_3gpuE2ELNS1_3repE0EEENS1_30default_config_static_selectorELNS0_4arch9wavefront6targetE0EEEvSS_
; %bb.0:
	.section	.rodata,"a",@progbits
	.p2align	6, 0x0
	.amdhsa_kernel _ZN7rocprim17ROCPRIM_400000_NS6detail17trampoline_kernelINS0_14default_configENS1_22reduce_config_selectorIiEEZNS1_11reduce_implILb1ES3_PiS7_iN6hipcub16HIPCUB_304000_NS6detail34convert_binary_result_type_wrapperINS9_3SumENS9_22TransformInputIteratorIbN2at6native12_GLOBAL__N_19NonZeroOpIN3c108BFloat16EEEPKSJ_lEEiEEEE10hipError_tPvRmT1_T2_T3_mT4_P12ihipStream_tbEUlT_E0_NS1_11comp_targetILNS1_3genE8ELNS1_11target_archE1030ELNS1_3gpuE2ELNS1_3repE0EEENS1_30default_config_static_selectorELNS0_4arch9wavefront6targetE0EEEvSS_
		.amdhsa_group_segment_fixed_size 0
		.amdhsa_private_segment_fixed_size 0
		.amdhsa_kernarg_size 56
		.amdhsa_user_sgpr_count 15
		.amdhsa_user_sgpr_dispatch_ptr 0
		.amdhsa_user_sgpr_queue_ptr 0
		.amdhsa_user_sgpr_kernarg_segment_ptr 1
		.amdhsa_user_sgpr_dispatch_id 0
		.amdhsa_user_sgpr_private_segment_size 0
		.amdhsa_wavefront_size32 1
		.amdhsa_uses_dynamic_stack 0
		.amdhsa_enable_private_segment 0
		.amdhsa_system_sgpr_workgroup_id_x 1
		.amdhsa_system_sgpr_workgroup_id_y 0
		.amdhsa_system_sgpr_workgroup_id_z 0
		.amdhsa_system_sgpr_workgroup_info 0
		.amdhsa_system_vgpr_workitem_id 0
		.amdhsa_next_free_vgpr 1
		.amdhsa_next_free_sgpr 1
		.amdhsa_reserve_vcc 0
		.amdhsa_float_round_mode_32 0
		.amdhsa_float_round_mode_16_64 0
		.amdhsa_float_denorm_mode_32 3
		.amdhsa_float_denorm_mode_16_64 3
		.amdhsa_dx10_clamp 1
		.amdhsa_ieee_mode 1
		.amdhsa_fp16_overflow 0
		.amdhsa_workgroup_processor_mode 1
		.amdhsa_memory_ordered 1
		.amdhsa_forward_progress 0
		.amdhsa_shared_vgpr_count 0
		.amdhsa_exception_fp_ieee_invalid_op 0
		.amdhsa_exception_fp_denorm_src 0
		.amdhsa_exception_fp_ieee_div_zero 0
		.amdhsa_exception_fp_ieee_overflow 0
		.amdhsa_exception_fp_ieee_underflow 0
		.amdhsa_exception_fp_ieee_inexact 0
		.amdhsa_exception_int_div_zero 0
	.end_amdhsa_kernel
	.section	.text._ZN7rocprim17ROCPRIM_400000_NS6detail17trampoline_kernelINS0_14default_configENS1_22reduce_config_selectorIiEEZNS1_11reduce_implILb1ES3_PiS7_iN6hipcub16HIPCUB_304000_NS6detail34convert_binary_result_type_wrapperINS9_3SumENS9_22TransformInputIteratorIbN2at6native12_GLOBAL__N_19NonZeroOpIN3c108BFloat16EEEPKSJ_lEEiEEEE10hipError_tPvRmT1_T2_T3_mT4_P12ihipStream_tbEUlT_E0_NS1_11comp_targetILNS1_3genE8ELNS1_11target_archE1030ELNS1_3gpuE2ELNS1_3repE0EEENS1_30default_config_static_selectorELNS0_4arch9wavefront6targetE0EEEvSS_,"axG",@progbits,_ZN7rocprim17ROCPRIM_400000_NS6detail17trampoline_kernelINS0_14default_configENS1_22reduce_config_selectorIiEEZNS1_11reduce_implILb1ES3_PiS7_iN6hipcub16HIPCUB_304000_NS6detail34convert_binary_result_type_wrapperINS9_3SumENS9_22TransformInputIteratorIbN2at6native12_GLOBAL__N_19NonZeroOpIN3c108BFloat16EEEPKSJ_lEEiEEEE10hipError_tPvRmT1_T2_T3_mT4_P12ihipStream_tbEUlT_E0_NS1_11comp_targetILNS1_3genE8ELNS1_11target_archE1030ELNS1_3gpuE2ELNS1_3repE0EEENS1_30default_config_static_selectorELNS0_4arch9wavefront6targetE0EEEvSS_,comdat
.Lfunc_end770:
	.size	_ZN7rocprim17ROCPRIM_400000_NS6detail17trampoline_kernelINS0_14default_configENS1_22reduce_config_selectorIiEEZNS1_11reduce_implILb1ES3_PiS7_iN6hipcub16HIPCUB_304000_NS6detail34convert_binary_result_type_wrapperINS9_3SumENS9_22TransformInputIteratorIbN2at6native12_GLOBAL__N_19NonZeroOpIN3c108BFloat16EEEPKSJ_lEEiEEEE10hipError_tPvRmT1_T2_T3_mT4_P12ihipStream_tbEUlT_E0_NS1_11comp_targetILNS1_3genE8ELNS1_11target_archE1030ELNS1_3gpuE2ELNS1_3repE0EEENS1_30default_config_static_selectorELNS0_4arch9wavefront6targetE0EEEvSS_, .Lfunc_end770-_ZN7rocprim17ROCPRIM_400000_NS6detail17trampoline_kernelINS0_14default_configENS1_22reduce_config_selectorIiEEZNS1_11reduce_implILb1ES3_PiS7_iN6hipcub16HIPCUB_304000_NS6detail34convert_binary_result_type_wrapperINS9_3SumENS9_22TransformInputIteratorIbN2at6native12_GLOBAL__N_19NonZeroOpIN3c108BFloat16EEEPKSJ_lEEiEEEE10hipError_tPvRmT1_T2_T3_mT4_P12ihipStream_tbEUlT_E0_NS1_11comp_targetILNS1_3genE8ELNS1_11target_archE1030ELNS1_3gpuE2ELNS1_3repE0EEENS1_30default_config_static_selectorELNS0_4arch9wavefront6targetE0EEEvSS_
                                        ; -- End function
	.section	.AMDGPU.csdata,"",@progbits
; Kernel info:
; codeLenInByte = 0
; NumSgprs: 0
; NumVgprs: 0
; ScratchSize: 0
; MemoryBound: 0
; FloatMode: 240
; IeeeMode: 1
; LDSByteSize: 0 bytes/workgroup (compile time only)
; SGPRBlocks: 0
; VGPRBlocks: 0
; NumSGPRsForWavesPerEU: 1
; NumVGPRsForWavesPerEU: 1
; Occupancy: 16
; WaveLimiterHint : 0
; COMPUTE_PGM_RSRC2:SCRATCH_EN: 0
; COMPUTE_PGM_RSRC2:USER_SGPR: 15
; COMPUTE_PGM_RSRC2:TRAP_HANDLER: 0
; COMPUTE_PGM_RSRC2:TGID_X_EN: 1
; COMPUTE_PGM_RSRC2:TGID_Y_EN: 0
; COMPUTE_PGM_RSRC2:TGID_Z_EN: 0
; COMPUTE_PGM_RSRC2:TIDIG_COMP_CNT: 0
	.section	.text._ZN7rocprim17ROCPRIM_400000_NS6detail17trampoline_kernelINS0_14default_configENS1_22reduce_config_selectorIiEEZNS1_11reduce_implILb1ES3_PiS7_iN6hipcub16HIPCUB_304000_NS6detail34convert_binary_result_type_wrapperINS9_3SumENS9_22TransformInputIteratorIbN2at6native12_GLOBAL__N_19NonZeroOpIN3c108BFloat16EEEPKSJ_lEEiEEEE10hipError_tPvRmT1_T2_T3_mT4_P12ihipStream_tbEUlT_E1_NS1_11comp_targetILNS1_3genE0ELNS1_11target_archE4294967295ELNS1_3gpuE0ELNS1_3repE0EEENS1_30default_config_static_selectorELNS0_4arch9wavefront6targetE0EEEvSS_,"axG",@progbits,_ZN7rocprim17ROCPRIM_400000_NS6detail17trampoline_kernelINS0_14default_configENS1_22reduce_config_selectorIiEEZNS1_11reduce_implILb1ES3_PiS7_iN6hipcub16HIPCUB_304000_NS6detail34convert_binary_result_type_wrapperINS9_3SumENS9_22TransformInputIteratorIbN2at6native12_GLOBAL__N_19NonZeroOpIN3c108BFloat16EEEPKSJ_lEEiEEEE10hipError_tPvRmT1_T2_T3_mT4_P12ihipStream_tbEUlT_E1_NS1_11comp_targetILNS1_3genE0ELNS1_11target_archE4294967295ELNS1_3gpuE0ELNS1_3repE0EEENS1_30default_config_static_selectorELNS0_4arch9wavefront6targetE0EEEvSS_,comdat
	.globl	_ZN7rocprim17ROCPRIM_400000_NS6detail17trampoline_kernelINS0_14default_configENS1_22reduce_config_selectorIiEEZNS1_11reduce_implILb1ES3_PiS7_iN6hipcub16HIPCUB_304000_NS6detail34convert_binary_result_type_wrapperINS9_3SumENS9_22TransformInputIteratorIbN2at6native12_GLOBAL__N_19NonZeroOpIN3c108BFloat16EEEPKSJ_lEEiEEEE10hipError_tPvRmT1_T2_T3_mT4_P12ihipStream_tbEUlT_E1_NS1_11comp_targetILNS1_3genE0ELNS1_11target_archE4294967295ELNS1_3gpuE0ELNS1_3repE0EEENS1_30default_config_static_selectorELNS0_4arch9wavefront6targetE0EEEvSS_ ; -- Begin function _ZN7rocprim17ROCPRIM_400000_NS6detail17trampoline_kernelINS0_14default_configENS1_22reduce_config_selectorIiEEZNS1_11reduce_implILb1ES3_PiS7_iN6hipcub16HIPCUB_304000_NS6detail34convert_binary_result_type_wrapperINS9_3SumENS9_22TransformInputIteratorIbN2at6native12_GLOBAL__N_19NonZeroOpIN3c108BFloat16EEEPKSJ_lEEiEEEE10hipError_tPvRmT1_T2_T3_mT4_P12ihipStream_tbEUlT_E1_NS1_11comp_targetILNS1_3genE0ELNS1_11target_archE4294967295ELNS1_3gpuE0ELNS1_3repE0EEENS1_30default_config_static_selectorELNS0_4arch9wavefront6targetE0EEEvSS_
	.p2align	8
	.type	_ZN7rocprim17ROCPRIM_400000_NS6detail17trampoline_kernelINS0_14default_configENS1_22reduce_config_selectorIiEEZNS1_11reduce_implILb1ES3_PiS7_iN6hipcub16HIPCUB_304000_NS6detail34convert_binary_result_type_wrapperINS9_3SumENS9_22TransformInputIteratorIbN2at6native12_GLOBAL__N_19NonZeroOpIN3c108BFloat16EEEPKSJ_lEEiEEEE10hipError_tPvRmT1_T2_T3_mT4_P12ihipStream_tbEUlT_E1_NS1_11comp_targetILNS1_3genE0ELNS1_11target_archE4294967295ELNS1_3gpuE0ELNS1_3repE0EEENS1_30default_config_static_selectorELNS0_4arch9wavefront6targetE0EEEvSS_,@function
_ZN7rocprim17ROCPRIM_400000_NS6detail17trampoline_kernelINS0_14default_configENS1_22reduce_config_selectorIiEEZNS1_11reduce_implILb1ES3_PiS7_iN6hipcub16HIPCUB_304000_NS6detail34convert_binary_result_type_wrapperINS9_3SumENS9_22TransformInputIteratorIbN2at6native12_GLOBAL__N_19NonZeroOpIN3c108BFloat16EEEPKSJ_lEEiEEEE10hipError_tPvRmT1_T2_T3_mT4_P12ihipStream_tbEUlT_E1_NS1_11comp_targetILNS1_3genE0ELNS1_11target_archE4294967295ELNS1_3gpuE0ELNS1_3repE0EEENS1_30default_config_static_selectorELNS0_4arch9wavefront6targetE0EEEvSS_: ; @_ZN7rocprim17ROCPRIM_400000_NS6detail17trampoline_kernelINS0_14default_configENS1_22reduce_config_selectorIiEEZNS1_11reduce_implILb1ES3_PiS7_iN6hipcub16HIPCUB_304000_NS6detail34convert_binary_result_type_wrapperINS9_3SumENS9_22TransformInputIteratorIbN2at6native12_GLOBAL__N_19NonZeroOpIN3c108BFloat16EEEPKSJ_lEEiEEEE10hipError_tPvRmT1_T2_T3_mT4_P12ihipStream_tbEUlT_E1_NS1_11comp_targetILNS1_3genE0ELNS1_11target_archE4294967295ELNS1_3gpuE0ELNS1_3repE0EEENS1_30default_config_static_selectorELNS0_4arch9wavefront6targetE0EEEvSS_
; %bb.0:
	.section	.rodata,"a",@progbits
	.p2align	6, 0x0
	.amdhsa_kernel _ZN7rocprim17ROCPRIM_400000_NS6detail17trampoline_kernelINS0_14default_configENS1_22reduce_config_selectorIiEEZNS1_11reduce_implILb1ES3_PiS7_iN6hipcub16HIPCUB_304000_NS6detail34convert_binary_result_type_wrapperINS9_3SumENS9_22TransformInputIteratorIbN2at6native12_GLOBAL__N_19NonZeroOpIN3c108BFloat16EEEPKSJ_lEEiEEEE10hipError_tPvRmT1_T2_T3_mT4_P12ihipStream_tbEUlT_E1_NS1_11comp_targetILNS1_3genE0ELNS1_11target_archE4294967295ELNS1_3gpuE0ELNS1_3repE0EEENS1_30default_config_static_selectorELNS0_4arch9wavefront6targetE0EEEvSS_
		.amdhsa_group_segment_fixed_size 0
		.amdhsa_private_segment_fixed_size 0
		.amdhsa_kernarg_size 40
		.amdhsa_user_sgpr_count 15
		.amdhsa_user_sgpr_dispatch_ptr 0
		.amdhsa_user_sgpr_queue_ptr 0
		.amdhsa_user_sgpr_kernarg_segment_ptr 1
		.amdhsa_user_sgpr_dispatch_id 0
		.amdhsa_user_sgpr_private_segment_size 0
		.amdhsa_wavefront_size32 1
		.amdhsa_uses_dynamic_stack 0
		.amdhsa_enable_private_segment 0
		.amdhsa_system_sgpr_workgroup_id_x 1
		.amdhsa_system_sgpr_workgroup_id_y 0
		.amdhsa_system_sgpr_workgroup_id_z 0
		.amdhsa_system_sgpr_workgroup_info 0
		.amdhsa_system_vgpr_workitem_id 0
		.amdhsa_next_free_vgpr 1
		.amdhsa_next_free_sgpr 1
		.amdhsa_reserve_vcc 0
		.amdhsa_float_round_mode_32 0
		.amdhsa_float_round_mode_16_64 0
		.amdhsa_float_denorm_mode_32 3
		.amdhsa_float_denorm_mode_16_64 3
		.amdhsa_dx10_clamp 1
		.amdhsa_ieee_mode 1
		.amdhsa_fp16_overflow 0
		.amdhsa_workgroup_processor_mode 1
		.amdhsa_memory_ordered 1
		.amdhsa_forward_progress 0
		.amdhsa_shared_vgpr_count 0
		.amdhsa_exception_fp_ieee_invalid_op 0
		.amdhsa_exception_fp_denorm_src 0
		.amdhsa_exception_fp_ieee_div_zero 0
		.amdhsa_exception_fp_ieee_overflow 0
		.amdhsa_exception_fp_ieee_underflow 0
		.amdhsa_exception_fp_ieee_inexact 0
		.amdhsa_exception_int_div_zero 0
	.end_amdhsa_kernel
	.section	.text._ZN7rocprim17ROCPRIM_400000_NS6detail17trampoline_kernelINS0_14default_configENS1_22reduce_config_selectorIiEEZNS1_11reduce_implILb1ES3_PiS7_iN6hipcub16HIPCUB_304000_NS6detail34convert_binary_result_type_wrapperINS9_3SumENS9_22TransformInputIteratorIbN2at6native12_GLOBAL__N_19NonZeroOpIN3c108BFloat16EEEPKSJ_lEEiEEEE10hipError_tPvRmT1_T2_T3_mT4_P12ihipStream_tbEUlT_E1_NS1_11comp_targetILNS1_3genE0ELNS1_11target_archE4294967295ELNS1_3gpuE0ELNS1_3repE0EEENS1_30default_config_static_selectorELNS0_4arch9wavefront6targetE0EEEvSS_,"axG",@progbits,_ZN7rocprim17ROCPRIM_400000_NS6detail17trampoline_kernelINS0_14default_configENS1_22reduce_config_selectorIiEEZNS1_11reduce_implILb1ES3_PiS7_iN6hipcub16HIPCUB_304000_NS6detail34convert_binary_result_type_wrapperINS9_3SumENS9_22TransformInputIteratorIbN2at6native12_GLOBAL__N_19NonZeroOpIN3c108BFloat16EEEPKSJ_lEEiEEEE10hipError_tPvRmT1_T2_T3_mT4_P12ihipStream_tbEUlT_E1_NS1_11comp_targetILNS1_3genE0ELNS1_11target_archE4294967295ELNS1_3gpuE0ELNS1_3repE0EEENS1_30default_config_static_selectorELNS0_4arch9wavefront6targetE0EEEvSS_,comdat
.Lfunc_end771:
	.size	_ZN7rocprim17ROCPRIM_400000_NS6detail17trampoline_kernelINS0_14default_configENS1_22reduce_config_selectorIiEEZNS1_11reduce_implILb1ES3_PiS7_iN6hipcub16HIPCUB_304000_NS6detail34convert_binary_result_type_wrapperINS9_3SumENS9_22TransformInputIteratorIbN2at6native12_GLOBAL__N_19NonZeroOpIN3c108BFloat16EEEPKSJ_lEEiEEEE10hipError_tPvRmT1_T2_T3_mT4_P12ihipStream_tbEUlT_E1_NS1_11comp_targetILNS1_3genE0ELNS1_11target_archE4294967295ELNS1_3gpuE0ELNS1_3repE0EEENS1_30default_config_static_selectorELNS0_4arch9wavefront6targetE0EEEvSS_, .Lfunc_end771-_ZN7rocprim17ROCPRIM_400000_NS6detail17trampoline_kernelINS0_14default_configENS1_22reduce_config_selectorIiEEZNS1_11reduce_implILb1ES3_PiS7_iN6hipcub16HIPCUB_304000_NS6detail34convert_binary_result_type_wrapperINS9_3SumENS9_22TransformInputIteratorIbN2at6native12_GLOBAL__N_19NonZeroOpIN3c108BFloat16EEEPKSJ_lEEiEEEE10hipError_tPvRmT1_T2_T3_mT4_P12ihipStream_tbEUlT_E1_NS1_11comp_targetILNS1_3genE0ELNS1_11target_archE4294967295ELNS1_3gpuE0ELNS1_3repE0EEENS1_30default_config_static_selectorELNS0_4arch9wavefront6targetE0EEEvSS_
                                        ; -- End function
	.section	.AMDGPU.csdata,"",@progbits
; Kernel info:
; codeLenInByte = 0
; NumSgprs: 0
; NumVgprs: 0
; ScratchSize: 0
; MemoryBound: 0
; FloatMode: 240
; IeeeMode: 1
; LDSByteSize: 0 bytes/workgroup (compile time only)
; SGPRBlocks: 0
; VGPRBlocks: 0
; NumSGPRsForWavesPerEU: 1
; NumVGPRsForWavesPerEU: 1
; Occupancy: 16
; WaveLimiterHint : 0
; COMPUTE_PGM_RSRC2:SCRATCH_EN: 0
; COMPUTE_PGM_RSRC2:USER_SGPR: 15
; COMPUTE_PGM_RSRC2:TRAP_HANDLER: 0
; COMPUTE_PGM_RSRC2:TGID_X_EN: 1
; COMPUTE_PGM_RSRC2:TGID_Y_EN: 0
; COMPUTE_PGM_RSRC2:TGID_Z_EN: 0
; COMPUTE_PGM_RSRC2:TIDIG_COMP_CNT: 0
	.section	.text._ZN7rocprim17ROCPRIM_400000_NS6detail17trampoline_kernelINS0_14default_configENS1_22reduce_config_selectorIiEEZNS1_11reduce_implILb1ES3_PiS7_iN6hipcub16HIPCUB_304000_NS6detail34convert_binary_result_type_wrapperINS9_3SumENS9_22TransformInputIteratorIbN2at6native12_GLOBAL__N_19NonZeroOpIN3c108BFloat16EEEPKSJ_lEEiEEEE10hipError_tPvRmT1_T2_T3_mT4_P12ihipStream_tbEUlT_E1_NS1_11comp_targetILNS1_3genE5ELNS1_11target_archE942ELNS1_3gpuE9ELNS1_3repE0EEENS1_30default_config_static_selectorELNS0_4arch9wavefront6targetE0EEEvSS_,"axG",@progbits,_ZN7rocprim17ROCPRIM_400000_NS6detail17trampoline_kernelINS0_14default_configENS1_22reduce_config_selectorIiEEZNS1_11reduce_implILb1ES3_PiS7_iN6hipcub16HIPCUB_304000_NS6detail34convert_binary_result_type_wrapperINS9_3SumENS9_22TransformInputIteratorIbN2at6native12_GLOBAL__N_19NonZeroOpIN3c108BFloat16EEEPKSJ_lEEiEEEE10hipError_tPvRmT1_T2_T3_mT4_P12ihipStream_tbEUlT_E1_NS1_11comp_targetILNS1_3genE5ELNS1_11target_archE942ELNS1_3gpuE9ELNS1_3repE0EEENS1_30default_config_static_selectorELNS0_4arch9wavefront6targetE0EEEvSS_,comdat
	.globl	_ZN7rocprim17ROCPRIM_400000_NS6detail17trampoline_kernelINS0_14default_configENS1_22reduce_config_selectorIiEEZNS1_11reduce_implILb1ES3_PiS7_iN6hipcub16HIPCUB_304000_NS6detail34convert_binary_result_type_wrapperINS9_3SumENS9_22TransformInputIteratorIbN2at6native12_GLOBAL__N_19NonZeroOpIN3c108BFloat16EEEPKSJ_lEEiEEEE10hipError_tPvRmT1_T2_T3_mT4_P12ihipStream_tbEUlT_E1_NS1_11comp_targetILNS1_3genE5ELNS1_11target_archE942ELNS1_3gpuE9ELNS1_3repE0EEENS1_30default_config_static_selectorELNS0_4arch9wavefront6targetE0EEEvSS_ ; -- Begin function _ZN7rocprim17ROCPRIM_400000_NS6detail17trampoline_kernelINS0_14default_configENS1_22reduce_config_selectorIiEEZNS1_11reduce_implILb1ES3_PiS7_iN6hipcub16HIPCUB_304000_NS6detail34convert_binary_result_type_wrapperINS9_3SumENS9_22TransformInputIteratorIbN2at6native12_GLOBAL__N_19NonZeroOpIN3c108BFloat16EEEPKSJ_lEEiEEEE10hipError_tPvRmT1_T2_T3_mT4_P12ihipStream_tbEUlT_E1_NS1_11comp_targetILNS1_3genE5ELNS1_11target_archE942ELNS1_3gpuE9ELNS1_3repE0EEENS1_30default_config_static_selectorELNS0_4arch9wavefront6targetE0EEEvSS_
	.p2align	8
	.type	_ZN7rocprim17ROCPRIM_400000_NS6detail17trampoline_kernelINS0_14default_configENS1_22reduce_config_selectorIiEEZNS1_11reduce_implILb1ES3_PiS7_iN6hipcub16HIPCUB_304000_NS6detail34convert_binary_result_type_wrapperINS9_3SumENS9_22TransformInputIteratorIbN2at6native12_GLOBAL__N_19NonZeroOpIN3c108BFloat16EEEPKSJ_lEEiEEEE10hipError_tPvRmT1_T2_T3_mT4_P12ihipStream_tbEUlT_E1_NS1_11comp_targetILNS1_3genE5ELNS1_11target_archE942ELNS1_3gpuE9ELNS1_3repE0EEENS1_30default_config_static_selectorELNS0_4arch9wavefront6targetE0EEEvSS_,@function
_ZN7rocprim17ROCPRIM_400000_NS6detail17trampoline_kernelINS0_14default_configENS1_22reduce_config_selectorIiEEZNS1_11reduce_implILb1ES3_PiS7_iN6hipcub16HIPCUB_304000_NS6detail34convert_binary_result_type_wrapperINS9_3SumENS9_22TransformInputIteratorIbN2at6native12_GLOBAL__N_19NonZeroOpIN3c108BFloat16EEEPKSJ_lEEiEEEE10hipError_tPvRmT1_T2_T3_mT4_P12ihipStream_tbEUlT_E1_NS1_11comp_targetILNS1_3genE5ELNS1_11target_archE942ELNS1_3gpuE9ELNS1_3repE0EEENS1_30default_config_static_selectorELNS0_4arch9wavefront6targetE0EEEvSS_: ; @_ZN7rocprim17ROCPRIM_400000_NS6detail17trampoline_kernelINS0_14default_configENS1_22reduce_config_selectorIiEEZNS1_11reduce_implILb1ES3_PiS7_iN6hipcub16HIPCUB_304000_NS6detail34convert_binary_result_type_wrapperINS9_3SumENS9_22TransformInputIteratorIbN2at6native12_GLOBAL__N_19NonZeroOpIN3c108BFloat16EEEPKSJ_lEEiEEEE10hipError_tPvRmT1_T2_T3_mT4_P12ihipStream_tbEUlT_E1_NS1_11comp_targetILNS1_3genE5ELNS1_11target_archE942ELNS1_3gpuE9ELNS1_3repE0EEENS1_30default_config_static_selectorELNS0_4arch9wavefront6targetE0EEEvSS_
; %bb.0:
	.section	.rodata,"a",@progbits
	.p2align	6, 0x0
	.amdhsa_kernel _ZN7rocprim17ROCPRIM_400000_NS6detail17trampoline_kernelINS0_14default_configENS1_22reduce_config_selectorIiEEZNS1_11reduce_implILb1ES3_PiS7_iN6hipcub16HIPCUB_304000_NS6detail34convert_binary_result_type_wrapperINS9_3SumENS9_22TransformInputIteratorIbN2at6native12_GLOBAL__N_19NonZeroOpIN3c108BFloat16EEEPKSJ_lEEiEEEE10hipError_tPvRmT1_T2_T3_mT4_P12ihipStream_tbEUlT_E1_NS1_11comp_targetILNS1_3genE5ELNS1_11target_archE942ELNS1_3gpuE9ELNS1_3repE0EEENS1_30default_config_static_selectorELNS0_4arch9wavefront6targetE0EEEvSS_
		.amdhsa_group_segment_fixed_size 0
		.amdhsa_private_segment_fixed_size 0
		.amdhsa_kernarg_size 40
		.amdhsa_user_sgpr_count 15
		.amdhsa_user_sgpr_dispatch_ptr 0
		.amdhsa_user_sgpr_queue_ptr 0
		.amdhsa_user_sgpr_kernarg_segment_ptr 1
		.amdhsa_user_sgpr_dispatch_id 0
		.amdhsa_user_sgpr_private_segment_size 0
		.amdhsa_wavefront_size32 1
		.amdhsa_uses_dynamic_stack 0
		.amdhsa_enable_private_segment 0
		.amdhsa_system_sgpr_workgroup_id_x 1
		.amdhsa_system_sgpr_workgroup_id_y 0
		.amdhsa_system_sgpr_workgroup_id_z 0
		.amdhsa_system_sgpr_workgroup_info 0
		.amdhsa_system_vgpr_workitem_id 0
		.amdhsa_next_free_vgpr 1
		.amdhsa_next_free_sgpr 1
		.amdhsa_reserve_vcc 0
		.amdhsa_float_round_mode_32 0
		.amdhsa_float_round_mode_16_64 0
		.amdhsa_float_denorm_mode_32 3
		.amdhsa_float_denorm_mode_16_64 3
		.amdhsa_dx10_clamp 1
		.amdhsa_ieee_mode 1
		.amdhsa_fp16_overflow 0
		.amdhsa_workgroup_processor_mode 1
		.amdhsa_memory_ordered 1
		.amdhsa_forward_progress 0
		.amdhsa_shared_vgpr_count 0
		.amdhsa_exception_fp_ieee_invalid_op 0
		.amdhsa_exception_fp_denorm_src 0
		.amdhsa_exception_fp_ieee_div_zero 0
		.amdhsa_exception_fp_ieee_overflow 0
		.amdhsa_exception_fp_ieee_underflow 0
		.amdhsa_exception_fp_ieee_inexact 0
		.amdhsa_exception_int_div_zero 0
	.end_amdhsa_kernel
	.section	.text._ZN7rocprim17ROCPRIM_400000_NS6detail17trampoline_kernelINS0_14default_configENS1_22reduce_config_selectorIiEEZNS1_11reduce_implILb1ES3_PiS7_iN6hipcub16HIPCUB_304000_NS6detail34convert_binary_result_type_wrapperINS9_3SumENS9_22TransformInputIteratorIbN2at6native12_GLOBAL__N_19NonZeroOpIN3c108BFloat16EEEPKSJ_lEEiEEEE10hipError_tPvRmT1_T2_T3_mT4_P12ihipStream_tbEUlT_E1_NS1_11comp_targetILNS1_3genE5ELNS1_11target_archE942ELNS1_3gpuE9ELNS1_3repE0EEENS1_30default_config_static_selectorELNS0_4arch9wavefront6targetE0EEEvSS_,"axG",@progbits,_ZN7rocprim17ROCPRIM_400000_NS6detail17trampoline_kernelINS0_14default_configENS1_22reduce_config_selectorIiEEZNS1_11reduce_implILb1ES3_PiS7_iN6hipcub16HIPCUB_304000_NS6detail34convert_binary_result_type_wrapperINS9_3SumENS9_22TransformInputIteratorIbN2at6native12_GLOBAL__N_19NonZeroOpIN3c108BFloat16EEEPKSJ_lEEiEEEE10hipError_tPvRmT1_T2_T3_mT4_P12ihipStream_tbEUlT_E1_NS1_11comp_targetILNS1_3genE5ELNS1_11target_archE942ELNS1_3gpuE9ELNS1_3repE0EEENS1_30default_config_static_selectorELNS0_4arch9wavefront6targetE0EEEvSS_,comdat
.Lfunc_end772:
	.size	_ZN7rocprim17ROCPRIM_400000_NS6detail17trampoline_kernelINS0_14default_configENS1_22reduce_config_selectorIiEEZNS1_11reduce_implILb1ES3_PiS7_iN6hipcub16HIPCUB_304000_NS6detail34convert_binary_result_type_wrapperINS9_3SumENS9_22TransformInputIteratorIbN2at6native12_GLOBAL__N_19NonZeroOpIN3c108BFloat16EEEPKSJ_lEEiEEEE10hipError_tPvRmT1_T2_T3_mT4_P12ihipStream_tbEUlT_E1_NS1_11comp_targetILNS1_3genE5ELNS1_11target_archE942ELNS1_3gpuE9ELNS1_3repE0EEENS1_30default_config_static_selectorELNS0_4arch9wavefront6targetE0EEEvSS_, .Lfunc_end772-_ZN7rocprim17ROCPRIM_400000_NS6detail17trampoline_kernelINS0_14default_configENS1_22reduce_config_selectorIiEEZNS1_11reduce_implILb1ES3_PiS7_iN6hipcub16HIPCUB_304000_NS6detail34convert_binary_result_type_wrapperINS9_3SumENS9_22TransformInputIteratorIbN2at6native12_GLOBAL__N_19NonZeroOpIN3c108BFloat16EEEPKSJ_lEEiEEEE10hipError_tPvRmT1_T2_T3_mT4_P12ihipStream_tbEUlT_E1_NS1_11comp_targetILNS1_3genE5ELNS1_11target_archE942ELNS1_3gpuE9ELNS1_3repE0EEENS1_30default_config_static_selectorELNS0_4arch9wavefront6targetE0EEEvSS_
                                        ; -- End function
	.section	.AMDGPU.csdata,"",@progbits
; Kernel info:
; codeLenInByte = 0
; NumSgprs: 0
; NumVgprs: 0
; ScratchSize: 0
; MemoryBound: 0
; FloatMode: 240
; IeeeMode: 1
; LDSByteSize: 0 bytes/workgroup (compile time only)
; SGPRBlocks: 0
; VGPRBlocks: 0
; NumSGPRsForWavesPerEU: 1
; NumVGPRsForWavesPerEU: 1
; Occupancy: 16
; WaveLimiterHint : 0
; COMPUTE_PGM_RSRC2:SCRATCH_EN: 0
; COMPUTE_PGM_RSRC2:USER_SGPR: 15
; COMPUTE_PGM_RSRC2:TRAP_HANDLER: 0
; COMPUTE_PGM_RSRC2:TGID_X_EN: 1
; COMPUTE_PGM_RSRC2:TGID_Y_EN: 0
; COMPUTE_PGM_RSRC2:TGID_Z_EN: 0
; COMPUTE_PGM_RSRC2:TIDIG_COMP_CNT: 0
	.section	.text._ZN7rocprim17ROCPRIM_400000_NS6detail17trampoline_kernelINS0_14default_configENS1_22reduce_config_selectorIiEEZNS1_11reduce_implILb1ES3_PiS7_iN6hipcub16HIPCUB_304000_NS6detail34convert_binary_result_type_wrapperINS9_3SumENS9_22TransformInputIteratorIbN2at6native12_GLOBAL__N_19NonZeroOpIN3c108BFloat16EEEPKSJ_lEEiEEEE10hipError_tPvRmT1_T2_T3_mT4_P12ihipStream_tbEUlT_E1_NS1_11comp_targetILNS1_3genE4ELNS1_11target_archE910ELNS1_3gpuE8ELNS1_3repE0EEENS1_30default_config_static_selectorELNS0_4arch9wavefront6targetE0EEEvSS_,"axG",@progbits,_ZN7rocprim17ROCPRIM_400000_NS6detail17trampoline_kernelINS0_14default_configENS1_22reduce_config_selectorIiEEZNS1_11reduce_implILb1ES3_PiS7_iN6hipcub16HIPCUB_304000_NS6detail34convert_binary_result_type_wrapperINS9_3SumENS9_22TransformInputIteratorIbN2at6native12_GLOBAL__N_19NonZeroOpIN3c108BFloat16EEEPKSJ_lEEiEEEE10hipError_tPvRmT1_T2_T3_mT4_P12ihipStream_tbEUlT_E1_NS1_11comp_targetILNS1_3genE4ELNS1_11target_archE910ELNS1_3gpuE8ELNS1_3repE0EEENS1_30default_config_static_selectorELNS0_4arch9wavefront6targetE0EEEvSS_,comdat
	.globl	_ZN7rocprim17ROCPRIM_400000_NS6detail17trampoline_kernelINS0_14default_configENS1_22reduce_config_selectorIiEEZNS1_11reduce_implILb1ES3_PiS7_iN6hipcub16HIPCUB_304000_NS6detail34convert_binary_result_type_wrapperINS9_3SumENS9_22TransformInputIteratorIbN2at6native12_GLOBAL__N_19NonZeroOpIN3c108BFloat16EEEPKSJ_lEEiEEEE10hipError_tPvRmT1_T2_T3_mT4_P12ihipStream_tbEUlT_E1_NS1_11comp_targetILNS1_3genE4ELNS1_11target_archE910ELNS1_3gpuE8ELNS1_3repE0EEENS1_30default_config_static_selectorELNS0_4arch9wavefront6targetE0EEEvSS_ ; -- Begin function _ZN7rocprim17ROCPRIM_400000_NS6detail17trampoline_kernelINS0_14default_configENS1_22reduce_config_selectorIiEEZNS1_11reduce_implILb1ES3_PiS7_iN6hipcub16HIPCUB_304000_NS6detail34convert_binary_result_type_wrapperINS9_3SumENS9_22TransformInputIteratorIbN2at6native12_GLOBAL__N_19NonZeroOpIN3c108BFloat16EEEPKSJ_lEEiEEEE10hipError_tPvRmT1_T2_T3_mT4_P12ihipStream_tbEUlT_E1_NS1_11comp_targetILNS1_3genE4ELNS1_11target_archE910ELNS1_3gpuE8ELNS1_3repE0EEENS1_30default_config_static_selectorELNS0_4arch9wavefront6targetE0EEEvSS_
	.p2align	8
	.type	_ZN7rocprim17ROCPRIM_400000_NS6detail17trampoline_kernelINS0_14default_configENS1_22reduce_config_selectorIiEEZNS1_11reduce_implILb1ES3_PiS7_iN6hipcub16HIPCUB_304000_NS6detail34convert_binary_result_type_wrapperINS9_3SumENS9_22TransformInputIteratorIbN2at6native12_GLOBAL__N_19NonZeroOpIN3c108BFloat16EEEPKSJ_lEEiEEEE10hipError_tPvRmT1_T2_T3_mT4_P12ihipStream_tbEUlT_E1_NS1_11comp_targetILNS1_3genE4ELNS1_11target_archE910ELNS1_3gpuE8ELNS1_3repE0EEENS1_30default_config_static_selectorELNS0_4arch9wavefront6targetE0EEEvSS_,@function
_ZN7rocprim17ROCPRIM_400000_NS6detail17trampoline_kernelINS0_14default_configENS1_22reduce_config_selectorIiEEZNS1_11reduce_implILb1ES3_PiS7_iN6hipcub16HIPCUB_304000_NS6detail34convert_binary_result_type_wrapperINS9_3SumENS9_22TransformInputIteratorIbN2at6native12_GLOBAL__N_19NonZeroOpIN3c108BFloat16EEEPKSJ_lEEiEEEE10hipError_tPvRmT1_T2_T3_mT4_P12ihipStream_tbEUlT_E1_NS1_11comp_targetILNS1_3genE4ELNS1_11target_archE910ELNS1_3gpuE8ELNS1_3repE0EEENS1_30default_config_static_selectorELNS0_4arch9wavefront6targetE0EEEvSS_: ; @_ZN7rocprim17ROCPRIM_400000_NS6detail17trampoline_kernelINS0_14default_configENS1_22reduce_config_selectorIiEEZNS1_11reduce_implILb1ES3_PiS7_iN6hipcub16HIPCUB_304000_NS6detail34convert_binary_result_type_wrapperINS9_3SumENS9_22TransformInputIteratorIbN2at6native12_GLOBAL__N_19NonZeroOpIN3c108BFloat16EEEPKSJ_lEEiEEEE10hipError_tPvRmT1_T2_T3_mT4_P12ihipStream_tbEUlT_E1_NS1_11comp_targetILNS1_3genE4ELNS1_11target_archE910ELNS1_3gpuE8ELNS1_3repE0EEENS1_30default_config_static_selectorELNS0_4arch9wavefront6targetE0EEEvSS_
; %bb.0:
	.section	.rodata,"a",@progbits
	.p2align	6, 0x0
	.amdhsa_kernel _ZN7rocprim17ROCPRIM_400000_NS6detail17trampoline_kernelINS0_14default_configENS1_22reduce_config_selectorIiEEZNS1_11reduce_implILb1ES3_PiS7_iN6hipcub16HIPCUB_304000_NS6detail34convert_binary_result_type_wrapperINS9_3SumENS9_22TransformInputIteratorIbN2at6native12_GLOBAL__N_19NonZeroOpIN3c108BFloat16EEEPKSJ_lEEiEEEE10hipError_tPvRmT1_T2_T3_mT4_P12ihipStream_tbEUlT_E1_NS1_11comp_targetILNS1_3genE4ELNS1_11target_archE910ELNS1_3gpuE8ELNS1_3repE0EEENS1_30default_config_static_selectorELNS0_4arch9wavefront6targetE0EEEvSS_
		.amdhsa_group_segment_fixed_size 0
		.amdhsa_private_segment_fixed_size 0
		.amdhsa_kernarg_size 40
		.amdhsa_user_sgpr_count 15
		.amdhsa_user_sgpr_dispatch_ptr 0
		.amdhsa_user_sgpr_queue_ptr 0
		.amdhsa_user_sgpr_kernarg_segment_ptr 1
		.amdhsa_user_sgpr_dispatch_id 0
		.amdhsa_user_sgpr_private_segment_size 0
		.amdhsa_wavefront_size32 1
		.amdhsa_uses_dynamic_stack 0
		.amdhsa_enable_private_segment 0
		.amdhsa_system_sgpr_workgroup_id_x 1
		.amdhsa_system_sgpr_workgroup_id_y 0
		.amdhsa_system_sgpr_workgroup_id_z 0
		.amdhsa_system_sgpr_workgroup_info 0
		.amdhsa_system_vgpr_workitem_id 0
		.amdhsa_next_free_vgpr 1
		.amdhsa_next_free_sgpr 1
		.amdhsa_reserve_vcc 0
		.amdhsa_float_round_mode_32 0
		.amdhsa_float_round_mode_16_64 0
		.amdhsa_float_denorm_mode_32 3
		.amdhsa_float_denorm_mode_16_64 3
		.amdhsa_dx10_clamp 1
		.amdhsa_ieee_mode 1
		.amdhsa_fp16_overflow 0
		.amdhsa_workgroup_processor_mode 1
		.amdhsa_memory_ordered 1
		.amdhsa_forward_progress 0
		.amdhsa_shared_vgpr_count 0
		.amdhsa_exception_fp_ieee_invalid_op 0
		.amdhsa_exception_fp_denorm_src 0
		.amdhsa_exception_fp_ieee_div_zero 0
		.amdhsa_exception_fp_ieee_overflow 0
		.amdhsa_exception_fp_ieee_underflow 0
		.amdhsa_exception_fp_ieee_inexact 0
		.amdhsa_exception_int_div_zero 0
	.end_amdhsa_kernel
	.section	.text._ZN7rocprim17ROCPRIM_400000_NS6detail17trampoline_kernelINS0_14default_configENS1_22reduce_config_selectorIiEEZNS1_11reduce_implILb1ES3_PiS7_iN6hipcub16HIPCUB_304000_NS6detail34convert_binary_result_type_wrapperINS9_3SumENS9_22TransformInputIteratorIbN2at6native12_GLOBAL__N_19NonZeroOpIN3c108BFloat16EEEPKSJ_lEEiEEEE10hipError_tPvRmT1_T2_T3_mT4_P12ihipStream_tbEUlT_E1_NS1_11comp_targetILNS1_3genE4ELNS1_11target_archE910ELNS1_3gpuE8ELNS1_3repE0EEENS1_30default_config_static_selectorELNS0_4arch9wavefront6targetE0EEEvSS_,"axG",@progbits,_ZN7rocprim17ROCPRIM_400000_NS6detail17trampoline_kernelINS0_14default_configENS1_22reduce_config_selectorIiEEZNS1_11reduce_implILb1ES3_PiS7_iN6hipcub16HIPCUB_304000_NS6detail34convert_binary_result_type_wrapperINS9_3SumENS9_22TransformInputIteratorIbN2at6native12_GLOBAL__N_19NonZeroOpIN3c108BFloat16EEEPKSJ_lEEiEEEE10hipError_tPvRmT1_T2_T3_mT4_P12ihipStream_tbEUlT_E1_NS1_11comp_targetILNS1_3genE4ELNS1_11target_archE910ELNS1_3gpuE8ELNS1_3repE0EEENS1_30default_config_static_selectorELNS0_4arch9wavefront6targetE0EEEvSS_,comdat
.Lfunc_end773:
	.size	_ZN7rocprim17ROCPRIM_400000_NS6detail17trampoline_kernelINS0_14default_configENS1_22reduce_config_selectorIiEEZNS1_11reduce_implILb1ES3_PiS7_iN6hipcub16HIPCUB_304000_NS6detail34convert_binary_result_type_wrapperINS9_3SumENS9_22TransformInputIteratorIbN2at6native12_GLOBAL__N_19NonZeroOpIN3c108BFloat16EEEPKSJ_lEEiEEEE10hipError_tPvRmT1_T2_T3_mT4_P12ihipStream_tbEUlT_E1_NS1_11comp_targetILNS1_3genE4ELNS1_11target_archE910ELNS1_3gpuE8ELNS1_3repE0EEENS1_30default_config_static_selectorELNS0_4arch9wavefront6targetE0EEEvSS_, .Lfunc_end773-_ZN7rocprim17ROCPRIM_400000_NS6detail17trampoline_kernelINS0_14default_configENS1_22reduce_config_selectorIiEEZNS1_11reduce_implILb1ES3_PiS7_iN6hipcub16HIPCUB_304000_NS6detail34convert_binary_result_type_wrapperINS9_3SumENS9_22TransformInputIteratorIbN2at6native12_GLOBAL__N_19NonZeroOpIN3c108BFloat16EEEPKSJ_lEEiEEEE10hipError_tPvRmT1_T2_T3_mT4_P12ihipStream_tbEUlT_E1_NS1_11comp_targetILNS1_3genE4ELNS1_11target_archE910ELNS1_3gpuE8ELNS1_3repE0EEENS1_30default_config_static_selectorELNS0_4arch9wavefront6targetE0EEEvSS_
                                        ; -- End function
	.section	.AMDGPU.csdata,"",@progbits
; Kernel info:
; codeLenInByte = 0
; NumSgprs: 0
; NumVgprs: 0
; ScratchSize: 0
; MemoryBound: 0
; FloatMode: 240
; IeeeMode: 1
; LDSByteSize: 0 bytes/workgroup (compile time only)
; SGPRBlocks: 0
; VGPRBlocks: 0
; NumSGPRsForWavesPerEU: 1
; NumVGPRsForWavesPerEU: 1
; Occupancy: 16
; WaveLimiterHint : 0
; COMPUTE_PGM_RSRC2:SCRATCH_EN: 0
; COMPUTE_PGM_RSRC2:USER_SGPR: 15
; COMPUTE_PGM_RSRC2:TRAP_HANDLER: 0
; COMPUTE_PGM_RSRC2:TGID_X_EN: 1
; COMPUTE_PGM_RSRC2:TGID_Y_EN: 0
; COMPUTE_PGM_RSRC2:TGID_Z_EN: 0
; COMPUTE_PGM_RSRC2:TIDIG_COMP_CNT: 0
	.section	.text._ZN7rocprim17ROCPRIM_400000_NS6detail17trampoline_kernelINS0_14default_configENS1_22reduce_config_selectorIiEEZNS1_11reduce_implILb1ES3_PiS7_iN6hipcub16HIPCUB_304000_NS6detail34convert_binary_result_type_wrapperINS9_3SumENS9_22TransformInputIteratorIbN2at6native12_GLOBAL__N_19NonZeroOpIN3c108BFloat16EEEPKSJ_lEEiEEEE10hipError_tPvRmT1_T2_T3_mT4_P12ihipStream_tbEUlT_E1_NS1_11comp_targetILNS1_3genE3ELNS1_11target_archE908ELNS1_3gpuE7ELNS1_3repE0EEENS1_30default_config_static_selectorELNS0_4arch9wavefront6targetE0EEEvSS_,"axG",@progbits,_ZN7rocprim17ROCPRIM_400000_NS6detail17trampoline_kernelINS0_14default_configENS1_22reduce_config_selectorIiEEZNS1_11reduce_implILb1ES3_PiS7_iN6hipcub16HIPCUB_304000_NS6detail34convert_binary_result_type_wrapperINS9_3SumENS9_22TransformInputIteratorIbN2at6native12_GLOBAL__N_19NonZeroOpIN3c108BFloat16EEEPKSJ_lEEiEEEE10hipError_tPvRmT1_T2_T3_mT4_P12ihipStream_tbEUlT_E1_NS1_11comp_targetILNS1_3genE3ELNS1_11target_archE908ELNS1_3gpuE7ELNS1_3repE0EEENS1_30default_config_static_selectorELNS0_4arch9wavefront6targetE0EEEvSS_,comdat
	.globl	_ZN7rocprim17ROCPRIM_400000_NS6detail17trampoline_kernelINS0_14default_configENS1_22reduce_config_selectorIiEEZNS1_11reduce_implILb1ES3_PiS7_iN6hipcub16HIPCUB_304000_NS6detail34convert_binary_result_type_wrapperINS9_3SumENS9_22TransformInputIteratorIbN2at6native12_GLOBAL__N_19NonZeroOpIN3c108BFloat16EEEPKSJ_lEEiEEEE10hipError_tPvRmT1_T2_T3_mT4_P12ihipStream_tbEUlT_E1_NS1_11comp_targetILNS1_3genE3ELNS1_11target_archE908ELNS1_3gpuE7ELNS1_3repE0EEENS1_30default_config_static_selectorELNS0_4arch9wavefront6targetE0EEEvSS_ ; -- Begin function _ZN7rocprim17ROCPRIM_400000_NS6detail17trampoline_kernelINS0_14default_configENS1_22reduce_config_selectorIiEEZNS1_11reduce_implILb1ES3_PiS7_iN6hipcub16HIPCUB_304000_NS6detail34convert_binary_result_type_wrapperINS9_3SumENS9_22TransformInputIteratorIbN2at6native12_GLOBAL__N_19NonZeroOpIN3c108BFloat16EEEPKSJ_lEEiEEEE10hipError_tPvRmT1_T2_T3_mT4_P12ihipStream_tbEUlT_E1_NS1_11comp_targetILNS1_3genE3ELNS1_11target_archE908ELNS1_3gpuE7ELNS1_3repE0EEENS1_30default_config_static_selectorELNS0_4arch9wavefront6targetE0EEEvSS_
	.p2align	8
	.type	_ZN7rocprim17ROCPRIM_400000_NS6detail17trampoline_kernelINS0_14default_configENS1_22reduce_config_selectorIiEEZNS1_11reduce_implILb1ES3_PiS7_iN6hipcub16HIPCUB_304000_NS6detail34convert_binary_result_type_wrapperINS9_3SumENS9_22TransformInputIteratorIbN2at6native12_GLOBAL__N_19NonZeroOpIN3c108BFloat16EEEPKSJ_lEEiEEEE10hipError_tPvRmT1_T2_T3_mT4_P12ihipStream_tbEUlT_E1_NS1_11comp_targetILNS1_3genE3ELNS1_11target_archE908ELNS1_3gpuE7ELNS1_3repE0EEENS1_30default_config_static_selectorELNS0_4arch9wavefront6targetE0EEEvSS_,@function
_ZN7rocprim17ROCPRIM_400000_NS6detail17trampoline_kernelINS0_14default_configENS1_22reduce_config_selectorIiEEZNS1_11reduce_implILb1ES3_PiS7_iN6hipcub16HIPCUB_304000_NS6detail34convert_binary_result_type_wrapperINS9_3SumENS9_22TransformInputIteratorIbN2at6native12_GLOBAL__N_19NonZeroOpIN3c108BFloat16EEEPKSJ_lEEiEEEE10hipError_tPvRmT1_T2_T3_mT4_P12ihipStream_tbEUlT_E1_NS1_11comp_targetILNS1_3genE3ELNS1_11target_archE908ELNS1_3gpuE7ELNS1_3repE0EEENS1_30default_config_static_selectorELNS0_4arch9wavefront6targetE0EEEvSS_: ; @_ZN7rocprim17ROCPRIM_400000_NS6detail17trampoline_kernelINS0_14default_configENS1_22reduce_config_selectorIiEEZNS1_11reduce_implILb1ES3_PiS7_iN6hipcub16HIPCUB_304000_NS6detail34convert_binary_result_type_wrapperINS9_3SumENS9_22TransformInputIteratorIbN2at6native12_GLOBAL__N_19NonZeroOpIN3c108BFloat16EEEPKSJ_lEEiEEEE10hipError_tPvRmT1_T2_T3_mT4_P12ihipStream_tbEUlT_E1_NS1_11comp_targetILNS1_3genE3ELNS1_11target_archE908ELNS1_3gpuE7ELNS1_3repE0EEENS1_30default_config_static_selectorELNS0_4arch9wavefront6targetE0EEEvSS_
; %bb.0:
	.section	.rodata,"a",@progbits
	.p2align	6, 0x0
	.amdhsa_kernel _ZN7rocprim17ROCPRIM_400000_NS6detail17trampoline_kernelINS0_14default_configENS1_22reduce_config_selectorIiEEZNS1_11reduce_implILb1ES3_PiS7_iN6hipcub16HIPCUB_304000_NS6detail34convert_binary_result_type_wrapperINS9_3SumENS9_22TransformInputIteratorIbN2at6native12_GLOBAL__N_19NonZeroOpIN3c108BFloat16EEEPKSJ_lEEiEEEE10hipError_tPvRmT1_T2_T3_mT4_P12ihipStream_tbEUlT_E1_NS1_11comp_targetILNS1_3genE3ELNS1_11target_archE908ELNS1_3gpuE7ELNS1_3repE0EEENS1_30default_config_static_selectorELNS0_4arch9wavefront6targetE0EEEvSS_
		.amdhsa_group_segment_fixed_size 0
		.amdhsa_private_segment_fixed_size 0
		.amdhsa_kernarg_size 40
		.amdhsa_user_sgpr_count 15
		.amdhsa_user_sgpr_dispatch_ptr 0
		.amdhsa_user_sgpr_queue_ptr 0
		.amdhsa_user_sgpr_kernarg_segment_ptr 1
		.amdhsa_user_sgpr_dispatch_id 0
		.amdhsa_user_sgpr_private_segment_size 0
		.amdhsa_wavefront_size32 1
		.amdhsa_uses_dynamic_stack 0
		.amdhsa_enable_private_segment 0
		.amdhsa_system_sgpr_workgroup_id_x 1
		.amdhsa_system_sgpr_workgroup_id_y 0
		.amdhsa_system_sgpr_workgroup_id_z 0
		.amdhsa_system_sgpr_workgroup_info 0
		.amdhsa_system_vgpr_workitem_id 0
		.amdhsa_next_free_vgpr 1
		.amdhsa_next_free_sgpr 1
		.amdhsa_reserve_vcc 0
		.amdhsa_float_round_mode_32 0
		.amdhsa_float_round_mode_16_64 0
		.amdhsa_float_denorm_mode_32 3
		.amdhsa_float_denorm_mode_16_64 3
		.amdhsa_dx10_clamp 1
		.amdhsa_ieee_mode 1
		.amdhsa_fp16_overflow 0
		.amdhsa_workgroup_processor_mode 1
		.amdhsa_memory_ordered 1
		.amdhsa_forward_progress 0
		.amdhsa_shared_vgpr_count 0
		.amdhsa_exception_fp_ieee_invalid_op 0
		.amdhsa_exception_fp_denorm_src 0
		.amdhsa_exception_fp_ieee_div_zero 0
		.amdhsa_exception_fp_ieee_overflow 0
		.amdhsa_exception_fp_ieee_underflow 0
		.amdhsa_exception_fp_ieee_inexact 0
		.amdhsa_exception_int_div_zero 0
	.end_amdhsa_kernel
	.section	.text._ZN7rocprim17ROCPRIM_400000_NS6detail17trampoline_kernelINS0_14default_configENS1_22reduce_config_selectorIiEEZNS1_11reduce_implILb1ES3_PiS7_iN6hipcub16HIPCUB_304000_NS6detail34convert_binary_result_type_wrapperINS9_3SumENS9_22TransformInputIteratorIbN2at6native12_GLOBAL__N_19NonZeroOpIN3c108BFloat16EEEPKSJ_lEEiEEEE10hipError_tPvRmT1_T2_T3_mT4_P12ihipStream_tbEUlT_E1_NS1_11comp_targetILNS1_3genE3ELNS1_11target_archE908ELNS1_3gpuE7ELNS1_3repE0EEENS1_30default_config_static_selectorELNS0_4arch9wavefront6targetE0EEEvSS_,"axG",@progbits,_ZN7rocprim17ROCPRIM_400000_NS6detail17trampoline_kernelINS0_14default_configENS1_22reduce_config_selectorIiEEZNS1_11reduce_implILb1ES3_PiS7_iN6hipcub16HIPCUB_304000_NS6detail34convert_binary_result_type_wrapperINS9_3SumENS9_22TransformInputIteratorIbN2at6native12_GLOBAL__N_19NonZeroOpIN3c108BFloat16EEEPKSJ_lEEiEEEE10hipError_tPvRmT1_T2_T3_mT4_P12ihipStream_tbEUlT_E1_NS1_11comp_targetILNS1_3genE3ELNS1_11target_archE908ELNS1_3gpuE7ELNS1_3repE0EEENS1_30default_config_static_selectorELNS0_4arch9wavefront6targetE0EEEvSS_,comdat
.Lfunc_end774:
	.size	_ZN7rocprim17ROCPRIM_400000_NS6detail17trampoline_kernelINS0_14default_configENS1_22reduce_config_selectorIiEEZNS1_11reduce_implILb1ES3_PiS7_iN6hipcub16HIPCUB_304000_NS6detail34convert_binary_result_type_wrapperINS9_3SumENS9_22TransformInputIteratorIbN2at6native12_GLOBAL__N_19NonZeroOpIN3c108BFloat16EEEPKSJ_lEEiEEEE10hipError_tPvRmT1_T2_T3_mT4_P12ihipStream_tbEUlT_E1_NS1_11comp_targetILNS1_3genE3ELNS1_11target_archE908ELNS1_3gpuE7ELNS1_3repE0EEENS1_30default_config_static_selectorELNS0_4arch9wavefront6targetE0EEEvSS_, .Lfunc_end774-_ZN7rocprim17ROCPRIM_400000_NS6detail17trampoline_kernelINS0_14default_configENS1_22reduce_config_selectorIiEEZNS1_11reduce_implILb1ES3_PiS7_iN6hipcub16HIPCUB_304000_NS6detail34convert_binary_result_type_wrapperINS9_3SumENS9_22TransformInputIteratorIbN2at6native12_GLOBAL__N_19NonZeroOpIN3c108BFloat16EEEPKSJ_lEEiEEEE10hipError_tPvRmT1_T2_T3_mT4_P12ihipStream_tbEUlT_E1_NS1_11comp_targetILNS1_3genE3ELNS1_11target_archE908ELNS1_3gpuE7ELNS1_3repE0EEENS1_30default_config_static_selectorELNS0_4arch9wavefront6targetE0EEEvSS_
                                        ; -- End function
	.section	.AMDGPU.csdata,"",@progbits
; Kernel info:
; codeLenInByte = 0
; NumSgprs: 0
; NumVgprs: 0
; ScratchSize: 0
; MemoryBound: 0
; FloatMode: 240
; IeeeMode: 1
; LDSByteSize: 0 bytes/workgroup (compile time only)
; SGPRBlocks: 0
; VGPRBlocks: 0
; NumSGPRsForWavesPerEU: 1
; NumVGPRsForWavesPerEU: 1
; Occupancy: 16
; WaveLimiterHint : 0
; COMPUTE_PGM_RSRC2:SCRATCH_EN: 0
; COMPUTE_PGM_RSRC2:USER_SGPR: 15
; COMPUTE_PGM_RSRC2:TRAP_HANDLER: 0
; COMPUTE_PGM_RSRC2:TGID_X_EN: 1
; COMPUTE_PGM_RSRC2:TGID_Y_EN: 0
; COMPUTE_PGM_RSRC2:TGID_Z_EN: 0
; COMPUTE_PGM_RSRC2:TIDIG_COMP_CNT: 0
	.section	.text._ZN7rocprim17ROCPRIM_400000_NS6detail17trampoline_kernelINS0_14default_configENS1_22reduce_config_selectorIiEEZNS1_11reduce_implILb1ES3_PiS7_iN6hipcub16HIPCUB_304000_NS6detail34convert_binary_result_type_wrapperINS9_3SumENS9_22TransformInputIteratorIbN2at6native12_GLOBAL__N_19NonZeroOpIN3c108BFloat16EEEPKSJ_lEEiEEEE10hipError_tPvRmT1_T2_T3_mT4_P12ihipStream_tbEUlT_E1_NS1_11comp_targetILNS1_3genE2ELNS1_11target_archE906ELNS1_3gpuE6ELNS1_3repE0EEENS1_30default_config_static_selectorELNS0_4arch9wavefront6targetE0EEEvSS_,"axG",@progbits,_ZN7rocprim17ROCPRIM_400000_NS6detail17trampoline_kernelINS0_14default_configENS1_22reduce_config_selectorIiEEZNS1_11reduce_implILb1ES3_PiS7_iN6hipcub16HIPCUB_304000_NS6detail34convert_binary_result_type_wrapperINS9_3SumENS9_22TransformInputIteratorIbN2at6native12_GLOBAL__N_19NonZeroOpIN3c108BFloat16EEEPKSJ_lEEiEEEE10hipError_tPvRmT1_T2_T3_mT4_P12ihipStream_tbEUlT_E1_NS1_11comp_targetILNS1_3genE2ELNS1_11target_archE906ELNS1_3gpuE6ELNS1_3repE0EEENS1_30default_config_static_selectorELNS0_4arch9wavefront6targetE0EEEvSS_,comdat
	.globl	_ZN7rocprim17ROCPRIM_400000_NS6detail17trampoline_kernelINS0_14default_configENS1_22reduce_config_selectorIiEEZNS1_11reduce_implILb1ES3_PiS7_iN6hipcub16HIPCUB_304000_NS6detail34convert_binary_result_type_wrapperINS9_3SumENS9_22TransformInputIteratorIbN2at6native12_GLOBAL__N_19NonZeroOpIN3c108BFloat16EEEPKSJ_lEEiEEEE10hipError_tPvRmT1_T2_T3_mT4_P12ihipStream_tbEUlT_E1_NS1_11comp_targetILNS1_3genE2ELNS1_11target_archE906ELNS1_3gpuE6ELNS1_3repE0EEENS1_30default_config_static_selectorELNS0_4arch9wavefront6targetE0EEEvSS_ ; -- Begin function _ZN7rocprim17ROCPRIM_400000_NS6detail17trampoline_kernelINS0_14default_configENS1_22reduce_config_selectorIiEEZNS1_11reduce_implILb1ES3_PiS7_iN6hipcub16HIPCUB_304000_NS6detail34convert_binary_result_type_wrapperINS9_3SumENS9_22TransformInputIteratorIbN2at6native12_GLOBAL__N_19NonZeroOpIN3c108BFloat16EEEPKSJ_lEEiEEEE10hipError_tPvRmT1_T2_T3_mT4_P12ihipStream_tbEUlT_E1_NS1_11comp_targetILNS1_3genE2ELNS1_11target_archE906ELNS1_3gpuE6ELNS1_3repE0EEENS1_30default_config_static_selectorELNS0_4arch9wavefront6targetE0EEEvSS_
	.p2align	8
	.type	_ZN7rocprim17ROCPRIM_400000_NS6detail17trampoline_kernelINS0_14default_configENS1_22reduce_config_selectorIiEEZNS1_11reduce_implILb1ES3_PiS7_iN6hipcub16HIPCUB_304000_NS6detail34convert_binary_result_type_wrapperINS9_3SumENS9_22TransformInputIteratorIbN2at6native12_GLOBAL__N_19NonZeroOpIN3c108BFloat16EEEPKSJ_lEEiEEEE10hipError_tPvRmT1_T2_T3_mT4_P12ihipStream_tbEUlT_E1_NS1_11comp_targetILNS1_3genE2ELNS1_11target_archE906ELNS1_3gpuE6ELNS1_3repE0EEENS1_30default_config_static_selectorELNS0_4arch9wavefront6targetE0EEEvSS_,@function
_ZN7rocprim17ROCPRIM_400000_NS6detail17trampoline_kernelINS0_14default_configENS1_22reduce_config_selectorIiEEZNS1_11reduce_implILb1ES3_PiS7_iN6hipcub16HIPCUB_304000_NS6detail34convert_binary_result_type_wrapperINS9_3SumENS9_22TransformInputIteratorIbN2at6native12_GLOBAL__N_19NonZeroOpIN3c108BFloat16EEEPKSJ_lEEiEEEE10hipError_tPvRmT1_T2_T3_mT4_P12ihipStream_tbEUlT_E1_NS1_11comp_targetILNS1_3genE2ELNS1_11target_archE906ELNS1_3gpuE6ELNS1_3repE0EEENS1_30default_config_static_selectorELNS0_4arch9wavefront6targetE0EEEvSS_: ; @_ZN7rocprim17ROCPRIM_400000_NS6detail17trampoline_kernelINS0_14default_configENS1_22reduce_config_selectorIiEEZNS1_11reduce_implILb1ES3_PiS7_iN6hipcub16HIPCUB_304000_NS6detail34convert_binary_result_type_wrapperINS9_3SumENS9_22TransformInputIteratorIbN2at6native12_GLOBAL__N_19NonZeroOpIN3c108BFloat16EEEPKSJ_lEEiEEEE10hipError_tPvRmT1_T2_T3_mT4_P12ihipStream_tbEUlT_E1_NS1_11comp_targetILNS1_3genE2ELNS1_11target_archE906ELNS1_3gpuE6ELNS1_3repE0EEENS1_30default_config_static_selectorELNS0_4arch9wavefront6targetE0EEEvSS_
; %bb.0:
	.section	.rodata,"a",@progbits
	.p2align	6, 0x0
	.amdhsa_kernel _ZN7rocprim17ROCPRIM_400000_NS6detail17trampoline_kernelINS0_14default_configENS1_22reduce_config_selectorIiEEZNS1_11reduce_implILb1ES3_PiS7_iN6hipcub16HIPCUB_304000_NS6detail34convert_binary_result_type_wrapperINS9_3SumENS9_22TransformInputIteratorIbN2at6native12_GLOBAL__N_19NonZeroOpIN3c108BFloat16EEEPKSJ_lEEiEEEE10hipError_tPvRmT1_T2_T3_mT4_P12ihipStream_tbEUlT_E1_NS1_11comp_targetILNS1_3genE2ELNS1_11target_archE906ELNS1_3gpuE6ELNS1_3repE0EEENS1_30default_config_static_selectorELNS0_4arch9wavefront6targetE0EEEvSS_
		.amdhsa_group_segment_fixed_size 0
		.amdhsa_private_segment_fixed_size 0
		.amdhsa_kernarg_size 40
		.amdhsa_user_sgpr_count 15
		.amdhsa_user_sgpr_dispatch_ptr 0
		.amdhsa_user_sgpr_queue_ptr 0
		.amdhsa_user_sgpr_kernarg_segment_ptr 1
		.amdhsa_user_sgpr_dispatch_id 0
		.amdhsa_user_sgpr_private_segment_size 0
		.amdhsa_wavefront_size32 1
		.amdhsa_uses_dynamic_stack 0
		.amdhsa_enable_private_segment 0
		.amdhsa_system_sgpr_workgroup_id_x 1
		.amdhsa_system_sgpr_workgroup_id_y 0
		.amdhsa_system_sgpr_workgroup_id_z 0
		.amdhsa_system_sgpr_workgroup_info 0
		.amdhsa_system_vgpr_workitem_id 0
		.amdhsa_next_free_vgpr 1
		.amdhsa_next_free_sgpr 1
		.amdhsa_reserve_vcc 0
		.amdhsa_float_round_mode_32 0
		.amdhsa_float_round_mode_16_64 0
		.amdhsa_float_denorm_mode_32 3
		.amdhsa_float_denorm_mode_16_64 3
		.amdhsa_dx10_clamp 1
		.amdhsa_ieee_mode 1
		.amdhsa_fp16_overflow 0
		.amdhsa_workgroup_processor_mode 1
		.amdhsa_memory_ordered 1
		.amdhsa_forward_progress 0
		.amdhsa_shared_vgpr_count 0
		.amdhsa_exception_fp_ieee_invalid_op 0
		.amdhsa_exception_fp_denorm_src 0
		.amdhsa_exception_fp_ieee_div_zero 0
		.amdhsa_exception_fp_ieee_overflow 0
		.amdhsa_exception_fp_ieee_underflow 0
		.amdhsa_exception_fp_ieee_inexact 0
		.amdhsa_exception_int_div_zero 0
	.end_amdhsa_kernel
	.section	.text._ZN7rocprim17ROCPRIM_400000_NS6detail17trampoline_kernelINS0_14default_configENS1_22reduce_config_selectorIiEEZNS1_11reduce_implILb1ES3_PiS7_iN6hipcub16HIPCUB_304000_NS6detail34convert_binary_result_type_wrapperINS9_3SumENS9_22TransformInputIteratorIbN2at6native12_GLOBAL__N_19NonZeroOpIN3c108BFloat16EEEPKSJ_lEEiEEEE10hipError_tPvRmT1_T2_T3_mT4_P12ihipStream_tbEUlT_E1_NS1_11comp_targetILNS1_3genE2ELNS1_11target_archE906ELNS1_3gpuE6ELNS1_3repE0EEENS1_30default_config_static_selectorELNS0_4arch9wavefront6targetE0EEEvSS_,"axG",@progbits,_ZN7rocprim17ROCPRIM_400000_NS6detail17trampoline_kernelINS0_14default_configENS1_22reduce_config_selectorIiEEZNS1_11reduce_implILb1ES3_PiS7_iN6hipcub16HIPCUB_304000_NS6detail34convert_binary_result_type_wrapperINS9_3SumENS9_22TransformInputIteratorIbN2at6native12_GLOBAL__N_19NonZeroOpIN3c108BFloat16EEEPKSJ_lEEiEEEE10hipError_tPvRmT1_T2_T3_mT4_P12ihipStream_tbEUlT_E1_NS1_11comp_targetILNS1_3genE2ELNS1_11target_archE906ELNS1_3gpuE6ELNS1_3repE0EEENS1_30default_config_static_selectorELNS0_4arch9wavefront6targetE0EEEvSS_,comdat
.Lfunc_end775:
	.size	_ZN7rocprim17ROCPRIM_400000_NS6detail17trampoline_kernelINS0_14default_configENS1_22reduce_config_selectorIiEEZNS1_11reduce_implILb1ES3_PiS7_iN6hipcub16HIPCUB_304000_NS6detail34convert_binary_result_type_wrapperINS9_3SumENS9_22TransformInputIteratorIbN2at6native12_GLOBAL__N_19NonZeroOpIN3c108BFloat16EEEPKSJ_lEEiEEEE10hipError_tPvRmT1_T2_T3_mT4_P12ihipStream_tbEUlT_E1_NS1_11comp_targetILNS1_3genE2ELNS1_11target_archE906ELNS1_3gpuE6ELNS1_3repE0EEENS1_30default_config_static_selectorELNS0_4arch9wavefront6targetE0EEEvSS_, .Lfunc_end775-_ZN7rocprim17ROCPRIM_400000_NS6detail17trampoline_kernelINS0_14default_configENS1_22reduce_config_selectorIiEEZNS1_11reduce_implILb1ES3_PiS7_iN6hipcub16HIPCUB_304000_NS6detail34convert_binary_result_type_wrapperINS9_3SumENS9_22TransformInputIteratorIbN2at6native12_GLOBAL__N_19NonZeroOpIN3c108BFloat16EEEPKSJ_lEEiEEEE10hipError_tPvRmT1_T2_T3_mT4_P12ihipStream_tbEUlT_E1_NS1_11comp_targetILNS1_3genE2ELNS1_11target_archE906ELNS1_3gpuE6ELNS1_3repE0EEENS1_30default_config_static_selectorELNS0_4arch9wavefront6targetE0EEEvSS_
                                        ; -- End function
	.section	.AMDGPU.csdata,"",@progbits
; Kernel info:
; codeLenInByte = 0
; NumSgprs: 0
; NumVgprs: 0
; ScratchSize: 0
; MemoryBound: 0
; FloatMode: 240
; IeeeMode: 1
; LDSByteSize: 0 bytes/workgroup (compile time only)
; SGPRBlocks: 0
; VGPRBlocks: 0
; NumSGPRsForWavesPerEU: 1
; NumVGPRsForWavesPerEU: 1
; Occupancy: 16
; WaveLimiterHint : 0
; COMPUTE_PGM_RSRC2:SCRATCH_EN: 0
; COMPUTE_PGM_RSRC2:USER_SGPR: 15
; COMPUTE_PGM_RSRC2:TRAP_HANDLER: 0
; COMPUTE_PGM_RSRC2:TGID_X_EN: 1
; COMPUTE_PGM_RSRC2:TGID_Y_EN: 0
; COMPUTE_PGM_RSRC2:TGID_Z_EN: 0
; COMPUTE_PGM_RSRC2:TIDIG_COMP_CNT: 0
	.section	.text._ZN7rocprim17ROCPRIM_400000_NS6detail17trampoline_kernelINS0_14default_configENS1_22reduce_config_selectorIiEEZNS1_11reduce_implILb1ES3_PiS7_iN6hipcub16HIPCUB_304000_NS6detail34convert_binary_result_type_wrapperINS9_3SumENS9_22TransformInputIteratorIbN2at6native12_GLOBAL__N_19NonZeroOpIN3c108BFloat16EEEPKSJ_lEEiEEEE10hipError_tPvRmT1_T2_T3_mT4_P12ihipStream_tbEUlT_E1_NS1_11comp_targetILNS1_3genE10ELNS1_11target_archE1201ELNS1_3gpuE5ELNS1_3repE0EEENS1_30default_config_static_selectorELNS0_4arch9wavefront6targetE0EEEvSS_,"axG",@progbits,_ZN7rocprim17ROCPRIM_400000_NS6detail17trampoline_kernelINS0_14default_configENS1_22reduce_config_selectorIiEEZNS1_11reduce_implILb1ES3_PiS7_iN6hipcub16HIPCUB_304000_NS6detail34convert_binary_result_type_wrapperINS9_3SumENS9_22TransformInputIteratorIbN2at6native12_GLOBAL__N_19NonZeroOpIN3c108BFloat16EEEPKSJ_lEEiEEEE10hipError_tPvRmT1_T2_T3_mT4_P12ihipStream_tbEUlT_E1_NS1_11comp_targetILNS1_3genE10ELNS1_11target_archE1201ELNS1_3gpuE5ELNS1_3repE0EEENS1_30default_config_static_selectorELNS0_4arch9wavefront6targetE0EEEvSS_,comdat
	.globl	_ZN7rocprim17ROCPRIM_400000_NS6detail17trampoline_kernelINS0_14default_configENS1_22reduce_config_selectorIiEEZNS1_11reduce_implILb1ES3_PiS7_iN6hipcub16HIPCUB_304000_NS6detail34convert_binary_result_type_wrapperINS9_3SumENS9_22TransformInputIteratorIbN2at6native12_GLOBAL__N_19NonZeroOpIN3c108BFloat16EEEPKSJ_lEEiEEEE10hipError_tPvRmT1_T2_T3_mT4_P12ihipStream_tbEUlT_E1_NS1_11comp_targetILNS1_3genE10ELNS1_11target_archE1201ELNS1_3gpuE5ELNS1_3repE0EEENS1_30default_config_static_selectorELNS0_4arch9wavefront6targetE0EEEvSS_ ; -- Begin function _ZN7rocprim17ROCPRIM_400000_NS6detail17trampoline_kernelINS0_14default_configENS1_22reduce_config_selectorIiEEZNS1_11reduce_implILb1ES3_PiS7_iN6hipcub16HIPCUB_304000_NS6detail34convert_binary_result_type_wrapperINS9_3SumENS9_22TransformInputIteratorIbN2at6native12_GLOBAL__N_19NonZeroOpIN3c108BFloat16EEEPKSJ_lEEiEEEE10hipError_tPvRmT1_T2_T3_mT4_P12ihipStream_tbEUlT_E1_NS1_11comp_targetILNS1_3genE10ELNS1_11target_archE1201ELNS1_3gpuE5ELNS1_3repE0EEENS1_30default_config_static_selectorELNS0_4arch9wavefront6targetE0EEEvSS_
	.p2align	8
	.type	_ZN7rocprim17ROCPRIM_400000_NS6detail17trampoline_kernelINS0_14default_configENS1_22reduce_config_selectorIiEEZNS1_11reduce_implILb1ES3_PiS7_iN6hipcub16HIPCUB_304000_NS6detail34convert_binary_result_type_wrapperINS9_3SumENS9_22TransformInputIteratorIbN2at6native12_GLOBAL__N_19NonZeroOpIN3c108BFloat16EEEPKSJ_lEEiEEEE10hipError_tPvRmT1_T2_T3_mT4_P12ihipStream_tbEUlT_E1_NS1_11comp_targetILNS1_3genE10ELNS1_11target_archE1201ELNS1_3gpuE5ELNS1_3repE0EEENS1_30default_config_static_selectorELNS0_4arch9wavefront6targetE0EEEvSS_,@function
_ZN7rocprim17ROCPRIM_400000_NS6detail17trampoline_kernelINS0_14default_configENS1_22reduce_config_selectorIiEEZNS1_11reduce_implILb1ES3_PiS7_iN6hipcub16HIPCUB_304000_NS6detail34convert_binary_result_type_wrapperINS9_3SumENS9_22TransformInputIteratorIbN2at6native12_GLOBAL__N_19NonZeroOpIN3c108BFloat16EEEPKSJ_lEEiEEEE10hipError_tPvRmT1_T2_T3_mT4_P12ihipStream_tbEUlT_E1_NS1_11comp_targetILNS1_3genE10ELNS1_11target_archE1201ELNS1_3gpuE5ELNS1_3repE0EEENS1_30default_config_static_selectorELNS0_4arch9wavefront6targetE0EEEvSS_: ; @_ZN7rocprim17ROCPRIM_400000_NS6detail17trampoline_kernelINS0_14default_configENS1_22reduce_config_selectorIiEEZNS1_11reduce_implILb1ES3_PiS7_iN6hipcub16HIPCUB_304000_NS6detail34convert_binary_result_type_wrapperINS9_3SumENS9_22TransformInputIteratorIbN2at6native12_GLOBAL__N_19NonZeroOpIN3c108BFloat16EEEPKSJ_lEEiEEEE10hipError_tPvRmT1_T2_T3_mT4_P12ihipStream_tbEUlT_E1_NS1_11comp_targetILNS1_3genE10ELNS1_11target_archE1201ELNS1_3gpuE5ELNS1_3repE0EEENS1_30default_config_static_selectorELNS0_4arch9wavefront6targetE0EEEvSS_
; %bb.0:
	.section	.rodata,"a",@progbits
	.p2align	6, 0x0
	.amdhsa_kernel _ZN7rocprim17ROCPRIM_400000_NS6detail17trampoline_kernelINS0_14default_configENS1_22reduce_config_selectorIiEEZNS1_11reduce_implILb1ES3_PiS7_iN6hipcub16HIPCUB_304000_NS6detail34convert_binary_result_type_wrapperINS9_3SumENS9_22TransformInputIteratorIbN2at6native12_GLOBAL__N_19NonZeroOpIN3c108BFloat16EEEPKSJ_lEEiEEEE10hipError_tPvRmT1_T2_T3_mT4_P12ihipStream_tbEUlT_E1_NS1_11comp_targetILNS1_3genE10ELNS1_11target_archE1201ELNS1_3gpuE5ELNS1_3repE0EEENS1_30default_config_static_selectorELNS0_4arch9wavefront6targetE0EEEvSS_
		.amdhsa_group_segment_fixed_size 0
		.amdhsa_private_segment_fixed_size 0
		.amdhsa_kernarg_size 40
		.amdhsa_user_sgpr_count 15
		.amdhsa_user_sgpr_dispatch_ptr 0
		.amdhsa_user_sgpr_queue_ptr 0
		.amdhsa_user_sgpr_kernarg_segment_ptr 1
		.amdhsa_user_sgpr_dispatch_id 0
		.amdhsa_user_sgpr_private_segment_size 0
		.amdhsa_wavefront_size32 1
		.amdhsa_uses_dynamic_stack 0
		.amdhsa_enable_private_segment 0
		.amdhsa_system_sgpr_workgroup_id_x 1
		.amdhsa_system_sgpr_workgroup_id_y 0
		.amdhsa_system_sgpr_workgroup_id_z 0
		.amdhsa_system_sgpr_workgroup_info 0
		.amdhsa_system_vgpr_workitem_id 0
		.amdhsa_next_free_vgpr 1
		.amdhsa_next_free_sgpr 1
		.amdhsa_reserve_vcc 0
		.amdhsa_float_round_mode_32 0
		.amdhsa_float_round_mode_16_64 0
		.amdhsa_float_denorm_mode_32 3
		.amdhsa_float_denorm_mode_16_64 3
		.amdhsa_dx10_clamp 1
		.amdhsa_ieee_mode 1
		.amdhsa_fp16_overflow 0
		.amdhsa_workgroup_processor_mode 1
		.amdhsa_memory_ordered 1
		.amdhsa_forward_progress 0
		.amdhsa_shared_vgpr_count 0
		.amdhsa_exception_fp_ieee_invalid_op 0
		.amdhsa_exception_fp_denorm_src 0
		.amdhsa_exception_fp_ieee_div_zero 0
		.amdhsa_exception_fp_ieee_overflow 0
		.amdhsa_exception_fp_ieee_underflow 0
		.amdhsa_exception_fp_ieee_inexact 0
		.amdhsa_exception_int_div_zero 0
	.end_amdhsa_kernel
	.section	.text._ZN7rocprim17ROCPRIM_400000_NS6detail17trampoline_kernelINS0_14default_configENS1_22reduce_config_selectorIiEEZNS1_11reduce_implILb1ES3_PiS7_iN6hipcub16HIPCUB_304000_NS6detail34convert_binary_result_type_wrapperINS9_3SumENS9_22TransformInputIteratorIbN2at6native12_GLOBAL__N_19NonZeroOpIN3c108BFloat16EEEPKSJ_lEEiEEEE10hipError_tPvRmT1_T2_T3_mT4_P12ihipStream_tbEUlT_E1_NS1_11comp_targetILNS1_3genE10ELNS1_11target_archE1201ELNS1_3gpuE5ELNS1_3repE0EEENS1_30default_config_static_selectorELNS0_4arch9wavefront6targetE0EEEvSS_,"axG",@progbits,_ZN7rocprim17ROCPRIM_400000_NS6detail17trampoline_kernelINS0_14default_configENS1_22reduce_config_selectorIiEEZNS1_11reduce_implILb1ES3_PiS7_iN6hipcub16HIPCUB_304000_NS6detail34convert_binary_result_type_wrapperINS9_3SumENS9_22TransformInputIteratorIbN2at6native12_GLOBAL__N_19NonZeroOpIN3c108BFloat16EEEPKSJ_lEEiEEEE10hipError_tPvRmT1_T2_T3_mT4_P12ihipStream_tbEUlT_E1_NS1_11comp_targetILNS1_3genE10ELNS1_11target_archE1201ELNS1_3gpuE5ELNS1_3repE0EEENS1_30default_config_static_selectorELNS0_4arch9wavefront6targetE0EEEvSS_,comdat
.Lfunc_end776:
	.size	_ZN7rocprim17ROCPRIM_400000_NS6detail17trampoline_kernelINS0_14default_configENS1_22reduce_config_selectorIiEEZNS1_11reduce_implILb1ES3_PiS7_iN6hipcub16HIPCUB_304000_NS6detail34convert_binary_result_type_wrapperINS9_3SumENS9_22TransformInputIteratorIbN2at6native12_GLOBAL__N_19NonZeroOpIN3c108BFloat16EEEPKSJ_lEEiEEEE10hipError_tPvRmT1_T2_T3_mT4_P12ihipStream_tbEUlT_E1_NS1_11comp_targetILNS1_3genE10ELNS1_11target_archE1201ELNS1_3gpuE5ELNS1_3repE0EEENS1_30default_config_static_selectorELNS0_4arch9wavefront6targetE0EEEvSS_, .Lfunc_end776-_ZN7rocprim17ROCPRIM_400000_NS6detail17trampoline_kernelINS0_14default_configENS1_22reduce_config_selectorIiEEZNS1_11reduce_implILb1ES3_PiS7_iN6hipcub16HIPCUB_304000_NS6detail34convert_binary_result_type_wrapperINS9_3SumENS9_22TransformInputIteratorIbN2at6native12_GLOBAL__N_19NonZeroOpIN3c108BFloat16EEEPKSJ_lEEiEEEE10hipError_tPvRmT1_T2_T3_mT4_P12ihipStream_tbEUlT_E1_NS1_11comp_targetILNS1_3genE10ELNS1_11target_archE1201ELNS1_3gpuE5ELNS1_3repE0EEENS1_30default_config_static_selectorELNS0_4arch9wavefront6targetE0EEEvSS_
                                        ; -- End function
	.section	.AMDGPU.csdata,"",@progbits
; Kernel info:
; codeLenInByte = 0
; NumSgprs: 0
; NumVgprs: 0
; ScratchSize: 0
; MemoryBound: 0
; FloatMode: 240
; IeeeMode: 1
; LDSByteSize: 0 bytes/workgroup (compile time only)
; SGPRBlocks: 0
; VGPRBlocks: 0
; NumSGPRsForWavesPerEU: 1
; NumVGPRsForWavesPerEU: 1
; Occupancy: 16
; WaveLimiterHint : 0
; COMPUTE_PGM_RSRC2:SCRATCH_EN: 0
; COMPUTE_PGM_RSRC2:USER_SGPR: 15
; COMPUTE_PGM_RSRC2:TRAP_HANDLER: 0
; COMPUTE_PGM_RSRC2:TGID_X_EN: 1
; COMPUTE_PGM_RSRC2:TGID_Y_EN: 0
; COMPUTE_PGM_RSRC2:TGID_Z_EN: 0
; COMPUTE_PGM_RSRC2:TIDIG_COMP_CNT: 0
	.section	.text._ZN7rocprim17ROCPRIM_400000_NS6detail17trampoline_kernelINS0_14default_configENS1_22reduce_config_selectorIiEEZNS1_11reduce_implILb1ES3_PiS7_iN6hipcub16HIPCUB_304000_NS6detail34convert_binary_result_type_wrapperINS9_3SumENS9_22TransformInputIteratorIbN2at6native12_GLOBAL__N_19NonZeroOpIN3c108BFloat16EEEPKSJ_lEEiEEEE10hipError_tPvRmT1_T2_T3_mT4_P12ihipStream_tbEUlT_E1_NS1_11comp_targetILNS1_3genE10ELNS1_11target_archE1200ELNS1_3gpuE4ELNS1_3repE0EEENS1_30default_config_static_selectorELNS0_4arch9wavefront6targetE0EEEvSS_,"axG",@progbits,_ZN7rocprim17ROCPRIM_400000_NS6detail17trampoline_kernelINS0_14default_configENS1_22reduce_config_selectorIiEEZNS1_11reduce_implILb1ES3_PiS7_iN6hipcub16HIPCUB_304000_NS6detail34convert_binary_result_type_wrapperINS9_3SumENS9_22TransformInputIteratorIbN2at6native12_GLOBAL__N_19NonZeroOpIN3c108BFloat16EEEPKSJ_lEEiEEEE10hipError_tPvRmT1_T2_T3_mT4_P12ihipStream_tbEUlT_E1_NS1_11comp_targetILNS1_3genE10ELNS1_11target_archE1200ELNS1_3gpuE4ELNS1_3repE0EEENS1_30default_config_static_selectorELNS0_4arch9wavefront6targetE0EEEvSS_,comdat
	.globl	_ZN7rocprim17ROCPRIM_400000_NS6detail17trampoline_kernelINS0_14default_configENS1_22reduce_config_selectorIiEEZNS1_11reduce_implILb1ES3_PiS7_iN6hipcub16HIPCUB_304000_NS6detail34convert_binary_result_type_wrapperINS9_3SumENS9_22TransformInputIteratorIbN2at6native12_GLOBAL__N_19NonZeroOpIN3c108BFloat16EEEPKSJ_lEEiEEEE10hipError_tPvRmT1_T2_T3_mT4_P12ihipStream_tbEUlT_E1_NS1_11comp_targetILNS1_3genE10ELNS1_11target_archE1200ELNS1_3gpuE4ELNS1_3repE0EEENS1_30default_config_static_selectorELNS0_4arch9wavefront6targetE0EEEvSS_ ; -- Begin function _ZN7rocprim17ROCPRIM_400000_NS6detail17trampoline_kernelINS0_14default_configENS1_22reduce_config_selectorIiEEZNS1_11reduce_implILb1ES3_PiS7_iN6hipcub16HIPCUB_304000_NS6detail34convert_binary_result_type_wrapperINS9_3SumENS9_22TransformInputIteratorIbN2at6native12_GLOBAL__N_19NonZeroOpIN3c108BFloat16EEEPKSJ_lEEiEEEE10hipError_tPvRmT1_T2_T3_mT4_P12ihipStream_tbEUlT_E1_NS1_11comp_targetILNS1_3genE10ELNS1_11target_archE1200ELNS1_3gpuE4ELNS1_3repE0EEENS1_30default_config_static_selectorELNS0_4arch9wavefront6targetE0EEEvSS_
	.p2align	8
	.type	_ZN7rocprim17ROCPRIM_400000_NS6detail17trampoline_kernelINS0_14default_configENS1_22reduce_config_selectorIiEEZNS1_11reduce_implILb1ES3_PiS7_iN6hipcub16HIPCUB_304000_NS6detail34convert_binary_result_type_wrapperINS9_3SumENS9_22TransformInputIteratorIbN2at6native12_GLOBAL__N_19NonZeroOpIN3c108BFloat16EEEPKSJ_lEEiEEEE10hipError_tPvRmT1_T2_T3_mT4_P12ihipStream_tbEUlT_E1_NS1_11comp_targetILNS1_3genE10ELNS1_11target_archE1200ELNS1_3gpuE4ELNS1_3repE0EEENS1_30default_config_static_selectorELNS0_4arch9wavefront6targetE0EEEvSS_,@function
_ZN7rocprim17ROCPRIM_400000_NS6detail17trampoline_kernelINS0_14default_configENS1_22reduce_config_selectorIiEEZNS1_11reduce_implILb1ES3_PiS7_iN6hipcub16HIPCUB_304000_NS6detail34convert_binary_result_type_wrapperINS9_3SumENS9_22TransformInputIteratorIbN2at6native12_GLOBAL__N_19NonZeroOpIN3c108BFloat16EEEPKSJ_lEEiEEEE10hipError_tPvRmT1_T2_T3_mT4_P12ihipStream_tbEUlT_E1_NS1_11comp_targetILNS1_3genE10ELNS1_11target_archE1200ELNS1_3gpuE4ELNS1_3repE0EEENS1_30default_config_static_selectorELNS0_4arch9wavefront6targetE0EEEvSS_: ; @_ZN7rocprim17ROCPRIM_400000_NS6detail17trampoline_kernelINS0_14default_configENS1_22reduce_config_selectorIiEEZNS1_11reduce_implILb1ES3_PiS7_iN6hipcub16HIPCUB_304000_NS6detail34convert_binary_result_type_wrapperINS9_3SumENS9_22TransformInputIteratorIbN2at6native12_GLOBAL__N_19NonZeroOpIN3c108BFloat16EEEPKSJ_lEEiEEEE10hipError_tPvRmT1_T2_T3_mT4_P12ihipStream_tbEUlT_E1_NS1_11comp_targetILNS1_3genE10ELNS1_11target_archE1200ELNS1_3gpuE4ELNS1_3repE0EEENS1_30default_config_static_selectorELNS0_4arch9wavefront6targetE0EEEvSS_
; %bb.0:
	.section	.rodata,"a",@progbits
	.p2align	6, 0x0
	.amdhsa_kernel _ZN7rocprim17ROCPRIM_400000_NS6detail17trampoline_kernelINS0_14default_configENS1_22reduce_config_selectorIiEEZNS1_11reduce_implILb1ES3_PiS7_iN6hipcub16HIPCUB_304000_NS6detail34convert_binary_result_type_wrapperINS9_3SumENS9_22TransformInputIteratorIbN2at6native12_GLOBAL__N_19NonZeroOpIN3c108BFloat16EEEPKSJ_lEEiEEEE10hipError_tPvRmT1_T2_T3_mT4_P12ihipStream_tbEUlT_E1_NS1_11comp_targetILNS1_3genE10ELNS1_11target_archE1200ELNS1_3gpuE4ELNS1_3repE0EEENS1_30default_config_static_selectorELNS0_4arch9wavefront6targetE0EEEvSS_
		.amdhsa_group_segment_fixed_size 0
		.amdhsa_private_segment_fixed_size 0
		.amdhsa_kernarg_size 40
		.amdhsa_user_sgpr_count 15
		.amdhsa_user_sgpr_dispatch_ptr 0
		.amdhsa_user_sgpr_queue_ptr 0
		.amdhsa_user_sgpr_kernarg_segment_ptr 1
		.amdhsa_user_sgpr_dispatch_id 0
		.amdhsa_user_sgpr_private_segment_size 0
		.amdhsa_wavefront_size32 1
		.amdhsa_uses_dynamic_stack 0
		.amdhsa_enable_private_segment 0
		.amdhsa_system_sgpr_workgroup_id_x 1
		.amdhsa_system_sgpr_workgroup_id_y 0
		.amdhsa_system_sgpr_workgroup_id_z 0
		.amdhsa_system_sgpr_workgroup_info 0
		.amdhsa_system_vgpr_workitem_id 0
		.amdhsa_next_free_vgpr 1
		.amdhsa_next_free_sgpr 1
		.amdhsa_reserve_vcc 0
		.amdhsa_float_round_mode_32 0
		.amdhsa_float_round_mode_16_64 0
		.amdhsa_float_denorm_mode_32 3
		.amdhsa_float_denorm_mode_16_64 3
		.amdhsa_dx10_clamp 1
		.amdhsa_ieee_mode 1
		.amdhsa_fp16_overflow 0
		.amdhsa_workgroup_processor_mode 1
		.amdhsa_memory_ordered 1
		.amdhsa_forward_progress 0
		.amdhsa_shared_vgpr_count 0
		.amdhsa_exception_fp_ieee_invalid_op 0
		.amdhsa_exception_fp_denorm_src 0
		.amdhsa_exception_fp_ieee_div_zero 0
		.amdhsa_exception_fp_ieee_overflow 0
		.amdhsa_exception_fp_ieee_underflow 0
		.amdhsa_exception_fp_ieee_inexact 0
		.amdhsa_exception_int_div_zero 0
	.end_amdhsa_kernel
	.section	.text._ZN7rocprim17ROCPRIM_400000_NS6detail17trampoline_kernelINS0_14default_configENS1_22reduce_config_selectorIiEEZNS1_11reduce_implILb1ES3_PiS7_iN6hipcub16HIPCUB_304000_NS6detail34convert_binary_result_type_wrapperINS9_3SumENS9_22TransformInputIteratorIbN2at6native12_GLOBAL__N_19NonZeroOpIN3c108BFloat16EEEPKSJ_lEEiEEEE10hipError_tPvRmT1_T2_T3_mT4_P12ihipStream_tbEUlT_E1_NS1_11comp_targetILNS1_3genE10ELNS1_11target_archE1200ELNS1_3gpuE4ELNS1_3repE0EEENS1_30default_config_static_selectorELNS0_4arch9wavefront6targetE0EEEvSS_,"axG",@progbits,_ZN7rocprim17ROCPRIM_400000_NS6detail17trampoline_kernelINS0_14default_configENS1_22reduce_config_selectorIiEEZNS1_11reduce_implILb1ES3_PiS7_iN6hipcub16HIPCUB_304000_NS6detail34convert_binary_result_type_wrapperINS9_3SumENS9_22TransformInputIteratorIbN2at6native12_GLOBAL__N_19NonZeroOpIN3c108BFloat16EEEPKSJ_lEEiEEEE10hipError_tPvRmT1_T2_T3_mT4_P12ihipStream_tbEUlT_E1_NS1_11comp_targetILNS1_3genE10ELNS1_11target_archE1200ELNS1_3gpuE4ELNS1_3repE0EEENS1_30default_config_static_selectorELNS0_4arch9wavefront6targetE0EEEvSS_,comdat
.Lfunc_end777:
	.size	_ZN7rocprim17ROCPRIM_400000_NS6detail17trampoline_kernelINS0_14default_configENS1_22reduce_config_selectorIiEEZNS1_11reduce_implILb1ES3_PiS7_iN6hipcub16HIPCUB_304000_NS6detail34convert_binary_result_type_wrapperINS9_3SumENS9_22TransformInputIteratorIbN2at6native12_GLOBAL__N_19NonZeroOpIN3c108BFloat16EEEPKSJ_lEEiEEEE10hipError_tPvRmT1_T2_T3_mT4_P12ihipStream_tbEUlT_E1_NS1_11comp_targetILNS1_3genE10ELNS1_11target_archE1200ELNS1_3gpuE4ELNS1_3repE0EEENS1_30default_config_static_selectorELNS0_4arch9wavefront6targetE0EEEvSS_, .Lfunc_end777-_ZN7rocprim17ROCPRIM_400000_NS6detail17trampoline_kernelINS0_14default_configENS1_22reduce_config_selectorIiEEZNS1_11reduce_implILb1ES3_PiS7_iN6hipcub16HIPCUB_304000_NS6detail34convert_binary_result_type_wrapperINS9_3SumENS9_22TransformInputIteratorIbN2at6native12_GLOBAL__N_19NonZeroOpIN3c108BFloat16EEEPKSJ_lEEiEEEE10hipError_tPvRmT1_T2_T3_mT4_P12ihipStream_tbEUlT_E1_NS1_11comp_targetILNS1_3genE10ELNS1_11target_archE1200ELNS1_3gpuE4ELNS1_3repE0EEENS1_30default_config_static_selectorELNS0_4arch9wavefront6targetE0EEEvSS_
                                        ; -- End function
	.section	.AMDGPU.csdata,"",@progbits
; Kernel info:
; codeLenInByte = 0
; NumSgprs: 0
; NumVgprs: 0
; ScratchSize: 0
; MemoryBound: 0
; FloatMode: 240
; IeeeMode: 1
; LDSByteSize: 0 bytes/workgroup (compile time only)
; SGPRBlocks: 0
; VGPRBlocks: 0
; NumSGPRsForWavesPerEU: 1
; NumVGPRsForWavesPerEU: 1
; Occupancy: 16
; WaveLimiterHint : 0
; COMPUTE_PGM_RSRC2:SCRATCH_EN: 0
; COMPUTE_PGM_RSRC2:USER_SGPR: 15
; COMPUTE_PGM_RSRC2:TRAP_HANDLER: 0
; COMPUTE_PGM_RSRC2:TGID_X_EN: 1
; COMPUTE_PGM_RSRC2:TGID_Y_EN: 0
; COMPUTE_PGM_RSRC2:TGID_Z_EN: 0
; COMPUTE_PGM_RSRC2:TIDIG_COMP_CNT: 0
	.section	.text._ZN7rocprim17ROCPRIM_400000_NS6detail17trampoline_kernelINS0_14default_configENS1_22reduce_config_selectorIiEEZNS1_11reduce_implILb1ES3_PiS7_iN6hipcub16HIPCUB_304000_NS6detail34convert_binary_result_type_wrapperINS9_3SumENS9_22TransformInputIteratorIbN2at6native12_GLOBAL__N_19NonZeroOpIN3c108BFloat16EEEPKSJ_lEEiEEEE10hipError_tPvRmT1_T2_T3_mT4_P12ihipStream_tbEUlT_E1_NS1_11comp_targetILNS1_3genE9ELNS1_11target_archE1100ELNS1_3gpuE3ELNS1_3repE0EEENS1_30default_config_static_selectorELNS0_4arch9wavefront6targetE0EEEvSS_,"axG",@progbits,_ZN7rocprim17ROCPRIM_400000_NS6detail17trampoline_kernelINS0_14default_configENS1_22reduce_config_selectorIiEEZNS1_11reduce_implILb1ES3_PiS7_iN6hipcub16HIPCUB_304000_NS6detail34convert_binary_result_type_wrapperINS9_3SumENS9_22TransformInputIteratorIbN2at6native12_GLOBAL__N_19NonZeroOpIN3c108BFloat16EEEPKSJ_lEEiEEEE10hipError_tPvRmT1_T2_T3_mT4_P12ihipStream_tbEUlT_E1_NS1_11comp_targetILNS1_3genE9ELNS1_11target_archE1100ELNS1_3gpuE3ELNS1_3repE0EEENS1_30default_config_static_selectorELNS0_4arch9wavefront6targetE0EEEvSS_,comdat
	.globl	_ZN7rocprim17ROCPRIM_400000_NS6detail17trampoline_kernelINS0_14default_configENS1_22reduce_config_selectorIiEEZNS1_11reduce_implILb1ES3_PiS7_iN6hipcub16HIPCUB_304000_NS6detail34convert_binary_result_type_wrapperINS9_3SumENS9_22TransformInputIteratorIbN2at6native12_GLOBAL__N_19NonZeroOpIN3c108BFloat16EEEPKSJ_lEEiEEEE10hipError_tPvRmT1_T2_T3_mT4_P12ihipStream_tbEUlT_E1_NS1_11comp_targetILNS1_3genE9ELNS1_11target_archE1100ELNS1_3gpuE3ELNS1_3repE0EEENS1_30default_config_static_selectorELNS0_4arch9wavefront6targetE0EEEvSS_ ; -- Begin function _ZN7rocprim17ROCPRIM_400000_NS6detail17trampoline_kernelINS0_14default_configENS1_22reduce_config_selectorIiEEZNS1_11reduce_implILb1ES3_PiS7_iN6hipcub16HIPCUB_304000_NS6detail34convert_binary_result_type_wrapperINS9_3SumENS9_22TransformInputIteratorIbN2at6native12_GLOBAL__N_19NonZeroOpIN3c108BFloat16EEEPKSJ_lEEiEEEE10hipError_tPvRmT1_T2_T3_mT4_P12ihipStream_tbEUlT_E1_NS1_11comp_targetILNS1_3genE9ELNS1_11target_archE1100ELNS1_3gpuE3ELNS1_3repE0EEENS1_30default_config_static_selectorELNS0_4arch9wavefront6targetE0EEEvSS_
	.p2align	8
	.type	_ZN7rocprim17ROCPRIM_400000_NS6detail17trampoline_kernelINS0_14default_configENS1_22reduce_config_selectorIiEEZNS1_11reduce_implILb1ES3_PiS7_iN6hipcub16HIPCUB_304000_NS6detail34convert_binary_result_type_wrapperINS9_3SumENS9_22TransformInputIteratorIbN2at6native12_GLOBAL__N_19NonZeroOpIN3c108BFloat16EEEPKSJ_lEEiEEEE10hipError_tPvRmT1_T2_T3_mT4_P12ihipStream_tbEUlT_E1_NS1_11comp_targetILNS1_3genE9ELNS1_11target_archE1100ELNS1_3gpuE3ELNS1_3repE0EEENS1_30default_config_static_selectorELNS0_4arch9wavefront6targetE0EEEvSS_,@function
_ZN7rocprim17ROCPRIM_400000_NS6detail17trampoline_kernelINS0_14default_configENS1_22reduce_config_selectorIiEEZNS1_11reduce_implILb1ES3_PiS7_iN6hipcub16HIPCUB_304000_NS6detail34convert_binary_result_type_wrapperINS9_3SumENS9_22TransformInputIteratorIbN2at6native12_GLOBAL__N_19NonZeroOpIN3c108BFloat16EEEPKSJ_lEEiEEEE10hipError_tPvRmT1_T2_T3_mT4_P12ihipStream_tbEUlT_E1_NS1_11comp_targetILNS1_3genE9ELNS1_11target_archE1100ELNS1_3gpuE3ELNS1_3repE0EEENS1_30default_config_static_selectorELNS0_4arch9wavefront6targetE0EEEvSS_: ; @_ZN7rocprim17ROCPRIM_400000_NS6detail17trampoline_kernelINS0_14default_configENS1_22reduce_config_selectorIiEEZNS1_11reduce_implILb1ES3_PiS7_iN6hipcub16HIPCUB_304000_NS6detail34convert_binary_result_type_wrapperINS9_3SumENS9_22TransformInputIteratorIbN2at6native12_GLOBAL__N_19NonZeroOpIN3c108BFloat16EEEPKSJ_lEEiEEEE10hipError_tPvRmT1_T2_T3_mT4_P12ihipStream_tbEUlT_E1_NS1_11comp_targetILNS1_3genE9ELNS1_11target_archE1100ELNS1_3gpuE3ELNS1_3repE0EEENS1_30default_config_static_selectorELNS0_4arch9wavefront6targetE0EEEvSS_
; %bb.0:
	s_clause 0x1
	s_load_b32 s24, s[0:1], 0x4
	s_load_b128 s[16:19], s[0:1], 0x8
	s_mov_b32 s20, s15
	s_waitcnt lgkmcnt(0)
	s_cmp_lt_i32 s24, 8
	s_cbranch_scc1 .LBB778_11
; %bb.1:
	s_cmp_gt_i32 s24, 15
	s_cbranch_scc0 .LBB778_12
; %bb.2:
	s_cmp_gt_i32 s24, 31
	s_cbranch_scc0 .LBB778_13
; %bb.3:
	s_cmp_eq_u32 s24, 32
	s_mov_b32 s6, 0
	s_cbranch_scc0 .LBB778_14
; %bb.4:
	s_mov_b32 s21, 0
	s_lshl_b32 s4, s20, 13
	s_mov_b32 s5, s21
	s_lshr_b64 s[8:9], s[18:19], 13
	s_lshl_b64 s[2:3], s[4:5], 2
	s_delay_alu instid0(SALU_CYCLE_1)
	s_add_u32 s2, s16, s2
	s_addc_u32 s3, s17, s3
	s_cmp_lg_u64 s[8:9], s[20:21]
	s_cbranch_scc0 .LBB778_23
; %bb.5:
	v_lshlrev_b32_e32 v5, 2, v0
	s_clause 0x1
	global_load_b32 v9, v5, s[2:3]
	global_load_b32 v10, v5, s[2:3] offset:1024
	v_add_co_u32 v7, s5, s2, v5
	s_delay_alu instid0(VALU_DEP_1) | instskip(SKIP_1) | instid1(VALU_DEP_2)
	v_add_co_ci_u32_e64 v8, null, s3, 0, s5
	s_mov_b32 s5, exec_lo
	v_add_co_u32 v1, vcc_lo, 0x1000, v7
	s_delay_alu instid0(VALU_DEP_2)
	v_add_co_ci_u32_e32 v2, vcc_lo, 0, v8, vcc_lo
	s_clause 0x2
	global_load_b32 v11, v5, s[2:3] offset:2048
	global_load_b32 v12, v5, s[2:3] offset:3072
	global_load_b32 v13, v[1:2], off offset:1024
	v_add_co_u32 v3, vcc_lo, v7, 0x2000
	v_add_co_ci_u32_e32 v4, vcc_lo, 0, v8, vcc_lo
	v_add_co_u32 v5, vcc_lo, 0x2000, v7
	v_add_co_ci_u32_e32 v6, vcc_lo, 0, v8, vcc_lo
	s_clause 0x4
	global_load_b32 v14, v[3:4], off offset:-4096
	global_load_b32 v15, v[3:4], off
	global_load_b32 v16, v[1:2], off offset:2048
	global_load_b32 v17, v[1:2], off offset:3072
	;; [unrolled: 1-line block ×3, first 2 shown]
	v_add_co_u32 v1, vcc_lo, 0x3000, v7
	v_add_co_ci_u32_e32 v2, vcc_lo, 0, v8, vcc_lo
	s_clause 0x2
	global_load_b32 v19, v[5:6], off offset:2048
	global_load_b32 v20, v[5:6], off offset:3072
	;; [unrolled: 1-line block ×3, first 2 shown]
	v_add_co_u32 v3, vcc_lo, v7, 0x4000
	v_add_co_ci_u32_e32 v4, vcc_lo, 0, v8, vcc_lo
	v_add_co_u32 v5, vcc_lo, 0x4000, v7
	v_add_co_ci_u32_e32 v6, vcc_lo, 0, v8, vcc_lo
	s_clause 0x4
	global_load_b32 v22, v[3:4], off offset:-4096
	global_load_b32 v23, v[3:4], off
	global_load_b32 v24, v[1:2], off offset:2048
	global_load_b32 v25, v[1:2], off offset:3072
	;; [unrolled: 1-line block ×3, first 2 shown]
	v_add_co_u32 v1, vcc_lo, 0x5000, v7
	v_add_co_ci_u32_e32 v2, vcc_lo, 0, v8, vcc_lo
	v_add_co_u32 v3, vcc_lo, v7, 0x6000
	v_add_co_ci_u32_e32 v4, vcc_lo, 0, v8, vcc_lo
	s_clause 0x3
	global_load_b32 v27, v[5:6], off offset:2048
	global_load_b32 v28, v[5:6], off offset:3072
	global_load_b32 v29, v[3:4], off offset:-4096
	global_load_b32 v30, v[1:2], off offset:1024
	v_add_co_u32 v5, vcc_lo, 0x6000, v7
	v_add_co_ci_u32_e32 v6, vcc_lo, 0, v8, vcc_lo
	s_clause 0x3
	global_load_b32 v31, v[1:2], off offset:2048
	global_load_b32 v32, v[1:2], off offset:3072
	global_load_b32 v3, v[3:4], off
	global_load_b32 v4, v[5:6], off offset:1024
	v_add_co_u32 v1, vcc_lo, 0x7000, v7
	v_add_co_ci_u32_e32 v2, vcc_lo, 0, v8, vcc_lo
	s_clause 0x5
	global_load_b32 v7, v[5:6], off offset:2048
	global_load_b32 v5, v[5:6], off offset:3072
	global_load_b32 v6, v[1:2], off
	global_load_b32 v8, v[1:2], off offset:1024
	global_load_b32 v33, v[1:2], off offset:2048
	;; [unrolled: 1-line block ×3, first 2 shown]
	s_waitcnt vmcnt(30)
	v_add_nc_u32_e32 v2, v10, v9
	s_waitcnt vmcnt(28)
	s_delay_alu instid0(VALU_DEP_1) | instskip(SKIP_1) | instid1(VALU_DEP_1)
	v_add3_u32 v2, v2, v11, v12
	s_waitcnt vmcnt(26)
	v_add3_u32 v2, v2, v14, v13
	s_waitcnt vmcnt(23)
	s_delay_alu instid0(VALU_DEP_1) | instskip(SKIP_1) | instid1(VALU_DEP_1)
	v_add3_u32 v2, v2, v16, v17
	s_waitcnt vmcnt(22)
	v_add3_u32 v2, v2, v15, v18
	;; [unrolled: 5-line block ×6, first 2 shown]
	v_mov_b32_e32 v3, 0
	s_waitcnt vmcnt(4)
	s_delay_alu instid0(VALU_DEP_2) | instskip(SKIP_1) | instid1(VALU_DEP_1)
	v_add3_u32 v2, v2, v7, v5
	s_waitcnt vmcnt(2)
	v_add3_u32 v2, v2, v6, v8
	s_waitcnt vmcnt(0)
	s_delay_alu instid0(VALU_DEP_1) | instskip(NEXT) | instid1(VALU_DEP_1)
	v_add3_u32 v1, v2, v33, v1
	v_mov_b32_dpp v2, v1 quad_perm:[1,0,3,2] row_mask:0xf bank_mask:0xf
	s_delay_alu instid0(VALU_DEP_1) | instskip(NEXT) | instid1(VALU_DEP_1)
	v_add_nc_u32_e32 v1, v2, v1
	v_mov_b32_dpp v2, v1 quad_perm:[2,3,0,1] row_mask:0xf bank_mask:0xf
	s_delay_alu instid0(VALU_DEP_1) | instskip(NEXT) | instid1(VALU_DEP_1)
	v_add_nc_u32_e32 v1, v1, v2
	v_mov_b32_dpp v2, v1 row_ror:4 row_mask:0xf bank_mask:0xf
	s_delay_alu instid0(VALU_DEP_1) | instskip(NEXT) | instid1(VALU_DEP_1)
	v_add_nc_u32_e32 v1, v1, v2
	v_mov_b32_dpp v2, v1 row_ror:8 row_mask:0xf bank_mask:0xf
	s_delay_alu instid0(VALU_DEP_1)
	v_add_nc_u32_e32 v1, v1, v2
	ds_swizzle_b32 v2, v1 offset:swizzle(BROADCAST,32,15)
	s_waitcnt lgkmcnt(0)
	v_add_nc_u32_e32 v1, v1, v2
	v_mbcnt_lo_u32_b32 v2, -1, 0
	ds_bpermute_b32 v1, v3, v1 offset:124
	v_cmpx_eq_u32_e32 0, v2
	s_cbranch_execz .LBB778_7
; %bb.6:
	v_lshrrev_b32_e32 v3, 3, v0
	s_delay_alu instid0(VALU_DEP_1)
	v_and_b32_e32 v3, 28, v3
	s_waitcnt lgkmcnt(0)
	ds_store_b32 v3, v1 offset:96
.LBB778_7:
	s_or_b32 exec_lo, exec_lo, s5
	s_delay_alu instid0(SALU_CYCLE_1)
	s_mov_b32 s5, exec_lo
	s_waitcnt lgkmcnt(0)
	s_barrier
	buffer_gl0_inv
	v_cmpx_gt_u32_e32 32, v0
	s_cbranch_execz .LBB778_9
; %bb.8:
	v_lshl_or_b32 v1, v2, 2, 0x60
	v_and_b32_e32 v3, 7, v2
	ds_load_b32 v1, v1
	v_cmp_ne_u32_e32 vcc_lo, 7, v3
	v_add_co_ci_u32_e32 v4, vcc_lo, 0, v2, vcc_lo
	v_cmp_gt_u32_e32 vcc_lo, 6, v3
	s_delay_alu instid0(VALU_DEP_2) | instskip(SKIP_2) | instid1(VALU_DEP_2)
	v_lshlrev_b32_e32 v4, 2, v4
	v_cndmask_b32_e64 v5, 0, 1, vcc_lo
	v_cmp_gt_u32_e32 vcc_lo, 4, v3
	v_lshlrev_b32_e32 v5, 1, v5
	v_cndmask_b32_e64 v3, 0, 1, vcc_lo
	s_waitcnt lgkmcnt(0)
	ds_bpermute_b32 v4, v4, v1
	v_add_lshl_u32 v5, v5, v2, 2
	v_lshlrev_b32_e32 v3, 2, v3
	s_delay_alu instid0(VALU_DEP_1)
	v_add_lshl_u32 v2, v3, v2, 2
	s_waitcnt lgkmcnt(0)
	v_add_nc_u32_e32 v1, v4, v1
	ds_bpermute_b32 v4, v5, v1
	s_waitcnt lgkmcnt(0)
	v_add_nc_u32_e32 v1, v4, v1
	ds_bpermute_b32 v2, v2, v1
	s_waitcnt lgkmcnt(0)
	v_add_nc_u32_e32 v1, v2, v1
.LBB778_9:
	s_or_b32 exec_lo, exec_lo, s5
.LBB778_10:
	v_cmp_eq_u32_e64 s2, 0, v0
	s_and_b32 vcc_lo, exec_lo, s6
	s_cbranch_vccnz .LBB778_15
	s_branch .LBB778_93
.LBB778_11:
	s_mov_b32 s2, 0
                                        ; implicit-def: $vgpr1
	s_cbranch_execnz .LBB778_166
	s_branch .LBB778_224
.LBB778_12:
	s_mov_b32 s2, 0
                                        ; implicit-def: $vgpr1
	s_cbranch_execnz .LBB778_134
	s_branch .LBB778_142
.LBB778_13:
	s_mov_b32 s6, -1
.LBB778_14:
	s_mov_b32 s2, 0
                                        ; implicit-def: $vgpr1
	s_and_b32 vcc_lo, exec_lo, s6
	s_cbranch_vccz .LBB778_93
.LBB778_15:
	s_cmp_eq_u32 s24, 16
	s_cbranch_scc0 .LBB778_22
; %bb.16:
	s_mov_b32 s21, 0
	s_lshl_b32 s2, s20, 12
	s_mov_b32 s3, s21
	s_lshr_b64 s[6:7], s[18:19], 12
	s_lshl_b64 s[4:5], s[2:3], 2
	s_delay_alu instid0(SALU_CYCLE_1)
	s_add_u32 s22, s16, s4
	s_addc_u32 s23, s17, s5
	s_cmp_lg_u64 s[6:7], s[20:21]
	s_cbranch_scc0 .LBB778_94
; %bb.17:
	v_lshlrev_b32_e32 v5, 2, v0
	s_clause 0x1
	global_load_b32 v9, v5, s[22:23]
	global_load_b32 v10, v5, s[22:23] offset:1024
	v_add_co_u32 v7, s3, s22, v5
	s_delay_alu instid0(VALU_DEP_1) | instskip(SKIP_1) | instid1(VALU_DEP_2)
	v_add_co_ci_u32_e64 v8, null, s23, 0, s3
	s_mov_b32 s3, exec_lo
	v_add_co_u32 v1, vcc_lo, 0x1000, v7
	s_delay_alu instid0(VALU_DEP_2)
	v_add_co_ci_u32_e32 v2, vcc_lo, 0, v8, vcc_lo
	v_add_co_u32 v3, vcc_lo, v7, 0x2000
	v_add_co_ci_u32_e32 v4, vcc_lo, 0, v8, vcc_lo
	s_clause 0x3
	global_load_b32 v11, v5, s[22:23] offset:2048
	global_load_b32 v12, v5, s[22:23] offset:3072
	global_load_b32 v13, v[3:4], off offset:-4096
	global_load_b32 v14, v[1:2], off offset:1024
	v_add_co_u32 v5, vcc_lo, 0x2000, v7
	v_add_co_ci_u32_e32 v6, vcc_lo, 0, v8, vcc_lo
	s_clause 0x3
	global_load_b32 v15, v[1:2], off offset:2048
	global_load_b32 v16, v[1:2], off offset:3072
	global_load_b32 v3, v[3:4], off
	global_load_b32 v4, v[5:6], off offset:1024
	v_add_co_u32 v1, vcc_lo, 0x3000, v7
	v_add_co_ci_u32_e32 v2, vcc_lo, 0, v8, vcc_lo
	s_clause 0x5
	global_load_b32 v7, v[5:6], off offset:2048
	global_load_b32 v5, v[5:6], off offset:3072
	global_load_b32 v6, v[1:2], off
	global_load_b32 v8, v[1:2], off offset:1024
	global_load_b32 v17, v[1:2], off offset:2048
	;; [unrolled: 1-line block ×3, first 2 shown]
	s_waitcnt vmcnt(14)
	v_add_nc_u32_e32 v2, v10, v9
	s_waitcnt vmcnt(12)
	s_delay_alu instid0(VALU_DEP_1) | instskip(SKIP_1) | instid1(VALU_DEP_1)
	v_add3_u32 v2, v2, v11, v12
	s_waitcnt vmcnt(10)
	v_add3_u32 v2, v2, v13, v14
	s_waitcnt vmcnt(8)
	s_delay_alu instid0(VALU_DEP_1) | instskip(SKIP_1) | instid1(VALU_DEP_1)
	v_add3_u32 v2, v2, v15, v16
	s_waitcnt vmcnt(6)
	v_add3_u32 v2, v2, v3, v4
	v_mov_b32_e32 v3, 0
	s_waitcnt vmcnt(4)
	s_delay_alu instid0(VALU_DEP_2) | instskip(SKIP_1) | instid1(VALU_DEP_1)
	v_add3_u32 v2, v2, v7, v5
	s_waitcnt vmcnt(2)
	v_add3_u32 v2, v2, v6, v8
	s_waitcnt vmcnt(0)
	s_delay_alu instid0(VALU_DEP_1) | instskip(NEXT) | instid1(VALU_DEP_1)
	v_add3_u32 v1, v2, v17, v1
	v_mov_b32_dpp v2, v1 quad_perm:[1,0,3,2] row_mask:0xf bank_mask:0xf
	s_delay_alu instid0(VALU_DEP_1) | instskip(NEXT) | instid1(VALU_DEP_1)
	v_add_nc_u32_e32 v1, v2, v1
	v_mov_b32_dpp v2, v1 quad_perm:[2,3,0,1] row_mask:0xf bank_mask:0xf
	s_delay_alu instid0(VALU_DEP_1) | instskip(NEXT) | instid1(VALU_DEP_1)
	v_add_nc_u32_e32 v1, v1, v2
	v_mov_b32_dpp v2, v1 row_ror:4 row_mask:0xf bank_mask:0xf
	s_delay_alu instid0(VALU_DEP_1) | instskip(NEXT) | instid1(VALU_DEP_1)
	v_add_nc_u32_e32 v1, v1, v2
	v_mov_b32_dpp v2, v1 row_ror:8 row_mask:0xf bank_mask:0xf
	s_delay_alu instid0(VALU_DEP_1)
	v_add_nc_u32_e32 v1, v1, v2
	ds_swizzle_b32 v2, v1 offset:swizzle(BROADCAST,32,15)
	s_waitcnt lgkmcnt(0)
	v_add_nc_u32_e32 v1, v1, v2
	v_mbcnt_lo_u32_b32 v2, -1, 0
	ds_bpermute_b32 v1, v3, v1 offset:124
	v_cmpx_eq_u32_e32 0, v2
	s_cbranch_execz .LBB778_19
; %bb.18:
	v_lshrrev_b32_e32 v3, 3, v0
	s_delay_alu instid0(VALU_DEP_1)
	v_and_b32_e32 v3, 28, v3
	s_waitcnt lgkmcnt(0)
	ds_store_b32 v3, v1
.LBB778_19:
	s_or_b32 exec_lo, exec_lo, s3
	s_delay_alu instid0(SALU_CYCLE_1)
	s_mov_b32 s3, exec_lo
	s_waitcnt lgkmcnt(0)
	s_barrier
	buffer_gl0_inv
	v_cmpx_gt_u32_e32 32, v0
	s_cbranch_execz .LBB778_21
; %bb.20:
	v_and_b32_e32 v1, 7, v2
	s_delay_alu instid0(VALU_DEP_1) | instskip(SKIP_4) | instid1(VALU_DEP_2)
	v_lshlrev_b32_e32 v3, 2, v1
	v_cmp_ne_u32_e32 vcc_lo, 7, v1
	ds_load_b32 v3, v3
	v_add_co_ci_u32_e32 v4, vcc_lo, 0, v2, vcc_lo
	v_cmp_gt_u32_e32 vcc_lo, 6, v1
	v_lshlrev_b32_e32 v4, 2, v4
	v_cndmask_b32_e64 v5, 0, 1, vcc_lo
	v_cmp_gt_u32_e32 vcc_lo, 4, v1
	s_delay_alu instid0(VALU_DEP_2) | instskip(SKIP_1) | instid1(VALU_DEP_2)
	v_lshlrev_b32_e32 v5, 1, v5
	v_cndmask_b32_e64 v1, 0, 1, vcc_lo
	v_add_lshl_u32 v5, v5, v2, 2
	s_delay_alu instid0(VALU_DEP_2)
	v_lshlrev_b32_e32 v1, 2, v1
	s_waitcnt lgkmcnt(0)
	ds_bpermute_b32 v4, v4, v3
	v_add_lshl_u32 v1, v1, v2, 2
	s_waitcnt lgkmcnt(0)
	v_add_nc_u32_e32 v3, v4, v3
	ds_bpermute_b32 v4, v5, v3
	s_waitcnt lgkmcnt(0)
	v_add_nc_u32_e32 v3, v4, v3
	ds_bpermute_b32 v1, v1, v3
	s_waitcnt lgkmcnt(0)
	v_add_nc_u32_e32 v1, v1, v3
.LBB778_21:
	s_or_b32 exec_lo, exec_lo, s3
	s_mov_b32 s3, 0
	s_branch .LBB778_95
.LBB778_22:
                                        ; implicit-def: $vgpr1
	s_branch .LBB778_142
.LBB778_23:
                                        ; implicit-def: $vgpr1
	s_cbranch_execz .LBB778_10
; %bb.24:
	s_sub_i32 s4, s18, s4
	s_mov_b32 s5, exec_lo
                                        ; implicit-def: $vgpr1
	v_cmpx_gt_u32_e64 s4, v0
	s_cbranch_execz .LBB778_26
; %bb.25:
	v_lshlrev_b32_e32 v1, 2, v0
	global_load_b32 v1, v1, s[2:3]
.LBB778_26:
	s_or_b32 exec_lo, exec_lo, s5
	v_or_b32_e32 v3, 0x100, v0
	v_mov_b32_e32 v2, 0
	s_delay_alu instid0(VALU_DEP_2)
	v_cmp_gt_u32_e32 vcc_lo, s4, v3
	v_mov_b32_e32 v3, 0
	s_and_saveexec_b32 s5, vcc_lo
	s_cbranch_execz .LBB778_28
; %bb.27:
	v_lshlrev_b32_e32 v3, 2, v0
	global_load_b32 v3, v3, s[2:3] offset:1024
.LBB778_28:
	s_or_b32 exec_lo, exec_lo, s5
	v_or_b32_e32 v4, 0x200, v0
	s_mov_b32 s5, exec_lo
	s_delay_alu instid0(VALU_DEP_1)
	v_cmpx_gt_u32_e64 s4, v4
	s_cbranch_execz .LBB778_30
; %bb.29:
	v_lshlrev_b32_e32 v2, 2, v0
	global_load_b32 v2, v2, s[2:3] offset:2048
.LBB778_30:
	s_or_b32 exec_lo, exec_lo, s5
	v_or_b32_e32 v5, 0x300, v0
	v_mov_b32_e32 v4, 0
	s_delay_alu instid0(VALU_DEP_2)
	v_cmp_gt_u32_e32 vcc_lo, s4, v5
	v_mov_b32_e32 v5, 0
	s_and_saveexec_b32 s5, vcc_lo
	s_cbranch_execz .LBB778_32
; %bb.31:
	v_lshlrev_b32_e32 v5, 2, v0
	global_load_b32 v5, v5, s[2:3] offset:3072
.LBB778_32:
	s_or_b32 exec_lo, exec_lo, s5
	v_or_b32_e32 v6, 0x400, v0
	s_mov_b32 s5, exec_lo
	s_delay_alu instid0(VALU_DEP_1)
	v_cmpx_gt_u32_e64 s4, v6
	s_cbranch_execz .LBB778_34
; %bb.33:
	v_lshlrev_b32_e32 v4, 2, v6
	global_load_b32 v4, v4, s[2:3]
.LBB778_34:
	s_or_b32 exec_lo, exec_lo, s5
	v_or_b32_e32 v8, 0x500, v0
	v_dual_mov_b32 v6, 0 :: v_dual_mov_b32 v7, 0
	s_mov_b32 s5, exec_lo
	s_delay_alu instid0(VALU_DEP_2)
	v_cmpx_gt_u32_e64 s4, v8
	s_cbranch_execz .LBB778_36
; %bb.35:
	v_lshlrev_b32_e32 v7, 2, v8
	global_load_b32 v7, v7, s[2:3]
.LBB778_36:
	s_or_b32 exec_lo, exec_lo, s5
	v_or_b32_e32 v8, 0x600, v0
	s_mov_b32 s5, exec_lo
	s_delay_alu instid0(VALU_DEP_1)
	v_cmpx_gt_u32_e64 s4, v8
	s_cbranch_execz .LBB778_38
; %bb.37:
	v_lshlrev_b32_e32 v6, 2, v8
	global_load_b32 v6, v6, s[2:3]
.LBB778_38:
	s_or_b32 exec_lo, exec_lo, s5
	v_or_b32_e32 v10, 0x700, v0
	v_dual_mov_b32 v8, 0 :: v_dual_mov_b32 v9, 0
	s_mov_b32 s5, exec_lo
	s_delay_alu instid0(VALU_DEP_2)
	v_cmpx_gt_u32_e64 s4, v10
	s_cbranch_execz .LBB778_40
; %bb.39:
	v_lshlrev_b32_e32 v9, 2, v10
	global_load_b32 v9, v9, s[2:3]
.LBB778_40:
	s_or_b32 exec_lo, exec_lo, s5
	v_or_b32_e32 v10, 0x800, v0
	s_mov_b32 s5, exec_lo
	s_delay_alu instid0(VALU_DEP_1)
	v_cmpx_gt_u32_e64 s4, v10
	s_cbranch_execz .LBB778_42
; %bb.41:
	v_lshlrev_b32_e32 v8, 2, v10
	global_load_b32 v8, v8, s[2:3]
.LBB778_42:
	s_or_b32 exec_lo, exec_lo, s5
	v_or_b32_e32 v12, 0x900, v0
	v_dual_mov_b32 v10, 0 :: v_dual_mov_b32 v11, 0
	s_mov_b32 s5, exec_lo
	s_delay_alu instid0(VALU_DEP_2)
	v_cmpx_gt_u32_e64 s4, v12
	s_cbranch_execz .LBB778_44
; %bb.43:
	v_lshlrev_b32_e32 v11, 2, v12
	global_load_b32 v11, v11, s[2:3]
.LBB778_44:
	s_or_b32 exec_lo, exec_lo, s5
	v_or_b32_e32 v12, 0xa00, v0
	s_mov_b32 s5, exec_lo
	s_delay_alu instid0(VALU_DEP_1)
	v_cmpx_gt_u32_e64 s4, v12
	s_cbranch_execz .LBB778_46
; %bb.45:
	v_lshlrev_b32_e32 v10, 2, v12
	global_load_b32 v10, v10, s[2:3]
.LBB778_46:
	s_or_b32 exec_lo, exec_lo, s5
	v_or_b32_e32 v14, 0xb00, v0
	v_dual_mov_b32 v12, 0 :: v_dual_mov_b32 v13, 0
	s_mov_b32 s5, exec_lo
	s_delay_alu instid0(VALU_DEP_2)
	v_cmpx_gt_u32_e64 s4, v14
	s_cbranch_execz .LBB778_48
; %bb.47:
	v_lshlrev_b32_e32 v13, 2, v14
	global_load_b32 v13, v13, s[2:3]
.LBB778_48:
	s_or_b32 exec_lo, exec_lo, s5
	v_or_b32_e32 v14, 0xc00, v0
	s_mov_b32 s5, exec_lo
	s_delay_alu instid0(VALU_DEP_1)
	v_cmpx_gt_u32_e64 s4, v14
	s_cbranch_execz .LBB778_50
; %bb.49:
	v_lshlrev_b32_e32 v12, 2, v14
	global_load_b32 v12, v12, s[2:3]
.LBB778_50:
	s_or_b32 exec_lo, exec_lo, s5
	v_or_b32_e32 v16, 0xd00, v0
	v_dual_mov_b32 v14, 0 :: v_dual_mov_b32 v15, 0
	s_mov_b32 s5, exec_lo
	s_delay_alu instid0(VALU_DEP_2)
	v_cmpx_gt_u32_e64 s4, v16
	s_cbranch_execz .LBB778_52
; %bb.51:
	v_lshlrev_b32_e32 v15, 2, v16
	global_load_b32 v15, v15, s[2:3]
.LBB778_52:
	s_or_b32 exec_lo, exec_lo, s5
	v_or_b32_e32 v16, 0xe00, v0
	s_mov_b32 s5, exec_lo
	s_delay_alu instid0(VALU_DEP_1)
	v_cmpx_gt_u32_e64 s4, v16
	s_cbranch_execz .LBB778_54
; %bb.53:
	v_lshlrev_b32_e32 v14, 2, v16
	global_load_b32 v14, v14, s[2:3]
.LBB778_54:
	s_or_b32 exec_lo, exec_lo, s5
	v_or_b32_e32 v18, 0xf00, v0
	v_dual_mov_b32 v16, 0 :: v_dual_mov_b32 v17, 0
	s_mov_b32 s5, exec_lo
	s_delay_alu instid0(VALU_DEP_2)
	v_cmpx_gt_u32_e64 s4, v18
	s_cbranch_execz .LBB778_56
; %bb.55:
	v_lshlrev_b32_e32 v17, 2, v18
	global_load_b32 v17, v17, s[2:3]
.LBB778_56:
	s_or_b32 exec_lo, exec_lo, s5
	v_or_b32_e32 v18, 0x1000, v0
	s_mov_b32 s5, exec_lo
	s_delay_alu instid0(VALU_DEP_1)
	v_cmpx_gt_u32_e64 s4, v18
	s_cbranch_execz .LBB778_58
; %bb.57:
	v_lshlrev_b32_e32 v16, 2, v18
	global_load_b32 v16, v16, s[2:3]
.LBB778_58:
	s_or_b32 exec_lo, exec_lo, s5
	v_or_b32_e32 v20, 0x1100, v0
	v_dual_mov_b32 v18, 0 :: v_dual_mov_b32 v19, 0
	s_mov_b32 s5, exec_lo
	s_delay_alu instid0(VALU_DEP_2)
	v_cmpx_gt_u32_e64 s4, v20
	s_cbranch_execz .LBB778_60
; %bb.59:
	v_lshlrev_b32_e32 v19, 2, v20
	global_load_b32 v19, v19, s[2:3]
.LBB778_60:
	s_or_b32 exec_lo, exec_lo, s5
	v_or_b32_e32 v20, 0x1200, v0
	s_mov_b32 s5, exec_lo
	s_delay_alu instid0(VALU_DEP_1)
	v_cmpx_gt_u32_e64 s4, v20
	s_cbranch_execz .LBB778_62
; %bb.61:
	v_lshlrev_b32_e32 v18, 2, v20
	global_load_b32 v18, v18, s[2:3]
.LBB778_62:
	s_or_b32 exec_lo, exec_lo, s5
	v_or_b32_e32 v22, 0x1300, v0
	v_dual_mov_b32 v20, 0 :: v_dual_mov_b32 v21, 0
	s_mov_b32 s5, exec_lo
	s_delay_alu instid0(VALU_DEP_2)
	v_cmpx_gt_u32_e64 s4, v22
	s_cbranch_execz .LBB778_64
; %bb.63:
	v_lshlrev_b32_e32 v21, 2, v22
	global_load_b32 v21, v21, s[2:3]
.LBB778_64:
	s_or_b32 exec_lo, exec_lo, s5
	v_or_b32_e32 v22, 0x1400, v0
	s_mov_b32 s5, exec_lo
	s_delay_alu instid0(VALU_DEP_1)
	v_cmpx_gt_u32_e64 s4, v22
	s_cbranch_execz .LBB778_66
; %bb.65:
	v_lshlrev_b32_e32 v20, 2, v22
	global_load_b32 v20, v20, s[2:3]
.LBB778_66:
	s_or_b32 exec_lo, exec_lo, s5
	v_or_b32_e32 v24, 0x1500, v0
	v_dual_mov_b32 v22, 0 :: v_dual_mov_b32 v23, 0
	s_mov_b32 s5, exec_lo
	s_delay_alu instid0(VALU_DEP_2)
	v_cmpx_gt_u32_e64 s4, v24
	s_cbranch_execz .LBB778_68
; %bb.67:
	v_lshlrev_b32_e32 v23, 2, v24
	global_load_b32 v23, v23, s[2:3]
.LBB778_68:
	s_or_b32 exec_lo, exec_lo, s5
	v_or_b32_e32 v24, 0x1600, v0
	s_mov_b32 s5, exec_lo
	s_delay_alu instid0(VALU_DEP_1)
	v_cmpx_gt_u32_e64 s4, v24
	s_cbranch_execz .LBB778_70
; %bb.69:
	v_lshlrev_b32_e32 v22, 2, v24
	global_load_b32 v22, v22, s[2:3]
.LBB778_70:
	s_or_b32 exec_lo, exec_lo, s5
	v_or_b32_e32 v26, 0x1700, v0
	v_dual_mov_b32 v24, 0 :: v_dual_mov_b32 v25, 0
	s_mov_b32 s5, exec_lo
	s_delay_alu instid0(VALU_DEP_2)
	v_cmpx_gt_u32_e64 s4, v26
	s_cbranch_execz .LBB778_72
; %bb.71:
	v_lshlrev_b32_e32 v25, 2, v26
	global_load_b32 v25, v25, s[2:3]
.LBB778_72:
	s_or_b32 exec_lo, exec_lo, s5
	v_or_b32_e32 v26, 0x1800, v0
	s_mov_b32 s5, exec_lo
	s_delay_alu instid0(VALU_DEP_1)
	v_cmpx_gt_u32_e64 s4, v26
	s_cbranch_execz .LBB778_74
; %bb.73:
	v_lshlrev_b32_e32 v24, 2, v26
	global_load_b32 v24, v24, s[2:3]
.LBB778_74:
	s_or_b32 exec_lo, exec_lo, s5
	v_or_b32_e32 v28, 0x1900, v0
	v_dual_mov_b32 v26, 0 :: v_dual_mov_b32 v27, 0
	s_mov_b32 s5, exec_lo
	s_delay_alu instid0(VALU_DEP_2)
	v_cmpx_gt_u32_e64 s4, v28
	s_cbranch_execz .LBB778_76
; %bb.75:
	v_lshlrev_b32_e32 v27, 2, v28
	global_load_b32 v27, v27, s[2:3]
.LBB778_76:
	s_or_b32 exec_lo, exec_lo, s5
	v_or_b32_e32 v28, 0x1a00, v0
	s_mov_b32 s5, exec_lo
	s_delay_alu instid0(VALU_DEP_1)
	v_cmpx_gt_u32_e64 s4, v28
	s_cbranch_execz .LBB778_78
; %bb.77:
	v_lshlrev_b32_e32 v26, 2, v28
	global_load_b32 v26, v26, s[2:3]
.LBB778_78:
	s_or_b32 exec_lo, exec_lo, s5
	v_or_b32_e32 v30, 0x1b00, v0
	v_dual_mov_b32 v28, 0 :: v_dual_mov_b32 v29, 0
	s_mov_b32 s5, exec_lo
	s_delay_alu instid0(VALU_DEP_2)
	v_cmpx_gt_u32_e64 s4, v30
	s_cbranch_execz .LBB778_80
; %bb.79:
	v_lshlrev_b32_e32 v29, 2, v30
	global_load_b32 v29, v29, s[2:3]
.LBB778_80:
	s_or_b32 exec_lo, exec_lo, s5
	v_or_b32_e32 v30, 0x1c00, v0
	s_mov_b32 s5, exec_lo
	s_delay_alu instid0(VALU_DEP_1)
	v_cmpx_gt_u32_e64 s4, v30
	s_cbranch_execz .LBB778_82
; %bb.81:
	v_lshlrev_b32_e32 v28, 2, v30
	global_load_b32 v28, v28, s[2:3]
.LBB778_82:
	s_or_b32 exec_lo, exec_lo, s5
	v_or_b32_e32 v32, 0x1d00, v0
	v_dual_mov_b32 v30, 0 :: v_dual_mov_b32 v31, 0
	s_mov_b32 s5, exec_lo
	s_delay_alu instid0(VALU_DEP_2)
	v_cmpx_gt_u32_e64 s4, v32
	s_cbranch_execz .LBB778_84
; %bb.83:
	v_lshlrev_b32_e32 v31, 2, v32
	global_load_b32 v31, v31, s[2:3]
.LBB778_84:
	s_or_b32 exec_lo, exec_lo, s5
	v_or_b32_e32 v32, 0x1e00, v0
	s_mov_b32 s5, exec_lo
	s_delay_alu instid0(VALU_DEP_1)
	v_cmpx_gt_u32_e64 s4, v32
	s_cbranch_execz .LBB778_86
; %bb.85:
	v_lshlrev_b32_e32 v30, 2, v32
	global_load_b32 v30, v30, s[2:3]
.LBB778_86:
	s_or_b32 exec_lo, exec_lo, s5
	v_or_b32_e32 v33, 0x1f00, v0
	v_mov_b32_e32 v32, 0
	s_mov_b32 s5, exec_lo
	s_delay_alu instid0(VALU_DEP_2)
	v_cmpx_gt_u32_e64 s4, v33
	s_cbranch_execz .LBB778_88
; %bb.87:
	v_lshlrev_b32_e32 v32, 2, v33
	global_load_b32 v32, v32, s[2:3]
.LBB778_88:
	s_or_b32 exec_lo, exec_lo, s5
	s_waitcnt vmcnt(0)
	v_add_nc_u32_e32 v1, v3, v1
	s_min_u32 s2, s4, 0x100
	s_mov_b32 s3, exec_lo
	s_delay_alu instid0(VALU_DEP_1) | instskip(SKIP_1) | instid1(VALU_DEP_2)
	v_add3_u32 v1, v1, v2, v5
	v_mbcnt_lo_u32_b32 v2, -1, 0
	v_add3_u32 v1, v1, v4, v7
	s_delay_alu instid0(VALU_DEP_2) | instskip(NEXT) | instid1(VALU_DEP_2)
	v_cmp_ne_u32_e32 vcc_lo, 31, v2
	v_add3_u32 v1, v1, v6, v9
	v_add_co_ci_u32_e32 v3, vcc_lo, 0, v2, vcc_lo
	v_cmp_gt_u32_e32 vcc_lo, 30, v2
	v_add_nc_u32_e32 v6, 1, v2
	s_delay_alu instid0(VALU_DEP_4) | instskip(NEXT) | instid1(VALU_DEP_4)
	v_add3_u32 v1, v1, v8, v11
	v_lshlrev_b32_e32 v3, 2, v3
	v_cndmask_b32_e64 v5, 0, 1, vcc_lo
	s_delay_alu instid0(VALU_DEP_3) | instskip(NEXT) | instid1(VALU_DEP_2)
	v_add3_u32 v1, v1, v10, v13
	v_lshlrev_b32_e32 v5, 1, v5
	s_delay_alu instid0(VALU_DEP_2) | instskip(NEXT) | instid1(VALU_DEP_2)
	v_add3_u32 v1, v1, v12, v15
	v_add_lshl_u32 v5, v5, v2, 2
	s_delay_alu instid0(VALU_DEP_2) | instskip(NEXT) | instid1(VALU_DEP_1)
	v_add3_u32 v1, v1, v14, v17
	v_add3_u32 v1, v1, v16, v19
	s_delay_alu instid0(VALU_DEP_1) | instskip(NEXT) | instid1(VALU_DEP_1)
	v_add3_u32 v1, v1, v18, v21
	v_add3_u32 v1, v1, v20, v23
	s_delay_alu instid0(VALU_DEP_1) | instskip(NEXT) | instid1(VALU_DEP_1)
	;; [unrolled: 3-line block ×3, first 2 shown]
	v_add3_u32 v1, v1, v26, v29
	v_add3_u32 v1, v1, v28, v31
	s_delay_alu instid0(VALU_DEP_1) | instskip(SKIP_2) | instid1(VALU_DEP_1)
	v_add3_u32 v1, v1, v30, v32
	ds_bpermute_b32 v3, v3, v1
	v_and_b32_e32 v4, 0xe0, v0
	v_sub_nc_u32_e64 v4, s2, v4 clamp
	s_delay_alu instid0(VALU_DEP_1) | instskip(SKIP_3) | instid1(VALU_DEP_2)
	v_cmp_lt_u32_e32 vcc_lo, v6, v4
	s_waitcnt lgkmcnt(0)
	v_dual_cndmask_b32 v3, 0, v3 :: v_dual_add_nc_u32 v6, 2, v2
	v_cmp_gt_u32_e32 vcc_lo, 28, v2
	v_add_nc_u32_e32 v1, v3, v1
	ds_bpermute_b32 v3, v5, v1
	v_cndmask_b32_e64 v5, 0, 1, vcc_lo
	v_cmp_lt_u32_e32 vcc_lo, v6, v4
	v_add_nc_u32_e32 v6, 4, v2
	s_delay_alu instid0(VALU_DEP_3) | instskip(NEXT) | instid1(VALU_DEP_1)
	v_lshlrev_b32_e32 v5, 2, v5
	v_add_lshl_u32 v5, v5, v2, 2
	s_waitcnt lgkmcnt(0)
	v_cndmask_b32_e32 v3, 0, v3, vcc_lo
	v_cmp_gt_u32_e32 vcc_lo, 24, v2
	s_delay_alu instid0(VALU_DEP_2) | instskip(SKIP_4) | instid1(VALU_DEP_3)
	v_add_nc_u32_e32 v1, v1, v3
	ds_bpermute_b32 v3, v5, v1
	v_cndmask_b32_e64 v5, 0, 1, vcc_lo
	v_cmp_lt_u32_e32 vcc_lo, v6, v4
	v_add_nc_u32_e32 v6, 8, v2
	v_lshlrev_b32_e32 v5, 3, v5
	s_delay_alu instid0(VALU_DEP_1) | instskip(SKIP_3) | instid1(VALU_DEP_2)
	v_add_lshl_u32 v5, v5, v2, 2
	s_waitcnt lgkmcnt(0)
	v_cndmask_b32_e32 v3, 0, v3, vcc_lo
	v_cmp_gt_u32_e32 vcc_lo, 16, v2
	v_add_nc_u32_e32 v1, v1, v3
	ds_bpermute_b32 v3, v5, v1
	v_cndmask_b32_e64 v5, 0, 1, vcc_lo
	v_cmp_lt_u32_e32 vcc_lo, v6, v4
	s_delay_alu instid0(VALU_DEP_2) | instskip(NEXT) | instid1(VALU_DEP_1)
	v_lshlrev_b32_e32 v5, 4, v5
	v_add_lshl_u32 v5, v5, v2, 2
	s_waitcnt lgkmcnt(0)
	v_cndmask_b32_e32 v3, 0, v3, vcc_lo
	s_delay_alu instid0(VALU_DEP_1) | instskip(SKIP_2) | instid1(VALU_DEP_1)
	v_add_nc_u32_e32 v1, v1, v3
	ds_bpermute_b32 v3, v5, v1
	v_add_nc_u32_e32 v5, 16, v2
	v_cmp_lt_u32_e32 vcc_lo, v5, v4
	s_waitcnt lgkmcnt(0)
	v_cndmask_b32_e32 v3, 0, v3, vcc_lo
	s_delay_alu instid0(VALU_DEP_1)
	v_add_nc_u32_e32 v1, v1, v3
	v_cmpx_eq_u32_e32 0, v2
	s_cbranch_execz .LBB778_90
; %bb.89:
	v_lshrrev_b32_e32 v3, 3, v0
	s_delay_alu instid0(VALU_DEP_1)
	v_and_b32_e32 v3, 28, v3
	ds_store_b32 v3, v1 offset:192
.LBB778_90:
	s_or_b32 exec_lo, exec_lo, s3
	s_delay_alu instid0(SALU_CYCLE_1)
	s_mov_b32 s3, exec_lo
	s_waitcnt lgkmcnt(0)
	s_barrier
	buffer_gl0_inv
	v_cmpx_gt_u32_e32 8, v0
	s_cbranch_execz .LBB778_92
; %bb.91:
	v_and_b32_e32 v3, 7, v2
	s_add_i32 s2, s2, 31
	s_delay_alu instid0(SALU_CYCLE_1) | instskip(NEXT) | instid1(VALU_DEP_1)
	s_lshr_b32 s2, s2, 5
	v_cmp_ne_u32_e32 vcc_lo, 7, v3
	v_add_nc_u32_e32 v6, 1, v3
	v_add_co_ci_u32_e32 v4, vcc_lo, 0, v2, vcc_lo
	v_cmp_gt_u32_e32 vcc_lo, 6, v3
	s_delay_alu instid0(VALU_DEP_2) | instskip(SKIP_3) | instid1(VALU_DEP_3)
	v_lshlrev_b32_e32 v4, 2, v4
	v_cndmask_b32_e64 v5, 0, 1, vcc_lo
	v_cmp_gt_u32_e32 vcc_lo, s2, v6
	v_lshlrev_b32_e32 v1, 2, v2
	v_lshlrev_b32_e32 v5, 1, v5
	ds_load_b32 v1, v1 offset:192
	v_add_lshl_u32 v5, v5, v2, 2
	s_waitcnt lgkmcnt(0)
	ds_bpermute_b32 v4, v4, v1
	s_waitcnt lgkmcnt(0)
	v_cndmask_b32_e32 v4, 0, v4, vcc_lo
	v_cmp_gt_u32_e32 vcc_lo, 4, v3
	s_delay_alu instid0(VALU_DEP_2) | instskip(SKIP_3) | instid1(VALU_DEP_1)
	v_add_nc_u32_e32 v1, v4, v1
	v_cndmask_b32_e64 v6, 0, 1, vcc_lo
	ds_bpermute_b32 v4, v5, v1
	v_add_nc_u32_e32 v5, 2, v3
	v_cmp_gt_u32_e32 vcc_lo, s2, v5
	v_lshlrev_b32_e32 v5, 2, v6
	s_delay_alu instid0(VALU_DEP_1) | instskip(SKIP_2) | instid1(VALU_DEP_1)
	v_add_lshl_u32 v2, v5, v2, 2
	s_waitcnt lgkmcnt(0)
	v_dual_cndmask_b32 v4, 0, v4 :: v_dual_add_nc_u32 v3, 4, v3
	v_add_nc_u32_e32 v1, v1, v4
	s_delay_alu instid0(VALU_DEP_2) | instskip(SKIP_3) | instid1(VALU_DEP_1)
	v_cmp_gt_u32_e32 vcc_lo, s2, v3
	ds_bpermute_b32 v2, v2, v1
	s_waitcnt lgkmcnt(0)
	v_cndmask_b32_e32 v2, 0, v2, vcc_lo
	v_add_nc_u32_e32 v1, v1, v2
.LBB778_92:
	s_or_b32 exec_lo, exec_lo, s3
	v_cmp_eq_u32_e64 s2, 0, v0
	s_and_b32 vcc_lo, exec_lo, s6
	s_cbranch_vccnz .LBB778_15
.LBB778_93:
	s_branch .LBB778_142
.LBB778_94:
	s_mov_b32 s3, -1
                                        ; implicit-def: $vgpr1
.LBB778_95:
	s_delay_alu instid0(SALU_CYCLE_1)
	s_and_b32 vcc_lo, exec_lo, s3
	s_cbranch_vccz .LBB778_133
; %bb.96:
	s_sub_i32 s25, s18, s2
	s_mov_b32 s2, exec_lo
                                        ; implicit-def: $vgpr1_vgpr2_vgpr3_vgpr4_vgpr5_vgpr6_vgpr7_vgpr8_vgpr9_vgpr10_vgpr11_vgpr12_vgpr13_vgpr14_vgpr15_vgpr16
	v_cmpx_gt_u32_e64 s25, v0
	s_cbranch_execz .LBB778_98
; %bb.97:
	v_lshlrev_b32_e32 v1, 2, v0
	global_load_b32 v1, v1, s[22:23]
.LBB778_98:
	s_or_b32 exec_lo, exec_lo, s2
	v_or_b32_e32 v17, 0x100, v0
	s_delay_alu instid0(VALU_DEP_1)
	v_cmp_gt_u32_e32 vcc_lo, s25, v17
	s_and_saveexec_b32 s2, vcc_lo
	s_cbranch_execz .LBB778_100
; %bb.99:
	v_lshlrev_b32_e32 v2, 2, v0
	global_load_b32 v2, v2, s[22:23] offset:1024
.LBB778_100:
	s_or_b32 exec_lo, exec_lo, s2
	v_or_b32_e32 v17, 0x200, v0
	s_delay_alu instid0(VALU_DEP_1) | instskip(NEXT) | instid1(VALU_DEP_1)
	v_cmp_gt_u32_e64 s2, s25, v17
	s_and_saveexec_b32 s3, s2
	s_cbranch_execz .LBB778_102
; %bb.101:
	v_lshlrev_b32_e32 v3, 2, v0
	global_load_b32 v3, v3, s[22:23] offset:2048
.LBB778_102:
	s_or_b32 exec_lo, exec_lo, s3
	v_or_b32_e32 v17, 0x300, v0
	s_delay_alu instid0(VALU_DEP_1) | instskip(NEXT) | instid1(VALU_DEP_1)
	v_cmp_gt_u32_e64 s3, s25, v17
	s_and_saveexec_b32 s4, s3
	;; [unrolled: 10-line block ×3, first 2 shown]
	s_cbranch_execz .LBB778_106
; %bb.105:
	v_lshlrev_b32_e32 v5, 2, v17
	global_load_b32 v5, v5, s[22:23]
.LBB778_106:
	s_or_b32 exec_lo, exec_lo, s5
	v_or_b32_e32 v17, 0x500, v0
	s_delay_alu instid0(VALU_DEP_1) | instskip(NEXT) | instid1(VALU_DEP_1)
	v_cmp_gt_u32_e64 s5, s25, v17
	s_and_saveexec_b32 s6, s5
	s_cbranch_execz .LBB778_108
; %bb.107:
	v_lshlrev_b32_e32 v6, 2, v17
	global_load_b32 v6, v6, s[22:23]
.LBB778_108:
	s_or_b32 exec_lo, exec_lo, s6
	v_or_b32_e32 v17, 0x600, v0
	s_delay_alu instid0(VALU_DEP_1) | instskip(NEXT) | instid1(VALU_DEP_1)
	v_cmp_gt_u32_e64 s6, s25, v17
	s_and_saveexec_b32 s7, s6
	;; [unrolled: 10-line block ×11, first 2 shown]
	s_cbranch_execz .LBB778_128
; %bb.127:
	v_lshlrev_b32_e32 v16, 2, v17
	global_load_b32 v16, v16, s[22:23]
.LBB778_128:
	s_or_b32 exec_lo, exec_lo, s26
	s_waitcnt vmcnt(0)
	v_cndmask_b32_e32 v2, 0, v2, vcc_lo
	v_cndmask_b32_e64 v3, 0, v3, s2
	v_cndmask_b32_e64 v4, 0, v4, s3
	s_min_u32 s2, s25, 0x100
	s_mov_b32 s3, exec_lo
	v_add_nc_u32_e32 v1, v2, v1
	v_cndmask_b32_e64 v2, 0, v5, s4
	v_cndmask_b32_e64 v5, 0, v6, s5
	;; [unrolled: 1-line block ×3, first 2 shown]
	s_delay_alu instid0(VALU_DEP_4) | instskip(SKIP_3) | instid1(VALU_DEP_4)
	v_add3_u32 v1, v1, v3, v4
	v_cndmask_b32_e64 v3, 0, v7, s6
	v_cndmask_b32_e64 v4, 0, v8, s7
	;; [unrolled: 1-line block ×3, first 2 shown]
	v_add3_u32 v1, v1, v2, v5
	v_cndmask_b32_e64 v2, 0, v9, s8
	v_cndmask_b32_e64 v5, 0, v10, s9
	s_delay_alu instid0(VALU_DEP_3) | instskip(SKIP_2) | instid1(VALU_DEP_3)
	v_add3_u32 v1, v1, v3, v4
	v_cndmask_b32_e64 v3, 0, v11, s10
	v_cndmask_b32_e64 v4, 0, v12, s11
	v_add3_u32 v1, v1, v2, v5
	v_mbcnt_lo_u32_b32 v2, -1, 0
	v_cndmask_b32_e64 v5, 0, v13, s12
	s_delay_alu instid0(VALU_DEP_3) | instskip(NEXT) | instid1(VALU_DEP_3)
	v_add3_u32 v1, v1, v3, v4
	v_cmp_ne_u32_e32 vcc_lo, 31, v2
	v_cndmask_b32_e64 v3, 0, v16, s15
	s_delay_alu instid0(VALU_DEP_3) | instskip(SKIP_3) | instid1(VALU_DEP_4)
	v_add3_u32 v1, v1, v5, v6
	v_add_co_ci_u32_e32 v4, vcc_lo, 0, v2, vcc_lo
	v_cmp_gt_u32_e32 vcc_lo, 30, v2
	v_add_nc_u32_e32 v6, 1, v2
	v_add3_u32 v1, v1, v7, v3
	s_delay_alu instid0(VALU_DEP_4) | instskip(SKIP_4) | instid1(VALU_DEP_2)
	v_lshlrev_b32_e32 v4, 2, v4
	v_cndmask_b32_e64 v5, 0, 1, vcc_lo
	ds_bpermute_b32 v3, v4, v1
	v_and_b32_e32 v4, 0xe0, v0
	v_lshlrev_b32_e32 v5, 1, v5
	v_sub_nc_u32_e64 v4, s2, v4 clamp
	s_delay_alu instid0(VALU_DEP_2) | instskip(NEXT) | instid1(VALU_DEP_2)
	v_add_lshl_u32 v5, v5, v2, 2
	v_cmp_lt_u32_e32 vcc_lo, v6, v4
	s_waitcnt lgkmcnt(0)
	v_dual_cndmask_b32 v3, 0, v3 :: v_dual_add_nc_u32 v6, 2, v2
	v_cmp_gt_u32_e32 vcc_lo, 28, v2
	s_delay_alu instid0(VALU_DEP_2) | instskip(SKIP_4) | instid1(VALU_DEP_3)
	v_add_nc_u32_e32 v1, v1, v3
	ds_bpermute_b32 v3, v5, v1
	v_cndmask_b32_e64 v5, 0, 1, vcc_lo
	v_cmp_lt_u32_e32 vcc_lo, v6, v4
	v_add_nc_u32_e32 v6, 4, v2
	v_lshlrev_b32_e32 v5, 2, v5
	s_delay_alu instid0(VALU_DEP_1) | instskip(SKIP_3) | instid1(VALU_DEP_2)
	v_add_lshl_u32 v5, v5, v2, 2
	s_waitcnt lgkmcnt(0)
	v_cndmask_b32_e32 v3, 0, v3, vcc_lo
	v_cmp_gt_u32_e32 vcc_lo, 24, v2
	v_add_nc_u32_e32 v1, v1, v3
	ds_bpermute_b32 v3, v5, v1
	v_cndmask_b32_e64 v5, 0, 1, vcc_lo
	v_cmp_lt_u32_e32 vcc_lo, v6, v4
	v_add_nc_u32_e32 v6, 8, v2
	s_delay_alu instid0(VALU_DEP_3) | instskip(NEXT) | instid1(VALU_DEP_1)
	v_lshlrev_b32_e32 v5, 3, v5
	v_add_lshl_u32 v5, v5, v2, 2
	s_waitcnt lgkmcnt(0)
	v_cndmask_b32_e32 v3, 0, v3, vcc_lo
	v_cmp_gt_u32_e32 vcc_lo, 16, v2
	s_delay_alu instid0(VALU_DEP_2) | instskip(SKIP_3) | instid1(VALU_DEP_2)
	v_add_nc_u32_e32 v1, v1, v3
	ds_bpermute_b32 v3, v5, v1
	v_cndmask_b32_e64 v5, 0, 1, vcc_lo
	v_cmp_lt_u32_e32 vcc_lo, v6, v4
	v_lshlrev_b32_e32 v5, 4, v5
	s_delay_alu instid0(VALU_DEP_1) | instskip(SKIP_2) | instid1(VALU_DEP_1)
	v_add_lshl_u32 v5, v5, v2, 2
	s_waitcnt lgkmcnt(0)
	v_cndmask_b32_e32 v3, 0, v3, vcc_lo
	v_add_nc_u32_e32 v1, v1, v3
	ds_bpermute_b32 v3, v5, v1
	v_add_nc_u32_e32 v5, 16, v2
	s_delay_alu instid0(VALU_DEP_1) | instskip(SKIP_2) | instid1(VALU_DEP_1)
	v_cmp_lt_u32_e32 vcc_lo, v5, v4
	s_waitcnt lgkmcnt(0)
	v_cndmask_b32_e32 v3, 0, v3, vcc_lo
	v_add_nc_u32_e32 v1, v1, v3
	v_cmpx_eq_u32_e32 0, v2
	s_cbranch_execz .LBB778_130
; %bb.129:
	v_lshrrev_b32_e32 v3, 3, v0
	s_delay_alu instid0(VALU_DEP_1)
	v_and_b32_e32 v3, 28, v3
	ds_store_b32 v3, v1 offset:192
.LBB778_130:
	s_or_b32 exec_lo, exec_lo, s3
	s_delay_alu instid0(SALU_CYCLE_1)
	s_mov_b32 s3, exec_lo
	s_waitcnt lgkmcnt(0)
	s_barrier
	buffer_gl0_inv
	v_cmpx_gt_u32_e32 8, v0
	s_cbranch_execz .LBB778_132
; %bb.131:
	v_and_b32_e32 v3, 7, v2
	s_add_i32 s2, s2, 31
	s_delay_alu instid0(SALU_CYCLE_1) | instskip(NEXT) | instid1(VALU_DEP_1)
	s_lshr_b32 s2, s2, 5
	v_cmp_ne_u32_e32 vcc_lo, 7, v3
	v_add_nc_u32_e32 v6, 1, v3
	v_add_co_ci_u32_e32 v4, vcc_lo, 0, v2, vcc_lo
	v_cmp_gt_u32_e32 vcc_lo, 6, v3
	s_delay_alu instid0(VALU_DEP_2) | instskip(SKIP_3) | instid1(VALU_DEP_3)
	v_lshlrev_b32_e32 v4, 2, v4
	v_cndmask_b32_e64 v5, 0, 1, vcc_lo
	v_cmp_gt_u32_e32 vcc_lo, s2, v6
	v_lshlrev_b32_e32 v1, 2, v2
	v_lshlrev_b32_e32 v5, 1, v5
	ds_load_b32 v1, v1 offset:192
	v_add_lshl_u32 v5, v5, v2, 2
	s_waitcnt lgkmcnt(0)
	ds_bpermute_b32 v4, v4, v1
	s_waitcnt lgkmcnt(0)
	v_cndmask_b32_e32 v4, 0, v4, vcc_lo
	v_cmp_gt_u32_e32 vcc_lo, 4, v3
	s_delay_alu instid0(VALU_DEP_2) | instskip(SKIP_3) | instid1(VALU_DEP_1)
	v_add_nc_u32_e32 v1, v4, v1
	v_cndmask_b32_e64 v6, 0, 1, vcc_lo
	ds_bpermute_b32 v4, v5, v1
	v_add_nc_u32_e32 v5, 2, v3
	v_cmp_gt_u32_e32 vcc_lo, s2, v5
	v_lshlrev_b32_e32 v5, 2, v6
	s_delay_alu instid0(VALU_DEP_1) | instskip(SKIP_2) | instid1(VALU_DEP_1)
	v_add_lshl_u32 v2, v5, v2, 2
	s_waitcnt lgkmcnt(0)
	v_dual_cndmask_b32 v4, 0, v4 :: v_dual_add_nc_u32 v3, 4, v3
	v_add_nc_u32_e32 v1, v1, v4
	s_delay_alu instid0(VALU_DEP_2) | instskip(SKIP_3) | instid1(VALU_DEP_1)
	v_cmp_gt_u32_e32 vcc_lo, s2, v3
	ds_bpermute_b32 v2, v2, v1
	s_waitcnt lgkmcnt(0)
	v_cndmask_b32_e32 v2, 0, v2, vcc_lo
	v_add_nc_u32_e32 v1, v1, v2
.LBB778_132:
	s_or_b32 exec_lo, exec_lo, s3
.LBB778_133:
	v_cmp_eq_u32_e64 s2, 0, v0
	s_branch .LBB778_142
.LBB778_134:
	s_cmp_eq_u32 s24, 8
	s_cbranch_scc0 .LBB778_141
; %bb.135:
	s_mov_b32 s21, 0
	s_lshl_b32 s2, s20, 11
	s_mov_b32 s3, s21
	s_lshr_b64 s[6:7], s[18:19], 11
	s_lshl_b64 s[4:5], s[2:3], 2
	s_delay_alu instid0(SALU_CYCLE_1)
	s_add_u32 s8, s16, s4
	s_addc_u32 s9, s17, s5
	s_cmp_lg_u64 s[6:7], s[20:21]
	s_cbranch_scc0 .LBB778_143
; %bb.136:
	v_lshlrev_b32_e32 v3, 2, v0
	s_clause 0x1
	global_load_b32 v4, v3, s[8:9]
	global_load_b32 v5, v3, s[8:9] offset:1024
	v_add_co_u32 v1, s3, s8, v3
	s_delay_alu instid0(VALU_DEP_1) | instskip(SKIP_1) | instid1(VALU_DEP_2)
	v_add_co_ci_u32_e64 v2, null, s9, 0, s3
	s_mov_b32 s3, exec_lo
	v_add_co_u32 v1, vcc_lo, 0x1000, v1
	s_delay_alu instid0(VALU_DEP_2)
	v_add_co_ci_u32_e32 v2, vcc_lo, 0, v2, vcc_lo
	s_clause 0x5
	global_load_b32 v6, v3, s[8:9] offset:2048
	global_load_b32 v3, v3, s[8:9] offset:3072
	global_load_b32 v7, v[1:2], off
	global_load_b32 v8, v[1:2], off offset:1024
	global_load_b32 v9, v[1:2], off offset:2048
	;; [unrolled: 1-line block ×3, first 2 shown]
	s_waitcnt vmcnt(6)
	v_add_nc_u32_e32 v2, v5, v4
	s_waitcnt vmcnt(4)
	s_delay_alu instid0(VALU_DEP_1) | instskip(SKIP_2) | instid1(VALU_DEP_2)
	v_add3_u32 v2, v2, v6, v3
	v_mov_b32_e32 v3, 0
	s_waitcnt vmcnt(2)
	v_add3_u32 v2, v2, v7, v8
	s_waitcnt vmcnt(0)
	s_delay_alu instid0(VALU_DEP_1) | instskip(NEXT) | instid1(VALU_DEP_1)
	v_add3_u32 v1, v2, v9, v1
	v_mov_b32_dpp v2, v1 quad_perm:[1,0,3,2] row_mask:0xf bank_mask:0xf
	s_delay_alu instid0(VALU_DEP_1) | instskip(NEXT) | instid1(VALU_DEP_1)
	v_add_nc_u32_e32 v1, v2, v1
	v_mov_b32_dpp v2, v1 quad_perm:[2,3,0,1] row_mask:0xf bank_mask:0xf
	s_delay_alu instid0(VALU_DEP_1) | instskip(NEXT) | instid1(VALU_DEP_1)
	v_add_nc_u32_e32 v1, v1, v2
	v_mov_b32_dpp v2, v1 row_ror:4 row_mask:0xf bank_mask:0xf
	s_delay_alu instid0(VALU_DEP_1) | instskip(NEXT) | instid1(VALU_DEP_1)
	v_add_nc_u32_e32 v1, v1, v2
	v_mov_b32_dpp v2, v1 row_ror:8 row_mask:0xf bank_mask:0xf
	s_delay_alu instid0(VALU_DEP_1)
	v_add_nc_u32_e32 v1, v1, v2
	ds_swizzle_b32 v2, v1 offset:swizzle(BROADCAST,32,15)
	s_waitcnt lgkmcnt(0)
	v_add_nc_u32_e32 v1, v1, v2
	v_mbcnt_lo_u32_b32 v2, -1, 0
	ds_bpermute_b32 v1, v3, v1 offset:124
	v_cmpx_eq_u32_e32 0, v2
	s_cbranch_execz .LBB778_138
; %bb.137:
	v_lshrrev_b32_e32 v3, 3, v0
	s_delay_alu instid0(VALU_DEP_1)
	v_and_b32_e32 v3, 28, v3
	s_waitcnt lgkmcnt(0)
	ds_store_b32 v3, v1 offset:160
.LBB778_138:
	s_or_b32 exec_lo, exec_lo, s3
	s_delay_alu instid0(SALU_CYCLE_1)
	s_mov_b32 s3, exec_lo
	s_waitcnt lgkmcnt(0)
	s_barrier
	buffer_gl0_inv
	v_cmpx_gt_u32_e32 32, v0
	s_cbranch_execz .LBB778_140
; %bb.139:
	v_and_b32_e32 v1, 7, v2
	s_delay_alu instid0(VALU_DEP_1) | instskip(SKIP_4) | instid1(VALU_DEP_2)
	v_lshlrev_b32_e32 v3, 2, v1
	v_cmp_ne_u32_e32 vcc_lo, 7, v1
	ds_load_b32 v3, v3 offset:160
	v_add_co_ci_u32_e32 v4, vcc_lo, 0, v2, vcc_lo
	v_cmp_gt_u32_e32 vcc_lo, 6, v1
	v_lshlrev_b32_e32 v4, 2, v4
	v_cndmask_b32_e64 v5, 0, 1, vcc_lo
	v_cmp_gt_u32_e32 vcc_lo, 4, v1
	s_delay_alu instid0(VALU_DEP_2) | instskip(SKIP_1) | instid1(VALU_DEP_2)
	v_lshlrev_b32_e32 v5, 1, v5
	v_cndmask_b32_e64 v1, 0, 1, vcc_lo
	v_add_lshl_u32 v5, v5, v2, 2
	s_delay_alu instid0(VALU_DEP_2)
	v_lshlrev_b32_e32 v1, 2, v1
	s_waitcnt lgkmcnt(0)
	ds_bpermute_b32 v4, v4, v3
	v_add_lshl_u32 v1, v1, v2, 2
	s_waitcnt lgkmcnt(0)
	v_add_nc_u32_e32 v3, v4, v3
	ds_bpermute_b32 v4, v5, v3
	s_waitcnt lgkmcnt(0)
	v_add_nc_u32_e32 v3, v4, v3
	ds_bpermute_b32 v1, v1, v3
	s_waitcnt lgkmcnt(0)
	v_add_nc_u32_e32 v1, v1, v3
.LBB778_140:
	s_or_b32 exec_lo, exec_lo, s3
	s_branch .LBB778_165
.LBB778_141:
                                        ; implicit-def: $vgpr1
.LBB778_142:
	s_branch .LBB778_224
.LBB778_143:
                                        ; implicit-def: $vgpr1
	s_cbranch_execz .LBB778_165
; %bb.144:
	s_sub_i32 s10, s18, s2
	s_mov_b32 s2, exec_lo
                                        ; implicit-def: $vgpr1_vgpr2_vgpr3_vgpr4_vgpr5_vgpr6_vgpr7_vgpr8
	v_cmpx_gt_u32_e64 s10, v0
	s_cbranch_execz .LBB778_146
; %bb.145:
	v_lshlrev_b32_e32 v1, 2, v0
	global_load_b32 v1, v1, s[8:9]
.LBB778_146:
	s_or_b32 exec_lo, exec_lo, s2
	v_or_b32_e32 v9, 0x100, v0
	s_delay_alu instid0(VALU_DEP_1)
	v_cmp_gt_u32_e32 vcc_lo, s10, v9
	s_and_saveexec_b32 s2, vcc_lo
	s_cbranch_execz .LBB778_148
; %bb.147:
	v_lshlrev_b32_e32 v2, 2, v0
	global_load_b32 v2, v2, s[8:9] offset:1024
.LBB778_148:
	s_or_b32 exec_lo, exec_lo, s2
	v_or_b32_e32 v9, 0x200, v0
	s_delay_alu instid0(VALU_DEP_1) | instskip(NEXT) | instid1(VALU_DEP_1)
	v_cmp_gt_u32_e64 s2, s10, v9
	s_and_saveexec_b32 s3, s2
	s_cbranch_execz .LBB778_150
; %bb.149:
	v_lshlrev_b32_e32 v3, 2, v0
	global_load_b32 v3, v3, s[8:9] offset:2048
.LBB778_150:
	s_or_b32 exec_lo, exec_lo, s3
	v_or_b32_e32 v9, 0x300, v0
	s_delay_alu instid0(VALU_DEP_1) | instskip(NEXT) | instid1(VALU_DEP_1)
	v_cmp_gt_u32_e64 s3, s10, v9
	s_and_saveexec_b32 s4, s3
	;; [unrolled: 10-line block ×3, first 2 shown]
	s_cbranch_execz .LBB778_154
; %bb.153:
	v_lshlrev_b32_e32 v5, 2, v9
	global_load_b32 v5, v5, s[8:9]
.LBB778_154:
	s_or_b32 exec_lo, exec_lo, s5
	v_or_b32_e32 v9, 0x500, v0
	s_delay_alu instid0(VALU_DEP_1) | instskip(NEXT) | instid1(VALU_DEP_1)
	v_cmp_gt_u32_e64 s5, s10, v9
	s_and_saveexec_b32 s6, s5
	s_cbranch_execz .LBB778_156
; %bb.155:
	v_lshlrev_b32_e32 v6, 2, v9
	global_load_b32 v6, v6, s[8:9]
.LBB778_156:
	s_or_b32 exec_lo, exec_lo, s6
	v_or_b32_e32 v9, 0x600, v0
	s_delay_alu instid0(VALU_DEP_1) | instskip(NEXT) | instid1(VALU_DEP_1)
	v_cmp_gt_u32_e64 s6, s10, v9
	s_and_saveexec_b32 s7, s6
	;; [unrolled: 10-line block ×3, first 2 shown]
	s_cbranch_execz .LBB778_160
; %bb.159:
	v_lshlrev_b32_e32 v8, 2, v9
	global_load_b32 v8, v8, s[8:9]
.LBB778_160:
	s_or_b32 exec_lo, exec_lo, s11
	s_waitcnt vmcnt(0)
	v_cndmask_b32_e32 v2, 0, v2, vcc_lo
	v_cndmask_b32_e64 v3, 0, v3, s2
	v_cndmask_b32_e64 v4, 0, v4, s3
	;; [unrolled: 1-line block ×4, first 2 shown]
	v_add_nc_u32_e32 v1, v2, v1
	v_mbcnt_lo_u32_b32 v2, -1, 0
	v_cndmask_b32_e64 v7, 0, v7, s6
	s_min_u32 s2, s10, 0x100
	s_mov_b32 s3, exec_lo
	v_add3_u32 v1, v1, v3, v4
	v_cmp_ne_u32_e32 vcc_lo, 31, v2
	v_cndmask_b32_e64 v3, 0, v8, s7
	s_delay_alu instid0(VALU_DEP_3) | instskip(SKIP_3) | instid1(VALU_DEP_4)
	v_add3_u32 v1, v1, v5, v6
	v_add_co_ci_u32_e32 v4, vcc_lo, 0, v2, vcc_lo
	v_cmp_gt_u32_e32 vcc_lo, 30, v2
	v_add_nc_u32_e32 v6, 1, v2
	v_add3_u32 v1, v1, v7, v3
	s_delay_alu instid0(VALU_DEP_4) | instskip(SKIP_4) | instid1(VALU_DEP_2)
	v_lshlrev_b32_e32 v4, 2, v4
	v_cndmask_b32_e64 v5, 0, 1, vcc_lo
	ds_bpermute_b32 v3, v4, v1
	v_and_b32_e32 v4, 0xe0, v0
	v_lshlrev_b32_e32 v5, 1, v5
	v_sub_nc_u32_e64 v4, s2, v4 clamp
	s_delay_alu instid0(VALU_DEP_2) | instskip(NEXT) | instid1(VALU_DEP_2)
	v_add_lshl_u32 v5, v5, v2, 2
	v_cmp_lt_u32_e32 vcc_lo, v6, v4
	s_waitcnt lgkmcnt(0)
	v_dual_cndmask_b32 v3, 0, v3 :: v_dual_add_nc_u32 v6, 2, v2
	v_cmp_gt_u32_e32 vcc_lo, 28, v2
	s_delay_alu instid0(VALU_DEP_2) | instskip(SKIP_4) | instid1(VALU_DEP_3)
	v_add_nc_u32_e32 v1, v1, v3
	ds_bpermute_b32 v3, v5, v1
	v_cndmask_b32_e64 v5, 0, 1, vcc_lo
	v_cmp_lt_u32_e32 vcc_lo, v6, v4
	v_add_nc_u32_e32 v6, 4, v2
	v_lshlrev_b32_e32 v5, 2, v5
	s_delay_alu instid0(VALU_DEP_1) | instskip(SKIP_3) | instid1(VALU_DEP_2)
	v_add_lshl_u32 v5, v5, v2, 2
	s_waitcnt lgkmcnt(0)
	v_cndmask_b32_e32 v3, 0, v3, vcc_lo
	v_cmp_gt_u32_e32 vcc_lo, 24, v2
	v_add_nc_u32_e32 v1, v1, v3
	ds_bpermute_b32 v3, v5, v1
	v_cndmask_b32_e64 v5, 0, 1, vcc_lo
	v_cmp_lt_u32_e32 vcc_lo, v6, v4
	v_add_nc_u32_e32 v6, 8, v2
	s_delay_alu instid0(VALU_DEP_3) | instskip(NEXT) | instid1(VALU_DEP_1)
	v_lshlrev_b32_e32 v5, 3, v5
	v_add_lshl_u32 v5, v5, v2, 2
	s_waitcnt lgkmcnt(0)
	v_cndmask_b32_e32 v3, 0, v3, vcc_lo
	v_cmp_gt_u32_e32 vcc_lo, 16, v2
	s_delay_alu instid0(VALU_DEP_2) | instskip(SKIP_3) | instid1(VALU_DEP_2)
	v_add_nc_u32_e32 v1, v1, v3
	ds_bpermute_b32 v3, v5, v1
	v_cndmask_b32_e64 v5, 0, 1, vcc_lo
	v_cmp_lt_u32_e32 vcc_lo, v6, v4
	v_lshlrev_b32_e32 v5, 4, v5
	s_delay_alu instid0(VALU_DEP_1) | instskip(SKIP_2) | instid1(VALU_DEP_1)
	v_add_lshl_u32 v5, v5, v2, 2
	s_waitcnt lgkmcnt(0)
	v_cndmask_b32_e32 v3, 0, v3, vcc_lo
	v_add_nc_u32_e32 v1, v1, v3
	ds_bpermute_b32 v3, v5, v1
	v_add_nc_u32_e32 v5, 16, v2
	s_delay_alu instid0(VALU_DEP_1) | instskip(SKIP_2) | instid1(VALU_DEP_1)
	v_cmp_lt_u32_e32 vcc_lo, v5, v4
	s_waitcnt lgkmcnt(0)
	v_cndmask_b32_e32 v3, 0, v3, vcc_lo
	v_add_nc_u32_e32 v1, v1, v3
	v_cmpx_eq_u32_e32 0, v2
	s_cbranch_execz .LBB778_162
; %bb.161:
	v_lshrrev_b32_e32 v3, 3, v0
	s_delay_alu instid0(VALU_DEP_1)
	v_and_b32_e32 v3, 28, v3
	ds_store_b32 v3, v1 offset:192
.LBB778_162:
	s_or_b32 exec_lo, exec_lo, s3
	s_delay_alu instid0(SALU_CYCLE_1)
	s_mov_b32 s3, exec_lo
	s_waitcnt lgkmcnt(0)
	s_barrier
	buffer_gl0_inv
	v_cmpx_gt_u32_e32 8, v0
	s_cbranch_execz .LBB778_164
; %bb.163:
	v_and_b32_e32 v3, 7, v2
	s_add_i32 s2, s2, 31
	s_delay_alu instid0(SALU_CYCLE_1) | instskip(NEXT) | instid1(VALU_DEP_1)
	s_lshr_b32 s2, s2, 5
	v_cmp_ne_u32_e32 vcc_lo, 7, v3
	v_add_nc_u32_e32 v6, 1, v3
	v_add_co_ci_u32_e32 v4, vcc_lo, 0, v2, vcc_lo
	v_cmp_gt_u32_e32 vcc_lo, 6, v3
	s_delay_alu instid0(VALU_DEP_2) | instskip(SKIP_3) | instid1(VALU_DEP_3)
	v_lshlrev_b32_e32 v4, 2, v4
	v_cndmask_b32_e64 v5, 0, 1, vcc_lo
	v_cmp_gt_u32_e32 vcc_lo, s2, v6
	v_lshlrev_b32_e32 v1, 2, v2
	v_lshlrev_b32_e32 v5, 1, v5
	ds_load_b32 v1, v1 offset:192
	v_add_lshl_u32 v5, v5, v2, 2
	s_waitcnt lgkmcnt(0)
	ds_bpermute_b32 v4, v4, v1
	s_waitcnt lgkmcnt(0)
	v_cndmask_b32_e32 v4, 0, v4, vcc_lo
	v_cmp_gt_u32_e32 vcc_lo, 4, v3
	s_delay_alu instid0(VALU_DEP_2) | instskip(SKIP_3) | instid1(VALU_DEP_1)
	v_add_nc_u32_e32 v1, v4, v1
	v_cndmask_b32_e64 v6, 0, 1, vcc_lo
	ds_bpermute_b32 v4, v5, v1
	v_add_nc_u32_e32 v5, 2, v3
	v_cmp_gt_u32_e32 vcc_lo, s2, v5
	v_lshlrev_b32_e32 v5, 2, v6
	s_delay_alu instid0(VALU_DEP_1) | instskip(SKIP_2) | instid1(VALU_DEP_1)
	v_add_lshl_u32 v2, v5, v2, 2
	s_waitcnt lgkmcnt(0)
	v_dual_cndmask_b32 v4, 0, v4 :: v_dual_add_nc_u32 v3, 4, v3
	v_add_nc_u32_e32 v1, v1, v4
	s_delay_alu instid0(VALU_DEP_2) | instskip(SKIP_3) | instid1(VALU_DEP_1)
	v_cmp_gt_u32_e32 vcc_lo, s2, v3
	ds_bpermute_b32 v2, v2, v1
	s_waitcnt lgkmcnt(0)
	v_cndmask_b32_e32 v2, 0, v2, vcc_lo
	v_add_nc_u32_e32 v1, v1, v2
.LBB778_164:
	s_or_b32 exec_lo, exec_lo, s3
.LBB778_165:
	v_cmp_eq_u32_e64 s2, 0, v0
	s_branch .LBB778_224
.LBB778_166:
	s_cmp_gt_i32 s24, 1
	s_cbranch_scc0 .LBB778_175
; %bb.167:
	s_cmp_gt_i32 s24, 3
	s_cbranch_scc0 .LBB778_176
; %bb.168:
	s_cmp_eq_u32 s24, 4
	s_cbranch_scc0 .LBB778_177
; %bb.169:
	s_mov_b32 s21, 0
	s_lshl_b32 s2, s20, 10
	s_mov_b32 s3, s21
	s_lshr_b64 s[6:7], s[18:19], 10
	s_lshl_b64 s[4:5], s[2:3], 2
	s_delay_alu instid0(SALU_CYCLE_1)
	s_add_u32 s4, s16, s4
	s_addc_u32 s5, s17, s5
	s_cmp_lg_u64 s[6:7], s[20:21]
	s_cbranch_scc0 .LBB778_179
; %bb.170:
	v_lshlrev_b32_e32 v1, 2, v0
	s_mov_b32 s3, exec_lo
	s_clause 0x3
	global_load_b32 v2, v1, s[4:5]
	global_load_b32 v3, v1, s[4:5] offset:1024
	global_load_b32 v4, v1, s[4:5] offset:2048
	;; [unrolled: 1-line block ×3, first 2 shown]
	s_waitcnt vmcnt(2)
	v_add_nc_u32_e32 v2, v3, v2
	s_waitcnt vmcnt(0)
	s_delay_alu instid0(VALU_DEP_1) | instskip(NEXT) | instid1(VALU_DEP_1)
	v_add3_u32 v1, v2, v4, v1
	v_mov_b32_dpp v2, v1 quad_perm:[1,0,3,2] row_mask:0xf bank_mask:0xf
	s_delay_alu instid0(VALU_DEP_1) | instskip(NEXT) | instid1(VALU_DEP_1)
	v_add_nc_u32_e32 v1, v2, v1
	v_mov_b32_dpp v2, v1 quad_perm:[2,3,0,1] row_mask:0xf bank_mask:0xf
	s_delay_alu instid0(VALU_DEP_1) | instskip(NEXT) | instid1(VALU_DEP_1)
	v_add_nc_u32_e32 v1, v1, v2
	v_mov_b32_dpp v2, v1 row_ror:4 row_mask:0xf bank_mask:0xf
	s_delay_alu instid0(VALU_DEP_1) | instskip(NEXT) | instid1(VALU_DEP_1)
	v_add_nc_u32_e32 v1, v1, v2
	v_mov_b32_dpp v2, v1 row_ror:8 row_mask:0xf bank_mask:0xf
	s_delay_alu instid0(VALU_DEP_1)
	v_add_nc_u32_e32 v1, v1, v2
	ds_swizzle_b32 v2, v1 offset:swizzle(BROADCAST,32,15)
	s_waitcnt lgkmcnt(0)
	v_dual_mov_b32 v2, 0 :: v_dual_add_nc_u32 v1, v1, v2
	ds_bpermute_b32 v1, v2, v1 offset:124
	v_mbcnt_lo_u32_b32 v2, -1, 0
	s_delay_alu instid0(VALU_DEP_1)
	v_cmpx_eq_u32_e32 0, v2
	s_cbranch_execz .LBB778_172
; %bb.171:
	v_lshrrev_b32_e32 v3, 3, v0
	s_delay_alu instid0(VALU_DEP_1)
	v_and_b32_e32 v3, 28, v3
	s_waitcnt lgkmcnt(0)
	ds_store_b32 v3, v1 offset:128
.LBB778_172:
	s_or_b32 exec_lo, exec_lo, s3
	s_delay_alu instid0(SALU_CYCLE_1)
	s_mov_b32 s3, exec_lo
	s_waitcnt lgkmcnt(0)
	s_barrier
	buffer_gl0_inv
	v_cmpx_gt_u32_e32 32, v0
	s_cbranch_execz .LBB778_174
; %bb.173:
	v_and_b32_e32 v1, 7, v2
	s_delay_alu instid0(VALU_DEP_1) | instskip(SKIP_4) | instid1(VALU_DEP_2)
	v_lshlrev_b32_e32 v3, 2, v1
	v_cmp_ne_u32_e32 vcc_lo, 7, v1
	ds_load_b32 v3, v3 offset:128
	v_add_co_ci_u32_e32 v4, vcc_lo, 0, v2, vcc_lo
	v_cmp_gt_u32_e32 vcc_lo, 6, v1
	v_lshlrev_b32_e32 v4, 2, v4
	v_cndmask_b32_e64 v5, 0, 1, vcc_lo
	v_cmp_gt_u32_e32 vcc_lo, 4, v1
	s_delay_alu instid0(VALU_DEP_2) | instskip(SKIP_1) | instid1(VALU_DEP_2)
	v_lshlrev_b32_e32 v5, 1, v5
	v_cndmask_b32_e64 v1, 0, 1, vcc_lo
	v_add_lshl_u32 v5, v5, v2, 2
	s_delay_alu instid0(VALU_DEP_2)
	v_lshlrev_b32_e32 v1, 2, v1
	s_waitcnt lgkmcnt(0)
	ds_bpermute_b32 v4, v4, v3
	v_add_lshl_u32 v1, v1, v2, 2
	s_waitcnt lgkmcnt(0)
	v_add_nc_u32_e32 v3, v4, v3
	ds_bpermute_b32 v4, v5, v3
	s_waitcnt lgkmcnt(0)
	v_add_nc_u32_e32 v3, v4, v3
	ds_bpermute_b32 v1, v1, v3
	s_waitcnt lgkmcnt(0)
	v_add_nc_u32_e32 v1, v1, v3
.LBB778_174:
	s_or_b32 exec_lo, exec_lo, s3
	s_mov_b32 s3, 0
	s_branch .LBB778_180
.LBB778_175:
                                        ; implicit-def: $vgpr1
	s_cbranch_execnz .LBB778_215
	s_branch .LBB778_224
.LBB778_176:
                                        ; implicit-def: $vgpr1
	s_cbranch_execz .LBB778_178
	s_branch .LBB778_195
.LBB778_177:
                                        ; implicit-def: $vgpr1
.LBB778_178:
	s_branch .LBB778_224
.LBB778_179:
	s_mov_b32 s3, -1
                                        ; implicit-def: $vgpr1
.LBB778_180:
	s_delay_alu instid0(SALU_CYCLE_1)
	s_and_b32 vcc_lo, exec_lo, s3
	s_cbranch_vccz .LBB778_194
; %bb.181:
	s_sub_i32 s6, s18, s2
	s_mov_b32 s2, exec_lo
                                        ; implicit-def: $vgpr1_vgpr2_vgpr3_vgpr4
	v_cmpx_gt_u32_e64 s6, v0
	s_cbranch_execz .LBB778_183
; %bb.182:
	v_lshlrev_b32_e32 v1, 2, v0
	global_load_b32 v1, v1, s[4:5]
.LBB778_183:
	s_or_b32 exec_lo, exec_lo, s2
	v_or_b32_e32 v5, 0x100, v0
	s_delay_alu instid0(VALU_DEP_1)
	v_cmp_gt_u32_e32 vcc_lo, s6, v5
	s_and_saveexec_b32 s2, vcc_lo
	s_cbranch_execz .LBB778_185
; %bb.184:
	v_lshlrev_b32_e32 v2, 2, v0
	global_load_b32 v2, v2, s[4:5] offset:1024
.LBB778_185:
	s_or_b32 exec_lo, exec_lo, s2
	v_or_b32_e32 v5, 0x200, v0
	s_delay_alu instid0(VALU_DEP_1) | instskip(NEXT) | instid1(VALU_DEP_1)
	v_cmp_gt_u32_e64 s2, s6, v5
	s_and_saveexec_b32 s3, s2
	s_cbranch_execz .LBB778_187
; %bb.186:
	v_lshlrev_b32_e32 v3, 2, v0
	global_load_b32 v3, v3, s[4:5] offset:2048
.LBB778_187:
	s_or_b32 exec_lo, exec_lo, s3
	v_or_b32_e32 v5, 0x300, v0
	s_delay_alu instid0(VALU_DEP_1) | instskip(NEXT) | instid1(VALU_DEP_1)
	v_cmp_gt_u32_e64 s3, s6, v5
	s_and_saveexec_b32 s7, s3
	s_cbranch_execz .LBB778_189
; %bb.188:
	v_lshlrev_b32_e32 v4, 2, v0
	global_load_b32 v4, v4, s[4:5] offset:3072
.LBB778_189:
	s_or_b32 exec_lo, exec_lo, s7
	s_waitcnt vmcnt(0)
	v_cndmask_b32_e32 v5, 0, v2, vcc_lo
	v_mbcnt_lo_u32_b32 v2, -1, 0
	v_cndmask_b32_e64 v3, 0, v3, s2
	v_cndmask_b32_e64 v4, 0, v4, s3
	s_min_u32 s2, s6, 0x100
	v_add_nc_u32_e32 v1, v5, v1
	v_cmp_ne_u32_e32 vcc_lo, 31, v2
	s_mov_b32 s3, exec_lo
	s_delay_alu instid0(VALU_DEP_2) | instskip(SKIP_3) | instid1(VALU_DEP_3)
	v_add3_u32 v1, v1, v3, v4
	v_and_b32_e32 v4, 0xe0, v0
	v_add_co_ci_u32_e32 v5, vcc_lo, 0, v2, vcc_lo
	v_cmp_gt_u32_e32 vcc_lo, 30, v2
	v_sub_nc_u32_e64 v4, s2, v4 clamp
	s_delay_alu instid0(VALU_DEP_3) | instskip(SKIP_4) | instid1(VALU_DEP_2)
	v_lshlrev_b32_e32 v3, 2, v5
	v_cndmask_b32_e64 v5, 0, 1, vcc_lo
	ds_bpermute_b32 v3, v3, v1
	v_add_nc_u32_e32 v6, 1, v2
	v_lshlrev_b32_e32 v5, 1, v5
	v_cmp_lt_u32_e32 vcc_lo, v6, v4
	s_delay_alu instid0(VALU_DEP_2) | instskip(SKIP_3) | instid1(VALU_DEP_2)
	v_add_lshl_u32 v5, v5, v2, 2
	s_waitcnt lgkmcnt(0)
	v_cndmask_b32_e32 v3, 0, v3, vcc_lo
	v_cmp_gt_u32_e32 vcc_lo, 28, v2
	v_add_nc_u32_e32 v1, v3, v1
	ds_bpermute_b32 v3, v5, v1
	v_add_nc_u32_e32 v6, 2, v2
	v_cndmask_b32_e64 v5, 0, 1, vcc_lo
	s_delay_alu instid0(VALU_DEP_2) | instskip(NEXT) | instid1(VALU_DEP_2)
	v_cmp_lt_u32_e32 vcc_lo, v6, v4
	v_lshlrev_b32_e32 v5, 2, v5
	s_delay_alu instid0(VALU_DEP_1) | instskip(SKIP_3) | instid1(VALU_DEP_2)
	v_add_lshl_u32 v5, v5, v2, 2
	s_waitcnt lgkmcnt(0)
	v_cndmask_b32_e32 v3, 0, v3, vcc_lo
	v_cmp_gt_u32_e32 vcc_lo, 24, v2
	v_add_nc_u32_e32 v1, v1, v3
	ds_bpermute_b32 v3, v5, v1
	v_add_nc_u32_e32 v6, 4, v2
	v_cndmask_b32_e64 v5, 0, 1, vcc_lo
	s_delay_alu instid0(VALU_DEP_2) | instskip(NEXT) | instid1(VALU_DEP_2)
	v_cmp_lt_u32_e32 vcc_lo, v6, v4
	v_lshlrev_b32_e32 v5, 3, v5
	s_delay_alu instid0(VALU_DEP_1) | instskip(SKIP_3) | instid1(VALU_DEP_2)
	v_add_lshl_u32 v5, v5, v2, 2
	s_waitcnt lgkmcnt(0)
	v_cndmask_b32_e32 v3, 0, v3, vcc_lo
	v_cmp_gt_u32_e32 vcc_lo, 16, v2
	v_add_nc_u32_e32 v1, v1, v3
	ds_bpermute_b32 v3, v5, v1
	v_add_nc_u32_e32 v6, 8, v2
	v_cndmask_b32_e64 v5, 0, 1, vcc_lo
	s_delay_alu instid0(VALU_DEP_2) | instskip(NEXT) | instid1(VALU_DEP_2)
	v_cmp_lt_u32_e32 vcc_lo, v6, v4
	v_lshlrev_b32_e32 v5, 4, v5
	s_delay_alu instid0(VALU_DEP_1) | instskip(SKIP_2) | instid1(VALU_DEP_1)
	v_add_lshl_u32 v5, v5, v2, 2
	s_waitcnt lgkmcnt(0)
	v_cndmask_b32_e32 v3, 0, v3, vcc_lo
	v_add_nc_u32_e32 v1, v1, v3
	ds_bpermute_b32 v3, v5, v1
	v_add_nc_u32_e32 v5, 16, v2
	s_delay_alu instid0(VALU_DEP_1) | instskip(SKIP_2) | instid1(VALU_DEP_1)
	v_cmp_lt_u32_e32 vcc_lo, v5, v4
	s_waitcnt lgkmcnt(0)
	v_cndmask_b32_e32 v3, 0, v3, vcc_lo
	v_add_nc_u32_e32 v1, v1, v3
	v_cmpx_eq_u32_e32 0, v2
	s_cbranch_execz .LBB778_191
; %bb.190:
	v_lshrrev_b32_e32 v3, 3, v0
	s_delay_alu instid0(VALU_DEP_1)
	v_and_b32_e32 v3, 28, v3
	ds_store_b32 v3, v1 offset:192
.LBB778_191:
	s_or_b32 exec_lo, exec_lo, s3
	s_delay_alu instid0(SALU_CYCLE_1)
	s_mov_b32 s3, exec_lo
	s_waitcnt lgkmcnt(0)
	s_barrier
	buffer_gl0_inv
	v_cmpx_gt_u32_e32 8, v0
	s_cbranch_execz .LBB778_193
; %bb.192:
	v_and_b32_e32 v3, 7, v2
	s_add_i32 s2, s2, 31
	s_delay_alu instid0(SALU_CYCLE_1) | instskip(NEXT) | instid1(VALU_DEP_1)
	s_lshr_b32 s2, s2, 5
	v_cmp_ne_u32_e32 vcc_lo, 7, v3
	v_add_nc_u32_e32 v6, 1, v3
	v_add_co_ci_u32_e32 v4, vcc_lo, 0, v2, vcc_lo
	v_cmp_gt_u32_e32 vcc_lo, 6, v3
	s_delay_alu instid0(VALU_DEP_2) | instskip(SKIP_3) | instid1(VALU_DEP_3)
	v_lshlrev_b32_e32 v4, 2, v4
	v_cndmask_b32_e64 v5, 0, 1, vcc_lo
	v_cmp_gt_u32_e32 vcc_lo, s2, v6
	v_lshlrev_b32_e32 v1, 2, v2
	v_lshlrev_b32_e32 v5, 1, v5
	ds_load_b32 v1, v1 offset:192
	v_add_lshl_u32 v5, v5, v2, 2
	s_waitcnt lgkmcnt(0)
	ds_bpermute_b32 v4, v4, v1
	s_waitcnt lgkmcnt(0)
	v_cndmask_b32_e32 v4, 0, v4, vcc_lo
	v_cmp_gt_u32_e32 vcc_lo, 4, v3
	s_delay_alu instid0(VALU_DEP_2) | instskip(SKIP_3) | instid1(VALU_DEP_1)
	v_add_nc_u32_e32 v1, v4, v1
	v_cndmask_b32_e64 v6, 0, 1, vcc_lo
	ds_bpermute_b32 v4, v5, v1
	v_add_nc_u32_e32 v5, 2, v3
	v_cmp_gt_u32_e32 vcc_lo, s2, v5
	v_lshlrev_b32_e32 v5, 2, v6
	s_delay_alu instid0(VALU_DEP_1) | instskip(SKIP_2) | instid1(VALU_DEP_1)
	v_add_lshl_u32 v2, v5, v2, 2
	s_waitcnt lgkmcnt(0)
	v_dual_cndmask_b32 v4, 0, v4 :: v_dual_add_nc_u32 v3, 4, v3
	v_add_nc_u32_e32 v1, v1, v4
	s_delay_alu instid0(VALU_DEP_2) | instskip(SKIP_3) | instid1(VALU_DEP_1)
	v_cmp_gt_u32_e32 vcc_lo, s2, v3
	ds_bpermute_b32 v2, v2, v1
	s_waitcnt lgkmcnt(0)
	v_cndmask_b32_e32 v2, 0, v2, vcc_lo
	v_add_nc_u32_e32 v1, v1, v2
.LBB778_193:
	s_or_b32 exec_lo, exec_lo, s3
.LBB778_194:
	v_cmp_eq_u32_e64 s2, 0, v0
	s_branch .LBB778_178
.LBB778_195:
	s_cmp_eq_u32 s24, 2
	s_cbranch_scc0 .LBB778_202
; %bb.196:
	s_mov_b32 s21, 0
	s_lshl_b32 s4, s20, 9
	s_mov_b32 s5, s21
	s_lshr_b64 s[6:7], s[18:19], 9
	s_lshl_b64 s[2:3], s[4:5], 2
	s_delay_alu instid0(SALU_CYCLE_1)
	s_add_u32 s2, s16, s2
	s_addc_u32 s3, s17, s3
	s_cmp_lg_u64 s[6:7], s[20:21]
	s_cbranch_scc0 .LBB778_203
; %bb.197:
	v_lshlrev_b32_e32 v1, 2, v0
	s_mov_b32 s5, exec_lo
	s_clause 0x1
	global_load_b32 v2, v1, s[2:3]
	global_load_b32 v1, v1, s[2:3] offset:1024
	s_waitcnt vmcnt(0)
	v_add_nc_u32_e32 v1, v1, v2
	s_delay_alu instid0(VALU_DEP_1) | instskip(NEXT) | instid1(VALU_DEP_1)
	v_mov_b32_dpp v2, v1 quad_perm:[1,0,3,2] row_mask:0xf bank_mask:0xf
	v_add_nc_u32_e32 v1, v2, v1
	s_delay_alu instid0(VALU_DEP_1) | instskip(NEXT) | instid1(VALU_DEP_1)
	v_mov_b32_dpp v2, v1 quad_perm:[2,3,0,1] row_mask:0xf bank_mask:0xf
	v_add_nc_u32_e32 v1, v1, v2
	s_delay_alu instid0(VALU_DEP_1) | instskip(NEXT) | instid1(VALU_DEP_1)
	v_mov_b32_dpp v2, v1 row_ror:4 row_mask:0xf bank_mask:0xf
	v_add_nc_u32_e32 v1, v1, v2
	s_delay_alu instid0(VALU_DEP_1) | instskip(NEXT) | instid1(VALU_DEP_1)
	v_mov_b32_dpp v2, v1 row_ror:8 row_mask:0xf bank_mask:0xf
	v_add_nc_u32_e32 v1, v1, v2
	ds_swizzle_b32 v2, v1 offset:swizzle(BROADCAST,32,15)
	s_waitcnt lgkmcnt(0)
	v_dual_mov_b32 v2, 0 :: v_dual_add_nc_u32 v1, v1, v2
	ds_bpermute_b32 v1, v2, v1 offset:124
	v_mbcnt_lo_u32_b32 v2, -1, 0
	s_delay_alu instid0(VALU_DEP_1)
	v_cmpx_eq_u32_e32 0, v2
	s_cbranch_execz .LBB778_199
; %bb.198:
	v_lshrrev_b32_e32 v3, 3, v0
	s_delay_alu instid0(VALU_DEP_1)
	v_and_b32_e32 v3, 28, v3
	s_waitcnt lgkmcnt(0)
	ds_store_b32 v3, v1 offset:64
.LBB778_199:
	s_or_b32 exec_lo, exec_lo, s5
	s_delay_alu instid0(SALU_CYCLE_1)
	s_mov_b32 s5, exec_lo
	s_waitcnt lgkmcnt(0)
	s_barrier
	buffer_gl0_inv
	v_cmpx_gt_u32_e32 32, v0
	s_cbranch_execz .LBB778_201
; %bb.200:
	v_and_b32_e32 v1, 7, v2
	s_delay_alu instid0(VALU_DEP_1) | instskip(SKIP_4) | instid1(VALU_DEP_2)
	v_lshlrev_b32_e32 v3, 2, v1
	v_cmp_ne_u32_e32 vcc_lo, 7, v1
	ds_load_b32 v3, v3 offset:64
	v_add_co_ci_u32_e32 v4, vcc_lo, 0, v2, vcc_lo
	v_cmp_gt_u32_e32 vcc_lo, 6, v1
	v_lshlrev_b32_e32 v4, 2, v4
	v_cndmask_b32_e64 v5, 0, 1, vcc_lo
	v_cmp_gt_u32_e32 vcc_lo, 4, v1
	s_delay_alu instid0(VALU_DEP_2) | instskip(SKIP_1) | instid1(VALU_DEP_2)
	v_lshlrev_b32_e32 v5, 1, v5
	v_cndmask_b32_e64 v1, 0, 1, vcc_lo
	v_add_lshl_u32 v5, v5, v2, 2
	s_delay_alu instid0(VALU_DEP_2)
	v_lshlrev_b32_e32 v1, 2, v1
	s_waitcnt lgkmcnt(0)
	ds_bpermute_b32 v4, v4, v3
	v_add_lshl_u32 v1, v1, v2, 2
	s_waitcnt lgkmcnt(0)
	v_add_nc_u32_e32 v3, v4, v3
	ds_bpermute_b32 v4, v5, v3
	s_waitcnt lgkmcnt(0)
	v_add_nc_u32_e32 v3, v4, v3
	ds_bpermute_b32 v1, v1, v3
	s_waitcnt lgkmcnt(0)
	v_add_nc_u32_e32 v1, v1, v3
.LBB778_201:
	s_or_b32 exec_lo, exec_lo, s5
	s_mov_b32 s5, 0
	s_branch .LBB778_204
.LBB778_202:
                                        ; implicit-def: $vgpr1
	s_branch .LBB778_224
.LBB778_203:
	s_mov_b32 s5, -1
                                        ; implicit-def: $vgpr1
.LBB778_204:
	s_delay_alu instid0(SALU_CYCLE_1)
	s_and_b32 vcc_lo, exec_lo, s5
	s_cbranch_vccz .LBB778_214
; %bb.205:
	s_sub_i32 s4, s18, s4
	s_mov_b32 s5, exec_lo
                                        ; implicit-def: $vgpr1_vgpr2
	v_cmpx_gt_u32_e64 s4, v0
	s_cbranch_execz .LBB778_207
; %bb.206:
	v_lshlrev_b32_e32 v1, 2, v0
	global_load_b32 v1, v1, s[2:3]
.LBB778_207:
	s_or_b32 exec_lo, exec_lo, s5
	v_or_b32_e32 v3, 0x100, v0
	s_delay_alu instid0(VALU_DEP_1)
	v_cmp_gt_u32_e32 vcc_lo, s4, v3
	s_and_saveexec_b32 s5, vcc_lo
	s_cbranch_execz .LBB778_209
; %bb.208:
	v_lshlrev_b32_e32 v2, 2, v0
	global_load_b32 v2, v2, s[2:3] offset:1024
.LBB778_209:
	s_or_b32 exec_lo, exec_lo, s5
	v_mbcnt_lo_u32_b32 v3, -1, 0
	s_waitcnt vmcnt(0)
	v_cndmask_b32_e32 v2, 0, v2, vcc_lo
	s_min_u32 s2, s4, 0x100
	s_mov_b32 s3, exec_lo
	v_cmp_ne_u32_e32 vcc_lo, 31, v3
	v_add_nc_u32_e32 v6, 1, v3
	v_add_co_ci_u32_e32 v4, vcc_lo, 0, v3, vcc_lo
	v_cmp_gt_u32_e32 vcc_lo, 30, v3
	v_cndmask_b32_e64 v5, 0, 1, vcc_lo
	s_delay_alu instid0(VALU_DEP_1) | instskip(SKIP_3) | instid1(VALU_DEP_4)
	v_lshlrev_b32_e32 v5, 1, v5
	v_add_nc_u32_e32 v1, v2, v1
	v_lshlrev_b32_e32 v2, 2, v4
	v_and_b32_e32 v4, 0xe0, v0
	v_add_lshl_u32 v5, v5, v3, 2
	ds_bpermute_b32 v2, v2, v1
	v_sub_nc_u32_e64 v4, s2, v4 clamp
	s_delay_alu instid0(VALU_DEP_1) | instskip(SKIP_4) | instid1(VALU_DEP_2)
	v_cmp_lt_u32_e32 vcc_lo, v6, v4
	v_add_nc_u32_e32 v6, 2, v3
	s_waitcnt lgkmcnt(0)
	v_cndmask_b32_e32 v2, 0, v2, vcc_lo
	v_cmp_gt_u32_e32 vcc_lo, 28, v3
	v_add_nc_u32_e32 v1, v2, v1
	ds_bpermute_b32 v2, v5, v1
	v_cndmask_b32_e64 v5, 0, 1, vcc_lo
	v_cmp_lt_u32_e32 vcc_lo, v6, v4
	v_add_nc_u32_e32 v6, 4, v3
	s_delay_alu instid0(VALU_DEP_3) | instskip(NEXT) | instid1(VALU_DEP_1)
	v_lshlrev_b32_e32 v5, 2, v5
	v_add_lshl_u32 v5, v5, v3, 2
	s_waitcnt lgkmcnt(0)
	v_cndmask_b32_e32 v2, 0, v2, vcc_lo
	v_cmp_gt_u32_e32 vcc_lo, 24, v3
	s_delay_alu instid0(VALU_DEP_2) | instskip(SKIP_4) | instid1(VALU_DEP_3)
	v_add_nc_u32_e32 v1, v1, v2
	ds_bpermute_b32 v2, v5, v1
	v_cndmask_b32_e64 v5, 0, 1, vcc_lo
	v_cmp_lt_u32_e32 vcc_lo, v6, v4
	v_add_nc_u32_e32 v6, 8, v3
	v_lshlrev_b32_e32 v5, 3, v5
	s_delay_alu instid0(VALU_DEP_1) | instskip(SKIP_3) | instid1(VALU_DEP_2)
	v_add_lshl_u32 v5, v5, v3, 2
	s_waitcnt lgkmcnt(0)
	v_cndmask_b32_e32 v2, 0, v2, vcc_lo
	v_cmp_gt_u32_e32 vcc_lo, 16, v3
	v_add_nc_u32_e32 v1, v1, v2
	ds_bpermute_b32 v2, v5, v1
	v_cndmask_b32_e64 v5, 0, 1, vcc_lo
	v_cmp_lt_u32_e32 vcc_lo, v6, v4
	s_delay_alu instid0(VALU_DEP_2) | instskip(NEXT) | instid1(VALU_DEP_1)
	v_lshlrev_b32_e32 v5, 4, v5
	v_add_lshl_u32 v5, v5, v3, 2
	s_waitcnt lgkmcnt(0)
	v_cndmask_b32_e32 v2, 0, v2, vcc_lo
	s_delay_alu instid0(VALU_DEP_1) | instskip(SKIP_2) | instid1(VALU_DEP_1)
	v_add_nc_u32_e32 v1, v1, v2
	ds_bpermute_b32 v2, v5, v1
	v_add_nc_u32_e32 v5, 16, v3
	v_cmp_lt_u32_e32 vcc_lo, v5, v4
	s_waitcnt lgkmcnt(0)
	v_cndmask_b32_e32 v2, 0, v2, vcc_lo
	s_delay_alu instid0(VALU_DEP_1)
	v_add_nc_u32_e32 v1, v1, v2
	v_cmpx_eq_u32_e32 0, v3
	s_cbranch_execz .LBB778_211
; %bb.210:
	v_lshrrev_b32_e32 v2, 3, v0
	s_delay_alu instid0(VALU_DEP_1)
	v_and_b32_e32 v2, 28, v2
	ds_store_b32 v2, v1 offset:192
.LBB778_211:
	s_or_b32 exec_lo, exec_lo, s3
	s_delay_alu instid0(SALU_CYCLE_1)
	s_mov_b32 s3, exec_lo
	s_waitcnt lgkmcnt(0)
	s_barrier
	buffer_gl0_inv
	v_cmpx_gt_u32_e32 8, v0
	s_cbranch_execz .LBB778_213
; %bb.212:
	v_and_b32_e32 v2, 7, v3
	s_add_i32 s2, s2, 31
	s_delay_alu instid0(SALU_CYCLE_1) | instskip(NEXT) | instid1(VALU_DEP_1)
	s_lshr_b32 s2, s2, 5
	v_cmp_ne_u32_e32 vcc_lo, 7, v2
	v_add_nc_u32_e32 v6, 1, v2
	v_add_co_ci_u32_e32 v4, vcc_lo, 0, v3, vcc_lo
	v_cmp_gt_u32_e32 vcc_lo, 6, v2
	s_delay_alu instid0(VALU_DEP_2) | instskip(SKIP_3) | instid1(VALU_DEP_3)
	v_lshlrev_b32_e32 v4, 2, v4
	v_cndmask_b32_e64 v5, 0, 1, vcc_lo
	v_cmp_gt_u32_e32 vcc_lo, s2, v6
	v_lshlrev_b32_e32 v1, 2, v3
	v_lshlrev_b32_e32 v5, 1, v5
	ds_load_b32 v1, v1 offset:192
	v_add_lshl_u32 v5, v5, v3, 2
	s_waitcnt lgkmcnt(0)
	ds_bpermute_b32 v4, v4, v1
	s_waitcnt lgkmcnt(0)
	v_cndmask_b32_e32 v4, 0, v4, vcc_lo
	v_cmp_gt_u32_e32 vcc_lo, 4, v2
	s_delay_alu instid0(VALU_DEP_2) | instskip(SKIP_4) | instid1(VALU_DEP_2)
	v_add_nc_u32_e32 v1, v4, v1
	v_cndmask_b32_e64 v6, 0, 1, vcc_lo
	ds_bpermute_b32 v4, v5, v1
	v_add_nc_u32_e32 v5, 2, v2
	v_add_nc_u32_e32 v2, 4, v2
	v_cmp_gt_u32_e32 vcc_lo, s2, v5
	v_lshlrev_b32_e32 v5, 2, v6
	s_delay_alu instid0(VALU_DEP_1) | instskip(SKIP_3) | instid1(VALU_DEP_2)
	v_add_lshl_u32 v3, v5, v3, 2
	s_waitcnt lgkmcnt(0)
	v_cndmask_b32_e32 v4, 0, v4, vcc_lo
	v_cmp_gt_u32_e32 vcc_lo, s2, v2
	v_add_nc_u32_e32 v1, v1, v4
	ds_bpermute_b32 v3, v3, v1
	s_waitcnt lgkmcnt(0)
	v_cndmask_b32_e32 v2, 0, v3, vcc_lo
	s_delay_alu instid0(VALU_DEP_1)
	v_add_nc_u32_e32 v1, v1, v2
.LBB778_213:
	s_or_b32 exec_lo, exec_lo, s3
.LBB778_214:
	v_cmp_eq_u32_e64 s2, 0, v0
	s_branch .LBB778_224
.LBB778_215:
	s_cmp_eq_u32 s24, 1
	s_cbranch_scc0 .LBB778_223
; %bb.216:
	s_mov_b32 s3, 0
	v_mbcnt_lo_u32_b32 v2, -1, 0
	s_lshr_b64 s[4:5], s[18:19], 8
	s_mov_b32 s21, s3
	s_lshl_b32 s2, s20, 8
	s_cmp_lg_u64 s[4:5], s[20:21]
	s_cbranch_scc0 .LBB778_227
; %bb.217:
	s_lshl_b64 s[4:5], s[2:3], 2
	v_lshlrev_b32_e32 v1, 2, v0
	s_add_u32 s4, s16, s4
	s_addc_u32 s5, s17, s5
	global_load_b32 v1, v1, s[4:5]
	s_mov_b32 s4, exec_lo
	s_waitcnt vmcnt(0)
	v_mov_b32_dpp v3, v1 quad_perm:[1,0,3,2] row_mask:0xf bank_mask:0xf
	s_delay_alu instid0(VALU_DEP_1) | instskip(NEXT) | instid1(VALU_DEP_1)
	v_add_nc_u32_e32 v1, v3, v1
	v_mov_b32_dpp v3, v1 quad_perm:[2,3,0,1] row_mask:0xf bank_mask:0xf
	s_delay_alu instid0(VALU_DEP_1) | instskip(NEXT) | instid1(VALU_DEP_1)
	v_add_nc_u32_e32 v1, v1, v3
	v_mov_b32_dpp v3, v1 row_ror:4 row_mask:0xf bank_mask:0xf
	s_delay_alu instid0(VALU_DEP_1) | instskip(NEXT) | instid1(VALU_DEP_1)
	v_add_nc_u32_e32 v1, v1, v3
	v_mov_b32_dpp v3, v1 row_ror:8 row_mask:0xf bank_mask:0xf
	s_delay_alu instid0(VALU_DEP_1)
	v_add_nc_u32_e32 v1, v1, v3
	ds_swizzle_b32 v3, v1 offset:swizzle(BROADCAST,32,15)
	s_waitcnt lgkmcnt(0)
	v_add_nc_u32_e32 v1, v1, v3
	v_mov_b32_e32 v3, 0
	ds_bpermute_b32 v1, v3, v1 offset:124
	v_cmpx_eq_u32_e32 0, v2
	s_cbranch_execz .LBB778_219
; %bb.218:
	v_lshrrev_b32_e32 v3, 3, v0
	s_delay_alu instid0(VALU_DEP_1)
	v_and_b32_e32 v3, 28, v3
	s_waitcnt lgkmcnt(0)
	ds_store_b32 v3, v1 offset:32
.LBB778_219:
	s_or_b32 exec_lo, exec_lo, s4
	s_delay_alu instid0(SALU_CYCLE_1)
	s_mov_b32 s4, exec_lo
	s_waitcnt lgkmcnt(0)
	s_barrier
	buffer_gl0_inv
	v_cmpx_gt_u32_e32 32, v0
	s_cbranch_execz .LBB778_221
; %bb.220:
	v_and_b32_e32 v1, 7, v2
	s_delay_alu instid0(VALU_DEP_1) | instskip(SKIP_4) | instid1(VALU_DEP_2)
	v_lshlrev_b32_e32 v3, 2, v1
	v_cmp_ne_u32_e32 vcc_lo, 7, v1
	ds_load_b32 v3, v3 offset:32
	v_add_co_ci_u32_e32 v4, vcc_lo, 0, v2, vcc_lo
	v_cmp_gt_u32_e32 vcc_lo, 6, v1
	v_lshlrev_b32_e32 v4, 2, v4
	v_cndmask_b32_e64 v5, 0, 1, vcc_lo
	v_cmp_gt_u32_e32 vcc_lo, 4, v1
	s_delay_alu instid0(VALU_DEP_2) | instskip(SKIP_1) | instid1(VALU_DEP_2)
	v_lshlrev_b32_e32 v5, 1, v5
	v_cndmask_b32_e64 v1, 0, 1, vcc_lo
	v_add_lshl_u32 v5, v5, v2, 2
	s_delay_alu instid0(VALU_DEP_2)
	v_lshlrev_b32_e32 v1, 2, v1
	s_waitcnt lgkmcnt(0)
	ds_bpermute_b32 v4, v4, v3
	v_add_lshl_u32 v1, v1, v2, 2
	s_waitcnt lgkmcnt(0)
	v_add_nc_u32_e32 v3, v4, v3
	ds_bpermute_b32 v4, v5, v3
	s_waitcnt lgkmcnt(0)
	v_add_nc_u32_e32 v3, v4, v3
	ds_bpermute_b32 v1, v1, v3
	s_waitcnt lgkmcnt(0)
	v_add_nc_u32_e32 v1, v1, v3
.LBB778_221:
	s_or_b32 exec_lo, exec_lo, s4
.LBB778_222:
	v_cmp_eq_u32_e64 s2, 0, v0
	s_delay_alu instid0(VALU_DEP_1)
	s_and_saveexec_b32 s3, s2
	s_cbranch_execnz .LBB778_225
	s_branch .LBB778_226
.LBB778_223:
                                        ; implicit-def: $vgpr1
                                        ; implicit-def: $sgpr20_sgpr21
.LBB778_224:
	s_delay_alu instid0(VALU_DEP_1)
	s_and_saveexec_b32 s3, s2
	s_cbranch_execz .LBB778_226
.LBB778_225:
	s_clause 0x1
	s_load_b64 s[2:3], s[0:1], 0x18
	s_load_b32 s4, s[0:1], 0x20
	s_lshl_b64 s[0:1], s[20:21], 2
	s_waitcnt lgkmcnt(0)
	s_add_u32 s0, s2, s0
	s_addc_u32 s1, s3, s1
	s_cmp_lg_u64 s[18:19], 0
	s_cselect_b32 vcc_lo, -1, 0
	v_dual_cndmask_b32 v0, 0, v1 :: v_dual_mov_b32 v1, 0
	s_delay_alu instid0(VALU_DEP_1)
	v_add_nc_u32_e32 v0, s4, v0
	global_store_b32 v1, v0, s[0:1]
.LBB778_226:
	s_nop 0
	s_sendmsg sendmsg(MSG_DEALLOC_VGPRS)
	s_endpgm
.LBB778_227:
                                        ; implicit-def: $vgpr1
	s_cbranch_execz .LBB778_222
; %bb.228:
	s_sub_i32 s4, s18, s2
	s_mov_b32 s5, exec_lo
                                        ; implicit-def: $vgpr1
	v_cmpx_gt_u32_e64 s4, v0
	s_cbranch_execz .LBB778_230
; %bb.229:
	s_lshl_b64 s[2:3], s[2:3], 2
	v_lshlrev_b32_e32 v1, 2, v0
	s_add_u32 s2, s16, s2
	s_addc_u32 s3, s17, s3
	global_load_b32 v1, v1, s[2:3]
.LBB778_230:
	s_or_b32 exec_lo, exec_lo, s5
	v_cmp_ne_u32_e32 vcc_lo, 31, v2
	s_min_u32 s2, s4, 0x100
	v_add_nc_u32_e32 v5, 1, v2
	s_mov_b32 s3, exec_lo
	v_add_co_ci_u32_e32 v3, vcc_lo, 0, v2, vcc_lo
	v_cmp_gt_u32_e32 vcc_lo, 30, v2
	s_delay_alu instid0(VALU_DEP_2)
	v_lshlrev_b32_e32 v3, 2, v3
	v_cndmask_b32_e64 v6, 0, 1, vcc_lo
	s_waitcnt vmcnt(0)
	ds_bpermute_b32 v3, v3, v1
	v_and_b32_e32 v4, 0xe0, v0
	v_lshlrev_b32_e32 v6, 1, v6
	s_delay_alu instid0(VALU_DEP_2) | instskip(NEXT) | instid1(VALU_DEP_1)
	v_sub_nc_u32_e64 v4, s2, v4 clamp
	v_cmp_lt_u32_e32 vcc_lo, v5, v4
	s_delay_alu instid0(VALU_DEP_3) | instskip(SKIP_3) | instid1(VALU_DEP_2)
	v_add_lshl_u32 v5, v6, v2, 2
	s_waitcnt lgkmcnt(0)
	v_dual_cndmask_b32 v3, 0, v3 :: v_dual_add_nc_u32 v6, 2, v2
	v_cmp_gt_u32_e32 vcc_lo, 28, v2
	v_add_nc_u32_e32 v1, v3, v1
	ds_bpermute_b32 v3, v5, v1
	v_cndmask_b32_e64 v5, 0, 1, vcc_lo
	v_cmp_lt_u32_e32 vcc_lo, v6, v4
	v_add_nc_u32_e32 v6, 4, v2
	s_delay_alu instid0(VALU_DEP_3) | instskip(NEXT) | instid1(VALU_DEP_1)
	v_lshlrev_b32_e32 v5, 2, v5
	v_add_lshl_u32 v5, v5, v2, 2
	s_waitcnt lgkmcnt(0)
	v_cndmask_b32_e32 v3, 0, v3, vcc_lo
	v_cmp_gt_u32_e32 vcc_lo, 24, v2
	s_delay_alu instid0(VALU_DEP_2) | instskip(SKIP_4) | instid1(VALU_DEP_3)
	v_add_nc_u32_e32 v1, v1, v3
	ds_bpermute_b32 v3, v5, v1
	v_cndmask_b32_e64 v5, 0, 1, vcc_lo
	v_cmp_lt_u32_e32 vcc_lo, v6, v4
	v_add_nc_u32_e32 v6, 8, v2
	v_lshlrev_b32_e32 v5, 3, v5
	s_delay_alu instid0(VALU_DEP_1) | instskip(SKIP_3) | instid1(VALU_DEP_2)
	v_add_lshl_u32 v5, v5, v2, 2
	s_waitcnt lgkmcnt(0)
	v_cndmask_b32_e32 v3, 0, v3, vcc_lo
	v_cmp_gt_u32_e32 vcc_lo, 16, v2
	v_add_nc_u32_e32 v1, v1, v3
	ds_bpermute_b32 v3, v5, v1
	v_cndmask_b32_e64 v5, 0, 1, vcc_lo
	v_cmp_lt_u32_e32 vcc_lo, v6, v4
	s_delay_alu instid0(VALU_DEP_2) | instskip(NEXT) | instid1(VALU_DEP_1)
	v_lshlrev_b32_e32 v5, 4, v5
	v_add_lshl_u32 v5, v5, v2, 2
	s_waitcnt lgkmcnt(0)
	v_cndmask_b32_e32 v3, 0, v3, vcc_lo
	s_delay_alu instid0(VALU_DEP_1) | instskip(SKIP_2) | instid1(VALU_DEP_1)
	v_add_nc_u32_e32 v1, v1, v3
	ds_bpermute_b32 v3, v5, v1
	v_add_nc_u32_e32 v5, 16, v2
	v_cmp_lt_u32_e32 vcc_lo, v5, v4
	s_waitcnt lgkmcnt(0)
	v_cndmask_b32_e32 v3, 0, v3, vcc_lo
	s_delay_alu instid0(VALU_DEP_1)
	v_add_nc_u32_e32 v1, v1, v3
	v_cmpx_eq_u32_e32 0, v2
	s_cbranch_execz .LBB778_232
; %bb.231:
	v_lshrrev_b32_e32 v3, 3, v0
	s_delay_alu instid0(VALU_DEP_1)
	v_and_b32_e32 v3, 28, v3
	ds_store_b32 v3, v1 offset:192
.LBB778_232:
	s_or_b32 exec_lo, exec_lo, s3
	s_delay_alu instid0(SALU_CYCLE_1)
	s_mov_b32 s3, exec_lo
	s_waitcnt lgkmcnt(0)
	s_barrier
	buffer_gl0_inv
	v_cmpx_gt_u32_e32 8, v0
	s_cbranch_execz .LBB778_234
; %bb.233:
	v_and_b32_e32 v3, 7, v2
	s_add_i32 s2, s2, 31
	s_delay_alu instid0(SALU_CYCLE_1) | instskip(NEXT) | instid1(VALU_DEP_1)
	s_lshr_b32 s2, s2, 5
	v_cmp_ne_u32_e32 vcc_lo, 7, v3
	v_add_nc_u32_e32 v6, 1, v3
	v_add_co_ci_u32_e32 v4, vcc_lo, 0, v2, vcc_lo
	v_cmp_gt_u32_e32 vcc_lo, 6, v3
	s_delay_alu instid0(VALU_DEP_2) | instskip(SKIP_3) | instid1(VALU_DEP_3)
	v_lshlrev_b32_e32 v4, 2, v4
	v_cndmask_b32_e64 v5, 0, 1, vcc_lo
	v_cmp_gt_u32_e32 vcc_lo, s2, v6
	v_lshlrev_b32_e32 v1, 2, v2
	v_lshlrev_b32_e32 v5, 1, v5
	ds_load_b32 v1, v1 offset:192
	v_add_lshl_u32 v5, v5, v2, 2
	s_waitcnt lgkmcnt(0)
	ds_bpermute_b32 v4, v4, v1
	s_waitcnt lgkmcnt(0)
	v_cndmask_b32_e32 v4, 0, v4, vcc_lo
	v_cmp_gt_u32_e32 vcc_lo, 4, v3
	s_delay_alu instid0(VALU_DEP_2) | instskip(SKIP_3) | instid1(VALU_DEP_1)
	v_add_nc_u32_e32 v1, v4, v1
	v_cndmask_b32_e64 v6, 0, 1, vcc_lo
	ds_bpermute_b32 v4, v5, v1
	v_add_nc_u32_e32 v5, 2, v3
	v_cmp_gt_u32_e32 vcc_lo, s2, v5
	v_lshlrev_b32_e32 v5, 2, v6
	s_delay_alu instid0(VALU_DEP_1) | instskip(SKIP_2) | instid1(VALU_DEP_1)
	v_add_lshl_u32 v2, v5, v2, 2
	s_waitcnt lgkmcnt(0)
	v_dual_cndmask_b32 v4, 0, v4 :: v_dual_add_nc_u32 v3, 4, v3
	v_add_nc_u32_e32 v1, v1, v4
	s_delay_alu instid0(VALU_DEP_2) | instskip(SKIP_3) | instid1(VALU_DEP_1)
	v_cmp_gt_u32_e32 vcc_lo, s2, v3
	ds_bpermute_b32 v2, v2, v1
	s_waitcnt lgkmcnt(0)
	v_cndmask_b32_e32 v2, 0, v2, vcc_lo
	v_add_nc_u32_e32 v1, v1, v2
.LBB778_234:
	s_or_b32 exec_lo, exec_lo, s3
	v_cmp_eq_u32_e64 s2, 0, v0
	s_delay_alu instid0(VALU_DEP_1)
	s_and_saveexec_b32 s3, s2
	s_cbranch_execnz .LBB778_225
	s_branch .LBB778_226
	.section	.rodata,"a",@progbits
	.p2align	6, 0x0
	.amdhsa_kernel _ZN7rocprim17ROCPRIM_400000_NS6detail17trampoline_kernelINS0_14default_configENS1_22reduce_config_selectorIiEEZNS1_11reduce_implILb1ES3_PiS7_iN6hipcub16HIPCUB_304000_NS6detail34convert_binary_result_type_wrapperINS9_3SumENS9_22TransformInputIteratorIbN2at6native12_GLOBAL__N_19NonZeroOpIN3c108BFloat16EEEPKSJ_lEEiEEEE10hipError_tPvRmT1_T2_T3_mT4_P12ihipStream_tbEUlT_E1_NS1_11comp_targetILNS1_3genE9ELNS1_11target_archE1100ELNS1_3gpuE3ELNS1_3repE0EEENS1_30default_config_static_selectorELNS0_4arch9wavefront6targetE0EEEvSS_
		.amdhsa_group_segment_fixed_size 224
		.amdhsa_private_segment_fixed_size 0
		.amdhsa_kernarg_size 40
		.amdhsa_user_sgpr_count 15
		.amdhsa_user_sgpr_dispatch_ptr 0
		.amdhsa_user_sgpr_queue_ptr 0
		.amdhsa_user_sgpr_kernarg_segment_ptr 1
		.amdhsa_user_sgpr_dispatch_id 0
		.amdhsa_user_sgpr_private_segment_size 0
		.amdhsa_wavefront_size32 1
		.amdhsa_uses_dynamic_stack 0
		.amdhsa_enable_private_segment 0
		.amdhsa_system_sgpr_workgroup_id_x 1
		.amdhsa_system_sgpr_workgroup_id_y 0
		.amdhsa_system_sgpr_workgroup_id_z 0
		.amdhsa_system_sgpr_workgroup_info 0
		.amdhsa_system_vgpr_workitem_id 0
		.amdhsa_next_free_vgpr 34
		.amdhsa_next_free_sgpr 27
		.amdhsa_reserve_vcc 1
		.amdhsa_float_round_mode_32 0
		.amdhsa_float_round_mode_16_64 0
		.amdhsa_float_denorm_mode_32 3
		.amdhsa_float_denorm_mode_16_64 3
		.amdhsa_dx10_clamp 1
		.amdhsa_ieee_mode 1
		.amdhsa_fp16_overflow 0
		.amdhsa_workgroup_processor_mode 1
		.amdhsa_memory_ordered 1
		.amdhsa_forward_progress 0
		.amdhsa_shared_vgpr_count 0
		.amdhsa_exception_fp_ieee_invalid_op 0
		.amdhsa_exception_fp_denorm_src 0
		.amdhsa_exception_fp_ieee_div_zero 0
		.amdhsa_exception_fp_ieee_overflow 0
		.amdhsa_exception_fp_ieee_underflow 0
		.amdhsa_exception_fp_ieee_inexact 0
		.amdhsa_exception_int_div_zero 0
	.end_amdhsa_kernel
	.section	.text._ZN7rocprim17ROCPRIM_400000_NS6detail17trampoline_kernelINS0_14default_configENS1_22reduce_config_selectorIiEEZNS1_11reduce_implILb1ES3_PiS7_iN6hipcub16HIPCUB_304000_NS6detail34convert_binary_result_type_wrapperINS9_3SumENS9_22TransformInputIteratorIbN2at6native12_GLOBAL__N_19NonZeroOpIN3c108BFloat16EEEPKSJ_lEEiEEEE10hipError_tPvRmT1_T2_T3_mT4_P12ihipStream_tbEUlT_E1_NS1_11comp_targetILNS1_3genE9ELNS1_11target_archE1100ELNS1_3gpuE3ELNS1_3repE0EEENS1_30default_config_static_selectorELNS0_4arch9wavefront6targetE0EEEvSS_,"axG",@progbits,_ZN7rocprim17ROCPRIM_400000_NS6detail17trampoline_kernelINS0_14default_configENS1_22reduce_config_selectorIiEEZNS1_11reduce_implILb1ES3_PiS7_iN6hipcub16HIPCUB_304000_NS6detail34convert_binary_result_type_wrapperINS9_3SumENS9_22TransformInputIteratorIbN2at6native12_GLOBAL__N_19NonZeroOpIN3c108BFloat16EEEPKSJ_lEEiEEEE10hipError_tPvRmT1_T2_T3_mT4_P12ihipStream_tbEUlT_E1_NS1_11comp_targetILNS1_3genE9ELNS1_11target_archE1100ELNS1_3gpuE3ELNS1_3repE0EEENS1_30default_config_static_selectorELNS0_4arch9wavefront6targetE0EEEvSS_,comdat
.Lfunc_end778:
	.size	_ZN7rocprim17ROCPRIM_400000_NS6detail17trampoline_kernelINS0_14default_configENS1_22reduce_config_selectorIiEEZNS1_11reduce_implILb1ES3_PiS7_iN6hipcub16HIPCUB_304000_NS6detail34convert_binary_result_type_wrapperINS9_3SumENS9_22TransformInputIteratorIbN2at6native12_GLOBAL__N_19NonZeroOpIN3c108BFloat16EEEPKSJ_lEEiEEEE10hipError_tPvRmT1_T2_T3_mT4_P12ihipStream_tbEUlT_E1_NS1_11comp_targetILNS1_3genE9ELNS1_11target_archE1100ELNS1_3gpuE3ELNS1_3repE0EEENS1_30default_config_static_selectorELNS0_4arch9wavefront6targetE0EEEvSS_, .Lfunc_end778-_ZN7rocprim17ROCPRIM_400000_NS6detail17trampoline_kernelINS0_14default_configENS1_22reduce_config_selectorIiEEZNS1_11reduce_implILb1ES3_PiS7_iN6hipcub16HIPCUB_304000_NS6detail34convert_binary_result_type_wrapperINS9_3SumENS9_22TransformInputIteratorIbN2at6native12_GLOBAL__N_19NonZeroOpIN3c108BFloat16EEEPKSJ_lEEiEEEE10hipError_tPvRmT1_T2_T3_mT4_P12ihipStream_tbEUlT_E1_NS1_11comp_targetILNS1_3genE9ELNS1_11target_archE1100ELNS1_3gpuE3ELNS1_3repE0EEENS1_30default_config_static_selectorELNS0_4arch9wavefront6targetE0EEEvSS_
                                        ; -- End function
	.section	.AMDGPU.csdata,"",@progbits
; Kernel info:
; codeLenInByte = 10768
; NumSgprs: 29
; NumVgprs: 34
; ScratchSize: 0
; MemoryBound: 0
; FloatMode: 240
; IeeeMode: 1
; LDSByteSize: 224 bytes/workgroup (compile time only)
; SGPRBlocks: 3
; VGPRBlocks: 4
; NumSGPRsForWavesPerEU: 29
; NumVGPRsForWavesPerEU: 34
; Occupancy: 16
; WaveLimiterHint : 1
; COMPUTE_PGM_RSRC2:SCRATCH_EN: 0
; COMPUTE_PGM_RSRC2:USER_SGPR: 15
; COMPUTE_PGM_RSRC2:TRAP_HANDLER: 0
; COMPUTE_PGM_RSRC2:TGID_X_EN: 1
; COMPUTE_PGM_RSRC2:TGID_Y_EN: 0
; COMPUTE_PGM_RSRC2:TGID_Z_EN: 0
; COMPUTE_PGM_RSRC2:TIDIG_COMP_CNT: 0
	.section	.text._ZN7rocprim17ROCPRIM_400000_NS6detail17trampoline_kernelINS0_14default_configENS1_22reduce_config_selectorIiEEZNS1_11reduce_implILb1ES3_PiS7_iN6hipcub16HIPCUB_304000_NS6detail34convert_binary_result_type_wrapperINS9_3SumENS9_22TransformInputIteratorIbN2at6native12_GLOBAL__N_19NonZeroOpIN3c108BFloat16EEEPKSJ_lEEiEEEE10hipError_tPvRmT1_T2_T3_mT4_P12ihipStream_tbEUlT_E1_NS1_11comp_targetILNS1_3genE8ELNS1_11target_archE1030ELNS1_3gpuE2ELNS1_3repE0EEENS1_30default_config_static_selectorELNS0_4arch9wavefront6targetE0EEEvSS_,"axG",@progbits,_ZN7rocprim17ROCPRIM_400000_NS6detail17trampoline_kernelINS0_14default_configENS1_22reduce_config_selectorIiEEZNS1_11reduce_implILb1ES3_PiS7_iN6hipcub16HIPCUB_304000_NS6detail34convert_binary_result_type_wrapperINS9_3SumENS9_22TransformInputIteratorIbN2at6native12_GLOBAL__N_19NonZeroOpIN3c108BFloat16EEEPKSJ_lEEiEEEE10hipError_tPvRmT1_T2_T3_mT4_P12ihipStream_tbEUlT_E1_NS1_11comp_targetILNS1_3genE8ELNS1_11target_archE1030ELNS1_3gpuE2ELNS1_3repE0EEENS1_30default_config_static_selectorELNS0_4arch9wavefront6targetE0EEEvSS_,comdat
	.globl	_ZN7rocprim17ROCPRIM_400000_NS6detail17trampoline_kernelINS0_14default_configENS1_22reduce_config_selectorIiEEZNS1_11reduce_implILb1ES3_PiS7_iN6hipcub16HIPCUB_304000_NS6detail34convert_binary_result_type_wrapperINS9_3SumENS9_22TransformInputIteratorIbN2at6native12_GLOBAL__N_19NonZeroOpIN3c108BFloat16EEEPKSJ_lEEiEEEE10hipError_tPvRmT1_T2_T3_mT4_P12ihipStream_tbEUlT_E1_NS1_11comp_targetILNS1_3genE8ELNS1_11target_archE1030ELNS1_3gpuE2ELNS1_3repE0EEENS1_30default_config_static_selectorELNS0_4arch9wavefront6targetE0EEEvSS_ ; -- Begin function _ZN7rocprim17ROCPRIM_400000_NS6detail17trampoline_kernelINS0_14default_configENS1_22reduce_config_selectorIiEEZNS1_11reduce_implILb1ES3_PiS7_iN6hipcub16HIPCUB_304000_NS6detail34convert_binary_result_type_wrapperINS9_3SumENS9_22TransformInputIteratorIbN2at6native12_GLOBAL__N_19NonZeroOpIN3c108BFloat16EEEPKSJ_lEEiEEEE10hipError_tPvRmT1_T2_T3_mT4_P12ihipStream_tbEUlT_E1_NS1_11comp_targetILNS1_3genE8ELNS1_11target_archE1030ELNS1_3gpuE2ELNS1_3repE0EEENS1_30default_config_static_selectorELNS0_4arch9wavefront6targetE0EEEvSS_
	.p2align	8
	.type	_ZN7rocprim17ROCPRIM_400000_NS6detail17trampoline_kernelINS0_14default_configENS1_22reduce_config_selectorIiEEZNS1_11reduce_implILb1ES3_PiS7_iN6hipcub16HIPCUB_304000_NS6detail34convert_binary_result_type_wrapperINS9_3SumENS9_22TransformInputIteratorIbN2at6native12_GLOBAL__N_19NonZeroOpIN3c108BFloat16EEEPKSJ_lEEiEEEE10hipError_tPvRmT1_T2_T3_mT4_P12ihipStream_tbEUlT_E1_NS1_11comp_targetILNS1_3genE8ELNS1_11target_archE1030ELNS1_3gpuE2ELNS1_3repE0EEENS1_30default_config_static_selectorELNS0_4arch9wavefront6targetE0EEEvSS_,@function
_ZN7rocprim17ROCPRIM_400000_NS6detail17trampoline_kernelINS0_14default_configENS1_22reduce_config_selectorIiEEZNS1_11reduce_implILb1ES3_PiS7_iN6hipcub16HIPCUB_304000_NS6detail34convert_binary_result_type_wrapperINS9_3SumENS9_22TransformInputIteratorIbN2at6native12_GLOBAL__N_19NonZeroOpIN3c108BFloat16EEEPKSJ_lEEiEEEE10hipError_tPvRmT1_T2_T3_mT4_P12ihipStream_tbEUlT_E1_NS1_11comp_targetILNS1_3genE8ELNS1_11target_archE1030ELNS1_3gpuE2ELNS1_3repE0EEENS1_30default_config_static_selectorELNS0_4arch9wavefront6targetE0EEEvSS_: ; @_ZN7rocprim17ROCPRIM_400000_NS6detail17trampoline_kernelINS0_14default_configENS1_22reduce_config_selectorIiEEZNS1_11reduce_implILb1ES3_PiS7_iN6hipcub16HIPCUB_304000_NS6detail34convert_binary_result_type_wrapperINS9_3SumENS9_22TransformInputIteratorIbN2at6native12_GLOBAL__N_19NonZeroOpIN3c108BFloat16EEEPKSJ_lEEiEEEE10hipError_tPvRmT1_T2_T3_mT4_P12ihipStream_tbEUlT_E1_NS1_11comp_targetILNS1_3genE8ELNS1_11target_archE1030ELNS1_3gpuE2ELNS1_3repE0EEENS1_30default_config_static_selectorELNS0_4arch9wavefront6targetE0EEEvSS_
; %bb.0:
	.section	.rodata,"a",@progbits
	.p2align	6, 0x0
	.amdhsa_kernel _ZN7rocprim17ROCPRIM_400000_NS6detail17trampoline_kernelINS0_14default_configENS1_22reduce_config_selectorIiEEZNS1_11reduce_implILb1ES3_PiS7_iN6hipcub16HIPCUB_304000_NS6detail34convert_binary_result_type_wrapperINS9_3SumENS9_22TransformInputIteratorIbN2at6native12_GLOBAL__N_19NonZeroOpIN3c108BFloat16EEEPKSJ_lEEiEEEE10hipError_tPvRmT1_T2_T3_mT4_P12ihipStream_tbEUlT_E1_NS1_11comp_targetILNS1_3genE8ELNS1_11target_archE1030ELNS1_3gpuE2ELNS1_3repE0EEENS1_30default_config_static_selectorELNS0_4arch9wavefront6targetE0EEEvSS_
		.amdhsa_group_segment_fixed_size 0
		.amdhsa_private_segment_fixed_size 0
		.amdhsa_kernarg_size 40
		.amdhsa_user_sgpr_count 15
		.amdhsa_user_sgpr_dispatch_ptr 0
		.amdhsa_user_sgpr_queue_ptr 0
		.amdhsa_user_sgpr_kernarg_segment_ptr 1
		.amdhsa_user_sgpr_dispatch_id 0
		.amdhsa_user_sgpr_private_segment_size 0
		.amdhsa_wavefront_size32 1
		.amdhsa_uses_dynamic_stack 0
		.amdhsa_enable_private_segment 0
		.amdhsa_system_sgpr_workgroup_id_x 1
		.amdhsa_system_sgpr_workgroup_id_y 0
		.amdhsa_system_sgpr_workgroup_id_z 0
		.amdhsa_system_sgpr_workgroup_info 0
		.amdhsa_system_vgpr_workitem_id 0
		.amdhsa_next_free_vgpr 1
		.amdhsa_next_free_sgpr 1
		.amdhsa_reserve_vcc 0
		.amdhsa_float_round_mode_32 0
		.amdhsa_float_round_mode_16_64 0
		.amdhsa_float_denorm_mode_32 3
		.amdhsa_float_denorm_mode_16_64 3
		.amdhsa_dx10_clamp 1
		.amdhsa_ieee_mode 1
		.amdhsa_fp16_overflow 0
		.amdhsa_workgroup_processor_mode 1
		.amdhsa_memory_ordered 1
		.amdhsa_forward_progress 0
		.amdhsa_shared_vgpr_count 0
		.amdhsa_exception_fp_ieee_invalid_op 0
		.amdhsa_exception_fp_denorm_src 0
		.amdhsa_exception_fp_ieee_div_zero 0
		.amdhsa_exception_fp_ieee_overflow 0
		.amdhsa_exception_fp_ieee_underflow 0
		.amdhsa_exception_fp_ieee_inexact 0
		.amdhsa_exception_int_div_zero 0
	.end_amdhsa_kernel
	.section	.text._ZN7rocprim17ROCPRIM_400000_NS6detail17trampoline_kernelINS0_14default_configENS1_22reduce_config_selectorIiEEZNS1_11reduce_implILb1ES3_PiS7_iN6hipcub16HIPCUB_304000_NS6detail34convert_binary_result_type_wrapperINS9_3SumENS9_22TransformInputIteratorIbN2at6native12_GLOBAL__N_19NonZeroOpIN3c108BFloat16EEEPKSJ_lEEiEEEE10hipError_tPvRmT1_T2_T3_mT4_P12ihipStream_tbEUlT_E1_NS1_11comp_targetILNS1_3genE8ELNS1_11target_archE1030ELNS1_3gpuE2ELNS1_3repE0EEENS1_30default_config_static_selectorELNS0_4arch9wavefront6targetE0EEEvSS_,"axG",@progbits,_ZN7rocprim17ROCPRIM_400000_NS6detail17trampoline_kernelINS0_14default_configENS1_22reduce_config_selectorIiEEZNS1_11reduce_implILb1ES3_PiS7_iN6hipcub16HIPCUB_304000_NS6detail34convert_binary_result_type_wrapperINS9_3SumENS9_22TransformInputIteratorIbN2at6native12_GLOBAL__N_19NonZeroOpIN3c108BFloat16EEEPKSJ_lEEiEEEE10hipError_tPvRmT1_T2_T3_mT4_P12ihipStream_tbEUlT_E1_NS1_11comp_targetILNS1_3genE8ELNS1_11target_archE1030ELNS1_3gpuE2ELNS1_3repE0EEENS1_30default_config_static_selectorELNS0_4arch9wavefront6targetE0EEEvSS_,comdat
.Lfunc_end779:
	.size	_ZN7rocprim17ROCPRIM_400000_NS6detail17trampoline_kernelINS0_14default_configENS1_22reduce_config_selectorIiEEZNS1_11reduce_implILb1ES3_PiS7_iN6hipcub16HIPCUB_304000_NS6detail34convert_binary_result_type_wrapperINS9_3SumENS9_22TransformInputIteratorIbN2at6native12_GLOBAL__N_19NonZeroOpIN3c108BFloat16EEEPKSJ_lEEiEEEE10hipError_tPvRmT1_T2_T3_mT4_P12ihipStream_tbEUlT_E1_NS1_11comp_targetILNS1_3genE8ELNS1_11target_archE1030ELNS1_3gpuE2ELNS1_3repE0EEENS1_30default_config_static_selectorELNS0_4arch9wavefront6targetE0EEEvSS_, .Lfunc_end779-_ZN7rocprim17ROCPRIM_400000_NS6detail17trampoline_kernelINS0_14default_configENS1_22reduce_config_selectorIiEEZNS1_11reduce_implILb1ES3_PiS7_iN6hipcub16HIPCUB_304000_NS6detail34convert_binary_result_type_wrapperINS9_3SumENS9_22TransformInputIteratorIbN2at6native12_GLOBAL__N_19NonZeroOpIN3c108BFloat16EEEPKSJ_lEEiEEEE10hipError_tPvRmT1_T2_T3_mT4_P12ihipStream_tbEUlT_E1_NS1_11comp_targetILNS1_3genE8ELNS1_11target_archE1030ELNS1_3gpuE2ELNS1_3repE0EEENS1_30default_config_static_selectorELNS0_4arch9wavefront6targetE0EEEvSS_
                                        ; -- End function
	.section	.AMDGPU.csdata,"",@progbits
; Kernel info:
; codeLenInByte = 0
; NumSgprs: 0
; NumVgprs: 0
; ScratchSize: 0
; MemoryBound: 0
; FloatMode: 240
; IeeeMode: 1
; LDSByteSize: 0 bytes/workgroup (compile time only)
; SGPRBlocks: 0
; VGPRBlocks: 0
; NumSGPRsForWavesPerEU: 1
; NumVGPRsForWavesPerEU: 1
; Occupancy: 16
; WaveLimiterHint : 0
; COMPUTE_PGM_RSRC2:SCRATCH_EN: 0
; COMPUTE_PGM_RSRC2:USER_SGPR: 15
; COMPUTE_PGM_RSRC2:TRAP_HANDLER: 0
; COMPUTE_PGM_RSRC2:TGID_X_EN: 1
; COMPUTE_PGM_RSRC2:TGID_Y_EN: 0
; COMPUTE_PGM_RSRC2:TGID_Z_EN: 0
; COMPUTE_PGM_RSRC2:TIDIG_COMP_CNT: 0
	.section	.text._ZN7rocprim17ROCPRIM_400000_NS6detail17trampoline_kernelINS0_14default_configENS1_22reduce_config_selectorIbEEZNS1_11reduce_implILb1ES3_N6hipcub16HIPCUB_304000_NS22TransformInputIteratorIbN2at6native12_GLOBAL__N_19NonZeroOpIN3c108BFloat16EEEPKSF_lEEPiiNS8_6detail34convert_binary_result_type_wrapperINS8_3SumESJ_iEEEE10hipError_tPvRmT1_T2_T3_mT4_P12ihipStream_tbEUlT_E0_NS1_11comp_targetILNS1_3genE0ELNS1_11target_archE4294967295ELNS1_3gpuE0ELNS1_3repE0EEENS1_30default_config_static_selectorELNS0_4arch9wavefront6targetE0EEEvSS_,"axG",@progbits,_ZN7rocprim17ROCPRIM_400000_NS6detail17trampoline_kernelINS0_14default_configENS1_22reduce_config_selectorIbEEZNS1_11reduce_implILb1ES3_N6hipcub16HIPCUB_304000_NS22TransformInputIteratorIbN2at6native12_GLOBAL__N_19NonZeroOpIN3c108BFloat16EEEPKSF_lEEPiiNS8_6detail34convert_binary_result_type_wrapperINS8_3SumESJ_iEEEE10hipError_tPvRmT1_T2_T3_mT4_P12ihipStream_tbEUlT_E0_NS1_11comp_targetILNS1_3genE0ELNS1_11target_archE4294967295ELNS1_3gpuE0ELNS1_3repE0EEENS1_30default_config_static_selectorELNS0_4arch9wavefront6targetE0EEEvSS_,comdat
	.globl	_ZN7rocprim17ROCPRIM_400000_NS6detail17trampoline_kernelINS0_14default_configENS1_22reduce_config_selectorIbEEZNS1_11reduce_implILb1ES3_N6hipcub16HIPCUB_304000_NS22TransformInputIteratorIbN2at6native12_GLOBAL__N_19NonZeroOpIN3c108BFloat16EEEPKSF_lEEPiiNS8_6detail34convert_binary_result_type_wrapperINS8_3SumESJ_iEEEE10hipError_tPvRmT1_T2_T3_mT4_P12ihipStream_tbEUlT_E0_NS1_11comp_targetILNS1_3genE0ELNS1_11target_archE4294967295ELNS1_3gpuE0ELNS1_3repE0EEENS1_30default_config_static_selectorELNS0_4arch9wavefront6targetE0EEEvSS_ ; -- Begin function _ZN7rocprim17ROCPRIM_400000_NS6detail17trampoline_kernelINS0_14default_configENS1_22reduce_config_selectorIbEEZNS1_11reduce_implILb1ES3_N6hipcub16HIPCUB_304000_NS22TransformInputIteratorIbN2at6native12_GLOBAL__N_19NonZeroOpIN3c108BFloat16EEEPKSF_lEEPiiNS8_6detail34convert_binary_result_type_wrapperINS8_3SumESJ_iEEEE10hipError_tPvRmT1_T2_T3_mT4_P12ihipStream_tbEUlT_E0_NS1_11comp_targetILNS1_3genE0ELNS1_11target_archE4294967295ELNS1_3gpuE0ELNS1_3repE0EEENS1_30default_config_static_selectorELNS0_4arch9wavefront6targetE0EEEvSS_
	.p2align	8
	.type	_ZN7rocprim17ROCPRIM_400000_NS6detail17trampoline_kernelINS0_14default_configENS1_22reduce_config_selectorIbEEZNS1_11reduce_implILb1ES3_N6hipcub16HIPCUB_304000_NS22TransformInputIteratorIbN2at6native12_GLOBAL__N_19NonZeroOpIN3c108BFloat16EEEPKSF_lEEPiiNS8_6detail34convert_binary_result_type_wrapperINS8_3SumESJ_iEEEE10hipError_tPvRmT1_T2_T3_mT4_P12ihipStream_tbEUlT_E0_NS1_11comp_targetILNS1_3genE0ELNS1_11target_archE4294967295ELNS1_3gpuE0ELNS1_3repE0EEENS1_30default_config_static_selectorELNS0_4arch9wavefront6targetE0EEEvSS_,@function
_ZN7rocprim17ROCPRIM_400000_NS6detail17trampoline_kernelINS0_14default_configENS1_22reduce_config_selectorIbEEZNS1_11reduce_implILb1ES3_N6hipcub16HIPCUB_304000_NS22TransformInputIteratorIbN2at6native12_GLOBAL__N_19NonZeroOpIN3c108BFloat16EEEPKSF_lEEPiiNS8_6detail34convert_binary_result_type_wrapperINS8_3SumESJ_iEEEE10hipError_tPvRmT1_T2_T3_mT4_P12ihipStream_tbEUlT_E0_NS1_11comp_targetILNS1_3genE0ELNS1_11target_archE4294967295ELNS1_3gpuE0ELNS1_3repE0EEENS1_30default_config_static_selectorELNS0_4arch9wavefront6targetE0EEEvSS_: ; @_ZN7rocprim17ROCPRIM_400000_NS6detail17trampoline_kernelINS0_14default_configENS1_22reduce_config_selectorIbEEZNS1_11reduce_implILb1ES3_N6hipcub16HIPCUB_304000_NS22TransformInputIteratorIbN2at6native12_GLOBAL__N_19NonZeroOpIN3c108BFloat16EEEPKSF_lEEPiiNS8_6detail34convert_binary_result_type_wrapperINS8_3SumESJ_iEEEE10hipError_tPvRmT1_T2_T3_mT4_P12ihipStream_tbEUlT_E0_NS1_11comp_targetILNS1_3genE0ELNS1_11target_archE4294967295ELNS1_3gpuE0ELNS1_3repE0EEENS1_30default_config_static_selectorELNS0_4arch9wavefront6targetE0EEEvSS_
; %bb.0:
	.section	.rodata,"a",@progbits
	.p2align	6, 0x0
	.amdhsa_kernel _ZN7rocprim17ROCPRIM_400000_NS6detail17trampoline_kernelINS0_14default_configENS1_22reduce_config_selectorIbEEZNS1_11reduce_implILb1ES3_N6hipcub16HIPCUB_304000_NS22TransformInputIteratorIbN2at6native12_GLOBAL__N_19NonZeroOpIN3c108BFloat16EEEPKSF_lEEPiiNS8_6detail34convert_binary_result_type_wrapperINS8_3SumESJ_iEEEE10hipError_tPvRmT1_T2_T3_mT4_P12ihipStream_tbEUlT_E0_NS1_11comp_targetILNS1_3genE0ELNS1_11target_archE4294967295ELNS1_3gpuE0ELNS1_3repE0EEENS1_30default_config_static_selectorELNS0_4arch9wavefront6targetE0EEEvSS_
		.amdhsa_group_segment_fixed_size 0
		.amdhsa_private_segment_fixed_size 0
		.amdhsa_kernarg_size 64
		.amdhsa_user_sgpr_count 15
		.amdhsa_user_sgpr_dispatch_ptr 0
		.amdhsa_user_sgpr_queue_ptr 0
		.amdhsa_user_sgpr_kernarg_segment_ptr 1
		.amdhsa_user_sgpr_dispatch_id 0
		.amdhsa_user_sgpr_private_segment_size 0
		.amdhsa_wavefront_size32 1
		.amdhsa_uses_dynamic_stack 0
		.amdhsa_enable_private_segment 0
		.amdhsa_system_sgpr_workgroup_id_x 1
		.amdhsa_system_sgpr_workgroup_id_y 0
		.amdhsa_system_sgpr_workgroup_id_z 0
		.amdhsa_system_sgpr_workgroup_info 0
		.amdhsa_system_vgpr_workitem_id 0
		.amdhsa_next_free_vgpr 1
		.amdhsa_next_free_sgpr 1
		.amdhsa_reserve_vcc 0
		.amdhsa_float_round_mode_32 0
		.amdhsa_float_round_mode_16_64 0
		.amdhsa_float_denorm_mode_32 3
		.amdhsa_float_denorm_mode_16_64 3
		.amdhsa_dx10_clamp 1
		.amdhsa_ieee_mode 1
		.amdhsa_fp16_overflow 0
		.amdhsa_workgroup_processor_mode 1
		.amdhsa_memory_ordered 1
		.amdhsa_forward_progress 0
		.amdhsa_shared_vgpr_count 0
		.amdhsa_exception_fp_ieee_invalid_op 0
		.amdhsa_exception_fp_denorm_src 0
		.amdhsa_exception_fp_ieee_div_zero 0
		.amdhsa_exception_fp_ieee_overflow 0
		.amdhsa_exception_fp_ieee_underflow 0
		.amdhsa_exception_fp_ieee_inexact 0
		.amdhsa_exception_int_div_zero 0
	.end_amdhsa_kernel
	.section	.text._ZN7rocprim17ROCPRIM_400000_NS6detail17trampoline_kernelINS0_14default_configENS1_22reduce_config_selectorIbEEZNS1_11reduce_implILb1ES3_N6hipcub16HIPCUB_304000_NS22TransformInputIteratorIbN2at6native12_GLOBAL__N_19NonZeroOpIN3c108BFloat16EEEPKSF_lEEPiiNS8_6detail34convert_binary_result_type_wrapperINS8_3SumESJ_iEEEE10hipError_tPvRmT1_T2_T3_mT4_P12ihipStream_tbEUlT_E0_NS1_11comp_targetILNS1_3genE0ELNS1_11target_archE4294967295ELNS1_3gpuE0ELNS1_3repE0EEENS1_30default_config_static_selectorELNS0_4arch9wavefront6targetE0EEEvSS_,"axG",@progbits,_ZN7rocprim17ROCPRIM_400000_NS6detail17trampoline_kernelINS0_14default_configENS1_22reduce_config_selectorIbEEZNS1_11reduce_implILb1ES3_N6hipcub16HIPCUB_304000_NS22TransformInputIteratorIbN2at6native12_GLOBAL__N_19NonZeroOpIN3c108BFloat16EEEPKSF_lEEPiiNS8_6detail34convert_binary_result_type_wrapperINS8_3SumESJ_iEEEE10hipError_tPvRmT1_T2_T3_mT4_P12ihipStream_tbEUlT_E0_NS1_11comp_targetILNS1_3genE0ELNS1_11target_archE4294967295ELNS1_3gpuE0ELNS1_3repE0EEENS1_30default_config_static_selectorELNS0_4arch9wavefront6targetE0EEEvSS_,comdat
.Lfunc_end780:
	.size	_ZN7rocprim17ROCPRIM_400000_NS6detail17trampoline_kernelINS0_14default_configENS1_22reduce_config_selectorIbEEZNS1_11reduce_implILb1ES3_N6hipcub16HIPCUB_304000_NS22TransformInputIteratorIbN2at6native12_GLOBAL__N_19NonZeroOpIN3c108BFloat16EEEPKSF_lEEPiiNS8_6detail34convert_binary_result_type_wrapperINS8_3SumESJ_iEEEE10hipError_tPvRmT1_T2_T3_mT4_P12ihipStream_tbEUlT_E0_NS1_11comp_targetILNS1_3genE0ELNS1_11target_archE4294967295ELNS1_3gpuE0ELNS1_3repE0EEENS1_30default_config_static_selectorELNS0_4arch9wavefront6targetE0EEEvSS_, .Lfunc_end780-_ZN7rocprim17ROCPRIM_400000_NS6detail17trampoline_kernelINS0_14default_configENS1_22reduce_config_selectorIbEEZNS1_11reduce_implILb1ES3_N6hipcub16HIPCUB_304000_NS22TransformInputIteratorIbN2at6native12_GLOBAL__N_19NonZeroOpIN3c108BFloat16EEEPKSF_lEEPiiNS8_6detail34convert_binary_result_type_wrapperINS8_3SumESJ_iEEEE10hipError_tPvRmT1_T2_T3_mT4_P12ihipStream_tbEUlT_E0_NS1_11comp_targetILNS1_3genE0ELNS1_11target_archE4294967295ELNS1_3gpuE0ELNS1_3repE0EEENS1_30default_config_static_selectorELNS0_4arch9wavefront6targetE0EEEvSS_
                                        ; -- End function
	.section	.AMDGPU.csdata,"",@progbits
; Kernel info:
; codeLenInByte = 0
; NumSgprs: 0
; NumVgprs: 0
; ScratchSize: 0
; MemoryBound: 0
; FloatMode: 240
; IeeeMode: 1
; LDSByteSize: 0 bytes/workgroup (compile time only)
; SGPRBlocks: 0
; VGPRBlocks: 0
; NumSGPRsForWavesPerEU: 1
; NumVGPRsForWavesPerEU: 1
; Occupancy: 16
; WaveLimiterHint : 0
; COMPUTE_PGM_RSRC2:SCRATCH_EN: 0
; COMPUTE_PGM_RSRC2:USER_SGPR: 15
; COMPUTE_PGM_RSRC2:TRAP_HANDLER: 0
; COMPUTE_PGM_RSRC2:TGID_X_EN: 1
; COMPUTE_PGM_RSRC2:TGID_Y_EN: 0
; COMPUTE_PGM_RSRC2:TGID_Z_EN: 0
; COMPUTE_PGM_RSRC2:TIDIG_COMP_CNT: 0
	.section	.text._ZN7rocprim17ROCPRIM_400000_NS6detail17trampoline_kernelINS0_14default_configENS1_22reduce_config_selectorIbEEZNS1_11reduce_implILb1ES3_N6hipcub16HIPCUB_304000_NS22TransformInputIteratorIbN2at6native12_GLOBAL__N_19NonZeroOpIN3c108BFloat16EEEPKSF_lEEPiiNS8_6detail34convert_binary_result_type_wrapperINS8_3SumESJ_iEEEE10hipError_tPvRmT1_T2_T3_mT4_P12ihipStream_tbEUlT_E0_NS1_11comp_targetILNS1_3genE5ELNS1_11target_archE942ELNS1_3gpuE9ELNS1_3repE0EEENS1_30default_config_static_selectorELNS0_4arch9wavefront6targetE0EEEvSS_,"axG",@progbits,_ZN7rocprim17ROCPRIM_400000_NS6detail17trampoline_kernelINS0_14default_configENS1_22reduce_config_selectorIbEEZNS1_11reduce_implILb1ES3_N6hipcub16HIPCUB_304000_NS22TransformInputIteratorIbN2at6native12_GLOBAL__N_19NonZeroOpIN3c108BFloat16EEEPKSF_lEEPiiNS8_6detail34convert_binary_result_type_wrapperINS8_3SumESJ_iEEEE10hipError_tPvRmT1_T2_T3_mT4_P12ihipStream_tbEUlT_E0_NS1_11comp_targetILNS1_3genE5ELNS1_11target_archE942ELNS1_3gpuE9ELNS1_3repE0EEENS1_30default_config_static_selectorELNS0_4arch9wavefront6targetE0EEEvSS_,comdat
	.globl	_ZN7rocprim17ROCPRIM_400000_NS6detail17trampoline_kernelINS0_14default_configENS1_22reduce_config_selectorIbEEZNS1_11reduce_implILb1ES3_N6hipcub16HIPCUB_304000_NS22TransformInputIteratorIbN2at6native12_GLOBAL__N_19NonZeroOpIN3c108BFloat16EEEPKSF_lEEPiiNS8_6detail34convert_binary_result_type_wrapperINS8_3SumESJ_iEEEE10hipError_tPvRmT1_T2_T3_mT4_P12ihipStream_tbEUlT_E0_NS1_11comp_targetILNS1_3genE5ELNS1_11target_archE942ELNS1_3gpuE9ELNS1_3repE0EEENS1_30default_config_static_selectorELNS0_4arch9wavefront6targetE0EEEvSS_ ; -- Begin function _ZN7rocprim17ROCPRIM_400000_NS6detail17trampoline_kernelINS0_14default_configENS1_22reduce_config_selectorIbEEZNS1_11reduce_implILb1ES3_N6hipcub16HIPCUB_304000_NS22TransformInputIteratorIbN2at6native12_GLOBAL__N_19NonZeroOpIN3c108BFloat16EEEPKSF_lEEPiiNS8_6detail34convert_binary_result_type_wrapperINS8_3SumESJ_iEEEE10hipError_tPvRmT1_T2_T3_mT4_P12ihipStream_tbEUlT_E0_NS1_11comp_targetILNS1_3genE5ELNS1_11target_archE942ELNS1_3gpuE9ELNS1_3repE0EEENS1_30default_config_static_selectorELNS0_4arch9wavefront6targetE0EEEvSS_
	.p2align	8
	.type	_ZN7rocprim17ROCPRIM_400000_NS6detail17trampoline_kernelINS0_14default_configENS1_22reduce_config_selectorIbEEZNS1_11reduce_implILb1ES3_N6hipcub16HIPCUB_304000_NS22TransformInputIteratorIbN2at6native12_GLOBAL__N_19NonZeroOpIN3c108BFloat16EEEPKSF_lEEPiiNS8_6detail34convert_binary_result_type_wrapperINS8_3SumESJ_iEEEE10hipError_tPvRmT1_T2_T3_mT4_P12ihipStream_tbEUlT_E0_NS1_11comp_targetILNS1_3genE5ELNS1_11target_archE942ELNS1_3gpuE9ELNS1_3repE0EEENS1_30default_config_static_selectorELNS0_4arch9wavefront6targetE0EEEvSS_,@function
_ZN7rocprim17ROCPRIM_400000_NS6detail17trampoline_kernelINS0_14default_configENS1_22reduce_config_selectorIbEEZNS1_11reduce_implILb1ES3_N6hipcub16HIPCUB_304000_NS22TransformInputIteratorIbN2at6native12_GLOBAL__N_19NonZeroOpIN3c108BFloat16EEEPKSF_lEEPiiNS8_6detail34convert_binary_result_type_wrapperINS8_3SumESJ_iEEEE10hipError_tPvRmT1_T2_T3_mT4_P12ihipStream_tbEUlT_E0_NS1_11comp_targetILNS1_3genE5ELNS1_11target_archE942ELNS1_3gpuE9ELNS1_3repE0EEENS1_30default_config_static_selectorELNS0_4arch9wavefront6targetE0EEEvSS_: ; @_ZN7rocprim17ROCPRIM_400000_NS6detail17trampoline_kernelINS0_14default_configENS1_22reduce_config_selectorIbEEZNS1_11reduce_implILb1ES3_N6hipcub16HIPCUB_304000_NS22TransformInputIteratorIbN2at6native12_GLOBAL__N_19NonZeroOpIN3c108BFloat16EEEPKSF_lEEPiiNS8_6detail34convert_binary_result_type_wrapperINS8_3SumESJ_iEEEE10hipError_tPvRmT1_T2_T3_mT4_P12ihipStream_tbEUlT_E0_NS1_11comp_targetILNS1_3genE5ELNS1_11target_archE942ELNS1_3gpuE9ELNS1_3repE0EEENS1_30default_config_static_selectorELNS0_4arch9wavefront6targetE0EEEvSS_
; %bb.0:
	.section	.rodata,"a",@progbits
	.p2align	6, 0x0
	.amdhsa_kernel _ZN7rocprim17ROCPRIM_400000_NS6detail17trampoline_kernelINS0_14default_configENS1_22reduce_config_selectorIbEEZNS1_11reduce_implILb1ES3_N6hipcub16HIPCUB_304000_NS22TransformInputIteratorIbN2at6native12_GLOBAL__N_19NonZeroOpIN3c108BFloat16EEEPKSF_lEEPiiNS8_6detail34convert_binary_result_type_wrapperINS8_3SumESJ_iEEEE10hipError_tPvRmT1_T2_T3_mT4_P12ihipStream_tbEUlT_E0_NS1_11comp_targetILNS1_3genE5ELNS1_11target_archE942ELNS1_3gpuE9ELNS1_3repE0EEENS1_30default_config_static_selectorELNS0_4arch9wavefront6targetE0EEEvSS_
		.amdhsa_group_segment_fixed_size 0
		.amdhsa_private_segment_fixed_size 0
		.amdhsa_kernarg_size 64
		.amdhsa_user_sgpr_count 15
		.amdhsa_user_sgpr_dispatch_ptr 0
		.amdhsa_user_sgpr_queue_ptr 0
		.amdhsa_user_sgpr_kernarg_segment_ptr 1
		.amdhsa_user_sgpr_dispatch_id 0
		.amdhsa_user_sgpr_private_segment_size 0
		.amdhsa_wavefront_size32 1
		.amdhsa_uses_dynamic_stack 0
		.amdhsa_enable_private_segment 0
		.amdhsa_system_sgpr_workgroup_id_x 1
		.amdhsa_system_sgpr_workgroup_id_y 0
		.amdhsa_system_sgpr_workgroup_id_z 0
		.amdhsa_system_sgpr_workgroup_info 0
		.amdhsa_system_vgpr_workitem_id 0
		.amdhsa_next_free_vgpr 1
		.amdhsa_next_free_sgpr 1
		.amdhsa_reserve_vcc 0
		.amdhsa_float_round_mode_32 0
		.amdhsa_float_round_mode_16_64 0
		.amdhsa_float_denorm_mode_32 3
		.amdhsa_float_denorm_mode_16_64 3
		.amdhsa_dx10_clamp 1
		.amdhsa_ieee_mode 1
		.amdhsa_fp16_overflow 0
		.amdhsa_workgroup_processor_mode 1
		.amdhsa_memory_ordered 1
		.amdhsa_forward_progress 0
		.amdhsa_shared_vgpr_count 0
		.amdhsa_exception_fp_ieee_invalid_op 0
		.amdhsa_exception_fp_denorm_src 0
		.amdhsa_exception_fp_ieee_div_zero 0
		.amdhsa_exception_fp_ieee_overflow 0
		.amdhsa_exception_fp_ieee_underflow 0
		.amdhsa_exception_fp_ieee_inexact 0
		.amdhsa_exception_int_div_zero 0
	.end_amdhsa_kernel
	.section	.text._ZN7rocprim17ROCPRIM_400000_NS6detail17trampoline_kernelINS0_14default_configENS1_22reduce_config_selectorIbEEZNS1_11reduce_implILb1ES3_N6hipcub16HIPCUB_304000_NS22TransformInputIteratorIbN2at6native12_GLOBAL__N_19NonZeroOpIN3c108BFloat16EEEPKSF_lEEPiiNS8_6detail34convert_binary_result_type_wrapperINS8_3SumESJ_iEEEE10hipError_tPvRmT1_T2_T3_mT4_P12ihipStream_tbEUlT_E0_NS1_11comp_targetILNS1_3genE5ELNS1_11target_archE942ELNS1_3gpuE9ELNS1_3repE0EEENS1_30default_config_static_selectorELNS0_4arch9wavefront6targetE0EEEvSS_,"axG",@progbits,_ZN7rocprim17ROCPRIM_400000_NS6detail17trampoline_kernelINS0_14default_configENS1_22reduce_config_selectorIbEEZNS1_11reduce_implILb1ES3_N6hipcub16HIPCUB_304000_NS22TransformInputIteratorIbN2at6native12_GLOBAL__N_19NonZeroOpIN3c108BFloat16EEEPKSF_lEEPiiNS8_6detail34convert_binary_result_type_wrapperINS8_3SumESJ_iEEEE10hipError_tPvRmT1_T2_T3_mT4_P12ihipStream_tbEUlT_E0_NS1_11comp_targetILNS1_3genE5ELNS1_11target_archE942ELNS1_3gpuE9ELNS1_3repE0EEENS1_30default_config_static_selectorELNS0_4arch9wavefront6targetE0EEEvSS_,comdat
.Lfunc_end781:
	.size	_ZN7rocprim17ROCPRIM_400000_NS6detail17trampoline_kernelINS0_14default_configENS1_22reduce_config_selectorIbEEZNS1_11reduce_implILb1ES3_N6hipcub16HIPCUB_304000_NS22TransformInputIteratorIbN2at6native12_GLOBAL__N_19NonZeroOpIN3c108BFloat16EEEPKSF_lEEPiiNS8_6detail34convert_binary_result_type_wrapperINS8_3SumESJ_iEEEE10hipError_tPvRmT1_T2_T3_mT4_P12ihipStream_tbEUlT_E0_NS1_11comp_targetILNS1_3genE5ELNS1_11target_archE942ELNS1_3gpuE9ELNS1_3repE0EEENS1_30default_config_static_selectorELNS0_4arch9wavefront6targetE0EEEvSS_, .Lfunc_end781-_ZN7rocprim17ROCPRIM_400000_NS6detail17trampoline_kernelINS0_14default_configENS1_22reduce_config_selectorIbEEZNS1_11reduce_implILb1ES3_N6hipcub16HIPCUB_304000_NS22TransformInputIteratorIbN2at6native12_GLOBAL__N_19NonZeroOpIN3c108BFloat16EEEPKSF_lEEPiiNS8_6detail34convert_binary_result_type_wrapperINS8_3SumESJ_iEEEE10hipError_tPvRmT1_T2_T3_mT4_P12ihipStream_tbEUlT_E0_NS1_11comp_targetILNS1_3genE5ELNS1_11target_archE942ELNS1_3gpuE9ELNS1_3repE0EEENS1_30default_config_static_selectorELNS0_4arch9wavefront6targetE0EEEvSS_
                                        ; -- End function
	.section	.AMDGPU.csdata,"",@progbits
; Kernel info:
; codeLenInByte = 0
; NumSgprs: 0
; NumVgprs: 0
; ScratchSize: 0
; MemoryBound: 0
; FloatMode: 240
; IeeeMode: 1
; LDSByteSize: 0 bytes/workgroup (compile time only)
; SGPRBlocks: 0
; VGPRBlocks: 0
; NumSGPRsForWavesPerEU: 1
; NumVGPRsForWavesPerEU: 1
; Occupancy: 16
; WaveLimiterHint : 0
; COMPUTE_PGM_RSRC2:SCRATCH_EN: 0
; COMPUTE_PGM_RSRC2:USER_SGPR: 15
; COMPUTE_PGM_RSRC2:TRAP_HANDLER: 0
; COMPUTE_PGM_RSRC2:TGID_X_EN: 1
; COMPUTE_PGM_RSRC2:TGID_Y_EN: 0
; COMPUTE_PGM_RSRC2:TGID_Z_EN: 0
; COMPUTE_PGM_RSRC2:TIDIG_COMP_CNT: 0
	.section	.text._ZN7rocprim17ROCPRIM_400000_NS6detail17trampoline_kernelINS0_14default_configENS1_22reduce_config_selectorIbEEZNS1_11reduce_implILb1ES3_N6hipcub16HIPCUB_304000_NS22TransformInputIteratorIbN2at6native12_GLOBAL__N_19NonZeroOpIN3c108BFloat16EEEPKSF_lEEPiiNS8_6detail34convert_binary_result_type_wrapperINS8_3SumESJ_iEEEE10hipError_tPvRmT1_T2_T3_mT4_P12ihipStream_tbEUlT_E0_NS1_11comp_targetILNS1_3genE4ELNS1_11target_archE910ELNS1_3gpuE8ELNS1_3repE0EEENS1_30default_config_static_selectorELNS0_4arch9wavefront6targetE0EEEvSS_,"axG",@progbits,_ZN7rocprim17ROCPRIM_400000_NS6detail17trampoline_kernelINS0_14default_configENS1_22reduce_config_selectorIbEEZNS1_11reduce_implILb1ES3_N6hipcub16HIPCUB_304000_NS22TransformInputIteratorIbN2at6native12_GLOBAL__N_19NonZeroOpIN3c108BFloat16EEEPKSF_lEEPiiNS8_6detail34convert_binary_result_type_wrapperINS8_3SumESJ_iEEEE10hipError_tPvRmT1_T2_T3_mT4_P12ihipStream_tbEUlT_E0_NS1_11comp_targetILNS1_3genE4ELNS1_11target_archE910ELNS1_3gpuE8ELNS1_3repE0EEENS1_30default_config_static_selectorELNS0_4arch9wavefront6targetE0EEEvSS_,comdat
	.globl	_ZN7rocprim17ROCPRIM_400000_NS6detail17trampoline_kernelINS0_14default_configENS1_22reduce_config_selectorIbEEZNS1_11reduce_implILb1ES3_N6hipcub16HIPCUB_304000_NS22TransformInputIteratorIbN2at6native12_GLOBAL__N_19NonZeroOpIN3c108BFloat16EEEPKSF_lEEPiiNS8_6detail34convert_binary_result_type_wrapperINS8_3SumESJ_iEEEE10hipError_tPvRmT1_T2_T3_mT4_P12ihipStream_tbEUlT_E0_NS1_11comp_targetILNS1_3genE4ELNS1_11target_archE910ELNS1_3gpuE8ELNS1_3repE0EEENS1_30default_config_static_selectorELNS0_4arch9wavefront6targetE0EEEvSS_ ; -- Begin function _ZN7rocprim17ROCPRIM_400000_NS6detail17trampoline_kernelINS0_14default_configENS1_22reduce_config_selectorIbEEZNS1_11reduce_implILb1ES3_N6hipcub16HIPCUB_304000_NS22TransformInputIteratorIbN2at6native12_GLOBAL__N_19NonZeroOpIN3c108BFloat16EEEPKSF_lEEPiiNS8_6detail34convert_binary_result_type_wrapperINS8_3SumESJ_iEEEE10hipError_tPvRmT1_T2_T3_mT4_P12ihipStream_tbEUlT_E0_NS1_11comp_targetILNS1_3genE4ELNS1_11target_archE910ELNS1_3gpuE8ELNS1_3repE0EEENS1_30default_config_static_selectorELNS0_4arch9wavefront6targetE0EEEvSS_
	.p2align	8
	.type	_ZN7rocprim17ROCPRIM_400000_NS6detail17trampoline_kernelINS0_14default_configENS1_22reduce_config_selectorIbEEZNS1_11reduce_implILb1ES3_N6hipcub16HIPCUB_304000_NS22TransformInputIteratorIbN2at6native12_GLOBAL__N_19NonZeroOpIN3c108BFloat16EEEPKSF_lEEPiiNS8_6detail34convert_binary_result_type_wrapperINS8_3SumESJ_iEEEE10hipError_tPvRmT1_T2_T3_mT4_P12ihipStream_tbEUlT_E0_NS1_11comp_targetILNS1_3genE4ELNS1_11target_archE910ELNS1_3gpuE8ELNS1_3repE0EEENS1_30default_config_static_selectorELNS0_4arch9wavefront6targetE0EEEvSS_,@function
_ZN7rocprim17ROCPRIM_400000_NS6detail17trampoline_kernelINS0_14default_configENS1_22reduce_config_selectorIbEEZNS1_11reduce_implILb1ES3_N6hipcub16HIPCUB_304000_NS22TransformInputIteratorIbN2at6native12_GLOBAL__N_19NonZeroOpIN3c108BFloat16EEEPKSF_lEEPiiNS8_6detail34convert_binary_result_type_wrapperINS8_3SumESJ_iEEEE10hipError_tPvRmT1_T2_T3_mT4_P12ihipStream_tbEUlT_E0_NS1_11comp_targetILNS1_3genE4ELNS1_11target_archE910ELNS1_3gpuE8ELNS1_3repE0EEENS1_30default_config_static_selectorELNS0_4arch9wavefront6targetE0EEEvSS_: ; @_ZN7rocprim17ROCPRIM_400000_NS6detail17trampoline_kernelINS0_14default_configENS1_22reduce_config_selectorIbEEZNS1_11reduce_implILb1ES3_N6hipcub16HIPCUB_304000_NS22TransformInputIteratorIbN2at6native12_GLOBAL__N_19NonZeroOpIN3c108BFloat16EEEPKSF_lEEPiiNS8_6detail34convert_binary_result_type_wrapperINS8_3SumESJ_iEEEE10hipError_tPvRmT1_T2_T3_mT4_P12ihipStream_tbEUlT_E0_NS1_11comp_targetILNS1_3genE4ELNS1_11target_archE910ELNS1_3gpuE8ELNS1_3repE0EEENS1_30default_config_static_selectorELNS0_4arch9wavefront6targetE0EEEvSS_
; %bb.0:
	.section	.rodata,"a",@progbits
	.p2align	6, 0x0
	.amdhsa_kernel _ZN7rocprim17ROCPRIM_400000_NS6detail17trampoline_kernelINS0_14default_configENS1_22reduce_config_selectorIbEEZNS1_11reduce_implILb1ES3_N6hipcub16HIPCUB_304000_NS22TransformInputIteratorIbN2at6native12_GLOBAL__N_19NonZeroOpIN3c108BFloat16EEEPKSF_lEEPiiNS8_6detail34convert_binary_result_type_wrapperINS8_3SumESJ_iEEEE10hipError_tPvRmT1_T2_T3_mT4_P12ihipStream_tbEUlT_E0_NS1_11comp_targetILNS1_3genE4ELNS1_11target_archE910ELNS1_3gpuE8ELNS1_3repE0EEENS1_30default_config_static_selectorELNS0_4arch9wavefront6targetE0EEEvSS_
		.amdhsa_group_segment_fixed_size 0
		.amdhsa_private_segment_fixed_size 0
		.amdhsa_kernarg_size 64
		.amdhsa_user_sgpr_count 15
		.amdhsa_user_sgpr_dispatch_ptr 0
		.amdhsa_user_sgpr_queue_ptr 0
		.amdhsa_user_sgpr_kernarg_segment_ptr 1
		.amdhsa_user_sgpr_dispatch_id 0
		.amdhsa_user_sgpr_private_segment_size 0
		.amdhsa_wavefront_size32 1
		.amdhsa_uses_dynamic_stack 0
		.amdhsa_enable_private_segment 0
		.amdhsa_system_sgpr_workgroup_id_x 1
		.amdhsa_system_sgpr_workgroup_id_y 0
		.amdhsa_system_sgpr_workgroup_id_z 0
		.amdhsa_system_sgpr_workgroup_info 0
		.amdhsa_system_vgpr_workitem_id 0
		.amdhsa_next_free_vgpr 1
		.amdhsa_next_free_sgpr 1
		.amdhsa_reserve_vcc 0
		.amdhsa_float_round_mode_32 0
		.amdhsa_float_round_mode_16_64 0
		.amdhsa_float_denorm_mode_32 3
		.amdhsa_float_denorm_mode_16_64 3
		.amdhsa_dx10_clamp 1
		.amdhsa_ieee_mode 1
		.amdhsa_fp16_overflow 0
		.amdhsa_workgroup_processor_mode 1
		.amdhsa_memory_ordered 1
		.amdhsa_forward_progress 0
		.amdhsa_shared_vgpr_count 0
		.amdhsa_exception_fp_ieee_invalid_op 0
		.amdhsa_exception_fp_denorm_src 0
		.amdhsa_exception_fp_ieee_div_zero 0
		.amdhsa_exception_fp_ieee_overflow 0
		.amdhsa_exception_fp_ieee_underflow 0
		.amdhsa_exception_fp_ieee_inexact 0
		.amdhsa_exception_int_div_zero 0
	.end_amdhsa_kernel
	.section	.text._ZN7rocprim17ROCPRIM_400000_NS6detail17trampoline_kernelINS0_14default_configENS1_22reduce_config_selectorIbEEZNS1_11reduce_implILb1ES3_N6hipcub16HIPCUB_304000_NS22TransformInputIteratorIbN2at6native12_GLOBAL__N_19NonZeroOpIN3c108BFloat16EEEPKSF_lEEPiiNS8_6detail34convert_binary_result_type_wrapperINS8_3SumESJ_iEEEE10hipError_tPvRmT1_T2_T3_mT4_P12ihipStream_tbEUlT_E0_NS1_11comp_targetILNS1_3genE4ELNS1_11target_archE910ELNS1_3gpuE8ELNS1_3repE0EEENS1_30default_config_static_selectorELNS0_4arch9wavefront6targetE0EEEvSS_,"axG",@progbits,_ZN7rocprim17ROCPRIM_400000_NS6detail17trampoline_kernelINS0_14default_configENS1_22reduce_config_selectorIbEEZNS1_11reduce_implILb1ES3_N6hipcub16HIPCUB_304000_NS22TransformInputIteratorIbN2at6native12_GLOBAL__N_19NonZeroOpIN3c108BFloat16EEEPKSF_lEEPiiNS8_6detail34convert_binary_result_type_wrapperINS8_3SumESJ_iEEEE10hipError_tPvRmT1_T2_T3_mT4_P12ihipStream_tbEUlT_E0_NS1_11comp_targetILNS1_3genE4ELNS1_11target_archE910ELNS1_3gpuE8ELNS1_3repE0EEENS1_30default_config_static_selectorELNS0_4arch9wavefront6targetE0EEEvSS_,comdat
.Lfunc_end782:
	.size	_ZN7rocprim17ROCPRIM_400000_NS6detail17trampoline_kernelINS0_14default_configENS1_22reduce_config_selectorIbEEZNS1_11reduce_implILb1ES3_N6hipcub16HIPCUB_304000_NS22TransformInputIteratorIbN2at6native12_GLOBAL__N_19NonZeroOpIN3c108BFloat16EEEPKSF_lEEPiiNS8_6detail34convert_binary_result_type_wrapperINS8_3SumESJ_iEEEE10hipError_tPvRmT1_T2_T3_mT4_P12ihipStream_tbEUlT_E0_NS1_11comp_targetILNS1_3genE4ELNS1_11target_archE910ELNS1_3gpuE8ELNS1_3repE0EEENS1_30default_config_static_selectorELNS0_4arch9wavefront6targetE0EEEvSS_, .Lfunc_end782-_ZN7rocprim17ROCPRIM_400000_NS6detail17trampoline_kernelINS0_14default_configENS1_22reduce_config_selectorIbEEZNS1_11reduce_implILb1ES3_N6hipcub16HIPCUB_304000_NS22TransformInputIteratorIbN2at6native12_GLOBAL__N_19NonZeroOpIN3c108BFloat16EEEPKSF_lEEPiiNS8_6detail34convert_binary_result_type_wrapperINS8_3SumESJ_iEEEE10hipError_tPvRmT1_T2_T3_mT4_P12ihipStream_tbEUlT_E0_NS1_11comp_targetILNS1_3genE4ELNS1_11target_archE910ELNS1_3gpuE8ELNS1_3repE0EEENS1_30default_config_static_selectorELNS0_4arch9wavefront6targetE0EEEvSS_
                                        ; -- End function
	.section	.AMDGPU.csdata,"",@progbits
; Kernel info:
; codeLenInByte = 0
; NumSgprs: 0
; NumVgprs: 0
; ScratchSize: 0
; MemoryBound: 0
; FloatMode: 240
; IeeeMode: 1
; LDSByteSize: 0 bytes/workgroup (compile time only)
; SGPRBlocks: 0
; VGPRBlocks: 0
; NumSGPRsForWavesPerEU: 1
; NumVGPRsForWavesPerEU: 1
; Occupancy: 16
; WaveLimiterHint : 0
; COMPUTE_PGM_RSRC2:SCRATCH_EN: 0
; COMPUTE_PGM_RSRC2:USER_SGPR: 15
; COMPUTE_PGM_RSRC2:TRAP_HANDLER: 0
; COMPUTE_PGM_RSRC2:TGID_X_EN: 1
; COMPUTE_PGM_RSRC2:TGID_Y_EN: 0
; COMPUTE_PGM_RSRC2:TGID_Z_EN: 0
; COMPUTE_PGM_RSRC2:TIDIG_COMP_CNT: 0
	.section	.text._ZN7rocprim17ROCPRIM_400000_NS6detail17trampoline_kernelINS0_14default_configENS1_22reduce_config_selectorIbEEZNS1_11reduce_implILb1ES3_N6hipcub16HIPCUB_304000_NS22TransformInputIteratorIbN2at6native12_GLOBAL__N_19NonZeroOpIN3c108BFloat16EEEPKSF_lEEPiiNS8_6detail34convert_binary_result_type_wrapperINS8_3SumESJ_iEEEE10hipError_tPvRmT1_T2_T3_mT4_P12ihipStream_tbEUlT_E0_NS1_11comp_targetILNS1_3genE3ELNS1_11target_archE908ELNS1_3gpuE7ELNS1_3repE0EEENS1_30default_config_static_selectorELNS0_4arch9wavefront6targetE0EEEvSS_,"axG",@progbits,_ZN7rocprim17ROCPRIM_400000_NS6detail17trampoline_kernelINS0_14default_configENS1_22reduce_config_selectorIbEEZNS1_11reduce_implILb1ES3_N6hipcub16HIPCUB_304000_NS22TransformInputIteratorIbN2at6native12_GLOBAL__N_19NonZeroOpIN3c108BFloat16EEEPKSF_lEEPiiNS8_6detail34convert_binary_result_type_wrapperINS8_3SumESJ_iEEEE10hipError_tPvRmT1_T2_T3_mT4_P12ihipStream_tbEUlT_E0_NS1_11comp_targetILNS1_3genE3ELNS1_11target_archE908ELNS1_3gpuE7ELNS1_3repE0EEENS1_30default_config_static_selectorELNS0_4arch9wavefront6targetE0EEEvSS_,comdat
	.globl	_ZN7rocprim17ROCPRIM_400000_NS6detail17trampoline_kernelINS0_14default_configENS1_22reduce_config_selectorIbEEZNS1_11reduce_implILb1ES3_N6hipcub16HIPCUB_304000_NS22TransformInputIteratorIbN2at6native12_GLOBAL__N_19NonZeroOpIN3c108BFloat16EEEPKSF_lEEPiiNS8_6detail34convert_binary_result_type_wrapperINS8_3SumESJ_iEEEE10hipError_tPvRmT1_T2_T3_mT4_P12ihipStream_tbEUlT_E0_NS1_11comp_targetILNS1_3genE3ELNS1_11target_archE908ELNS1_3gpuE7ELNS1_3repE0EEENS1_30default_config_static_selectorELNS0_4arch9wavefront6targetE0EEEvSS_ ; -- Begin function _ZN7rocprim17ROCPRIM_400000_NS6detail17trampoline_kernelINS0_14default_configENS1_22reduce_config_selectorIbEEZNS1_11reduce_implILb1ES3_N6hipcub16HIPCUB_304000_NS22TransformInputIteratorIbN2at6native12_GLOBAL__N_19NonZeroOpIN3c108BFloat16EEEPKSF_lEEPiiNS8_6detail34convert_binary_result_type_wrapperINS8_3SumESJ_iEEEE10hipError_tPvRmT1_T2_T3_mT4_P12ihipStream_tbEUlT_E0_NS1_11comp_targetILNS1_3genE3ELNS1_11target_archE908ELNS1_3gpuE7ELNS1_3repE0EEENS1_30default_config_static_selectorELNS0_4arch9wavefront6targetE0EEEvSS_
	.p2align	8
	.type	_ZN7rocprim17ROCPRIM_400000_NS6detail17trampoline_kernelINS0_14default_configENS1_22reduce_config_selectorIbEEZNS1_11reduce_implILb1ES3_N6hipcub16HIPCUB_304000_NS22TransformInputIteratorIbN2at6native12_GLOBAL__N_19NonZeroOpIN3c108BFloat16EEEPKSF_lEEPiiNS8_6detail34convert_binary_result_type_wrapperINS8_3SumESJ_iEEEE10hipError_tPvRmT1_T2_T3_mT4_P12ihipStream_tbEUlT_E0_NS1_11comp_targetILNS1_3genE3ELNS1_11target_archE908ELNS1_3gpuE7ELNS1_3repE0EEENS1_30default_config_static_selectorELNS0_4arch9wavefront6targetE0EEEvSS_,@function
_ZN7rocprim17ROCPRIM_400000_NS6detail17trampoline_kernelINS0_14default_configENS1_22reduce_config_selectorIbEEZNS1_11reduce_implILb1ES3_N6hipcub16HIPCUB_304000_NS22TransformInputIteratorIbN2at6native12_GLOBAL__N_19NonZeroOpIN3c108BFloat16EEEPKSF_lEEPiiNS8_6detail34convert_binary_result_type_wrapperINS8_3SumESJ_iEEEE10hipError_tPvRmT1_T2_T3_mT4_P12ihipStream_tbEUlT_E0_NS1_11comp_targetILNS1_3genE3ELNS1_11target_archE908ELNS1_3gpuE7ELNS1_3repE0EEENS1_30default_config_static_selectorELNS0_4arch9wavefront6targetE0EEEvSS_: ; @_ZN7rocprim17ROCPRIM_400000_NS6detail17trampoline_kernelINS0_14default_configENS1_22reduce_config_selectorIbEEZNS1_11reduce_implILb1ES3_N6hipcub16HIPCUB_304000_NS22TransformInputIteratorIbN2at6native12_GLOBAL__N_19NonZeroOpIN3c108BFloat16EEEPKSF_lEEPiiNS8_6detail34convert_binary_result_type_wrapperINS8_3SumESJ_iEEEE10hipError_tPvRmT1_T2_T3_mT4_P12ihipStream_tbEUlT_E0_NS1_11comp_targetILNS1_3genE3ELNS1_11target_archE908ELNS1_3gpuE7ELNS1_3repE0EEENS1_30default_config_static_selectorELNS0_4arch9wavefront6targetE0EEEvSS_
; %bb.0:
	.section	.rodata,"a",@progbits
	.p2align	6, 0x0
	.amdhsa_kernel _ZN7rocprim17ROCPRIM_400000_NS6detail17trampoline_kernelINS0_14default_configENS1_22reduce_config_selectorIbEEZNS1_11reduce_implILb1ES3_N6hipcub16HIPCUB_304000_NS22TransformInputIteratorIbN2at6native12_GLOBAL__N_19NonZeroOpIN3c108BFloat16EEEPKSF_lEEPiiNS8_6detail34convert_binary_result_type_wrapperINS8_3SumESJ_iEEEE10hipError_tPvRmT1_T2_T3_mT4_P12ihipStream_tbEUlT_E0_NS1_11comp_targetILNS1_3genE3ELNS1_11target_archE908ELNS1_3gpuE7ELNS1_3repE0EEENS1_30default_config_static_selectorELNS0_4arch9wavefront6targetE0EEEvSS_
		.amdhsa_group_segment_fixed_size 0
		.amdhsa_private_segment_fixed_size 0
		.amdhsa_kernarg_size 64
		.amdhsa_user_sgpr_count 15
		.amdhsa_user_sgpr_dispatch_ptr 0
		.amdhsa_user_sgpr_queue_ptr 0
		.amdhsa_user_sgpr_kernarg_segment_ptr 1
		.amdhsa_user_sgpr_dispatch_id 0
		.amdhsa_user_sgpr_private_segment_size 0
		.amdhsa_wavefront_size32 1
		.amdhsa_uses_dynamic_stack 0
		.amdhsa_enable_private_segment 0
		.amdhsa_system_sgpr_workgroup_id_x 1
		.amdhsa_system_sgpr_workgroup_id_y 0
		.amdhsa_system_sgpr_workgroup_id_z 0
		.amdhsa_system_sgpr_workgroup_info 0
		.amdhsa_system_vgpr_workitem_id 0
		.amdhsa_next_free_vgpr 1
		.amdhsa_next_free_sgpr 1
		.amdhsa_reserve_vcc 0
		.amdhsa_float_round_mode_32 0
		.amdhsa_float_round_mode_16_64 0
		.amdhsa_float_denorm_mode_32 3
		.amdhsa_float_denorm_mode_16_64 3
		.amdhsa_dx10_clamp 1
		.amdhsa_ieee_mode 1
		.amdhsa_fp16_overflow 0
		.amdhsa_workgroup_processor_mode 1
		.amdhsa_memory_ordered 1
		.amdhsa_forward_progress 0
		.amdhsa_shared_vgpr_count 0
		.amdhsa_exception_fp_ieee_invalid_op 0
		.amdhsa_exception_fp_denorm_src 0
		.amdhsa_exception_fp_ieee_div_zero 0
		.amdhsa_exception_fp_ieee_overflow 0
		.amdhsa_exception_fp_ieee_underflow 0
		.amdhsa_exception_fp_ieee_inexact 0
		.amdhsa_exception_int_div_zero 0
	.end_amdhsa_kernel
	.section	.text._ZN7rocprim17ROCPRIM_400000_NS6detail17trampoline_kernelINS0_14default_configENS1_22reduce_config_selectorIbEEZNS1_11reduce_implILb1ES3_N6hipcub16HIPCUB_304000_NS22TransformInputIteratorIbN2at6native12_GLOBAL__N_19NonZeroOpIN3c108BFloat16EEEPKSF_lEEPiiNS8_6detail34convert_binary_result_type_wrapperINS8_3SumESJ_iEEEE10hipError_tPvRmT1_T2_T3_mT4_P12ihipStream_tbEUlT_E0_NS1_11comp_targetILNS1_3genE3ELNS1_11target_archE908ELNS1_3gpuE7ELNS1_3repE0EEENS1_30default_config_static_selectorELNS0_4arch9wavefront6targetE0EEEvSS_,"axG",@progbits,_ZN7rocprim17ROCPRIM_400000_NS6detail17trampoline_kernelINS0_14default_configENS1_22reduce_config_selectorIbEEZNS1_11reduce_implILb1ES3_N6hipcub16HIPCUB_304000_NS22TransformInputIteratorIbN2at6native12_GLOBAL__N_19NonZeroOpIN3c108BFloat16EEEPKSF_lEEPiiNS8_6detail34convert_binary_result_type_wrapperINS8_3SumESJ_iEEEE10hipError_tPvRmT1_T2_T3_mT4_P12ihipStream_tbEUlT_E0_NS1_11comp_targetILNS1_3genE3ELNS1_11target_archE908ELNS1_3gpuE7ELNS1_3repE0EEENS1_30default_config_static_selectorELNS0_4arch9wavefront6targetE0EEEvSS_,comdat
.Lfunc_end783:
	.size	_ZN7rocprim17ROCPRIM_400000_NS6detail17trampoline_kernelINS0_14default_configENS1_22reduce_config_selectorIbEEZNS1_11reduce_implILb1ES3_N6hipcub16HIPCUB_304000_NS22TransformInputIteratorIbN2at6native12_GLOBAL__N_19NonZeroOpIN3c108BFloat16EEEPKSF_lEEPiiNS8_6detail34convert_binary_result_type_wrapperINS8_3SumESJ_iEEEE10hipError_tPvRmT1_T2_T3_mT4_P12ihipStream_tbEUlT_E0_NS1_11comp_targetILNS1_3genE3ELNS1_11target_archE908ELNS1_3gpuE7ELNS1_3repE0EEENS1_30default_config_static_selectorELNS0_4arch9wavefront6targetE0EEEvSS_, .Lfunc_end783-_ZN7rocprim17ROCPRIM_400000_NS6detail17trampoline_kernelINS0_14default_configENS1_22reduce_config_selectorIbEEZNS1_11reduce_implILb1ES3_N6hipcub16HIPCUB_304000_NS22TransformInputIteratorIbN2at6native12_GLOBAL__N_19NonZeroOpIN3c108BFloat16EEEPKSF_lEEPiiNS8_6detail34convert_binary_result_type_wrapperINS8_3SumESJ_iEEEE10hipError_tPvRmT1_T2_T3_mT4_P12ihipStream_tbEUlT_E0_NS1_11comp_targetILNS1_3genE3ELNS1_11target_archE908ELNS1_3gpuE7ELNS1_3repE0EEENS1_30default_config_static_selectorELNS0_4arch9wavefront6targetE0EEEvSS_
                                        ; -- End function
	.section	.AMDGPU.csdata,"",@progbits
; Kernel info:
; codeLenInByte = 0
; NumSgprs: 0
; NumVgprs: 0
; ScratchSize: 0
; MemoryBound: 0
; FloatMode: 240
; IeeeMode: 1
; LDSByteSize: 0 bytes/workgroup (compile time only)
; SGPRBlocks: 0
; VGPRBlocks: 0
; NumSGPRsForWavesPerEU: 1
; NumVGPRsForWavesPerEU: 1
; Occupancy: 16
; WaveLimiterHint : 0
; COMPUTE_PGM_RSRC2:SCRATCH_EN: 0
; COMPUTE_PGM_RSRC2:USER_SGPR: 15
; COMPUTE_PGM_RSRC2:TRAP_HANDLER: 0
; COMPUTE_PGM_RSRC2:TGID_X_EN: 1
; COMPUTE_PGM_RSRC2:TGID_Y_EN: 0
; COMPUTE_PGM_RSRC2:TGID_Z_EN: 0
; COMPUTE_PGM_RSRC2:TIDIG_COMP_CNT: 0
	.section	.text._ZN7rocprim17ROCPRIM_400000_NS6detail17trampoline_kernelINS0_14default_configENS1_22reduce_config_selectorIbEEZNS1_11reduce_implILb1ES3_N6hipcub16HIPCUB_304000_NS22TransformInputIteratorIbN2at6native12_GLOBAL__N_19NonZeroOpIN3c108BFloat16EEEPKSF_lEEPiiNS8_6detail34convert_binary_result_type_wrapperINS8_3SumESJ_iEEEE10hipError_tPvRmT1_T2_T3_mT4_P12ihipStream_tbEUlT_E0_NS1_11comp_targetILNS1_3genE2ELNS1_11target_archE906ELNS1_3gpuE6ELNS1_3repE0EEENS1_30default_config_static_selectorELNS0_4arch9wavefront6targetE0EEEvSS_,"axG",@progbits,_ZN7rocprim17ROCPRIM_400000_NS6detail17trampoline_kernelINS0_14default_configENS1_22reduce_config_selectorIbEEZNS1_11reduce_implILb1ES3_N6hipcub16HIPCUB_304000_NS22TransformInputIteratorIbN2at6native12_GLOBAL__N_19NonZeroOpIN3c108BFloat16EEEPKSF_lEEPiiNS8_6detail34convert_binary_result_type_wrapperINS8_3SumESJ_iEEEE10hipError_tPvRmT1_T2_T3_mT4_P12ihipStream_tbEUlT_E0_NS1_11comp_targetILNS1_3genE2ELNS1_11target_archE906ELNS1_3gpuE6ELNS1_3repE0EEENS1_30default_config_static_selectorELNS0_4arch9wavefront6targetE0EEEvSS_,comdat
	.globl	_ZN7rocprim17ROCPRIM_400000_NS6detail17trampoline_kernelINS0_14default_configENS1_22reduce_config_selectorIbEEZNS1_11reduce_implILb1ES3_N6hipcub16HIPCUB_304000_NS22TransformInputIteratorIbN2at6native12_GLOBAL__N_19NonZeroOpIN3c108BFloat16EEEPKSF_lEEPiiNS8_6detail34convert_binary_result_type_wrapperINS8_3SumESJ_iEEEE10hipError_tPvRmT1_T2_T3_mT4_P12ihipStream_tbEUlT_E0_NS1_11comp_targetILNS1_3genE2ELNS1_11target_archE906ELNS1_3gpuE6ELNS1_3repE0EEENS1_30default_config_static_selectorELNS0_4arch9wavefront6targetE0EEEvSS_ ; -- Begin function _ZN7rocprim17ROCPRIM_400000_NS6detail17trampoline_kernelINS0_14default_configENS1_22reduce_config_selectorIbEEZNS1_11reduce_implILb1ES3_N6hipcub16HIPCUB_304000_NS22TransformInputIteratorIbN2at6native12_GLOBAL__N_19NonZeroOpIN3c108BFloat16EEEPKSF_lEEPiiNS8_6detail34convert_binary_result_type_wrapperINS8_3SumESJ_iEEEE10hipError_tPvRmT1_T2_T3_mT4_P12ihipStream_tbEUlT_E0_NS1_11comp_targetILNS1_3genE2ELNS1_11target_archE906ELNS1_3gpuE6ELNS1_3repE0EEENS1_30default_config_static_selectorELNS0_4arch9wavefront6targetE0EEEvSS_
	.p2align	8
	.type	_ZN7rocprim17ROCPRIM_400000_NS6detail17trampoline_kernelINS0_14default_configENS1_22reduce_config_selectorIbEEZNS1_11reduce_implILb1ES3_N6hipcub16HIPCUB_304000_NS22TransformInputIteratorIbN2at6native12_GLOBAL__N_19NonZeroOpIN3c108BFloat16EEEPKSF_lEEPiiNS8_6detail34convert_binary_result_type_wrapperINS8_3SumESJ_iEEEE10hipError_tPvRmT1_T2_T3_mT4_P12ihipStream_tbEUlT_E0_NS1_11comp_targetILNS1_3genE2ELNS1_11target_archE906ELNS1_3gpuE6ELNS1_3repE0EEENS1_30default_config_static_selectorELNS0_4arch9wavefront6targetE0EEEvSS_,@function
_ZN7rocprim17ROCPRIM_400000_NS6detail17trampoline_kernelINS0_14default_configENS1_22reduce_config_selectorIbEEZNS1_11reduce_implILb1ES3_N6hipcub16HIPCUB_304000_NS22TransformInputIteratorIbN2at6native12_GLOBAL__N_19NonZeroOpIN3c108BFloat16EEEPKSF_lEEPiiNS8_6detail34convert_binary_result_type_wrapperINS8_3SumESJ_iEEEE10hipError_tPvRmT1_T2_T3_mT4_P12ihipStream_tbEUlT_E0_NS1_11comp_targetILNS1_3genE2ELNS1_11target_archE906ELNS1_3gpuE6ELNS1_3repE0EEENS1_30default_config_static_selectorELNS0_4arch9wavefront6targetE0EEEvSS_: ; @_ZN7rocprim17ROCPRIM_400000_NS6detail17trampoline_kernelINS0_14default_configENS1_22reduce_config_selectorIbEEZNS1_11reduce_implILb1ES3_N6hipcub16HIPCUB_304000_NS22TransformInputIteratorIbN2at6native12_GLOBAL__N_19NonZeroOpIN3c108BFloat16EEEPKSF_lEEPiiNS8_6detail34convert_binary_result_type_wrapperINS8_3SumESJ_iEEEE10hipError_tPvRmT1_T2_T3_mT4_P12ihipStream_tbEUlT_E0_NS1_11comp_targetILNS1_3genE2ELNS1_11target_archE906ELNS1_3gpuE6ELNS1_3repE0EEENS1_30default_config_static_selectorELNS0_4arch9wavefront6targetE0EEEvSS_
; %bb.0:
	.section	.rodata,"a",@progbits
	.p2align	6, 0x0
	.amdhsa_kernel _ZN7rocprim17ROCPRIM_400000_NS6detail17trampoline_kernelINS0_14default_configENS1_22reduce_config_selectorIbEEZNS1_11reduce_implILb1ES3_N6hipcub16HIPCUB_304000_NS22TransformInputIteratorIbN2at6native12_GLOBAL__N_19NonZeroOpIN3c108BFloat16EEEPKSF_lEEPiiNS8_6detail34convert_binary_result_type_wrapperINS8_3SumESJ_iEEEE10hipError_tPvRmT1_T2_T3_mT4_P12ihipStream_tbEUlT_E0_NS1_11comp_targetILNS1_3genE2ELNS1_11target_archE906ELNS1_3gpuE6ELNS1_3repE0EEENS1_30default_config_static_selectorELNS0_4arch9wavefront6targetE0EEEvSS_
		.amdhsa_group_segment_fixed_size 0
		.amdhsa_private_segment_fixed_size 0
		.amdhsa_kernarg_size 64
		.amdhsa_user_sgpr_count 15
		.amdhsa_user_sgpr_dispatch_ptr 0
		.amdhsa_user_sgpr_queue_ptr 0
		.amdhsa_user_sgpr_kernarg_segment_ptr 1
		.amdhsa_user_sgpr_dispatch_id 0
		.amdhsa_user_sgpr_private_segment_size 0
		.amdhsa_wavefront_size32 1
		.amdhsa_uses_dynamic_stack 0
		.amdhsa_enable_private_segment 0
		.amdhsa_system_sgpr_workgroup_id_x 1
		.amdhsa_system_sgpr_workgroup_id_y 0
		.amdhsa_system_sgpr_workgroup_id_z 0
		.amdhsa_system_sgpr_workgroup_info 0
		.amdhsa_system_vgpr_workitem_id 0
		.amdhsa_next_free_vgpr 1
		.amdhsa_next_free_sgpr 1
		.amdhsa_reserve_vcc 0
		.amdhsa_float_round_mode_32 0
		.amdhsa_float_round_mode_16_64 0
		.amdhsa_float_denorm_mode_32 3
		.amdhsa_float_denorm_mode_16_64 3
		.amdhsa_dx10_clamp 1
		.amdhsa_ieee_mode 1
		.amdhsa_fp16_overflow 0
		.amdhsa_workgroup_processor_mode 1
		.amdhsa_memory_ordered 1
		.amdhsa_forward_progress 0
		.amdhsa_shared_vgpr_count 0
		.amdhsa_exception_fp_ieee_invalid_op 0
		.amdhsa_exception_fp_denorm_src 0
		.amdhsa_exception_fp_ieee_div_zero 0
		.amdhsa_exception_fp_ieee_overflow 0
		.amdhsa_exception_fp_ieee_underflow 0
		.amdhsa_exception_fp_ieee_inexact 0
		.amdhsa_exception_int_div_zero 0
	.end_amdhsa_kernel
	.section	.text._ZN7rocprim17ROCPRIM_400000_NS6detail17trampoline_kernelINS0_14default_configENS1_22reduce_config_selectorIbEEZNS1_11reduce_implILb1ES3_N6hipcub16HIPCUB_304000_NS22TransformInputIteratorIbN2at6native12_GLOBAL__N_19NonZeroOpIN3c108BFloat16EEEPKSF_lEEPiiNS8_6detail34convert_binary_result_type_wrapperINS8_3SumESJ_iEEEE10hipError_tPvRmT1_T2_T3_mT4_P12ihipStream_tbEUlT_E0_NS1_11comp_targetILNS1_3genE2ELNS1_11target_archE906ELNS1_3gpuE6ELNS1_3repE0EEENS1_30default_config_static_selectorELNS0_4arch9wavefront6targetE0EEEvSS_,"axG",@progbits,_ZN7rocprim17ROCPRIM_400000_NS6detail17trampoline_kernelINS0_14default_configENS1_22reduce_config_selectorIbEEZNS1_11reduce_implILb1ES3_N6hipcub16HIPCUB_304000_NS22TransformInputIteratorIbN2at6native12_GLOBAL__N_19NonZeroOpIN3c108BFloat16EEEPKSF_lEEPiiNS8_6detail34convert_binary_result_type_wrapperINS8_3SumESJ_iEEEE10hipError_tPvRmT1_T2_T3_mT4_P12ihipStream_tbEUlT_E0_NS1_11comp_targetILNS1_3genE2ELNS1_11target_archE906ELNS1_3gpuE6ELNS1_3repE0EEENS1_30default_config_static_selectorELNS0_4arch9wavefront6targetE0EEEvSS_,comdat
.Lfunc_end784:
	.size	_ZN7rocprim17ROCPRIM_400000_NS6detail17trampoline_kernelINS0_14default_configENS1_22reduce_config_selectorIbEEZNS1_11reduce_implILb1ES3_N6hipcub16HIPCUB_304000_NS22TransformInputIteratorIbN2at6native12_GLOBAL__N_19NonZeroOpIN3c108BFloat16EEEPKSF_lEEPiiNS8_6detail34convert_binary_result_type_wrapperINS8_3SumESJ_iEEEE10hipError_tPvRmT1_T2_T3_mT4_P12ihipStream_tbEUlT_E0_NS1_11comp_targetILNS1_3genE2ELNS1_11target_archE906ELNS1_3gpuE6ELNS1_3repE0EEENS1_30default_config_static_selectorELNS0_4arch9wavefront6targetE0EEEvSS_, .Lfunc_end784-_ZN7rocprim17ROCPRIM_400000_NS6detail17trampoline_kernelINS0_14default_configENS1_22reduce_config_selectorIbEEZNS1_11reduce_implILb1ES3_N6hipcub16HIPCUB_304000_NS22TransformInputIteratorIbN2at6native12_GLOBAL__N_19NonZeroOpIN3c108BFloat16EEEPKSF_lEEPiiNS8_6detail34convert_binary_result_type_wrapperINS8_3SumESJ_iEEEE10hipError_tPvRmT1_T2_T3_mT4_P12ihipStream_tbEUlT_E0_NS1_11comp_targetILNS1_3genE2ELNS1_11target_archE906ELNS1_3gpuE6ELNS1_3repE0EEENS1_30default_config_static_selectorELNS0_4arch9wavefront6targetE0EEEvSS_
                                        ; -- End function
	.section	.AMDGPU.csdata,"",@progbits
; Kernel info:
; codeLenInByte = 0
; NumSgprs: 0
; NumVgprs: 0
; ScratchSize: 0
; MemoryBound: 0
; FloatMode: 240
; IeeeMode: 1
; LDSByteSize: 0 bytes/workgroup (compile time only)
; SGPRBlocks: 0
; VGPRBlocks: 0
; NumSGPRsForWavesPerEU: 1
; NumVGPRsForWavesPerEU: 1
; Occupancy: 16
; WaveLimiterHint : 0
; COMPUTE_PGM_RSRC2:SCRATCH_EN: 0
; COMPUTE_PGM_RSRC2:USER_SGPR: 15
; COMPUTE_PGM_RSRC2:TRAP_HANDLER: 0
; COMPUTE_PGM_RSRC2:TGID_X_EN: 1
; COMPUTE_PGM_RSRC2:TGID_Y_EN: 0
; COMPUTE_PGM_RSRC2:TGID_Z_EN: 0
; COMPUTE_PGM_RSRC2:TIDIG_COMP_CNT: 0
	.section	.text._ZN7rocprim17ROCPRIM_400000_NS6detail17trampoline_kernelINS0_14default_configENS1_22reduce_config_selectorIbEEZNS1_11reduce_implILb1ES3_N6hipcub16HIPCUB_304000_NS22TransformInputIteratorIbN2at6native12_GLOBAL__N_19NonZeroOpIN3c108BFloat16EEEPKSF_lEEPiiNS8_6detail34convert_binary_result_type_wrapperINS8_3SumESJ_iEEEE10hipError_tPvRmT1_T2_T3_mT4_P12ihipStream_tbEUlT_E0_NS1_11comp_targetILNS1_3genE10ELNS1_11target_archE1201ELNS1_3gpuE5ELNS1_3repE0EEENS1_30default_config_static_selectorELNS0_4arch9wavefront6targetE0EEEvSS_,"axG",@progbits,_ZN7rocprim17ROCPRIM_400000_NS6detail17trampoline_kernelINS0_14default_configENS1_22reduce_config_selectorIbEEZNS1_11reduce_implILb1ES3_N6hipcub16HIPCUB_304000_NS22TransformInputIteratorIbN2at6native12_GLOBAL__N_19NonZeroOpIN3c108BFloat16EEEPKSF_lEEPiiNS8_6detail34convert_binary_result_type_wrapperINS8_3SumESJ_iEEEE10hipError_tPvRmT1_T2_T3_mT4_P12ihipStream_tbEUlT_E0_NS1_11comp_targetILNS1_3genE10ELNS1_11target_archE1201ELNS1_3gpuE5ELNS1_3repE0EEENS1_30default_config_static_selectorELNS0_4arch9wavefront6targetE0EEEvSS_,comdat
	.globl	_ZN7rocprim17ROCPRIM_400000_NS6detail17trampoline_kernelINS0_14default_configENS1_22reduce_config_selectorIbEEZNS1_11reduce_implILb1ES3_N6hipcub16HIPCUB_304000_NS22TransformInputIteratorIbN2at6native12_GLOBAL__N_19NonZeroOpIN3c108BFloat16EEEPKSF_lEEPiiNS8_6detail34convert_binary_result_type_wrapperINS8_3SumESJ_iEEEE10hipError_tPvRmT1_T2_T3_mT4_P12ihipStream_tbEUlT_E0_NS1_11comp_targetILNS1_3genE10ELNS1_11target_archE1201ELNS1_3gpuE5ELNS1_3repE0EEENS1_30default_config_static_selectorELNS0_4arch9wavefront6targetE0EEEvSS_ ; -- Begin function _ZN7rocprim17ROCPRIM_400000_NS6detail17trampoline_kernelINS0_14default_configENS1_22reduce_config_selectorIbEEZNS1_11reduce_implILb1ES3_N6hipcub16HIPCUB_304000_NS22TransformInputIteratorIbN2at6native12_GLOBAL__N_19NonZeroOpIN3c108BFloat16EEEPKSF_lEEPiiNS8_6detail34convert_binary_result_type_wrapperINS8_3SumESJ_iEEEE10hipError_tPvRmT1_T2_T3_mT4_P12ihipStream_tbEUlT_E0_NS1_11comp_targetILNS1_3genE10ELNS1_11target_archE1201ELNS1_3gpuE5ELNS1_3repE0EEENS1_30default_config_static_selectorELNS0_4arch9wavefront6targetE0EEEvSS_
	.p2align	8
	.type	_ZN7rocprim17ROCPRIM_400000_NS6detail17trampoline_kernelINS0_14default_configENS1_22reduce_config_selectorIbEEZNS1_11reduce_implILb1ES3_N6hipcub16HIPCUB_304000_NS22TransformInputIteratorIbN2at6native12_GLOBAL__N_19NonZeroOpIN3c108BFloat16EEEPKSF_lEEPiiNS8_6detail34convert_binary_result_type_wrapperINS8_3SumESJ_iEEEE10hipError_tPvRmT1_T2_T3_mT4_P12ihipStream_tbEUlT_E0_NS1_11comp_targetILNS1_3genE10ELNS1_11target_archE1201ELNS1_3gpuE5ELNS1_3repE0EEENS1_30default_config_static_selectorELNS0_4arch9wavefront6targetE0EEEvSS_,@function
_ZN7rocprim17ROCPRIM_400000_NS6detail17trampoline_kernelINS0_14default_configENS1_22reduce_config_selectorIbEEZNS1_11reduce_implILb1ES3_N6hipcub16HIPCUB_304000_NS22TransformInputIteratorIbN2at6native12_GLOBAL__N_19NonZeroOpIN3c108BFloat16EEEPKSF_lEEPiiNS8_6detail34convert_binary_result_type_wrapperINS8_3SumESJ_iEEEE10hipError_tPvRmT1_T2_T3_mT4_P12ihipStream_tbEUlT_E0_NS1_11comp_targetILNS1_3genE10ELNS1_11target_archE1201ELNS1_3gpuE5ELNS1_3repE0EEENS1_30default_config_static_selectorELNS0_4arch9wavefront6targetE0EEEvSS_: ; @_ZN7rocprim17ROCPRIM_400000_NS6detail17trampoline_kernelINS0_14default_configENS1_22reduce_config_selectorIbEEZNS1_11reduce_implILb1ES3_N6hipcub16HIPCUB_304000_NS22TransformInputIteratorIbN2at6native12_GLOBAL__N_19NonZeroOpIN3c108BFloat16EEEPKSF_lEEPiiNS8_6detail34convert_binary_result_type_wrapperINS8_3SumESJ_iEEEE10hipError_tPvRmT1_T2_T3_mT4_P12ihipStream_tbEUlT_E0_NS1_11comp_targetILNS1_3genE10ELNS1_11target_archE1201ELNS1_3gpuE5ELNS1_3repE0EEENS1_30default_config_static_selectorELNS0_4arch9wavefront6targetE0EEEvSS_
; %bb.0:
	.section	.rodata,"a",@progbits
	.p2align	6, 0x0
	.amdhsa_kernel _ZN7rocprim17ROCPRIM_400000_NS6detail17trampoline_kernelINS0_14default_configENS1_22reduce_config_selectorIbEEZNS1_11reduce_implILb1ES3_N6hipcub16HIPCUB_304000_NS22TransformInputIteratorIbN2at6native12_GLOBAL__N_19NonZeroOpIN3c108BFloat16EEEPKSF_lEEPiiNS8_6detail34convert_binary_result_type_wrapperINS8_3SumESJ_iEEEE10hipError_tPvRmT1_T2_T3_mT4_P12ihipStream_tbEUlT_E0_NS1_11comp_targetILNS1_3genE10ELNS1_11target_archE1201ELNS1_3gpuE5ELNS1_3repE0EEENS1_30default_config_static_selectorELNS0_4arch9wavefront6targetE0EEEvSS_
		.amdhsa_group_segment_fixed_size 0
		.amdhsa_private_segment_fixed_size 0
		.amdhsa_kernarg_size 64
		.amdhsa_user_sgpr_count 15
		.amdhsa_user_sgpr_dispatch_ptr 0
		.amdhsa_user_sgpr_queue_ptr 0
		.amdhsa_user_sgpr_kernarg_segment_ptr 1
		.amdhsa_user_sgpr_dispatch_id 0
		.amdhsa_user_sgpr_private_segment_size 0
		.amdhsa_wavefront_size32 1
		.amdhsa_uses_dynamic_stack 0
		.amdhsa_enable_private_segment 0
		.amdhsa_system_sgpr_workgroup_id_x 1
		.amdhsa_system_sgpr_workgroup_id_y 0
		.amdhsa_system_sgpr_workgroup_id_z 0
		.amdhsa_system_sgpr_workgroup_info 0
		.amdhsa_system_vgpr_workitem_id 0
		.amdhsa_next_free_vgpr 1
		.amdhsa_next_free_sgpr 1
		.amdhsa_reserve_vcc 0
		.amdhsa_float_round_mode_32 0
		.amdhsa_float_round_mode_16_64 0
		.amdhsa_float_denorm_mode_32 3
		.amdhsa_float_denorm_mode_16_64 3
		.amdhsa_dx10_clamp 1
		.amdhsa_ieee_mode 1
		.amdhsa_fp16_overflow 0
		.amdhsa_workgroup_processor_mode 1
		.amdhsa_memory_ordered 1
		.amdhsa_forward_progress 0
		.amdhsa_shared_vgpr_count 0
		.amdhsa_exception_fp_ieee_invalid_op 0
		.amdhsa_exception_fp_denorm_src 0
		.amdhsa_exception_fp_ieee_div_zero 0
		.amdhsa_exception_fp_ieee_overflow 0
		.amdhsa_exception_fp_ieee_underflow 0
		.amdhsa_exception_fp_ieee_inexact 0
		.amdhsa_exception_int_div_zero 0
	.end_amdhsa_kernel
	.section	.text._ZN7rocprim17ROCPRIM_400000_NS6detail17trampoline_kernelINS0_14default_configENS1_22reduce_config_selectorIbEEZNS1_11reduce_implILb1ES3_N6hipcub16HIPCUB_304000_NS22TransformInputIteratorIbN2at6native12_GLOBAL__N_19NonZeroOpIN3c108BFloat16EEEPKSF_lEEPiiNS8_6detail34convert_binary_result_type_wrapperINS8_3SumESJ_iEEEE10hipError_tPvRmT1_T2_T3_mT4_P12ihipStream_tbEUlT_E0_NS1_11comp_targetILNS1_3genE10ELNS1_11target_archE1201ELNS1_3gpuE5ELNS1_3repE0EEENS1_30default_config_static_selectorELNS0_4arch9wavefront6targetE0EEEvSS_,"axG",@progbits,_ZN7rocprim17ROCPRIM_400000_NS6detail17trampoline_kernelINS0_14default_configENS1_22reduce_config_selectorIbEEZNS1_11reduce_implILb1ES3_N6hipcub16HIPCUB_304000_NS22TransformInputIteratorIbN2at6native12_GLOBAL__N_19NonZeroOpIN3c108BFloat16EEEPKSF_lEEPiiNS8_6detail34convert_binary_result_type_wrapperINS8_3SumESJ_iEEEE10hipError_tPvRmT1_T2_T3_mT4_P12ihipStream_tbEUlT_E0_NS1_11comp_targetILNS1_3genE10ELNS1_11target_archE1201ELNS1_3gpuE5ELNS1_3repE0EEENS1_30default_config_static_selectorELNS0_4arch9wavefront6targetE0EEEvSS_,comdat
.Lfunc_end785:
	.size	_ZN7rocprim17ROCPRIM_400000_NS6detail17trampoline_kernelINS0_14default_configENS1_22reduce_config_selectorIbEEZNS1_11reduce_implILb1ES3_N6hipcub16HIPCUB_304000_NS22TransformInputIteratorIbN2at6native12_GLOBAL__N_19NonZeroOpIN3c108BFloat16EEEPKSF_lEEPiiNS8_6detail34convert_binary_result_type_wrapperINS8_3SumESJ_iEEEE10hipError_tPvRmT1_T2_T3_mT4_P12ihipStream_tbEUlT_E0_NS1_11comp_targetILNS1_3genE10ELNS1_11target_archE1201ELNS1_3gpuE5ELNS1_3repE0EEENS1_30default_config_static_selectorELNS0_4arch9wavefront6targetE0EEEvSS_, .Lfunc_end785-_ZN7rocprim17ROCPRIM_400000_NS6detail17trampoline_kernelINS0_14default_configENS1_22reduce_config_selectorIbEEZNS1_11reduce_implILb1ES3_N6hipcub16HIPCUB_304000_NS22TransformInputIteratorIbN2at6native12_GLOBAL__N_19NonZeroOpIN3c108BFloat16EEEPKSF_lEEPiiNS8_6detail34convert_binary_result_type_wrapperINS8_3SumESJ_iEEEE10hipError_tPvRmT1_T2_T3_mT4_P12ihipStream_tbEUlT_E0_NS1_11comp_targetILNS1_3genE10ELNS1_11target_archE1201ELNS1_3gpuE5ELNS1_3repE0EEENS1_30default_config_static_selectorELNS0_4arch9wavefront6targetE0EEEvSS_
                                        ; -- End function
	.section	.AMDGPU.csdata,"",@progbits
; Kernel info:
; codeLenInByte = 0
; NumSgprs: 0
; NumVgprs: 0
; ScratchSize: 0
; MemoryBound: 0
; FloatMode: 240
; IeeeMode: 1
; LDSByteSize: 0 bytes/workgroup (compile time only)
; SGPRBlocks: 0
; VGPRBlocks: 0
; NumSGPRsForWavesPerEU: 1
; NumVGPRsForWavesPerEU: 1
; Occupancy: 16
; WaveLimiterHint : 0
; COMPUTE_PGM_RSRC2:SCRATCH_EN: 0
; COMPUTE_PGM_RSRC2:USER_SGPR: 15
; COMPUTE_PGM_RSRC2:TRAP_HANDLER: 0
; COMPUTE_PGM_RSRC2:TGID_X_EN: 1
; COMPUTE_PGM_RSRC2:TGID_Y_EN: 0
; COMPUTE_PGM_RSRC2:TGID_Z_EN: 0
; COMPUTE_PGM_RSRC2:TIDIG_COMP_CNT: 0
	.section	.text._ZN7rocprim17ROCPRIM_400000_NS6detail17trampoline_kernelINS0_14default_configENS1_22reduce_config_selectorIbEEZNS1_11reduce_implILb1ES3_N6hipcub16HIPCUB_304000_NS22TransformInputIteratorIbN2at6native12_GLOBAL__N_19NonZeroOpIN3c108BFloat16EEEPKSF_lEEPiiNS8_6detail34convert_binary_result_type_wrapperINS8_3SumESJ_iEEEE10hipError_tPvRmT1_T2_T3_mT4_P12ihipStream_tbEUlT_E0_NS1_11comp_targetILNS1_3genE10ELNS1_11target_archE1200ELNS1_3gpuE4ELNS1_3repE0EEENS1_30default_config_static_selectorELNS0_4arch9wavefront6targetE0EEEvSS_,"axG",@progbits,_ZN7rocprim17ROCPRIM_400000_NS6detail17trampoline_kernelINS0_14default_configENS1_22reduce_config_selectorIbEEZNS1_11reduce_implILb1ES3_N6hipcub16HIPCUB_304000_NS22TransformInputIteratorIbN2at6native12_GLOBAL__N_19NonZeroOpIN3c108BFloat16EEEPKSF_lEEPiiNS8_6detail34convert_binary_result_type_wrapperINS8_3SumESJ_iEEEE10hipError_tPvRmT1_T2_T3_mT4_P12ihipStream_tbEUlT_E0_NS1_11comp_targetILNS1_3genE10ELNS1_11target_archE1200ELNS1_3gpuE4ELNS1_3repE0EEENS1_30default_config_static_selectorELNS0_4arch9wavefront6targetE0EEEvSS_,comdat
	.globl	_ZN7rocprim17ROCPRIM_400000_NS6detail17trampoline_kernelINS0_14default_configENS1_22reduce_config_selectorIbEEZNS1_11reduce_implILb1ES3_N6hipcub16HIPCUB_304000_NS22TransformInputIteratorIbN2at6native12_GLOBAL__N_19NonZeroOpIN3c108BFloat16EEEPKSF_lEEPiiNS8_6detail34convert_binary_result_type_wrapperINS8_3SumESJ_iEEEE10hipError_tPvRmT1_T2_T3_mT4_P12ihipStream_tbEUlT_E0_NS1_11comp_targetILNS1_3genE10ELNS1_11target_archE1200ELNS1_3gpuE4ELNS1_3repE0EEENS1_30default_config_static_selectorELNS0_4arch9wavefront6targetE0EEEvSS_ ; -- Begin function _ZN7rocprim17ROCPRIM_400000_NS6detail17trampoline_kernelINS0_14default_configENS1_22reduce_config_selectorIbEEZNS1_11reduce_implILb1ES3_N6hipcub16HIPCUB_304000_NS22TransformInputIteratorIbN2at6native12_GLOBAL__N_19NonZeroOpIN3c108BFloat16EEEPKSF_lEEPiiNS8_6detail34convert_binary_result_type_wrapperINS8_3SumESJ_iEEEE10hipError_tPvRmT1_T2_T3_mT4_P12ihipStream_tbEUlT_E0_NS1_11comp_targetILNS1_3genE10ELNS1_11target_archE1200ELNS1_3gpuE4ELNS1_3repE0EEENS1_30default_config_static_selectorELNS0_4arch9wavefront6targetE0EEEvSS_
	.p2align	8
	.type	_ZN7rocprim17ROCPRIM_400000_NS6detail17trampoline_kernelINS0_14default_configENS1_22reduce_config_selectorIbEEZNS1_11reduce_implILb1ES3_N6hipcub16HIPCUB_304000_NS22TransformInputIteratorIbN2at6native12_GLOBAL__N_19NonZeroOpIN3c108BFloat16EEEPKSF_lEEPiiNS8_6detail34convert_binary_result_type_wrapperINS8_3SumESJ_iEEEE10hipError_tPvRmT1_T2_T3_mT4_P12ihipStream_tbEUlT_E0_NS1_11comp_targetILNS1_3genE10ELNS1_11target_archE1200ELNS1_3gpuE4ELNS1_3repE0EEENS1_30default_config_static_selectorELNS0_4arch9wavefront6targetE0EEEvSS_,@function
_ZN7rocprim17ROCPRIM_400000_NS6detail17trampoline_kernelINS0_14default_configENS1_22reduce_config_selectorIbEEZNS1_11reduce_implILb1ES3_N6hipcub16HIPCUB_304000_NS22TransformInputIteratorIbN2at6native12_GLOBAL__N_19NonZeroOpIN3c108BFloat16EEEPKSF_lEEPiiNS8_6detail34convert_binary_result_type_wrapperINS8_3SumESJ_iEEEE10hipError_tPvRmT1_T2_T3_mT4_P12ihipStream_tbEUlT_E0_NS1_11comp_targetILNS1_3genE10ELNS1_11target_archE1200ELNS1_3gpuE4ELNS1_3repE0EEENS1_30default_config_static_selectorELNS0_4arch9wavefront6targetE0EEEvSS_: ; @_ZN7rocprim17ROCPRIM_400000_NS6detail17trampoline_kernelINS0_14default_configENS1_22reduce_config_selectorIbEEZNS1_11reduce_implILb1ES3_N6hipcub16HIPCUB_304000_NS22TransformInputIteratorIbN2at6native12_GLOBAL__N_19NonZeroOpIN3c108BFloat16EEEPKSF_lEEPiiNS8_6detail34convert_binary_result_type_wrapperINS8_3SumESJ_iEEEE10hipError_tPvRmT1_T2_T3_mT4_P12ihipStream_tbEUlT_E0_NS1_11comp_targetILNS1_3genE10ELNS1_11target_archE1200ELNS1_3gpuE4ELNS1_3repE0EEENS1_30default_config_static_selectorELNS0_4arch9wavefront6targetE0EEEvSS_
; %bb.0:
	.section	.rodata,"a",@progbits
	.p2align	6, 0x0
	.amdhsa_kernel _ZN7rocprim17ROCPRIM_400000_NS6detail17trampoline_kernelINS0_14default_configENS1_22reduce_config_selectorIbEEZNS1_11reduce_implILb1ES3_N6hipcub16HIPCUB_304000_NS22TransformInputIteratorIbN2at6native12_GLOBAL__N_19NonZeroOpIN3c108BFloat16EEEPKSF_lEEPiiNS8_6detail34convert_binary_result_type_wrapperINS8_3SumESJ_iEEEE10hipError_tPvRmT1_T2_T3_mT4_P12ihipStream_tbEUlT_E0_NS1_11comp_targetILNS1_3genE10ELNS1_11target_archE1200ELNS1_3gpuE4ELNS1_3repE0EEENS1_30default_config_static_selectorELNS0_4arch9wavefront6targetE0EEEvSS_
		.amdhsa_group_segment_fixed_size 0
		.amdhsa_private_segment_fixed_size 0
		.amdhsa_kernarg_size 64
		.amdhsa_user_sgpr_count 15
		.amdhsa_user_sgpr_dispatch_ptr 0
		.amdhsa_user_sgpr_queue_ptr 0
		.amdhsa_user_sgpr_kernarg_segment_ptr 1
		.amdhsa_user_sgpr_dispatch_id 0
		.amdhsa_user_sgpr_private_segment_size 0
		.amdhsa_wavefront_size32 1
		.amdhsa_uses_dynamic_stack 0
		.amdhsa_enable_private_segment 0
		.amdhsa_system_sgpr_workgroup_id_x 1
		.amdhsa_system_sgpr_workgroup_id_y 0
		.amdhsa_system_sgpr_workgroup_id_z 0
		.amdhsa_system_sgpr_workgroup_info 0
		.amdhsa_system_vgpr_workitem_id 0
		.amdhsa_next_free_vgpr 1
		.amdhsa_next_free_sgpr 1
		.amdhsa_reserve_vcc 0
		.amdhsa_float_round_mode_32 0
		.amdhsa_float_round_mode_16_64 0
		.amdhsa_float_denorm_mode_32 3
		.amdhsa_float_denorm_mode_16_64 3
		.amdhsa_dx10_clamp 1
		.amdhsa_ieee_mode 1
		.amdhsa_fp16_overflow 0
		.amdhsa_workgroup_processor_mode 1
		.amdhsa_memory_ordered 1
		.amdhsa_forward_progress 0
		.amdhsa_shared_vgpr_count 0
		.amdhsa_exception_fp_ieee_invalid_op 0
		.amdhsa_exception_fp_denorm_src 0
		.amdhsa_exception_fp_ieee_div_zero 0
		.amdhsa_exception_fp_ieee_overflow 0
		.amdhsa_exception_fp_ieee_underflow 0
		.amdhsa_exception_fp_ieee_inexact 0
		.amdhsa_exception_int_div_zero 0
	.end_amdhsa_kernel
	.section	.text._ZN7rocprim17ROCPRIM_400000_NS6detail17trampoline_kernelINS0_14default_configENS1_22reduce_config_selectorIbEEZNS1_11reduce_implILb1ES3_N6hipcub16HIPCUB_304000_NS22TransformInputIteratorIbN2at6native12_GLOBAL__N_19NonZeroOpIN3c108BFloat16EEEPKSF_lEEPiiNS8_6detail34convert_binary_result_type_wrapperINS8_3SumESJ_iEEEE10hipError_tPvRmT1_T2_T3_mT4_P12ihipStream_tbEUlT_E0_NS1_11comp_targetILNS1_3genE10ELNS1_11target_archE1200ELNS1_3gpuE4ELNS1_3repE0EEENS1_30default_config_static_selectorELNS0_4arch9wavefront6targetE0EEEvSS_,"axG",@progbits,_ZN7rocprim17ROCPRIM_400000_NS6detail17trampoline_kernelINS0_14default_configENS1_22reduce_config_selectorIbEEZNS1_11reduce_implILb1ES3_N6hipcub16HIPCUB_304000_NS22TransformInputIteratorIbN2at6native12_GLOBAL__N_19NonZeroOpIN3c108BFloat16EEEPKSF_lEEPiiNS8_6detail34convert_binary_result_type_wrapperINS8_3SumESJ_iEEEE10hipError_tPvRmT1_T2_T3_mT4_P12ihipStream_tbEUlT_E0_NS1_11comp_targetILNS1_3genE10ELNS1_11target_archE1200ELNS1_3gpuE4ELNS1_3repE0EEENS1_30default_config_static_selectorELNS0_4arch9wavefront6targetE0EEEvSS_,comdat
.Lfunc_end786:
	.size	_ZN7rocprim17ROCPRIM_400000_NS6detail17trampoline_kernelINS0_14default_configENS1_22reduce_config_selectorIbEEZNS1_11reduce_implILb1ES3_N6hipcub16HIPCUB_304000_NS22TransformInputIteratorIbN2at6native12_GLOBAL__N_19NonZeroOpIN3c108BFloat16EEEPKSF_lEEPiiNS8_6detail34convert_binary_result_type_wrapperINS8_3SumESJ_iEEEE10hipError_tPvRmT1_T2_T3_mT4_P12ihipStream_tbEUlT_E0_NS1_11comp_targetILNS1_3genE10ELNS1_11target_archE1200ELNS1_3gpuE4ELNS1_3repE0EEENS1_30default_config_static_selectorELNS0_4arch9wavefront6targetE0EEEvSS_, .Lfunc_end786-_ZN7rocprim17ROCPRIM_400000_NS6detail17trampoline_kernelINS0_14default_configENS1_22reduce_config_selectorIbEEZNS1_11reduce_implILb1ES3_N6hipcub16HIPCUB_304000_NS22TransformInputIteratorIbN2at6native12_GLOBAL__N_19NonZeroOpIN3c108BFloat16EEEPKSF_lEEPiiNS8_6detail34convert_binary_result_type_wrapperINS8_3SumESJ_iEEEE10hipError_tPvRmT1_T2_T3_mT4_P12ihipStream_tbEUlT_E0_NS1_11comp_targetILNS1_3genE10ELNS1_11target_archE1200ELNS1_3gpuE4ELNS1_3repE0EEENS1_30default_config_static_selectorELNS0_4arch9wavefront6targetE0EEEvSS_
                                        ; -- End function
	.section	.AMDGPU.csdata,"",@progbits
; Kernel info:
; codeLenInByte = 0
; NumSgprs: 0
; NumVgprs: 0
; ScratchSize: 0
; MemoryBound: 0
; FloatMode: 240
; IeeeMode: 1
; LDSByteSize: 0 bytes/workgroup (compile time only)
; SGPRBlocks: 0
; VGPRBlocks: 0
; NumSGPRsForWavesPerEU: 1
; NumVGPRsForWavesPerEU: 1
; Occupancy: 16
; WaveLimiterHint : 0
; COMPUTE_PGM_RSRC2:SCRATCH_EN: 0
; COMPUTE_PGM_RSRC2:USER_SGPR: 15
; COMPUTE_PGM_RSRC2:TRAP_HANDLER: 0
; COMPUTE_PGM_RSRC2:TGID_X_EN: 1
; COMPUTE_PGM_RSRC2:TGID_Y_EN: 0
; COMPUTE_PGM_RSRC2:TGID_Z_EN: 0
; COMPUTE_PGM_RSRC2:TIDIG_COMP_CNT: 0
	.section	.text._ZN7rocprim17ROCPRIM_400000_NS6detail17trampoline_kernelINS0_14default_configENS1_22reduce_config_selectorIbEEZNS1_11reduce_implILb1ES3_N6hipcub16HIPCUB_304000_NS22TransformInputIteratorIbN2at6native12_GLOBAL__N_19NonZeroOpIN3c108BFloat16EEEPKSF_lEEPiiNS8_6detail34convert_binary_result_type_wrapperINS8_3SumESJ_iEEEE10hipError_tPvRmT1_T2_T3_mT4_P12ihipStream_tbEUlT_E0_NS1_11comp_targetILNS1_3genE9ELNS1_11target_archE1100ELNS1_3gpuE3ELNS1_3repE0EEENS1_30default_config_static_selectorELNS0_4arch9wavefront6targetE0EEEvSS_,"axG",@progbits,_ZN7rocprim17ROCPRIM_400000_NS6detail17trampoline_kernelINS0_14default_configENS1_22reduce_config_selectorIbEEZNS1_11reduce_implILb1ES3_N6hipcub16HIPCUB_304000_NS22TransformInputIteratorIbN2at6native12_GLOBAL__N_19NonZeroOpIN3c108BFloat16EEEPKSF_lEEPiiNS8_6detail34convert_binary_result_type_wrapperINS8_3SumESJ_iEEEE10hipError_tPvRmT1_T2_T3_mT4_P12ihipStream_tbEUlT_E0_NS1_11comp_targetILNS1_3genE9ELNS1_11target_archE1100ELNS1_3gpuE3ELNS1_3repE0EEENS1_30default_config_static_selectorELNS0_4arch9wavefront6targetE0EEEvSS_,comdat
	.globl	_ZN7rocprim17ROCPRIM_400000_NS6detail17trampoline_kernelINS0_14default_configENS1_22reduce_config_selectorIbEEZNS1_11reduce_implILb1ES3_N6hipcub16HIPCUB_304000_NS22TransformInputIteratorIbN2at6native12_GLOBAL__N_19NonZeroOpIN3c108BFloat16EEEPKSF_lEEPiiNS8_6detail34convert_binary_result_type_wrapperINS8_3SumESJ_iEEEE10hipError_tPvRmT1_T2_T3_mT4_P12ihipStream_tbEUlT_E0_NS1_11comp_targetILNS1_3genE9ELNS1_11target_archE1100ELNS1_3gpuE3ELNS1_3repE0EEENS1_30default_config_static_selectorELNS0_4arch9wavefront6targetE0EEEvSS_ ; -- Begin function _ZN7rocprim17ROCPRIM_400000_NS6detail17trampoline_kernelINS0_14default_configENS1_22reduce_config_selectorIbEEZNS1_11reduce_implILb1ES3_N6hipcub16HIPCUB_304000_NS22TransformInputIteratorIbN2at6native12_GLOBAL__N_19NonZeroOpIN3c108BFloat16EEEPKSF_lEEPiiNS8_6detail34convert_binary_result_type_wrapperINS8_3SumESJ_iEEEE10hipError_tPvRmT1_T2_T3_mT4_P12ihipStream_tbEUlT_E0_NS1_11comp_targetILNS1_3genE9ELNS1_11target_archE1100ELNS1_3gpuE3ELNS1_3repE0EEENS1_30default_config_static_selectorELNS0_4arch9wavefront6targetE0EEEvSS_
	.p2align	8
	.type	_ZN7rocprim17ROCPRIM_400000_NS6detail17trampoline_kernelINS0_14default_configENS1_22reduce_config_selectorIbEEZNS1_11reduce_implILb1ES3_N6hipcub16HIPCUB_304000_NS22TransformInputIteratorIbN2at6native12_GLOBAL__N_19NonZeroOpIN3c108BFloat16EEEPKSF_lEEPiiNS8_6detail34convert_binary_result_type_wrapperINS8_3SumESJ_iEEEE10hipError_tPvRmT1_T2_T3_mT4_P12ihipStream_tbEUlT_E0_NS1_11comp_targetILNS1_3genE9ELNS1_11target_archE1100ELNS1_3gpuE3ELNS1_3repE0EEENS1_30default_config_static_selectorELNS0_4arch9wavefront6targetE0EEEvSS_,@function
_ZN7rocprim17ROCPRIM_400000_NS6detail17trampoline_kernelINS0_14default_configENS1_22reduce_config_selectorIbEEZNS1_11reduce_implILb1ES3_N6hipcub16HIPCUB_304000_NS22TransformInputIteratorIbN2at6native12_GLOBAL__N_19NonZeroOpIN3c108BFloat16EEEPKSF_lEEPiiNS8_6detail34convert_binary_result_type_wrapperINS8_3SumESJ_iEEEE10hipError_tPvRmT1_T2_T3_mT4_P12ihipStream_tbEUlT_E0_NS1_11comp_targetILNS1_3genE9ELNS1_11target_archE1100ELNS1_3gpuE3ELNS1_3repE0EEENS1_30default_config_static_selectorELNS0_4arch9wavefront6targetE0EEEvSS_: ; @_ZN7rocprim17ROCPRIM_400000_NS6detail17trampoline_kernelINS0_14default_configENS1_22reduce_config_selectorIbEEZNS1_11reduce_implILb1ES3_N6hipcub16HIPCUB_304000_NS22TransformInputIteratorIbN2at6native12_GLOBAL__N_19NonZeroOpIN3c108BFloat16EEEPKSF_lEEPiiNS8_6detail34convert_binary_result_type_wrapperINS8_3SumESJ_iEEEE10hipError_tPvRmT1_T2_T3_mT4_P12ihipStream_tbEUlT_E0_NS1_11comp_targetILNS1_3genE9ELNS1_11target_archE1100ELNS1_3gpuE3ELNS1_3repE0EEENS1_30default_config_static_selectorELNS0_4arch9wavefront6targetE0EEEvSS_
; %bb.0:
	s_clause 0x2
	s_load_b256 s[16:23], s[0:1], 0x10
	s_load_b64 s[4:5], s[0:1], 0x0
	s_load_b64 s[26:27], s[0:1], 0x30
	s_mov_b32 s3, 0
	v_lshlrev_b32_e32 v18, 1, v0
	v_mbcnt_lo_u32_b32 v17, -1, 0
	s_mov_b32 s24, s15
	s_mov_b32 s25, s3
	s_waitcnt lgkmcnt(0)
	s_lshl_b64 s[6:7], s[16:17], 1
	s_delay_alu instid0(SALU_CYCLE_1) | instskip(SKIP_4) | instid1(SALU_CYCLE_1)
	s_add_u32 s8, s4, s6
	s_addc_u32 s9, s5, s7
	s_lshl_b32 s2, s15, 11
	s_lshr_b64 s[6:7], s[18:19], 11
	s_lshl_b64 s[4:5], s[2:3], 1
	s_add_u32 s16, s8, s4
	s_addc_u32 s17, s9, s5
	s_cmp_lg_u64 s[6:7], s[24:25]
	s_cbranch_scc0 .LBB787_6
; %bb.1:
	s_clause 0xf
	global_load_u16 v1, v18, s[16:17]
	global_load_u16 v2, v18, s[16:17] offset:256
	global_load_u16 v3, v18, s[16:17] offset:512
	;; [unrolled: 1-line block ×15, first 2 shown]
	s_mov_b32 s3, exec_lo
	s_waitcnt vmcnt(15)
	v_and_b32_e32 v1, 0x7fff, v1
	s_waitcnt vmcnt(14)
	v_and_b32_e32 v2, 0x7fff, v2
	;; [unrolled: 2-line block ×5, first 2 shown]
	v_cmp_ne_u16_e32 vcc_lo, 0, v1
	s_waitcnt vmcnt(9)
	v_and_b32_e32 v7, 0x7fff, v7
	v_and_b32_e32 v6, 0x7fff, v6
	s_waitcnt vmcnt(7)
	v_and_b32_e32 v9, 0x7fff, v9
	v_and_b32_e32 v8, 0x7fff, v8
	v_cndmask_b32_e64 v1, 0, 1, vcc_lo
	v_cmp_ne_u16_e32 vcc_lo, 0, v3
	s_waitcnt vmcnt(5)
	v_and_b32_e32 v11, 0x7fff, v11
	v_and_b32_e32 v10, 0x7fff, v10
	s_waitcnt vmcnt(3)
	v_and_b32_e32 v13, 0x7fff, v13
	v_and_b32_e32 v12, 0x7fff, v12
	v_cndmask_b32_e64 v3, 0, 1, vcc_lo
	v_cmp_ne_u16_e32 vcc_lo, 0, v2
	s_waitcnt vmcnt(1)
	v_and_b32_e32 v15, 0x7fff, v15
	v_and_b32_e32 v14, 0x7fff, v14
	s_waitcnt vmcnt(0)
	v_and_b32_e32 v16, 0x7fff, v16
	v_add_co_ci_u32_e32 v1, vcc_lo, 0, v1, vcc_lo
	v_cmp_ne_u16_e32 vcc_lo, 0, v5
	v_cndmask_b32_e64 v2, 0, 1, vcc_lo
	v_cmp_ne_u16_e32 vcc_lo, 0, v4
	s_delay_alu instid0(VALU_DEP_4) | instskip(SKIP_3) | instid1(VALU_DEP_4)
	v_add_co_ci_u32_e32 v1, vcc_lo, v1, v3, vcc_lo
	v_cmp_ne_u16_e32 vcc_lo, 0, v7
	v_cndmask_b32_e64 v3, 0, 1, vcc_lo
	v_cmp_ne_u16_e32 vcc_lo, 0, v6
	v_add_co_ci_u32_e32 v1, vcc_lo, v1, v2, vcc_lo
	v_cmp_ne_u16_e32 vcc_lo, 0, v9
	v_cndmask_b32_e64 v2, 0, 1, vcc_lo
	v_cmp_ne_u16_e32 vcc_lo, 0, v8
	s_delay_alu instid0(VALU_DEP_4) | instskip(SKIP_3) | instid1(VALU_DEP_4)
	v_add_co_ci_u32_e32 v1, vcc_lo, v1, v3, vcc_lo
	v_cmp_ne_u16_e32 vcc_lo, 0, v11
	v_cndmask_b32_e64 v3, 0, 1, vcc_lo
	v_cmp_ne_u16_e32 vcc_lo, 0, v10
	;; [unrolled: 9-line block ×3, first 2 shown]
	v_add_co_ci_u32_e32 v1, vcc_lo, v1, v2, vcc_lo
	v_cmp_ne_u16_e32 vcc_lo, 0, v16
	s_delay_alu instid0(VALU_DEP_2) | instskip(NEXT) | instid1(VALU_DEP_1)
	v_add_co_ci_u32_e32 v1, vcc_lo, v1, v3, vcc_lo
	v_mov_b32_dpp v2, v1 quad_perm:[1,0,3,2] row_mask:0xf bank_mask:0xf
	s_delay_alu instid0(VALU_DEP_1) | instskip(NEXT) | instid1(VALU_DEP_1)
	v_add_nc_u32_e32 v1, v1, v2
	v_mov_b32_dpp v2, v1 quad_perm:[2,3,0,1] row_mask:0xf bank_mask:0xf
	s_delay_alu instid0(VALU_DEP_1) | instskip(NEXT) | instid1(VALU_DEP_1)
	v_add_nc_u32_e32 v1, v1, v2
	v_mov_b32_dpp v2, v1 row_ror:4 row_mask:0xf bank_mask:0xf
	s_delay_alu instid0(VALU_DEP_1) | instskip(NEXT) | instid1(VALU_DEP_1)
	v_add_nc_u32_e32 v1, v1, v2
	v_mov_b32_dpp v2, v1 row_ror:8 row_mask:0xf bank_mask:0xf
	s_delay_alu instid0(VALU_DEP_1)
	v_add_nc_u32_e32 v1, v1, v2
	ds_swizzle_b32 v2, v1 offset:swizzle(BROADCAST,32,15)
	s_waitcnt lgkmcnt(0)
	v_dual_mov_b32 v2, 0 :: v_dual_add_nc_u32 v1, v1, v2
	ds_bpermute_b32 v1, v2, v1 offset:124
	v_cmpx_eq_u32_e32 0, v17
	s_cbranch_execz .LBB787_3
; %bb.2:
	v_lshrrev_b32_e32 v2, 3, v0
	s_delay_alu instid0(VALU_DEP_1)
	v_and_b32_e32 v2, 12, v2
	s_waitcnt lgkmcnt(0)
	ds_store_b32 v2, v1
.LBB787_3:
	s_or_b32 exec_lo, exec_lo, s3
	s_delay_alu instid0(SALU_CYCLE_1)
	s_mov_b32 s3, exec_lo
	s_waitcnt lgkmcnt(0)
	s_barrier
	buffer_gl0_inv
	v_cmpx_gt_u32_e32 32, v0
	s_cbranch_execz .LBB787_5
; %bb.4:
	v_and_b32_e32 v1, 3, v17
	s_delay_alu instid0(VALU_DEP_1) | instskip(SKIP_4) | instid1(VALU_DEP_2)
	v_lshlrev_b32_e32 v2, 2, v1
	v_cmp_ne_u32_e32 vcc_lo, 3, v1
	ds_load_b32 v2, v2
	v_add_co_ci_u32_e32 v3, vcc_lo, 0, v17, vcc_lo
	v_cmp_gt_u32_e32 vcc_lo, 2, v1
	v_lshlrev_b32_e32 v3, 2, v3
	v_cndmask_b32_e64 v1, 0, 1, vcc_lo
	s_delay_alu instid0(VALU_DEP_1) | instskip(NEXT) | instid1(VALU_DEP_1)
	v_lshlrev_b32_e32 v1, 1, v1
	v_add_lshl_u32 v1, v1, v17, 2
	s_waitcnt lgkmcnt(0)
	ds_bpermute_b32 v3, v3, v2
	s_waitcnt lgkmcnt(0)
	v_add_nc_u32_e32 v2, v3, v2
	ds_bpermute_b32 v1, v1, v2
	s_waitcnt lgkmcnt(0)
	v_add_nc_u32_e32 v1, v1, v2
.LBB787_5:
	s_or_b32 exec_lo, exec_lo, s3
	s_branch .LBB787_44
.LBB787_6:
                                        ; implicit-def: $vgpr1
	s_cbranch_execz .LBB787_44
; %bb.7:
	s_sub_i32 s28, s18, s2
	s_mov_b32 s2, exec_lo
                                        ; implicit-def: $vgpr1_vgpr2_vgpr3_vgpr4_vgpr5_vgpr6_vgpr7_vgpr8_vgpr9_vgpr10_vgpr11_vgpr12_vgpr13_vgpr14_vgpr15_vgpr16
	v_cmpx_gt_u32_e64 s28, v0
	s_cbranch_execz .LBB787_9
; %bb.8:
	global_load_u16 v1, v18, s[16:17]
	s_waitcnt vmcnt(0)
	v_and_b32_e32 v1, 0x7fff, v1
	s_delay_alu instid0(VALU_DEP_1)
	v_cmp_ne_u16_e32 vcc_lo, 0, v1
	v_cndmask_b32_e64 v1, 0, 1, vcc_lo
.LBB787_9:
	s_or_b32 exec_lo, exec_lo, s2
	v_or_b32_e32 v19, 0x80, v0
	s_delay_alu instid0(VALU_DEP_1)
	v_cmp_gt_u32_e32 vcc_lo, s28, v19
	s_and_saveexec_b32 s3, vcc_lo
	s_cbranch_execz .LBB787_11
; %bb.10:
	global_load_u16 v2, v18, s[16:17] offset:256
	s_waitcnt vmcnt(0)
	v_and_b32_e32 v2, 0x7fff, v2
	s_delay_alu instid0(VALU_DEP_1) | instskip(NEXT) | instid1(VALU_DEP_1)
	v_cmp_ne_u16_e64 s2, 0, v2
	v_cndmask_b32_e64 v2, 0, 1, s2
.LBB787_11:
	s_or_b32 exec_lo, exec_lo, s3
	v_or_b32_e32 v19, 0x100, v0
	s_delay_alu instid0(VALU_DEP_1) | instskip(NEXT) | instid1(VALU_DEP_1)
	v_cmp_gt_u32_e64 s2, s28, v19
	s_and_saveexec_b32 s4, s2
	s_cbranch_execz .LBB787_13
; %bb.12:
	global_load_u16 v3, v18, s[16:17] offset:512
	s_waitcnt vmcnt(0)
	v_and_b32_e32 v3, 0x7fff, v3
	s_delay_alu instid0(VALU_DEP_1) | instskip(NEXT) | instid1(VALU_DEP_1)
	v_cmp_ne_u16_e64 s3, 0, v3
	v_cndmask_b32_e64 v3, 0, 1, s3
.LBB787_13:
	s_or_b32 exec_lo, exec_lo, s4
	v_or_b32_e32 v19, 0x180, v0
	s_delay_alu instid0(VALU_DEP_1) | instskip(NEXT) | instid1(VALU_DEP_1)
	v_cmp_gt_u32_e64 s3, s28, v19
	s_and_saveexec_b32 s5, s3
	;; [unrolled: 14-line block ×14, first 2 shown]
	s_cbranch_execz .LBB787_39
; %bb.38:
	global_load_u16 v16, v18, s[16:17] offset:3840
	s_waitcnt vmcnt(0)
	v_and_b32_e32 v16, 0x7fff, v16
	s_delay_alu instid0(VALU_DEP_1) | instskip(NEXT) | instid1(VALU_DEP_1)
	v_cmp_ne_u16_e64 s16, 0, v16
	v_cndmask_b32_e64 v16, 0, 1, s16
.LBB787_39:
	s_or_b32 exec_lo, exec_lo, s29
	v_cndmask_b32_e32 v2, 0, v2, vcc_lo
	v_cndmask_b32_e64 v3, 0, v3, s2
	v_cndmask_b32_e64 v4, 0, v4, s3
	v_cmp_ne_u32_e32 vcc_lo, 31, v17
	s_min_u32 s2, s28, 0x80
	v_add_nc_u32_e32 v1, v2, v1
	v_cndmask_b32_e64 v2, 0, v5, s4
	v_cndmask_b32_e64 v5, 0, v6, s5
	;; [unrolled: 1-line block ×3, first 2 shown]
	s_mov_b32 s3, exec_lo
	v_add3_u32 v1, v1, v3, v4
	v_cndmask_b32_e64 v3, 0, v7, s6
	v_cndmask_b32_e64 v4, 0, v8, s7
	s_delay_alu instid0(VALU_DEP_3) | instskip(SKIP_2) | instid1(VALU_DEP_3)
	v_add3_u32 v1, v1, v2, v5
	v_cndmask_b32_e64 v2, 0, v9, s8
	v_cndmask_b32_e64 v5, 0, v10, s9
	v_add3_u32 v1, v1, v3, v4
	v_cndmask_b32_e64 v3, 0, v11, s10
	v_cndmask_b32_e64 v4, 0, v12, s11
	s_delay_alu instid0(VALU_DEP_3) | instskip(SKIP_2) | instid1(VALU_DEP_3)
	v_add3_u32 v1, v1, v2, v5
	v_cndmask_b32_e64 v2, 0, v13, s12
	v_cndmask_b32_e64 v5, 0, v14, s13
	v_add3_u32 v1, v1, v3, v4
	v_cndmask_b32_e64 v3, 0, v16, s15
	v_add_co_ci_u32_e32 v4, vcc_lo, 0, v17, vcc_lo
	v_cmp_gt_u32_e32 vcc_lo, 30, v17
	s_delay_alu instid0(VALU_DEP_4) | instskip(NEXT) | instid1(VALU_DEP_3)
	v_add3_u32 v1, v1, v2, v5
	v_lshlrev_b32_e32 v2, 2, v4
	v_add_nc_u32_e32 v4, 1, v17
	v_cndmask_b32_e64 v5, 0, 1, vcc_lo
	s_delay_alu instid0(VALU_DEP_4) | instskip(SKIP_1) | instid1(VALU_DEP_3)
	v_add3_u32 v1, v1, v6, v3
	v_and_b32_e32 v3, 0x60, v0
	v_lshlrev_b32_e32 v5, 1, v5
	ds_bpermute_b32 v2, v2, v1
	v_sub_nc_u32_e64 v3, s2, v3 clamp
	s_delay_alu instid0(VALU_DEP_1) | instskip(SKIP_4) | instid1(VALU_DEP_2)
	v_cmp_lt_u32_e32 vcc_lo, v4, v3
	v_add_lshl_u32 v4, v5, v17, 2
	s_waitcnt lgkmcnt(0)
	v_dual_cndmask_b32 v2, 0, v2 :: v_dual_add_nc_u32 v5, 2, v17
	v_cmp_gt_u32_e32 vcc_lo, 28, v17
	v_add_nc_u32_e32 v1, v1, v2
	ds_bpermute_b32 v2, v4, v1
	v_cndmask_b32_e64 v4, 0, 1, vcc_lo
	v_cmp_lt_u32_e32 vcc_lo, v5, v3
	v_add_nc_u32_e32 v5, 4, v17
	s_delay_alu instid0(VALU_DEP_3) | instskip(NEXT) | instid1(VALU_DEP_1)
	v_lshlrev_b32_e32 v4, 2, v4
	v_add_lshl_u32 v4, v4, v17, 2
	s_waitcnt lgkmcnt(0)
	v_cndmask_b32_e32 v2, 0, v2, vcc_lo
	v_cmp_gt_u32_e32 vcc_lo, 24, v17
	s_delay_alu instid0(VALU_DEP_2) | instskip(SKIP_4) | instid1(VALU_DEP_3)
	v_add_nc_u32_e32 v1, v1, v2
	ds_bpermute_b32 v2, v4, v1
	v_cndmask_b32_e64 v4, 0, 1, vcc_lo
	v_cmp_lt_u32_e32 vcc_lo, v5, v3
	v_add_nc_u32_e32 v5, 8, v17
	v_lshlrev_b32_e32 v4, 3, v4
	s_delay_alu instid0(VALU_DEP_1) | instskip(SKIP_3) | instid1(VALU_DEP_2)
	v_add_lshl_u32 v4, v4, v17, 2
	s_waitcnt lgkmcnt(0)
	v_cndmask_b32_e32 v2, 0, v2, vcc_lo
	v_cmp_gt_u32_e32 vcc_lo, 16, v17
	v_add_nc_u32_e32 v1, v1, v2
	ds_bpermute_b32 v2, v4, v1
	v_cndmask_b32_e64 v4, 0, 1, vcc_lo
	v_cmp_lt_u32_e32 vcc_lo, v5, v3
	s_delay_alu instid0(VALU_DEP_2) | instskip(NEXT) | instid1(VALU_DEP_1)
	v_lshlrev_b32_e32 v4, 4, v4
	v_add_lshl_u32 v4, v4, v17, 2
	s_waitcnt lgkmcnt(0)
	v_cndmask_b32_e32 v2, 0, v2, vcc_lo
	s_delay_alu instid0(VALU_DEP_1) | instskip(SKIP_2) | instid1(VALU_DEP_1)
	v_add_nc_u32_e32 v1, v1, v2
	ds_bpermute_b32 v2, v4, v1
	v_add_nc_u32_e32 v4, 16, v17
	v_cmp_lt_u32_e32 vcc_lo, v4, v3
	s_waitcnt lgkmcnt(0)
	v_cndmask_b32_e32 v2, 0, v2, vcc_lo
	s_delay_alu instid0(VALU_DEP_1)
	v_add_nc_u32_e32 v1, v1, v2
	v_cmpx_eq_u32_e32 0, v17
	s_cbranch_execz .LBB787_41
; %bb.40:
	v_lshrrev_b32_e32 v2, 3, v0
	s_delay_alu instid0(VALU_DEP_1)
	v_and_b32_e32 v2, 12, v2
	ds_store_b32 v2, v1 offset:16
.LBB787_41:
	s_or_b32 exec_lo, exec_lo, s3
	s_delay_alu instid0(SALU_CYCLE_1)
	s_mov_b32 s3, exec_lo
	s_waitcnt lgkmcnt(0)
	s_barrier
	buffer_gl0_inv
	v_cmpx_gt_u32_e32 4, v0
	s_cbranch_execz .LBB787_43
; %bb.42:
	v_lshlrev_b32_e32 v1, 2, v17
	v_and_b32_e32 v2, 3, v17
	s_add_i32 s2, s2, 31
	s_delay_alu instid0(SALU_CYCLE_1)
	s_lshr_b32 s2, s2, 5
	ds_load_b32 v1, v1 offset:16
	v_cmp_ne_u32_e32 vcc_lo, 3, v2
	v_add_nc_u32_e32 v4, 1, v2
	v_add_co_ci_u32_e32 v3, vcc_lo, 0, v17, vcc_lo
	v_cmp_gt_u32_e32 vcc_lo, 2, v2
	s_delay_alu instid0(VALU_DEP_2) | instskip(SKIP_2) | instid1(VALU_DEP_2)
	v_lshlrev_b32_e32 v3, 2, v3
	v_cndmask_b32_e64 v5, 0, 1, vcc_lo
	v_cmp_gt_u32_e32 vcc_lo, s2, v4
	v_lshlrev_b32_e32 v4, 1, v5
	s_waitcnt lgkmcnt(0)
	ds_bpermute_b32 v3, v3, v1
	s_waitcnt lgkmcnt(0)
	v_dual_cndmask_b32 v3, 0, v3 :: v_dual_add_nc_u32 v2, 2, v2
	s_delay_alu instid0(VALU_DEP_1) | instskip(SKIP_1) | instid1(VALU_DEP_3)
	v_add_nc_u32_e32 v1, v3, v1
	v_add_lshl_u32 v3, v4, v17, 2
	v_cmp_gt_u32_e32 vcc_lo, s2, v2
	ds_bpermute_b32 v3, v3, v1
	s_waitcnt lgkmcnt(0)
	v_cndmask_b32_e32 v2, 0, v3, vcc_lo
	s_delay_alu instid0(VALU_DEP_1)
	v_add_nc_u32_e32 v1, v1, v2
.LBB787_43:
	s_or_b32 exec_lo, exec_lo, s3
.LBB787_44:
	s_load_b32 s0, s[0:1], 0x38
	s_mov_b32 s1, exec_lo
	v_cmpx_eq_u32_e32 0, v0
	s_cbranch_execz .LBB787_46
; %bb.45:
	s_mul_i32 s1, s26, s23
	s_mul_hi_u32 s2, s26, s22
	s_mul_i32 s3, s27, s22
	s_add_i32 s1, s2, s1
	s_mul_i32 s2, s26, s22
	s_add_i32 s3, s1, s3
	s_delay_alu instid0(SALU_CYCLE_1) | instskip(NEXT) | instid1(SALU_CYCLE_1)
	s_lshl_b64 s[2:3], s[2:3], 2
	s_add_u32 s2, s20, s2
	s_addc_u32 s3, s21, s3
	s_cmp_eq_u64 s[18:19], 0
	s_cselect_b32 s1, -1, 0
	s_waitcnt lgkmcnt(0)
	v_cndmask_b32_e64 v0, v1, s0, s1
	s_lshl_b64 s[0:1], s[24:25], 2
	v_mov_b32_e32 v1, 0
	s_add_u32 s0, s2, s0
	s_addc_u32 s1, s3, s1
	global_store_b32 v1, v0, s[0:1]
.LBB787_46:
	s_nop 0
	s_sendmsg sendmsg(MSG_DEALLOC_VGPRS)
	s_endpgm
	.section	.rodata,"a",@progbits
	.p2align	6, 0x0
	.amdhsa_kernel _ZN7rocprim17ROCPRIM_400000_NS6detail17trampoline_kernelINS0_14default_configENS1_22reduce_config_selectorIbEEZNS1_11reduce_implILb1ES3_N6hipcub16HIPCUB_304000_NS22TransformInputIteratorIbN2at6native12_GLOBAL__N_19NonZeroOpIN3c108BFloat16EEEPKSF_lEEPiiNS8_6detail34convert_binary_result_type_wrapperINS8_3SumESJ_iEEEE10hipError_tPvRmT1_T2_T3_mT4_P12ihipStream_tbEUlT_E0_NS1_11comp_targetILNS1_3genE9ELNS1_11target_archE1100ELNS1_3gpuE3ELNS1_3repE0EEENS1_30default_config_static_selectorELNS0_4arch9wavefront6targetE0EEEvSS_
		.amdhsa_group_segment_fixed_size 32
		.amdhsa_private_segment_fixed_size 0
		.amdhsa_kernarg_size 64
		.amdhsa_user_sgpr_count 15
		.amdhsa_user_sgpr_dispatch_ptr 0
		.amdhsa_user_sgpr_queue_ptr 0
		.amdhsa_user_sgpr_kernarg_segment_ptr 1
		.amdhsa_user_sgpr_dispatch_id 0
		.amdhsa_user_sgpr_private_segment_size 0
		.amdhsa_wavefront_size32 1
		.amdhsa_uses_dynamic_stack 0
		.amdhsa_enable_private_segment 0
		.amdhsa_system_sgpr_workgroup_id_x 1
		.amdhsa_system_sgpr_workgroup_id_y 0
		.amdhsa_system_sgpr_workgroup_id_z 0
		.amdhsa_system_sgpr_workgroup_info 0
		.amdhsa_system_vgpr_workitem_id 0
		.amdhsa_next_free_vgpr 20
		.amdhsa_next_free_sgpr 30
		.amdhsa_reserve_vcc 1
		.amdhsa_float_round_mode_32 0
		.amdhsa_float_round_mode_16_64 0
		.amdhsa_float_denorm_mode_32 3
		.amdhsa_float_denorm_mode_16_64 3
		.amdhsa_dx10_clamp 1
		.amdhsa_ieee_mode 1
		.amdhsa_fp16_overflow 0
		.amdhsa_workgroup_processor_mode 1
		.amdhsa_memory_ordered 1
		.amdhsa_forward_progress 0
		.amdhsa_shared_vgpr_count 0
		.amdhsa_exception_fp_ieee_invalid_op 0
		.amdhsa_exception_fp_denorm_src 0
		.amdhsa_exception_fp_ieee_div_zero 0
		.amdhsa_exception_fp_ieee_overflow 0
		.amdhsa_exception_fp_ieee_underflow 0
		.amdhsa_exception_fp_ieee_inexact 0
		.amdhsa_exception_int_div_zero 0
	.end_amdhsa_kernel
	.section	.text._ZN7rocprim17ROCPRIM_400000_NS6detail17trampoline_kernelINS0_14default_configENS1_22reduce_config_selectorIbEEZNS1_11reduce_implILb1ES3_N6hipcub16HIPCUB_304000_NS22TransformInputIteratorIbN2at6native12_GLOBAL__N_19NonZeroOpIN3c108BFloat16EEEPKSF_lEEPiiNS8_6detail34convert_binary_result_type_wrapperINS8_3SumESJ_iEEEE10hipError_tPvRmT1_T2_T3_mT4_P12ihipStream_tbEUlT_E0_NS1_11comp_targetILNS1_3genE9ELNS1_11target_archE1100ELNS1_3gpuE3ELNS1_3repE0EEENS1_30default_config_static_selectorELNS0_4arch9wavefront6targetE0EEEvSS_,"axG",@progbits,_ZN7rocprim17ROCPRIM_400000_NS6detail17trampoline_kernelINS0_14default_configENS1_22reduce_config_selectorIbEEZNS1_11reduce_implILb1ES3_N6hipcub16HIPCUB_304000_NS22TransformInputIteratorIbN2at6native12_GLOBAL__N_19NonZeroOpIN3c108BFloat16EEEPKSF_lEEPiiNS8_6detail34convert_binary_result_type_wrapperINS8_3SumESJ_iEEEE10hipError_tPvRmT1_T2_T3_mT4_P12ihipStream_tbEUlT_E0_NS1_11comp_targetILNS1_3genE9ELNS1_11target_archE1100ELNS1_3gpuE3ELNS1_3repE0EEENS1_30default_config_static_selectorELNS0_4arch9wavefront6targetE0EEEvSS_,comdat
.Lfunc_end787:
	.size	_ZN7rocprim17ROCPRIM_400000_NS6detail17trampoline_kernelINS0_14default_configENS1_22reduce_config_selectorIbEEZNS1_11reduce_implILb1ES3_N6hipcub16HIPCUB_304000_NS22TransformInputIteratorIbN2at6native12_GLOBAL__N_19NonZeroOpIN3c108BFloat16EEEPKSF_lEEPiiNS8_6detail34convert_binary_result_type_wrapperINS8_3SumESJ_iEEEE10hipError_tPvRmT1_T2_T3_mT4_P12ihipStream_tbEUlT_E0_NS1_11comp_targetILNS1_3genE9ELNS1_11target_archE1100ELNS1_3gpuE3ELNS1_3repE0EEENS1_30default_config_static_selectorELNS0_4arch9wavefront6targetE0EEEvSS_, .Lfunc_end787-_ZN7rocprim17ROCPRIM_400000_NS6detail17trampoline_kernelINS0_14default_configENS1_22reduce_config_selectorIbEEZNS1_11reduce_implILb1ES3_N6hipcub16HIPCUB_304000_NS22TransformInputIteratorIbN2at6native12_GLOBAL__N_19NonZeroOpIN3c108BFloat16EEEPKSF_lEEPiiNS8_6detail34convert_binary_result_type_wrapperINS8_3SumESJ_iEEEE10hipError_tPvRmT1_T2_T3_mT4_P12ihipStream_tbEUlT_E0_NS1_11comp_targetILNS1_3genE9ELNS1_11target_archE1100ELNS1_3gpuE3ELNS1_3repE0EEENS1_30default_config_static_selectorELNS0_4arch9wavefront6targetE0EEEvSS_
                                        ; -- End function
	.section	.AMDGPU.csdata,"",@progbits
; Kernel info:
; codeLenInByte = 2804
; NumSgprs: 32
; NumVgprs: 20
; ScratchSize: 0
; MemoryBound: 0
; FloatMode: 240
; IeeeMode: 1
; LDSByteSize: 32 bytes/workgroup (compile time only)
; SGPRBlocks: 3
; VGPRBlocks: 2
; NumSGPRsForWavesPerEU: 32
; NumVGPRsForWavesPerEU: 20
; Occupancy: 16
; WaveLimiterHint : 1
; COMPUTE_PGM_RSRC2:SCRATCH_EN: 0
; COMPUTE_PGM_RSRC2:USER_SGPR: 15
; COMPUTE_PGM_RSRC2:TRAP_HANDLER: 0
; COMPUTE_PGM_RSRC2:TGID_X_EN: 1
; COMPUTE_PGM_RSRC2:TGID_Y_EN: 0
; COMPUTE_PGM_RSRC2:TGID_Z_EN: 0
; COMPUTE_PGM_RSRC2:TIDIG_COMP_CNT: 0
	.section	.text._ZN7rocprim17ROCPRIM_400000_NS6detail17trampoline_kernelINS0_14default_configENS1_22reduce_config_selectorIbEEZNS1_11reduce_implILb1ES3_N6hipcub16HIPCUB_304000_NS22TransformInputIteratorIbN2at6native12_GLOBAL__N_19NonZeroOpIN3c108BFloat16EEEPKSF_lEEPiiNS8_6detail34convert_binary_result_type_wrapperINS8_3SumESJ_iEEEE10hipError_tPvRmT1_T2_T3_mT4_P12ihipStream_tbEUlT_E0_NS1_11comp_targetILNS1_3genE8ELNS1_11target_archE1030ELNS1_3gpuE2ELNS1_3repE0EEENS1_30default_config_static_selectorELNS0_4arch9wavefront6targetE0EEEvSS_,"axG",@progbits,_ZN7rocprim17ROCPRIM_400000_NS6detail17trampoline_kernelINS0_14default_configENS1_22reduce_config_selectorIbEEZNS1_11reduce_implILb1ES3_N6hipcub16HIPCUB_304000_NS22TransformInputIteratorIbN2at6native12_GLOBAL__N_19NonZeroOpIN3c108BFloat16EEEPKSF_lEEPiiNS8_6detail34convert_binary_result_type_wrapperINS8_3SumESJ_iEEEE10hipError_tPvRmT1_T2_T3_mT4_P12ihipStream_tbEUlT_E0_NS1_11comp_targetILNS1_3genE8ELNS1_11target_archE1030ELNS1_3gpuE2ELNS1_3repE0EEENS1_30default_config_static_selectorELNS0_4arch9wavefront6targetE0EEEvSS_,comdat
	.globl	_ZN7rocprim17ROCPRIM_400000_NS6detail17trampoline_kernelINS0_14default_configENS1_22reduce_config_selectorIbEEZNS1_11reduce_implILb1ES3_N6hipcub16HIPCUB_304000_NS22TransformInputIteratorIbN2at6native12_GLOBAL__N_19NonZeroOpIN3c108BFloat16EEEPKSF_lEEPiiNS8_6detail34convert_binary_result_type_wrapperINS8_3SumESJ_iEEEE10hipError_tPvRmT1_T2_T3_mT4_P12ihipStream_tbEUlT_E0_NS1_11comp_targetILNS1_3genE8ELNS1_11target_archE1030ELNS1_3gpuE2ELNS1_3repE0EEENS1_30default_config_static_selectorELNS0_4arch9wavefront6targetE0EEEvSS_ ; -- Begin function _ZN7rocprim17ROCPRIM_400000_NS6detail17trampoline_kernelINS0_14default_configENS1_22reduce_config_selectorIbEEZNS1_11reduce_implILb1ES3_N6hipcub16HIPCUB_304000_NS22TransformInputIteratorIbN2at6native12_GLOBAL__N_19NonZeroOpIN3c108BFloat16EEEPKSF_lEEPiiNS8_6detail34convert_binary_result_type_wrapperINS8_3SumESJ_iEEEE10hipError_tPvRmT1_T2_T3_mT4_P12ihipStream_tbEUlT_E0_NS1_11comp_targetILNS1_3genE8ELNS1_11target_archE1030ELNS1_3gpuE2ELNS1_3repE0EEENS1_30default_config_static_selectorELNS0_4arch9wavefront6targetE0EEEvSS_
	.p2align	8
	.type	_ZN7rocprim17ROCPRIM_400000_NS6detail17trampoline_kernelINS0_14default_configENS1_22reduce_config_selectorIbEEZNS1_11reduce_implILb1ES3_N6hipcub16HIPCUB_304000_NS22TransformInputIteratorIbN2at6native12_GLOBAL__N_19NonZeroOpIN3c108BFloat16EEEPKSF_lEEPiiNS8_6detail34convert_binary_result_type_wrapperINS8_3SumESJ_iEEEE10hipError_tPvRmT1_T2_T3_mT4_P12ihipStream_tbEUlT_E0_NS1_11comp_targetILNS1_3genE8ELNS1_11target_archE1030ELNS1_3gpuE2ELNS1_3repE0EEENS1_30default_config_static_selectorELNS0_4arch9wavefront6targetE0EEEvSS_,@function
_ZN7rocprim17ROCPRIM_400000_NS6detail17trampoline_kernelINS0_14default_configENS1_22reduce_config_selectorIbEEZNS1_11reduce_implILb1ES3_N6hipcub16HIPCUB_304000_NS22TransformInputIteratorIbN2at6native12_GLOBAL__N_19NonZeroOpIN3c108BFloat16EEEPKSF_lEEPiiNS8_6detail34convert_binary_result_type_wrapperINS8_3SumESJ_iEEEE10hipError_tPvRmT1_T2_T3_mT4_P12ihipStream_tbEUlT_E0_NS1_11comp_targetILNS1_3genE8ELNS1_11target_archE1030ELNS1_3gpuE2ELNS1_3repE0EEENS1_30default_config_static_selectorELNS0_4arch9wavefront6targetE0EEEvSS_: ; @_ZN7rocprim17ROCPRIM_400000_NS6detail17trampoline_kernelINS0_14default_configENS1_22reduce_config_selectorIbEEZNS1_11reduce_implILb1ES3_N6hipcub16HIPCUB_304000_NS22TransformInputIteratorIbN2at6native12_GLOBAL__N_19NonZeroOpIN3c108BFloat16EEEPKSF_lEEPiiNS8_6detail34convert_binary_result_type_wrapperINS8_3SumESJ_iEEEE10hipError_tPvRmT1_T2_T3_mT4_P12ihipStream_tbEUlT_E0_NS1_11comp_targetILNS1_3genE8ELNS1_11target_archE1030ELNS1_3gpuE2ELNS1_3repE0EEENS1_30default_config_static_selectorELNS0_4arch9wavefront6targetE0EEEvSS_
; %bb.0:
	.section	.rodata,"a",@progbits
	.p2align	6, 0x0
	.amdhsa_kernel _ZN7rocprim17ROCPRIM_400000_NS6detail17trampoline_kernelINS0_14default_configENS1_22reduce_config_selectorIbEEZNS1_11reduce_implILb1ES3_N6hipcub16HIPCUB_304000_NS22TransformInputIteratorIbN2at6native12_GLOBAL__N_19NonZeroOpIN3c108BFloat16EEEPKSF_lEEPiiNS8_6detail34convert_binary_result_type_wrapperINS8_3SumESJ_iEEEE10hipError_tPvRmT1_T2_T3_mT4_P12ihipStream_tbEUlT_E0_NS1_11comp_targetILNS1_3genE8ELNS1_11target_archE1030ELNS1_3gpuE2ELNS1_3repE0EEENS1_30default_config_static_selectorELNS0_4arch9wavefront6targetE0EEEvSS_
		.amdhsa_group_segment_fixed_size 0
		.amdhsa_private_segment_fixed_size 0
		.amdhsa_kernarg_size 64
		.amdhsa_user_sgpr_count 15
		.amdhsa_user_sgpr_dispatch_ptr 0
		.amdhsa_user_sgpr_queue_ptr 0
		.amdhsa_user_sgpr_kernarg_segment_ptr 1
		.amdhsa_user_sgpr_dispatch_id 0
		.amdhsa_user_sgpr_private_segment_size 0
		.amdhsa_wavefront_size32 1
		.amdhsa_uses_dynamic_stack 0
		.amdhsa_enable_private_segment 0
		.amdhsa_system_sgpr_workgroup_id_x 1
		.amdhsa_system_sgpr_workgroup_id_y 0
		.amdhsa_system_sgpr_workgroup_id_z 0
		.amdhsa_system_sgpr_workgroup_info 0
		.amdhsa_system_vgpr_workitem_id 0
		.amdhsa_next_free_vgpr 1
		.amdhsa_next_free_sgpr 1
		.amdhsa_reserve_vcc 0
		.amdhsa_float_round_mode_32 0
		.amdhsa_float_round_mode_16_64 0
		.amdhsa_float_denorm_mode_32 3
		.amdhsa_float_denorm_mode_16_64 3
		.amdhsa_dx10_clamp 1
		.amdhsa_ieee_mode 1
		.amdhsa_fp16_overflow 0
		.amdhsa_workgroup_processor_mode 1
		.amdhsa_memory_ordered 1
		.amdhsa_forward_progress 0
		.amdhsa_shared_vgpr_count 0
		.amdhsa_exception_fp_ieee_invalid_op 0
		.amdhsa_exception_fp_denorm_src 0
		.amdhsa_exception_fp_ieee_div_zero 0
		.amdhsa_exception_fp_ieee_overflow 0
		.amdhsa_exception_fp_ieee_underflow 0
		.amdhsa_exception_fp_ieee_inexact 0
		.amdhsa_exception_int_div_zero 0
	.end_amdhsa_kernel
	.section	.text._ZN7rocprim17ROCPRIM_400000_NS6detail17trampoline_kernelINS0_14default_configENS1_22reduce_config_selectorIbEEZNS1_11reduce_implILb1ES3_N6hipcub16HIPCUB_304000_NS22TransformInputIteratorIbN2at6native12_GLOBAL__N_19NonZeroOpIN3c108BFloat16EEEPKSF_lEEPiiNS8_6detail34convert_binary_result_type_wrapperINS8_3SumESJ_iEEEE10hipError_tPvRmT1_T2_T3_mT4_P12ihipStream_tbEUlT_E0_NS1_11comp_targetILNS1_3genE8ELNS1_11target_archE1030ELNS1_3gpuE2ELNS1_3repE0EEENS1_30default_config_static_selectorELNS0_4arch9wavefront6targetE0EEEvSS_,"axG",@progbits,_ZN7rocprim17ROCPRIM_400000_NS6detail17trampoline_kernelINS0_14default_configENS1_22reduce_config_selectorIbEEZNS1_11reduce_implILb1ES3_N6hipcub16HIPCUB_304000_NS22TransformInputIteratorIbN2at6native12_GLOBAL__N_19NonZeroOpIN3c108BFloat16EEEPKSF_lEEPiiNS8_6detail34convert_binary_result_type_wrapperINS8_3SumESJ_iEEEE10hipError_tPvRmT1_T2_T3_mT4_P12ihipStream_tbEUlT_E0_NS1_11comp_targetILNS1_3genE8ELNS1_11target_archE1030ELNS1_3gpuE2ELNS1_3repE0EEENS1_30default_config_static_selectorELNS0_4arch9wavefront6targetE0EEEvSS_,comdat
.Lfunc_end788:
	.size	_ZN7rocprim17ROCPRIM_400000_NS6detail17trampoline_kernelINS0_14default_configENS1_22reduce_config_selectorIbEEZNS1_11reduce_implILb1ES3_N6hipcub16HIPCUB_304000_NS22TransformInputIteratorIbN2at6native12_GLOBAL__N_19NonZeroOpIN3c108BFloat16EEEPKSF_lEEPiiNS8_6detail34convert_binary_result_type_wrapperINS8_3SumESJ_iEEEE10hipError_tPvRmT1_T2_T3_mT4_P12ihipStream_tbEUlT_E0_NS1_11comp_targetILNS1_3genE8ELNS1_11target_archE1030ELNS1_3gpuE2ELNS1_3repE0EEENS1_30default_config_static_selectorELNS0_4arch9wavefront6targetE0EEEvSS_, .Lfunc_end788-_ZN7rocprim17ROCPRIM_400000_NS6detail17trampoline_kernelINS0_14default_configENS1_22reduce_config_selectorIbEEZNS1_11reduce_implILb1ES3_N6hipcub16HIPCUB_304000_NS22TransformInputIteratorIbN2at6native12_GLOBAL__N_19NonZeroOpIN3c108BFloat16EEEPKSF_lEEPiiNS8_6detail34convert_binary_result_type_wrapperINS8_3SumESJ_iEEEE10hipError_tPvRmT1_T2_T3_mT4_P12ihipStream_tbEUlT_E0_NS1_11comp_targetILNS1_3genE8ELNS1_11target_archE1030ELNS1_3gpuE2ELNS1_3repE0EEENS1_30default_config_static_selectorELNS0_4arch9wavefront6targetE0EEEvSS_
                                        ; -- End function
	.section	.AMDGPU.csdata,"",@progbits
; Kernel info:
; codeLenInByte = 0
; NumSgprs: 0
; NumVgprs: 0
; ScratchSize: 0
; MemoryBound: 0
; FloatMode: 240
; IeeeMode: 1
; LDSByteSize: 0 bytes/workgroup (compile time only)
; SGPRBlocks: 0
; VGPRBlocks: 0
; NumSGPRsForWavesPerEU: 1
; NumVGPRsForWavesPerEU: 1
; Occupancy: 16
; WaveLimiterHint : 0
; COMPUTE_PGM_RSRC2:SCRATCH_EN: 0
; COMPUTE_PGM_RSRC2:USER_SGPR: 15
; COMPUTE_PGM_RSRC2:TRAP_HANDLER: 0
; COMPUTE_PGM_RSRC2:TGID_X_EN: 1
; COMPUTE_PGM_RSRC2:TGID_Y_EN: 0
; COMPUTE_PGM_RSRC2:TGID_Z_EN: 0
; COMPUTE_PGM_RSRC2:TIDIG_COMP_CNT: 0
	.section	.text._ZN7rocprim17ROCPRIM_400000_NS6detail17trampoline_kernelINS0_14default_configENS1_22reduce_config_selectorIbEEZNS1_11reduce_implILb1ES3_N6hipcub16HIPCUB_304000_NS22TransformInputIteratorIbN2at6native12_GLOBAL__N_19NonZeroOpIN3c108BFloat16EEEPKSF_lEEPiiNS8_6detail34convert_binary_result_type_wrapperINS8_3SumESJ_iEEEE10hipError_tPvRmT1_T2_T3_mT4_P12ihipStream_tbEUlT_E1_NS1_11comp_targetILNS1_3genE0ELNS1_11target_archE4294967295ELNS1_3gpuE0ELNS1_3repE0EEENS1_30default_config_static_selectorELNS0_4arch9wavefront6targetE0EEEvSS_,"axG",@progbits,_ZN7rocprim17ROCPRIM_400000_NS6detail17trampoline_kernelINS0_14default_configENS1_22reduce_config_selectorIbEEZNS1_11reduce_implILb1ES3_N6hipcub16HIPCUB_304000_NS22TransformInputIteratorIbN2at6native12_GLOBAL__N_19NonZeroOpIN3c108BFloat16EEEPKSF_lEEPiiNS8_6detail34convert_binary_result_type_wrapperINS8_3SumESJ_iEEEE10hipError_tPvRmT1_T2_T3_mT4_P12ihipStream_tbEUlT_E1_NS1_11comp_targetILNS1_3genE0ELNS1_11target_archE4294967295ELNS1_3gpuE0ELNS1_3repE0EEENS1_30default_config_static_selectorELNS0_4arch9wavefront6targetE0EEEvSS_,comdat
	.globl	_ZN7rocprim17ROCPRIM_400000_NS6detail17trampoline_kernelINS0_14default_configENS1_22reduce_config_selectorIbEEZNS1_11reduce_implILb1ES3_N6hipcub16HIPCUB_304000_NS22TransformInputIteratorIbN2at6native12_GLOBAL__N_19NonZeroOpIN3c108BFloat16EEEPKSF_lEEPiiNS8_6detail34convert_binary_result_type_wrapperINS8_3SumESJ_iEEEE10hipError_tPvRmT1_T2_T3_mT4_P12ihipStream_tbEUlT_E1_NS1_11comp_targetILNS1_3genE0ELNS1_11target_archE4294967295ELNS1_3gpuE0ELNS1_3repE0EEENS1_30default_config_static_selectorELNS0_4arch9wavefront6targetE0EEEvSS_ ; -- Begin function _ZN7rocprim17ROCPRIM_400000_NS6detail17trampoline_kernelINS0_14default_configENS1_22reduce_config_selectorIbEEZNS1_11reduce_implILb1ES3_N6hipcub16HIPCUB_304000_NS22TransformInputIteratorIbN2at6native12_GLOBAL__N_19NonZeroOpIN3c108BFloat16EEEPKSF_lEEPiiNS8_6detail34convert_binary_result_type_wrapperINS8_3SumESJ_iEEEE10hipError_tPvRmT1_T2_T3_mT4_P12ihipStream_tbEUlT_E1_NS1_11comp_targetILNS1_3genE0ELNS1_11target_archE4294967295ELNS1_3gpuE0ELNS1_3repE0EEENS1_30default_config_static_selectorELNS0_4arch9wavefront6targetE0EEEvSS_
	.p2align	8
	.type	_ZN7rocprim17ROCPRIM_400000_NS6detail17trampoline_kernelINS0_14default_configENS1_22reduce_config_selectorIbEEZNS1_11reduce_implILb1ES3_N6hipcub16HIPCUB_304000_NS22TransformInputIteratorIbN2at6native12_GLOBAL__N_19NonZeroOpIN3c108BFloat16EEEPKSF_lEEPiiNS8_6detail34convert_binary_result_type_wrapperINS8_3SumESJ_iEEEE10hipError_tPvRmT1_T2_T3_mT4_P12ihipStream_tbEUlT_E1_NS1_11comp_targetILNS1_3genE0ELNS1_11target_archE4294967295ELNS1_3gpuE0ELNS1_3repE0EEENS1_30default_config_static_selectorELNS0_4arch9wavefront6targetE0EEEvSS_,@function
_ZN7rocprim17ROCPRIM_400000_NS6detail17trampoline_kernelINS0_14default_configENS1_22reduce_config_selectorIbEEZNS1_11reduce_implILb1ES3_N6hipcub16HIPCUB_304000_NS22TransformInputIteratorIbN2at6native12_GLOBAL__N_19NonZeroOpIN3c108BFloat16EEEPKSF_lEEPiiNS8_6detail34convert_binary_result_type_wrapperINS8_3SumESJ_iEEEE10hipError_tPvRmT1_T2_T3_mT4_P12ihipStream_tbEUlT_E1_NS1_11comp_targetILNS1_3genE0ELNS1_11target_archE4294967295ELNS1_3gpuE0ELNS1_3repE0EEENS1_30default_config_static_selectorELNS0_4arch9wavefront6targetE0EEEvSS_: ; @_ZN7rocprim17ROCPRIM_400000_NS6detail17trampoline_kernelINS0_14default_configENS1_22reduce_config_selectorIbEEZNS1_11reduce_implILb1ES3_N6hipcub16HIPCUB_304000_NS22TransformInputIteratorIbN2at6native12_GLOBAL__N_19NonZeroOpIN3c108BFloat16EEEPKSF_lEEPiiNS8_6detail34convert_binary_result_type_wrapperINS8_3SumESJ_iEEEE10hipError_tPvRmT1_T2_T3_mT4_P12ihipStream_tbEUlT_E1_NS1_11comp_targetILNS1_3genE0ELNS1_11target_archE4294967295ELNS1_3gpuE0ELNS1_3repE0EEENS1_30default_config_static_selectorELNS0_4arch9wavefront6targetE0EEEvSS_
; %bb.0:
	.section	.rodata,"a",@progbits
	.p2align	6, 0x0
	.amdhsa_kernel _ZN7rocprim17ROCPRIM_400000_NS6detail17trampoline_kernelINS0_14default_configENS1_22reduce_config_selectorIbEEZNS1_11reduce_implILb1ES3_N6hipcub16HIPCUB_304000_NS22TransformInputIteratorIbN2at6native12_GLOBAL__N_19NonZeroOpIN3c108BFloat16EEEPKSF_lEEPiiNS8_6detail34convert_binary_result_type_wrapperINS8_3SumESJ_iEEEE10hipError_tPvRmT1_T2_T3_mT4_P12ihipStream_tbEUlT_E1_NS1_11comp_targetILNS1_3genE0ELNS1_11target_archE4294967295ELNS1_3gpuE0ELNS1_3repE0EEENS1_30default_config_static_selectorELNS0_4arch9wavefront6targetE0EEEvSS_
		.amdhsa_group_segment_fixed_size 0
		.amdhsa_private_segment_fixed_size 0
		.amdhsa_kernarg_size 48
		.amdhsa_user_sgpr_count 15
		.amdhsa_user_sgpr_dispatch_ptr 0
		.amdhsa_user_sgpr_queue_ptr 0
		.amdhsa_user_sgpr_kernarg_segment_ptr 1
		.amdhsa_user_sgpr_dispatch_id 0
		.amdhsa_user_sgpr_private_segment_size 0
		.amdhsa_wavefront_size32 1
		.amdhsa_uses_dynamic_stack 0
		.amdhsa_enable_private_segment 0
		.amdhsa_system_sgpr_workgroup_id_x 1
		.amdhsa_system_sgpr_workgroup_id_y 0
		.amdhsa_system_sgpr_workgroup_id_z 0
		.amdhsa_system_sgpr_workgroup_info 0
		.amdhsa_system_vgpr_workitem_id 0
		.amdhsa_next_free_vgpr 1
		.amdhsa_next_free_sgpr 1
		.amdhsa_reserve_vcc 0
		.amdhsa_float_round_mode_32 0
		.amdhsa_float_round_mode_16_64 0
		.amdhsa_float_denorm_mode_32 3
		.amdhsa_float_denorm_mode_16_64 3
		.amdhsa_dx10_clamp 1
		.amdhsa_ieee_mode 1
		.amdhsa_fp16_overflow 0
		.amdhsa_workgroup_processor_mode 1
		.amdhsa_memory_ordered 1
		.amdhsa_forward_progress 0
		.amdhsa_shared_vgpr_count 0
		.amdhsa_exception_fp_ieee_invalid_op 0
		.amdhsa_exception_fp_denorm_src 0
		.amdhsa_exception_fp_ieee_div_zero 0
		.amdhsa_exception_fp_ieee_overflow 0
		.amdhsa_exception_fp_ieee_underflow 0
		.amdhsa_exception_fp_ieee_inexact 0
		.amdhsa_exception_int_div_zero 0
	.end_amdhsa_kernel
	.section	.text._ZN7rocprim17ROCPRIM_400000_NS6detail17trampoline_kernelINS0_14default_configENS1_22reduce_config_selectorIbEEZNS1_11reduce_implILb1ES3_N6hipcub16HIPCUB_304000_NS22TransformInputIteratorIbN2at6native12_GLOBAL__N_19NonZeroOpIN3c108BFloat16EEEPKSF_lEEPiiNS8_6detail34convert_binary_result_type_wrapperINS8_3SumESJ_iEEEE10hipError_tPvRmT1_T2_T3_mT4_P12ihipStream_tbEUlT_E1_NS1_11comp_targetILNS1_3genE0ELNS1_11target_archE4294967295ELNS1_3gpuE0ELNS1_3repE0EEENS1_30default_config_static_selectorELNS0_4arch9wavefront6targetE0EEEvSS_,"axG",@progbits,_ZN7rocprim17ROCPRIM_400000_NS6detail17trampoline_kernelINS0_14default_configENS1_22reduce_config_selectorIbEEZNS1_11reduce_implILb1ES3_N6hipcub16HIPCUB_304000_NS22TransformInputIteratorIbN2at6native12_GLOBAL__N_19NonZeroOpIN3c108BFloat16EEEPKSF_lEEPiiNS8_6detail34convert_binary_result_type_wrapperINS8_3SumESJ_iEEEE10hipError_tPvRmT1_T2_T3_mT4_P12ihipStream_tbEUlT_E1_NS1_11comp_targetILNS1_3genE0ELNS1_11target_archE4294967295ELNS1_3gpuE0ELNS1_3repE0EEENS1_30default_config_static_selectorELNS0_4arch9wavefront6targetE0EEEvSS_,comdat
.Lfunc_end789:
	.size	_ZN7rocprim17ROCPRIM_400000_NS6detail17trampoline_kernelINS0_14default_configENS1_22reduce_config_selectorIbEEZNS1_11reduce_implILb1ES3_N6hipcub16HIPCUB_304000_NS22TransformInputIteratorIbN2at6native12_GLOBAL__N_19NonZeroOpIN3c108BFloat16EEEPKSF_lEEPiiNS8_6detail34convert_binary_result_type_wrapperINS8_3SumESJ_iEEEE10hipError_tPvRmT1_T2_T3_mT4_P12ihipStream_tbEUlT_E1_NS1_11comp_targetILNS1_3genE0ELNS1_11target_archE4294967295ELNS1_3gpuE0ELNS1_3repE0EEENS1_30default_config_static_selectorELNS0_4arch9wavefront6targetE0EEEvSS_, .Lfunc_end789-_ZN7rocprim17ROCPRIM_400000_NS6detail17trampoline_kernelINS0_14default_configENS1_22reduce_config_selectorIbEEZNS1_11reduce_implILb1ES3_N6hipcub16HIPCUB_304000_NS22TransformInputIteratorIbN2at6native12_GLOBAL__N_19NonZeroOpIN3c108BFloat16EEEPKSF_lEEPiiNS8_6detail34convert_binary_result_type_wrapperINS8_3SumESJ_iEEEE10hipError_tPvRmT1_T2_T3_mT4_P12ihipStream_tbEUlT_E1_NS1_11comp_targetILNS1_3genE0ELNS1_11target_archE4294967295ELNS1_3gpuE0ELNS1_3repE0EEENS1_30default_config_static_selectorELNS0_4arch9wavefront6targetE0EEEvSS_
                                        ; -- End function
	.section	.AMDGPU.csdata,"",@progbits
; Kernel info:
; codeLenInByte = 0
; NumSgprs: 0
; NumVgprs: 0
; ScratchSize: 0
; MemoryBound: 0
; FloatMode: 240
; IeeeMode: 1
; LDSByteSize: 0 bytes/workgroup (compile time only)
; SGPRBlocks: 0
; VGPRBlocks: 0
; NumSGPRsForWavesPerEU: 1
; NumVGPRsForWavesPerEU: 1
; Occupancy: 16
; WaveLimiterHint : 0
; COMPUTE_PGM_RSRC2:SCRATCH_EN: 0
; COMPUTE_PGM_RSRC2:USER_SGPR: 15
; COMPUTE_PGM_RSRC2:TRAP_HANDLER: 0
; COMPUTE_PGM_RSRC2:TGID_X_EN: 1
; COMPUTE_PGM_RSRC2:TGID_Y_EN: 0
; COMPUTE_PGM_RSRC2:TGID_Z_EN: 0
; COMPUTE_PGM_RSRC2:TIDIG_COMP_CNT: 0
	.section	.text._ZN7rocprim17ROCPRIM_400000_NS6detail17trampoline_kernelINS0_14default_configENS1_22reduce_config_selectorIbEEZNS1_11reduce_implILb1ES3_N6hipcub16HIPCUB_304000_NS22TransformInputIteratorIbN2at6native12_GLOBAL__N_19NonZeroOpIN3c108BFloat16EEEPKSF_lEEPiiNS8_6detail34convert_binary_result_type_wrapperINS8_3SumESJ_iEEEE10hipError_tPvRmT1_T2_T3_mT4_P12ihipStream_tbEUlT_E1_NS1_11comp_targetILNS1_3genE5ELNS1_11target_archE942ELNS1_3gpuE9ELNS1_3repE0EEENS1_30default_config_static_selectorELNS0_4arch9wavefront6targetE0EEEvSS_,"axG",@progbits,_ZN7rocprim17ROCPRIM_400000_NS6detail17trampoline_kernelINS0_14default_configENS1_22reduce_config_selectorIbEEZNS1_11reduce_implILb1ES3_N6hipcub16HIPCUB_304000_NS22TransformInputIteratorIbN2at6native12_GLOBAL__N_19NonZeroOpIN3c108BFloat16EEEPKSF_lEEPiiNS8_6detail34convert_binary_result_type_wrapperINS8_3SumESJ_iEEEE10hipError_tPvRmT1_T2_T3_mT4_P12ihipStream_tbEUlT_E1_NS1_11comp_targetILNS1_3genE5ELNS1_11target_archE942ELNS1_3gpuE9ELNS1_3repE0EEENS1_30default_config_static_selectorELNS0_4arch9wavefront6targetE0EEEvSS_,comdat
	.globl	_ZN7rocprim17ROCPRIM_400000_NS6detail17trampoline_kernelINS0_14default_configENS1_22reduce_config_selectorIbEEZNS1_11reduce_implILb1ES3_N6hipcub16HIPCUB_304000_NS22TransformInputIteratorIbN2at6native12_GLOBAL__N_19NonZeroOpIN3c108BFloat16EEEPKSF_lEEPiiNS8_6detail34convert_binary_result_type_wrapperINS8_3SumESJ_iEEEE10hipError_tPvRmT1_T2_T3_mT4_P12ihipStream_tbEUlT_E1_NS1_11comp_targetILNS1_3genE5ELNS1_11target_archE942ELNS1_3gpuE9ELNS1_3repE0EEENS1_30default_config_static_selectorELNS0_4arch9wavefront6targetE0EEEvSS_ ; -- Begin function _ZN7rocprim17ROCPRIM_400000_NS6detail17trampoline_kernelINS0_14default_configENS1_22reduce_config_selectorIbEEZNS1_11reduce_implILb1ES3_N6hipcub16HIPCUB_304000_NS22TransformInputIteratorIbN2at6native12_GLOBAL__N_19NonZeroOpIN3c108BFloat16EEEPKSF_lEEPiiNS8_6detail34convert_binary_result_type_wrapperINS8_3SumESJ_iEEEE10hipError_tPvRmT1_T2_T3_mT4_P12ihipStream_tbEUlT_E1_NS1_11comp_targetILNS1_3genE5ELNS1_11target_archE942ELNS1_3gpuE9ELNS1_3repE0EEENS1_30default_config_static_selectorELNS0_4arch9wavefront6targetE0EEEvSS_
	.p2align	8
	.type	_ZN7rocprim17ROCPRIM_400000_NS6detail17trampoline_kernelINS0_14default_configENS1_22reduce_config_selectorIbEEZNS1_11reduce_implILb1ES3_N6hipcub16HIPCUB_304000_NS22TransformInputIteratorIbN2at6native12_GLOBAL__N_19NonZeroOpIN3c108BFloat16EEEPKSF_lEEPiiNS8_6detail34convert_binary_result_type_wrapperINS8_3SumESJ_iEEEE10hipError_tPvRmT1_T2_T3_mT4_P12ihipStream_tbEUlT_E1_NS1_11comp_targetILNS1_3genE5ELNS1_11target_archE942ELNS1_3gpuE9ELNS1_3repE0EEENS1_30default_config_static_selectorELNS0_4arch9wavefront6targetE0EEEvSS_,@function
_ZN7rocprim17ROCPRIM_400000_NS6detail17trampoline_kernelINS0_14default_configENS1_22reduce_config_selectorIbEEZNS1_11reduce_implILb1ES3_N6hipcub16HIPCUB_304000_NS22TransformInputIteratorIbN2at6native12_GLOBAL__N_19NonZeroOpIN3c108BFloat16EEEPKSF_lEEPiiNS8_6detail34convert_binary_result_type_wrapperINS8_3SumESJ_iEEEE10hipError_tPvRmT1_T2_T3_mT4_P12ihipStream_tbEUlT_E1_NS1_11comp_targetILNS1_3genE5ELNS1_11target_archE942ELNS1_3gpuE9ELNS1_3repE0EEENS1_30default_config_static_selectorELNS0_4arch9wavefront6targetE0EEEvSS_: ; @_ZN7rocprim17ROCPRIM_400000_NS6detail17trampoline_kernelINS0_14default_configENS1_22reduce_config_selectorIbEEZNS1_11reduce_implILb1ES3_N6hipcub16HIPCUB_304000_NS22TransformInputIteratorIbN2at6native12_GLOBAL__N_19NonZeroOpIN3c108BFloat16EEEPKSF_lEEPiiNS8_6detail34convert_binary_result_type_wrapperINS8_3SumESJ_iEEEE10hipError_tPvRmT1_T2_T3_mT4_P12ihipStream_tbEUlT_E1_NS1_11comp_targetILNS1_3genE5ELNS1_11target_archE942ELNS1_3gpuE9ELNS1_3repE0EEENS1_30default_config_static_selectorELNS0_4arch9wavefront6targetE0EEEvSS_
; %bb.0:
	.section	.rodata,"a",@progbits
	.p2align	6, 0x0
	.amdhsa_kernel _ZN7rocprim17ROCPRIM_400000_NS6detail17trampoline_kernelINS0_14default_configENS1_22reduce_config_selectorIbEEZNS1_11reduce_implILb1ES3_N6hipcub16HIPCUB_304000_NS22TransformInputIteratorIbN2at6native12_GLOBAL__N_19NonZeroOpIN3c108BFloat16EEEPKSF_lEEPiiNS8_6detail34convert_binary_result_type_wrapperINS8_3SumESJ_iEEEE10hipError_tPvRmT1_T2_T3_mT4_P12ihipStream_tbEUlT_E1_NS1_11comp_targetILNS1_3genE5ELNS1_11target_archE942ELNS1_3gpuE9ELNS1_3repE0EEENS1_30default_config_static_selectorELNS0_4arch9wavefront6targetE0EEEvSS_
		.amdhsa_group_segment_fixed_size 0
		.amdhsa_private_segment_fixed_size 0
		.amdhsa_kernarg_size 48
		.amdhsa_user_sgpr_count 15
		.amdhsa_user_sgpr_dispatch_ptr 0
		.amdhsa_user_sgpr_queue_ptr 0
		.amdhsa_user_sgpr_kernarg_segment_ptr 1
		.amdhsa_user_sgpr_dispatch_id 0
		.amdhsa_user_sgpr_private_segment_size 0
		.amdhsa_wavefront_size32 1
		.amdhsa_uses_dynamic_stack 0
		.amdhsa_enable_private_segment 0
		.amdhsa_system_sgpr_workgroup_id_x 1
		.amdhsa_system_sgpr_workgroup_id_y 0
		.amdhsa_system_sgpr_workgroup_id_z 0
		.amdhsa_system_sgpr_workgroup_info 0
		.amdhsa_system_vgpr_workitem_id 0
		.amdhsa_next_free_vgpr 1
		.amdhsa_next_free_sgpr 1
		.amdhsa_reserve_vcc 0
		.amdhsa_float_round_mode_32 0
		.amdhsa_float_round_mode_16_64 0
		.amdhsa_float_denorm_mode_32 3
		.amdhsa_float_denorm_mode_16_64 3
		.amdhsa_dx10_clamp 1
		.amdhsa_ieee_mode 1
		.amdhsa_fp16_overflow 0
		.amdhsa_workgroup_processor_mode 1
		.amdhsa_memory_ordered 1
		.amdhsa_forward_progress 0
		.amdhsa_shared_vgpr_count 0
		.amdhsa_exception_fp_ieee_invalid_op 0
		.amdhsa_exception_fp_denorm_src 0
		.amdhsa_exception_fp_ieee_div_zero 0
		.amdhsa_exception_fp_ieee_overflow 0
		.amdhsa_exception_fp_ieee_underflow 0
		.amdhsa_exception_fp_ieee_inexact 0
		.amdhsa_exception_int_div_zero 0
	.end_amdhsa_kernel
	.section	.text._ZN7rocprim17ROCPRIM_400000_NS6detail17trampoline_kernelINS0_14default_configENS1_22reduce_config_selectorIbEEZNS1_11reduce_implILb1ES3_N6hipcub16HIPCUB_304000_NS22TransformInputIteratorIbN2at6native12_GLOBAL__N_19NonZeroOpIN3c108BFloat16EEEPKSF_lEEPiiNS8_6detail34convert_binary_result_type_wrapperINS8_3SumESJ_iEEEE10hipError_tPvRmT1_T2_T3_mT4_P12ihipStream_tbEUlT_E1_NS1_11comp_targetILNS1_3genE5ELNS1_11target_archE942ELNS1_3gpuE9ELNS1_3repE0EEENS1_30default_config_static_selectorELNS0_4arch9wavefront6targetE0EEEvSS_,"axG",@progbits,_ZN7rocprim17ROCPRIM_400000_NS6detail17trampoline_kernelINS0_14default_configENS1_22reduce_config_selectorIbEEZNS1_11reduce_implILb1ES3_N6hipcub16HIPCUB_304000_NS22TransformInputIteratorIbN2at6native12_GLOBAL__N_19NonZeroOpIN3c108BFloat16EEEPKSF_lEEPiiNS8_6detail34convert_binary_result_type_wrapperINS8_3SumESJ_iEEEE10hipError_tPvRmT1_T2_T3_mT4_P12ihipStream_tbEUlT_E1_NS1_11comp_targetILNS1_3genE5ELNS1_11target_archE942ELNS1_3gpuE9ELNS1_3repE0EEENS1_30default_config_static_selectorELNS0_4arch9wavefront6targetE0EEEvSS_,comdat
.Lfunc_end790:
	.size	_ZN7rocprim17ROCPRIM_400000_NS6detail17trampoline_kernelINS0_14default_configENS1_22reduce_config_selectorIbEEZNS1_11reduce_implILb1ES3_N6hipcub16HIPCUB_304000_NS22TransformInputIteratorIbN2at6native12_GLOBAL__N_19NonZeroOpIN3c108BFloat16EEEPKSF_lEEPiiNS8_6detail34convert_binary_result_type_wrapperINS8_3SumESJ_iEEEE10hipError_tPvRmT1_T2_T3_mT4_P12ihipStream_tbEUlT_E1_NS1_11comp_targetILNS1_3genE5ELNS1_11target_archE942ELNS1_3gpuE9ELNS1_3repE0EEENS1_30default_config_static_selectorELNS0_4arch9wavefront6targetE0EEEvSS_, .Lfunc_end790-_ZN7rocprim17ROCPRIM_400000_NS6detail17trampoline_kernelINS0_14default_configENS1_22reduce_config_selectorIbEEZNS1_11reduce_implILb1ES3_N6hipcub16HIPCUB_304000_NS22TransformInputIteratorIbN2at6native12_GLOBAL__N_19NonZeroOpIN3c108BFloat16EEEPKSF_lEEPiiNS8_6detail34convert_binary_result_type_wrapperINS8_3SumESJ_iEEEE10hipError_tPvRmT1_T2_T3_mT4_P12ihipStream_tbEUlT_E1_NS1_11comp_targetILNS1_3genE5ELNS1_11target_archE942ELNS1_3gpuE9ELNS1_3repE0EEENS1_30default_config_static_selectorELNS0_4arch9wavefront6targetE0EEEvSS_
                                        ; -- End function
	.section	.AMDGPU.csdata,"",@progbits
; Kernel info:
; codeLenInByte = 0
; NumSgprs: 0
; NumVgprs: 0
; ScratchSize: 0
; MemoryBound: 0
; FloatMode: 240
; IeeeMode: 1
; LDSByteSize: 0 bytes/workgroup (compile time only)
; SGPRBlocks: 0
; VGPRBlocks: 0
; NumSGPRsForWavesPerEU: 1
; NumVGPRsForWavesPerEU: 1
; Occupancy: 16
; WaveLimiterHint : 0
; COMPUTE_PGM_RSRC2:SCRATCH_EN: 0
; COMPUTE_PGM_RSRC2:USER_SGPR: 15
; COMPUTE_PGM_RSRC2:TRAP_HANDLER: 0
; COMPUTE_PGM_RSRC2:TGID_X_EN: 1
; COMPUTE_PGM_RSRC2:TGID_Y_EN: 0
; COMPUTE_PGM_RSRC2:TGID_Z_EN: 0
; COMPUTE_PGM_RSRC2:TIDIG_COMP_CNT: 0
	.section	.text._ZN7rocprim17ROCPRIM_400000_NS6detail17trampoline_kernelINS0_14default_configENS1_22reduce_config_selectorIbEEZNS1_11reduce_implILb1ES3_N6hipcub16HIPCUB_304000_NS22TransformInputIteratorIbN2at6native12_GLOBAL__N_19NonZeroOpIN3c108BFloat16EEEPKSF_lEEPiiNS8_6detail34convert_binary_result_type_wrapperINS8_3SumESJ_iEEEE10hipError_tPvRmT1_T2_T3_mT4_P12ihipStream_tbEUlT_E1_NS1_11comp_targetILNS1_3genE4ELNS1_11target_archE910ELNS1_3gpuE8ELNS1_3repE0EEENS1_30default_config_static_selectorELNS0_4arch9wavefront6targetE0EEEvSS_,"axG",@progbits,_ZN7rocprim17ROCPRIM_400000_NS6detail17trampoline_kernelINS0_14default_configENS1_22reduce_config_selectorIbEEZNS1_11reduce_implILb1ES3_N6hipcub16HIPCUB_304000_NS22TransformInputIteratorIbN2at6native12_GLOBAL__N_19NonZeroOpIN3c108BFloat16EEEPKSF_lEEPiiNS8_6detail34convert_binary_result_type_wrapperINS8_3SumESJ_iEEEE10hipError_tPvRmT1_T2_T3_mT4_P12ihipStream_tbEUlT_E1_NS1_11comp_targetILNS1_3genE4ELNS1_11target_archE910ELNS1_3gpuE8ELNS1_3repE0EEENS1_30default_config_static_selectorELNS0_4arch9wavefront6targetE0EEEvSS_,comdat
	.globl	_ZN7rocprim17ROCPRIM_400000_NS6detail17trampoline_kernelINS0_14default_configENS1_22reduce_config_selectorIbEEZNS1_11reduce_implILb1ES3_N6hipcub16HIPCUB_304000_NS22TransformInputIteratorIbN2at6native12_GLOBAL__N_19NonZeroOpIN3c108BFloat16EEEPKSF_lEEPiiNS8_6detail34convert_binary_result_type_wrapperINS8_3SumESJ_iEEEE10hipError_tPvRmT1_T2_T3_mT4_P12ihipStream_tbEUlT_E1_NS1_11comp_targetILNS1_3genE4ELNS1_11target_archE910ELNS1_3gpuE8ELNS1_3repE0EEENS1_30default_config_static_selectorELNS0_4arch9wavefront6targetE0EEEvSS_ ; -- Begin function _ZN7rocprim17ROCPRIM_400000_NS6detail17trampoline_kernelINS0_14default_configENS1_22reduce_config_selectorIbEEZNS1_11reduce_implILb1ES3_N6hipcub16HIPCUB_304000_NS22TransformInputIteratorIbN2at6native12_GLOBAL__N_19NonZeroOpIN3c108BFloat16EEEPKSF_lEEPiiNS8_6detail34convert_binary_result_type_wrapperINS8_3SumESJ_iEEEE10hipError_tPvRmT1_T2_T3_mT4_P12ihipStream_tbEUlT_E1_NS1_11comp_targetILNS1_3genE4ELNS1_11target_archE910ELNS1_3gpuE8ELNS1_3repE0EEENS1_30default_config_static_selectorELNS0_4arch9wavefront6targetE0EEEvSS_
	.p2align	8
	.type	_ZN7rocprim17ROCPRIM_400000_NS6detail17trampoline_kernelINS0_14default_configENS1_22reduce_config_selectorIbEEZNS1_11reduce_implILb1ES3_N6hipcub16HIPCUB_304000_NS22TransformInputIteratorIbN2at6native12_GLOBAL__N_19NonZeroOpIN3c108BFloat16EEEPKSF_lEEPiiNS8_6detail34convert_binary_result_type_wrapperINS8_3SumESJ_iEEEE10hipError_tPvRmT1_T2_T3_mT4_P12ihipStream_tbEUlT_E1_NS1_11comp_targetILNS1_3genE4ELNS1_11target_archE910ELNS1_3gpuE8ELNS1_3repE0EEENS1_30default_config_static_selectorELNS0_4arch9wavefront6targetE0EEEvSS_,@function
_ZN7rocprim17ROCPRIM_400000_NS6detail17trampoline_kernelINS0_14default_configENS1_22reduce_config_selectorIbEEZNS1_11reduce_implILb1ES3_N6hipcub16HIPCUB_304000_NS22TransformInputIteratorIbN2at6native12_GLOBAL__N_19NonZeroOpIN3c108BFloat16EEEPKSF_lEEPiiNS8_6detail34convert_binary_result_type_wrapperINS8_3SumESJ_iEEEE10hipError_tPvRmT1_T2_T3_mT4_P12ihipStream_tbEUlT_E1_NS1_11comp_targetILNS1_3genE4ELNS1_11target_archE910ELNS1_3gpuE8ELNS1_3repE0EEENS1_30default_config_static_selectorELNS0_4arch9wavefront6targetE0EEEvSS_: ; @_ZN7rocprim17ROCPRIM_400000_NS6detail17trampoline_kernelINS0_14default_configENS1_22reduce_config_selectorIbEEZNS1_11reduce_implILb1ES3_N6hipcub16HIPCUB_304000_NS22TransformInputIteratorIbN2at6native12_GLOBAL__N_19NonZeroOpIN3c108BFloat16EEEPKSF_lEEPiiNS8_6detail34convert_binary_result_type_wrapperINS8_3SumESJ_iEEEE10hipError_tPvRmT1_T2_T3_mT4_P12ihipStream_tbEUlT_E1_NS1_11comp_targetILNS1_3genE4ELNS1_11target_archE910ELNS1_3gpuE8ELNS1_3repE0EEENS1_30default_config_static_selectorELNS0_4arch9wavefront6targetE0EEEvSS_
; %bb.0:
	.section	.rodata,"a",@progbits
	.p2align	6, 0x0
	.amdhsa_kernel _ZN7rocprim17ROCPRIM_400000_NS6detail17trampoline_kernelINS0_14default_configENS1_22reduce_config_selectorIbEEZNS1_11reduce_implILb1ES3_N6hipcub16HIPCUB_304000_NS22TransformInputIteratorIbN2at6native12_GLOBAL__N_19NonZeroOpIN3c108BFloat16EEEPKSF_lEEPiiNS8_6detail34convert_binary_result_type_wrapperINS8_3SumESJ_iEEEE10hipError_tPvRmT1_T2_T3_mT4_P12ihipStream_tbEUlT_E1_NS1_11comp_targetILNS1_3genE4ELNS1_11target_archE910ELNS1_3gpuE8ELNS1_3repE0EEENS1_30default_config_static_selectorELNS0_4arch9wavefront6targetE0EEEvSS_
		.amdhsa_group_segment_fixed_size 0
		.amdhsa_private_segment_fixed_size 0
		.amdhsa_kernarg_size 48
		.amdhsa_user_sgpr_count 15
		.amdhsa_user_sgpr_dispatch_ptr 0
		.amdhsa_user_sgpr_queue_ptr 0
		.amdhsa_user_sgpr_kernarg_segment_ptr 1
		.amdhsa_user_sgpr_dispatch_id 0
		.amdhsa_user_sgpr_private_segment_size 0
		.amdhsa_wavefront_size32 1
		.amdhsa_uses_dynamic_stack 0
		.amdhsa_enable_private_segment 0
		.amdhsa_system_sgpr_workgroup_id_x 1
		.amdhsa_system_sgpr_workgroup_id_y 0
		.amdhsa_system_sgpr_workgroup_id_z 0
		.amdhsa_system_sgpr_workgroup_info 0
		.amdhsa_system_vgpr_workitem_id 0
		.amdhsa_next_free_vgpr 1
		.amdhsa_next_free_sgpr 1
		.amdhsa_reserve_vcc 0
		.amdhsa_float_round_mode_32 0
		.amdhsa_float_round_mode_16_64 0
		.amdhsa_float_denorm_mode_32 3
		.amdhsa_float_denorm_mode_16_64 3
		.amdhsa_dx10_clamp 1
		.amdhsa_ieee_mode 1
		.amdhsa_fp16_overflow 0
		.amdhsa_workgroup_processor_mode 1
		.amdhsa_memory_ordered 1
		.amdhsa_forward_progress 0
		.amdhsa_shared_vgpr_count 0
		.amdhsa_exception_fp_ieee_invalid_op 0
		.amdhsa_exception_fp_denorm_src 0
		.amdhsa_exception_fp_ieee_div_zero 0
		.amdhsa_exception_fp_ieee_overflow 0
		.amdhsa_exception_fp_ieee_underflow 0
		.amdhsa_exception_fp_ieee_inexact 0
		.amdhsa_exception_int_div_zero 0
	.end_amdhsa_kernel
	.section	.text._ZN7rocprim17ROCPRIM_400000_NS6detail17trampoline_kernelINS0_14default_configENS1_22reduce_config_selectorIbEEZNS1_11reduce_implILb1ES3_N6hipcub16HIPCUB_304000_NS22TransformInputIteratorIbN2at6native12_GLOBAL__N_19NonZeroOpIN3c108BFloat16EEEPKSF_lEEPiiNS8_6detail34convert_binary_result_type_wrapperINS8_3SumESJ_iEEEE10hipError_tPvRmT1_T2_T3_mT4_P12ihipStream_tbEUlT_E1_NS1_11comp_targetILNS1_3genE4ELNS1_11target_archE910ELNS1_3gpuE8ELNS1_3repE0EEENS1_30default_config_static_selectorELNS0_4arch9wavefront6targetE0EEEvSS_,"axG",@progbits,_ZN7rocprim17ROCPRIM_400000_NS6detail17trampoline_kernelINS0_14default_configENS1_22reduce_config_selectorIbEEZNS1_11reduce_implILb1ES3_N6hipcub16HIPCUB_304000_NS22TransformInputIteratorIbN2at6native12_GLOBAL__N_19NonZeroOpIN3c108BFloat16EEEPKSF_lEEPiiNS8_6detail34convert_binary_result_type_wrapperINS8_3SumESJ_iEEEE10hipError_tPvRmT1_T2_T3_mT4_P12ihipStream_tbEUlT_E1_NS1_11comp_targetILNS1_3genE4ELNS1_11target_archE910ELNS1_3gpuE8ELNS1_3repE0EEENS1_30default_config_static_selectorELNS0_4arch9wavefront6targetE0EEEvSS_,comdat
.Lfunc_end791:
	.size	_ZN7rocprim17ROCPRIM_400000_NS6detail17trampoline_kernelINS0_14default_configENS1_22reduce_config_selectorIbEEZNS1_11reduce_implILb1ES3_N6hipcub16HIPCUB_304000_NS22TransformInputIteratorIbN2at6native12_GLOBAL__N_19NonZeroOpIN3c108BFloat16EEEPKSF_lEEPiiNS8_6detail34convert_binary_result_type_wrapperINS8_3SumESJ_iEEEE10hipError_tPvRmT1_T2_T3_mT4_P12ihipStream_tbEUlT_E1_NS1_11comp_targetILNS1_3genE4ELNS1_11target_archE910ELNS1_3gpuE8ELNS1_3repE0EEENS1_30default_config_static_selectorELNS0_4arch9wavefront6targetE0EEEvSS_, .Lfunc_end791-_ZN7rocprim17ROCPRIM_400000_NS6detail17trampoline_kernelINS0_14default_configENS1_22reduce_config_selectorIbEEZNS1_11reduce_implILb1ES3_N6hipcub16HIPCUB_304000_NS22TransformInputIteratorIbN2at6native12_GLOBAL__N_19NonZeroOpIN3c108BFloat16EEEPKSF_lEEPiiNS8_6detail34convert_binary_result_type_wrapperINS8_3SumESJ_iEEEE10hipError_tPvRmT1_T2_T3_mT4_P12ihipStream_tbEUlT_E1_NS1_11comp_targetILNS1_3genE4ELNS1_11target_archE910ELNS1_3gpuE8ELNS1_3repE0EEENS1_30default_config_static_selectorELNS0_4arch9wavefront6targetE0EEEvSS_
                                        ; -- End function
	.section	.AMDGPU.csdata,"",@progbits
; Kernel info:
; codeLenInByte = 0
; NumSgprs: 0
; NumVgprs: 0
; ScratchSize: 0
; MemoryBound: 0
; FloatMode: 240
; IeeeMode: 1
; LDSByteSize: 0 bytes/workgroup (compile time only)
; SGPRBlocks: 0
; VGPRBlocks: 0
; NumSGPRsForWavesPerEU: 1
; NumVGPRsForWavesPerEU: 1
; Occupancy: 16
; WaveLimiterHint : 0
; COMPUTE_PGM_RSRC2:SCRATCH_EN: 0
; COMPUTE_PGM_RSRC2:USER_SGPR: 15
; COMPUTE_PGM_RSRC2:TRAP_HANDLER: 0
; COMPUTE_PGM_RSRC2:TGID_X_EN: 1
; COMPUTE_PGM_RSRC2:TGID_Y_EN: 0
; COMPUTE_PGM_RSRC2:TGID_Z_EN: 0
; COMPUTE_PGM_RSRC2:TIDIG_COMP_CNT: 0
	.section	.text._ZN7rocprim17ROCPRIM_400000_NS6detail17trampoline_kernelINS0_14default_configENS1_22reduce_config_selectorIbEEZNS1_11reduce_implILb1ES3_N6hipcub16HIPCUB_304000_NS22TransformInputIteratorIbN2at6native12_GLOBAL__N_19NonZeroOpIN3c108BFloat16EEEPKSF_lEEPiiNS8_6detail34convert_binary_result_type_wrapperINS8_3SumESJ_iEEEE10hipError_tPvRmT1_T2_T3_mT4_P12ihipStream_tbEUlT_E1_NS1_11comp_targetILNS1_3genE3ELNS1_11target_archE908ELNS1_3gpuE7ELNS1_3repE0EEENS1_30default_config_static_selectorELNS0_4arch9wavefront6targetE0EEEvSS_,"axG",@progbits,_ZN7rocprim17ROCPRIM_400000_NS6detail17trampoline_kernelINS0_14default_configENS1_22reduce_config_selectorIbEEZNS1_11reduce_implILb1ES3_N6hipcub16HIPCUB_304000_NS22TransformInputIteratorIbN2at6native12_GLOBAL__N_19NonZeroOpIN3c108BFloat16EEEPKSF_lEEPiiNS8_6detail34convert_binary_result_type_wrapperINS8_3SumESJ_iEEEE10hipError_tPvRmT1_T2_T3_mT4_P12ihipStream_tbEUlT_E1_NS1_11comp_targetILNS1_3genE3ELNS1_11target_archE908ELNS1_3gpuE7ELNS1_3repE0EEENS1_30default_config_static_selectorELNS0_4arch9wavefront6targetE0EEEvSS_,comdat
	.globl	_ZN7rocprim17ROCPRIM_400000_NS6detail17trampoline_kernelINS0_14default_configENS1_22reduce_config_selectorIbEEZNS1_11reduce_implILb1ES3_N6hipcub16HIPCUB_304000_NS22TransformInputIteratorIbN2at6native12_GLOBAL__N_19NonZeroOpIN3c108BFloat16EEEPKSF_lEEPiiNS8_6detail34convert_binary_result_type_wrapperINS8_3SumESJ_iEEEE10hipError_tPvRmT1_T2_T3_mT4_P12ihipStream_tbEUlT_E1_NS1_11comp_targetILNS1_3genE3ELNS1_11target_archE908ELNS1_3gpuE7ELNS1_3repE0EEENS1_30default_config_static_selectorELNS0_4arch9wavefront6targetE0EEEvSS_ ; -- Begin function _ZN7rocprim17ROCPRIM_400000_NS6detail17trampoline_kernelINS0_14default_configENS1_22reduce_config_selectorIbEEZNS1_11reduce_implILb1ES3_N6hipcub16HIPCUB_304000_NS22TransformInputIteratorIbN2at6native12_GLOBAL__N_19NonZeroOpIN3c108BFloat16EEEPKSF_lEEPiiNS8_6detail34convert_binary_result_type_wrapperINS8_3SumESJ_iEEEE10hipError_tPvRmT1_T2_T3_mT4_P12ihipStream_tbEUlT_E1_NS1_11comp_targetILNS1_3genE3ELNS1_11target_archE908ELNS1_3gpuE7ELNS1_3repE0EEENS1_30default_config_static_selectorELNS0_4arch9wavefront6targetE0EEEvSS_
	.p2align	8
	.type	_ZN7rocprim17ROCPRIM_400000_NS6detail17trampoline_kernelINS0_14default_configENS1_22reduce_config_selectorIbEEZNS1_11reduce_implILb1ES3_N6hipcub16HIPCUB_304000_NS22TransformInputIteratorIbN2at6native12_GLOBAL__N_19NonZeroOpIN3c108BFloat16EEEPKSF_lEEPiiNS8_6detail34convert_binary_result_type_wrapperINS8_3SumESJ_iEEEE10hipError_tPvRmT1_T2_T3_mT4_P12ihipStream_tbEUlT_E1_NS1_11comp_targetILNS1_3genE3ELNS1_11target_archE908ELNS1_3gpuE7ELNS1_3repE0EEENS1_30default_config_static_selectorELNS0_4arch9wavefront6targetE0EEEvSS_,@function
_ZN7rocprim17ROCPRIM_400000_NS6detail17trampoline_kernelINS0_14default_configENS1_22reduce_config_selectorIbEEZNS1_11reduce_implILb1ES3_N6hipcub16HIPCUB_304000_NS22TransformInputIteratorIbN2at6native12_GLOBAL__N_19NonZeroOpIN3c108BFloat16EEEPKSF_lEEPiiNS8_6detail34convert_binary_result_type_wrapperINS8_3SumESJ_iEEEE10hipError_tPvRmT1_T2_T3_mT4_P12ihipStream_tbEUlT_E1_NS1_11comp_targetILNS1_3genE3ELNS1_11target_archE908ELNS1_3gpuE7ELNS1_3repE0EEENS1_30default_config_static_selectorELNS0_4arch9wavefront6targetE0EEEvSS_: ; @_ZN7rocprim17ROCPRIM_400000_NS6detail17trampoline_kernelINS0_14default_configENS1_22reduce_config_selectorIbEEZNS1_11reduce_implILb1ES3_N6hipcub16HIPCUB_304000_NS22TransformInputIteratorIbN2at6native12_GLOBAL__N_19NonZeroOpIN3c108BFloat16EEEPKSF_lEEPiiNS8_6detail34convert_binary_result_type_wrapperINS8_3SumESJ_iEEEE10hipError_tPvRmT1_T2_T3_mT4_P12ihipStream_tbEUlT_E1_NS1_11comp_targetILNS1_3genE3ELNS1_11target_archE908ELNS1_3gpuE7ELNS1_3repE0EEENS1_30default_config_static_selectorELNS0_4arch9wavefront6targetE0EEEvSS_
; %bb.0:
	.section	.rodata,"a",@progbits
	.p2align	6, 0x0
	.amdhsa_kernel _ZN7rocprim17ROCPRIM_400000_NS6detail17trampoline_kernelINS0_14default_configENS1_22reduce_config_selectorIbEEZNS1_11reduce_implILb1ES3_N6hipcub16HIPCUB_304000_NS22TransformInputIteratorIbN2at6native12_GLOBAL__N_19NonZeroOpIN3c108BFloat16EEEPKSF_lEEPiiNS8_6detail34convert_binary_result_type_wrapperINS8_3SumESJ_iEEEE10hipError_tPvRmT1_T2_T3_mT4_P12ihipStream_tbEUlT_E1_NS1_11comp_targetILNS1_3genE3ELNS1_11target_archE908ELNS1_3gpuE7ELNS1_3repE0EEENS1_30default_config_static_selectorELNS0_4arch9wavefront6targetE0EEEvSS_
		.amdhsa_group_segment_fixed_size 0
		.amdhsa_private_segment_fixed_size 0
		.amdhsa_kernarg_size 48
		.amdhsa_user_sgpr_count 15
		.amdhsa_user_sgpr_dispatch_ptr 0
		.amdhsa_user_sgpr_queue_ptr 0
		.amdhsa_user_sgpr_kernarg_segment_ptr 1
		.amdhsa_user_sgpr_dispatch_id 0
		.amdhsa_user_sgpr_private_segment_size 0
		.amdhsa_wavefront_size32 1
		.amdhsa_uses_dynamic_stack 0
		.amdhsa_enable_private_segment 0
		.amdhsa_system_sgpr_workgroup_id_x 1
		.amdhsa_system_sgpr_workgroup_id_y 0
		.amdhsa_system_sgpr_workgroup_id_z 0
		.amdhsa_system_sgpr_workgroup_info 0
		.amdhsa_system_vgpr_workitem_id 0
		.amdhsa_next_free_vgpr 1
		.amdhsa_next_free_sgpr 1
		.amdhsa_reserve_vcc 0
		.amdhsa_float_round_mode_32 0
		.amdhsa_float_round_mode_16_64 0
		.amdhsa_float_denorm_mode_32 3
		.amdhsa_float_denorm_mode_16_64 3
		.amdhsa_dx10_clamp 1
		.amdhsa_ieee_mode 1
		.amdhsa_fp16_overflow 0
		.amdhsa_workgroup_processor_mode 1
		.amdhsa_memory_ordered 1
		.amdhsa_forward_progress 0
		.amdhsa_shared_vgpr_count 0
		.amdhsa_exception_fp_ieee_invalid_op 0
		.amdhsa_exception_fp_denorm_src 0
		.amdhsa_exception_fp_ieee_div_zero 0
		.amdhsa_exception_fp_ieee_overflow 0
		.amdhsa_exception_fp_ieee_underflow 0
		.amdhsa_exception_fp_ieee_inexact 0
		.amdhsa_exception_int_div_zero 0
	.end_amdhsa_kernel
	.section	.text._ZN7rocprim17ROCPRIM_400000_NS6detail17trampoline_kernelINS0_14default_configENS1_22reduce_config_selectorIbEEZNS1_11reduce_implILb1ES3_N6hipcub16HIPCUB_304000_NS22TransformInputIteratorIbN2at6native12_GLOBAL__N_19NonZeroOpIN3c108BFloat16EEEPKSF_lEEPiiNS8_6detail34convert_binary_result_type_wrapperINS8_3SumESJ_iEEEE10hipError_tPvRmT1_T2_T3_mT4_P12ihipStream_tbEUlT_E1_NS1_11comp_targetILNS1_3genE3ELNS1_11target_archE908ELNS1_3gpuE7ELNS1_3repE0EEENS1_30default_config_static_selectorELNS0_4arch9wavefront6targetE0EEEvSS_,"axG",@progbits,_ZN7rocprim17ROCPRIM_400000_NS6detail17trampoline_kernelINS0_14default_configENS1_22reduce_config_selectorIbEEZNS1_11reduce_implILb1ES3_N6hipcub16HIPCUB_304000_NS22TransformInputIteratorIbN2at6native12_GLOBAL__N_19NonZeroOpIN3c108BFloat16EEEPKSF_lEEPiiNS8_6detail34convert_binary_result_type_wrapperINS8_3SumESJ_iEEEE10hipError_tPvRmT1_T2_T3_mT4_P12ihipStream_tbEUlT_E1_NS1_11comp_targetILNS1_3genE3ELNS1_11target_archE908ELNS1_3gpuE7ELNS1_3repE0EEENS1_30default_config_static_selectorELNS0_4arch9wavefront6targetE0EEEvSS_,comdat
.Lfunc_end792:
	.size	_ZN7rocprim17ROCPRIM_400000_NS6detail17trampoline_kernelINS0_14default_configENS1_22reduce_config_selectorIbEEZNS1_11reduce_implILb1ES3_N6hipcub16HIPCUB_304000_NS22TransformInputIteratorIbN2at6native12_GLOBAL__N_19NonZeroOpIN3c108BFloat16EEEPKSF_lEEPiiNS8_6detail34convert_binary_result_type_wrapperINS8_3SumESJ_iEEEE10hipError_tPvRmT1_T2_T3_mT4_P12ihipStream_tbEUlT_E1_NS1_11comp_targetILNS1_3genE3ELNS1_11target_archE908ELNS1_3gpuE7ELNS1_3repE0EEENS1_30default_config_static_selectorELNS0_4arch9wavefront6targetE0EEEvSS_, .Lfunc_end792-_ZN7rocprim17ROCPRIM_400000_NS6detail17trampoline_kernelINS0_14default_configENS1_22reduce_config_selectorIbEEZNS1_11reduce_implILb1ES3_N6hipcub16HIPCUB_304000_NS22TransformInputIteratorIbN2at6native12_GLOBAL__N_19NonZeroOpIN3c108BFloat16EEEPKSF_lEEPiiNS8_6detail34convert_binary_result_type_wrapperINS8_3SumESJ_iEEEE10hipError_tPvRmT1_T2_T3_mT4_P12ihipStream_tbEUlT_E1_NS1_11comp_targetILNS1_3genE3ELNS1_11target_archE908ELNS1_3gpuE7ELNS1_3repE0EEENS1_30default_config_static_selectorELNS0_4arch9wavefront6targetE0EEEvSS_
                                        ; -- End function
	.section	.AMDGPU.csdata,"",@progbits
; Kernel info:
; codeLenInByte = 0
; NumSgprs: 0
; NumVgprs: 0
; ScratchSize: 0
; MemoryBound: 0
; FloatMode: 240
; IeeeMode: 1
; LDSByteSize: 0 bytes/workgroup (compile time only)
; SGPRBlocks: 0
; VGPRBlocks: 0
; NumSGPRsForWavesPerEU: 1
; NumVGPRsForWavesPerEU: 1
; Occupancy: 16
; WaveLimiterHint : 0
; COMPUTE_PGM_RSRC2:SCRATCH_EN: 0
; COMPUTE_PGM_RSRC2:USER_SGPR: 15
; COMPUTE_PGM_RSRC2:TRAP_HANDLER: 0
; COMPUTE_PGM_RSRC2:TGID_X_EN: 1
; COMPUTE_PGM_RSRC2:TGID_Y_EN: 0
; COMPUTE_PGM_RSRC2:TGID_Z_EN: 0
; COMPUTE_PGM_RSRC2:TIDIG_COMP_CNT: 0
	.section	.text._ZN7rocprim17ROCPRIM_400000_NS6detail17trampoline_kernelINS0_14default_configENS1_22reduce_config_selectorIbEEZNS1_11reduce_implILb1ES3_N6hipcub16HIPCUB_304000_NS22TransformInputIteratorIbN2at6native12_GLOBAL__N_19NonZeroOpIN3c108BFloat16EEEPKSF_lEEPiiNS8_6detail34convert_binary_result_type_wrapperINS8_3SumESJ_iEEEE10hipError_tPvRmT1_T2_T3_mT4_P12ihipStream_tbEUlT_E1_NS1_11comp_targetILNS1_3genE2ELNS1_11target_archE906ELNS1_3gpuE6ELNS1_3repE0EEENS1_30default_config_static_selectorELNS0_4arch9wavefront6targetE0EEEvSS_,"axG",@progbits,_ZN7rocprim17ROCPRIM_400000_NS6detail17trampoline_kernelINS0_14default_configENS1_22reduce_config_selectorIbEEZNS1_11reduce_implILb1ES3_N6hipcub16HIPCUB_304000_NS22TransformInputIteratorIbN2at6native12_GLOBAL__N_19NonZeroOpIN3c108BFloat16EEEPKSF_lEEPiiNS8_6detail34convert_binary_result_type_wrapperINS8_3SumESJ_iEEEE10hipError_tPvRmT1_T2_T3_mT4_P12ihipStream_tbEUlT_E1_NS1_11comp_targetILNS1_3genE2ELNS1_11target_archE906ELNS1_3gpuE6ELNS1_3repE0EEENS1_30default_config_static_selectorELNS0_4arch9wavefront6targetE0EEEvSS_,comdat
	.globl	_ZN7rocprim17ROCPRIM_400000_NS6detail17trampoline_kernelINS0_14default_configENS1_22reduce_config_selectorIbEEZNS1_11reduce_implILb1ES3_N6hipcub16HIPCUB_304000_NS22TransformInputIteratorIbN2at6native12_GLOBAL__N_19NonZeroOpIN3c108BFloat16EEEPKSF_lEEPiiNS8_6detail34convert_binary_result_type_wrapperINS8_3SumESJ_iEEEE10hipError_tPvRmT1_T2_T3_mT4_P12ihipStream_tbEUlT_E1_NS1_11comp_targetILNS1_3genE2ELNS1_11target_archE906ELNS1_3gpuE6ELNS1_3repE0EEENS1_30default_config_static_selectorELNS0_4arch9wavefront6targetE0EEEvSS_ ; -- Begin function _ZN7rocprim17ROCPRIM_400000_NS6detail17trampoline_kernelINS0_14default_configENS1_22reduce_config_selectorIbEEZNS1_11reduce_implILb1ES3_N6hipcub16HIPCUB_304000_NS22TransformInputIteratorIbN2at6native12_GLOBAL__N_19NonZeroOpIN3c108BFloat16EEEPKSF_lEEPiiNS8_6detail34convert_binary_result_type_wrapperINS8_3SumESJ_iEEEE10hipError_tPvRmT1_T2_T3_mT4_P12ihipStream_tbEUlT_E1_NS1_11comp_targetILNS1_3genE2ELNS1_11target_archE906ELNS1_3gpuE6ELNS1_3repE0EEENS1_30default_config_static_selectorELNS0_4arch9wavefront6targetE0EEEvSS_
	.p2align	8
	.type	_ZN7rocprim17ROCPRIM_400000_NS6detail17trampoline_kernelINS0_14default_configENS1_22reduce_config_selectorIbEEZNS1_11reduce_implILb1ES3_N6hipcub16HIPCUB_304000_NS22TransformInputIteratorIbN2at6native12_GLOBAL__N_19NonZeroOpIN3c108BFloat16EEEPKSF_lEEPiiNS8_6detail34convert_binary_result_type_wrapperINS8_3SumESJ_iEEEE10hipError_tPvRmT1_T2_T3_mT4_P12ihipStream_tbEUlT_E1_NS1_11comp_targetILNS1_3genE2ELNS1_11target_archE906ELNS1_3gpuE6ELNS1_3repE0EEENS1_30default_config_static_selectorELNS0_4arch9wavefront6targetE0EEEvSS_,@function
_ZN7rocprim17ROCPRIM_400000_NS6detail17trampoline_kernelINS0_14default_configENS1_22reduce_config_selectorIbEEZNS1_11reduce_implILb1ES3_N6hipcub16HIPCUB_304000_NS22TransformInputIteratorIbN2at6native12_GLOBAL__N_19NonZeroOpIN3c108BFloat16EEEPKSF_lEEPiiNS8_6detail34convert_binary_result_type_wrapperINS8_3SumESJ_iEEEE10hipError_tPvRmT1_T2_T3_mT4_P12ihipStream_tbEUlT_E1_NS1_11comp_targetILNS1_3genE2ELNS1_11target_archE906ELNS1_3gpuE6ELNS1_3repE0EEENS1_30default_config_static_selectorELNS0_4arch9wavefront6targetE0EEEvSS_: ; @_ZN7rocprim17ROCPRIM_400000_NS6detail17trampoline_kernelINS0_14default_configENS1_22reduce_config_selectorIbEEZNS1_11reduce_implILb1ES3_N6hipcub16HIPCUB_304000_NS22TransformInputIteratorIbN2at6native12_GLOBAL__N_19NonZeroOpIN3c108BFloat16EEEPKSF_lEEPiiNS8_6detail34convert_binary_result_type_wrapperINS8_3SumESJ_iEEEE10hipError_tPvRmT1_T2_T3_mT4_P12ihipStream_tbEUlT_E1_NS1_11comp_targetILNS1_3genE2ELNS1_11target_archE906ELNS1_3gpuE6ELNS1_3repE0EEENS1_30default_config_static_selectorELNS0_4arch9wavefront6targetE0EEEvSS_
; %bb.0:
	.section	.rodata,"a",@progbits
	.p2align	6, 0x0
	.amdhsa_kernel _ZN7rocprim17ROCPRIM_400000_NS6detail17trampoline_kernelINS0_14default_configENS1_22reduce_config_selectorIbEEZNS1_11reduce_implILb1ES3_N6hipcub16HIPCUB_304000_NS22TransformInputIteratorIbN2at6native12_GLOBAL__N_19NonZeroOpIN3c108BFloat16EEEPKSF_lEEPiiNS8_6detail34convert_binary_result_type_wrapperINS8_3SumESJ_iEEEE10hipError_tPvRmT1_T2_T3_mT4_P12ihipStream_tbEUlT_E1_NS1_11comp_targetILNS1_3genE2ELNS1_11target_archE906ELNS1_3gpuE6ELNS1_3repE0EEENS1_30default_config_static_selectorELNS0_4arch9wavefront6targetE0EEEvSS_
		.amdhsa_group_segment_fixed_size 0
		.amdhsa_private_segment_fixed_size 0
		.amdhsa_kernarg_size 48
		.amdhsa_user_sgpr_count 15
		.amdhsa_user_sgpr_dispatch_ptr 0
		.amdhsa_user_sgpr_queue_ptr 0
		.amdhsa_user_sgpr_kernarg_segment_ptr 1
		.amdhsa_user_sgpr_dispatch_id 0
		.amdhsa_user_sgpr_private_segment_size 0
		.amdhsa_wavefront_size32 1
		.amdhsa_uses_dynamic_stack 0
		.amdhsa_enable_private_segment 0
		.amdhsa_system_sgpr_workgroup_id_x 1
		.amdhsa_system_sgpr_workgroup_id_y 0
		.amdhsa_system_sgpr_workgroup_id_z 0
		.amdhsa_system_sgpr_workgroup_info 0
		.amdhsa_system_vgpr_workitem_id 0
		.amdhsa_next_free_vgpr 1
		.amdhsa_next_free_sgpr 1
		.amdhsa_reserve_vcc 0
		.amdhsa_float_round_mode_32 0
		.amdhsa_float_round_mode_16_64 0
		.amdhsa_float_denorm_mode_32 3
		.amdhsa_float_denorm_mode_16_64 3
		.amdhsa_dx10_clamp 1
		.amdhsa_ieee_mode 1
		.amdhsa_fp16_overflow 0
		.amdhsa_workgroup_processor_mode 1
		.amdhsa_memory_ordered 1
		.amdhsa_forward_progress 0
		.amdhsa_shared_vgpr_count 0
		.amdhsa_exception_fp_ieee_invalid_op 0
		.amdhsa_exception_fp_denorm_src 0
		.amdhsa_exception_fp_ieee_div_zero 0
		.amdhsa_exception_fp_ieee_overflow 0
		.amdhsa_exception_fp_ieee_underflow 0
		.amdhsa_exception_fp_ieee_inexact 0
		.amdhsa_exception_int_div_zero 0
	.end_amdhsa_kernel
	.section	.text._ZN7rocprim17ROCPRIM_400000_NS6detail17trampoline_kernelINS0_14default_configENS1_22reduce_config_selectorIbEEZNS1_11reduce_implILb1ES3_N6hipcub16HIPCUB_304000_NS22TransformInputIteratorIbN2at6native12_GLOBAL__N_19NonZeroOpIN3c108BFloat16EEEPKSF_lEEPiiNS8_6detail34convert_binary_result_type_wrapperINS8_3SumESJ_iEEEE10hipError_tPvRmT1_T2_T3_mT4_P12ihipStream_tbEUlT_E1_NS1_11comp_targetILNS1_3genE2ELNS1_11target_archE906ELNS1_3gpuE6ELNS1_3repE0EEENS1_30default_config_static_selectorELNS0_4arch9wavefront6targetE0EEEvSS_,"axG",@progbits,_ZN7rocprim17ROCPRIM_400000_NS6detail17trampoline_kernelINS0_14default_configENS1_22reduce_config_selectorIbEEZNS1_11reduce_implILb1ES3_N6hipcub16HIPCUB_304000_NS22TransformInputIteratorIbN2at6native12_GLOBAL__N_19NonZeroOpIN3c108BFloat16EEEPKSF_lEEPiiNS8_6detail34convert_binary_result_type_wrapperINS8_3SumESJ_iEEEE10hipError_tPvRmT1_T2_T3_mT4_P12ihipStream_tbEUlT_E1_NS1_11comp_targetILNS1_3genE2ELNS1_11target_archE906ELNS1_3gpuE6ELNS1_3repE0EEENS1_30default_config_static_selectorELNS0_4arch9wavefront6targetE0EEEvSS_,comdat
.Lfunc_end793:
	.size	_ZN7rocprim17ROCPRIM_400000_NS6detail17trampoline_kernelINS0_14default_configENS1_22reduce_config_selectorIbEEZNS1_11reduce_implILb1ES3_N6hipcub16HIPCUB_304000_NS22TransformInputIteratorIbN2at6native12_GLOBAL__N_19NonZeroOpIN3c108BFloat16EEEPKSF_lEEPiiNS8_6detail34convert_binary_result_type_wrapperINS8_3SumESJ_iEEEE10hipError_tPvRmT1_T2_T3_mT4_P12ihipStream_tbEUlT_E1_NS1_11comp_targetILNS1_3genE2ELNS1_11target_archE906ELNS1_3gpuE6ELNS1_3repE0EEENS1_30default_config_static_selectorELNS0_4arch9wavefront6targetE0EEEvSS_, .Lfunc_end793-_ZN7rocprim17ROCPRIM_400000_NS6detail17trampoline_kernelINS0_14default_configENS1_22reduce_config_selectorIbEEZNS1_11reduce_implILb1ES3_N6hipcub16HIPCUB_304000_NS22TransformInputIteratorIbN2at6native12_GLOBAL__N_19NonZeroOpIN3c108BFloat16EEEPKSF_lEEPiiNS8_6detail34convert_binary_result_type_wrapperINS8_3SumESJ_iEEEE10hipError_tPvRmT1_T2_T3_mT4_P12ihipStream_tbEUlT_E1_NS1_11comp_targetILNS1_3genE2ELNS1_11target_archE906ELNS1_3gpuE6ELNS1_3repE0EEENS1_30default_config_static_selectorELNS0_4arch9wavefront6targetE0EEEvSS_
                                        ; -- End function
	.section	.AMDGPU.csdata,"",@progbits
; Kernel info:
; codeLenInByte = 0
; NumSgprs: 0
; NumVgprs: 0
; ScratchSize: 0
; MemoryBound: 0
; FloatMode: 240
; IeeeMode: 1
; LDSByteSize: 0 bytes/workgroup (compile time only)
; SGPRBlocks: 0
; VGPRBlocks: 0
; NumSGPRsForWavesPerEU: 1
; NumVGPRsForWavesPerEU: 1
; Occupancy: 16
; WaveLimiterHint : 0
; COMPUTE_PGM_RSRC2:SCRATCH_EN: 0
; COMPUTE_PGM_RSRC2:USER_SGPR: 15
; COMPUTE_PGM_RSRC2:TRAP_HANDLER: 0
; COMPUTE_PGM_RSRC2:TGID_X_EN: 1
; COMPUTE_PGM_RSRC2:TGID_Y_EN: 0
; COMPUTE_PGM_RSRC2:TGID_Z_EN: 0
; COMPUTE_PGM_RSRC2:TIDIG_COMP_CNT: 0
	.section	.text._ZN7rocprim17ROCPRIM_400000_NS6detail17trampoline_kernelINS0_14default_configENS1_22reduce_config_selectorIbEEZNS1_11reduce_implILb1ES3_N6hipcub16HIPCUB_304000_NS22TransformInputIteratorIbN2at6native12_GLOBAL__N_19NonZeroOpIN3c108BFloat16EEEPKSF_lEEPiiNS8_6detail34convert_binary_result_type_wrapperINS8_3SumESJ_iEEEE10hipError_tPvRmT1_T2_T3_mT4_P12ihipStream_tbEUlT_E1_NS1_11comp_targetILNS1_3genE10ELNS1_11target_archE1201ELNS1_3gpuE5ELNS1_3repE0EEENS1_30default_config_static_selectorELNS0_4arch9wavefront6targetE0EEEvSS_,"axG",@progbits,_ZN7rocprim17ROCPRIM_400000_NS6detail17trampoline_kernelINS0_14default_configENS1_22reduce_config_selectorIbEEZNS1_11reduce_implILb1ES3_N6hipcub16HIPCUB_304000_NS22TransformInputIteratorIbN2at6native12_GLOBAL__N_19NonZeroOpIN3c108BFloat16EEEPKSF_lEEPiiNS8_6detail34convert_binary_result_type_wrapperINS8_3SumESJ_iEEEE10hipError_tPvRmT1_T2_T3_mT4_P12ihipStream_tbEUlT_E1_NS1_11comp_targetILNS1_3genE10ELNS1_11target_archE1201ELNS1_3gpuE5ELNS1_3repE0EEENS1_30default_config_static_selectorELNS0_4arch9wavefront6targetE0EEEvSS_,comdat
	.globl	_ZN7rocprim17ROCPRIM_400000_NS6detail17trampoline_kernelINS0_14default_configENS1_22reduce_config_selectorIbEEZNS1_11reduce_implILb1ES3_N6hipcub16HIPCUB_304000_NS22TransformInputIteratorIbN2at6native12_GLOBAL__N_19NonZeroOpIN3c108BFloat16EEEPKSF_lEEPiiNS8_6detail34convert_binary_result_type_wrapperINS8_3SumESJ_iEEEE10hipError_tPvRmT1_T2_T3_mT4_P12ihipStream_tbEUlT_E1_NS1_11comp_targetILNS1_3genE10ELNS1_11target_archE1201ELNS1_3gpuE5ELNS1_3repE0EEENS1_30default_config_static_selectorELNS0_4arch9wavefront6targetE0EEEvSS_ ; -- Begin function _ZN7rocprim17ROCPRIM_400000_NS6detail17trampoline_kernelINS0_14default_configENS1_22reduce_config_selectorIbEEZNS1_11reduce_implILb1ES3_N6hipcub16HIPCUB_304000_NS22TransformInputIteratorIbN2at6native12_GLOBAL__N_19NonZeroOpIN3c108BFloat16EEEPKSF_lEEPiiNS8_6detail34convert_binary_result_type_wrapperINS8_3SumESJ_iEEEE10hipError_tPvRmT1_T2_T3_mT4_P12ihipStream_tbEUlT_E1_NS1_11comp_targetILNS1_3genE10ELNS1_11target_archE1201ELNS1_3gpuE5ELNS1_3repE0EEENS1_30default_config_static_selectorELNS0_4arch9wavefront6targetE0EEEvSS_
	.p2align	8
	.type	_ZN7rocprim17ROCPRIM_400000_NS6detail17trampoline_kernelINS0_14default_configENS1_22reduce_config_selectorIbEEZNS1_11reduce_implILb1ES3_N6hipcub16HIPCUB_304000_NS22TransformInputIteratorIbN2at6native12_GLOBAL__N_19NonZeroOpIN3c108BFloat16EEEPKSF_lEEPiiNS8_6detail34convert_binary_result_type_wrapperINS8_3SumESJ_iEEEE10hipError_tPvRmT1_T2_T3_mT4_P12ihipStream_tbEUlT_E1_NS1_11comp_targetILNS1_3genE10ELNS1_11target_archE1201ELNS1_3gpuE5ELNS1_3repE0EEENS1_30default_config_static_selectorELNS0_4arch9wavefront6targetE0EEEvSS_,@function
_ZN7rocprim17ROCPRIM_400000_NS6detail17trampoline_kernelINS0_14default_configENS1_22reduce_config_selectorIbEEZNS1_11reduce_implILb1ES3_N6hipcub16HIPCUB_304000_NS22TransformInputIteratorIbN2at6native12_GLOBAL__N_19NonZeroOpIN3c108BFloat16EEEPKSF_lEEPiiNS8_6detail34convert_binary_result_type_wrapperINS8_3SumESJ_iEEEE10hipError_tPvRmT1_T2_T3_mT4_P12ihipStream_tbEUlT_E1_NS1_11comp_targetILNS1_3genE10ELNS1_11target_archE1201ELNS1_3gpuE5ELNS1_3repE0EEENS1_30default_config_static_selectorELNS0_4arch9wavefront6targetE0EEEvSS_: ; @_ZN7rocprim17ROCPRIM_400000_NS6detail17trampoline_kernelINS0_14default_configENS1_22reduce_config_selectorIbEEZNS1_11reduce_implILb1ES3_N6hipcub16HIPCUB_304000_NS22TransformInputIteratorIbN2at6native12_GLOBAL__N_19NonZeroOpIN3c108BFloat16EEEPKSF_lEEPiiNS8_6detail34convert_binary_result_type_wrapperINS8_3SumESJ_iEEEE10hipError_tPvRmT1_T2_T3_mT4_P12ihipStream_tbEUlT_E1_NS1_11comp_targetILNS1_3genE10ELNS1_11target_archE1201ELNS1_3gpuE5ELNS1_3repE0EEENS1_30default_config_static_selectorELNS0_4arch9wavefront6targetE0EEEvSS_
; %bb.0:
	.section	.rodata,"a",@progbits
	.p2align	6, 0x0
	.amdhsa_kernel _ZN7rocprim17ROCPRIM_400000_NS6detail17trampoline_kernelINS0_14default_configENS1_22reduce_config_selectorIbEEZNS1_11reduce_implILb1ES3_N6hipcub16HIPCUB_304000_NS22TransformInputIteratorIbN2at6native12_GLOBAL__N_19NonZeroOpIN3c108BFloat16EEEPKSF_lEEPiiNS8_6detail34convert_binary_result_type_wrapperINS8_3SumESJ_iEEEE10hipError_tPvRmT1_T2_T3_mT4_P12ihipStream_tbEUlT_E1_NS1_11comp_targetILNS1_3genE10ELNS1_11target_archE1201ELNS1_3gpuE5ELNS1_3repE0EEENS1_30default_config_static_selectorELNS0_4arch9wavefront6targetE0EEEvSS_
		.amdhsa_group_segment_fixed_size 0
		.amdhsa_private_segment_fixed_size 0
		.amdhsa_kernarg_size 48
		.amdhsa_user_sgpr_count 15
		.amdhsa_user_sgpr_dispatch_ptr 0
		.amdhsa_user_sgpr_queue_ptr 0
		.amdhsa_user_sgpr_kernarg_segment_ptr 1
		.amdhsa_user_sgpr_dispatch_id 0
		.amdhsa_user_sgpr_private_segment_size 0
		.amdhsa_wavefront_size32 1
		.amdhsa_uses_dynamic_stack 0
		.amdhsa_enable_private_segment 0
		.amdhsa_system_sgpr_workgroup_id_x 1
		.amdhsa_system_sgpr_workgroup_id_y 0
		.amdhsa_system_sgpr_workgroup_id_z 0
		.amdhsa_system_sgpr_workgroup_info 0
		.amdhsa_system_vgpr_workitem_id 0
		.amdhsa_next_free_vgpr 1
		.amdhsa_next_free_sgpr 1
		.amdhsa_reserve_vcc 0
		.amdhsa_float_round_mode_32 0
		.amdhsa_float_round_mode_16_64 0
		.amdhsa_float_denorm_mode_32 3
		.amdhsa_float_denorm_mode_16_64 3
		.amdhsa_dx10_clamp 1
		.amdhsa_ieee_mode 1
		.amdhsa_fp16_overflow 0
		.amdhsa_workgroup_processor_mode 1
		.amdhsa_memory_ordered 1
		.amdhsa_forward_progress 0
		.amdhsa_shared_vgpr_count 0
		.amdhsa_exception_fp_ieee_invalid_op 0
		.amdhsa_exception_fp_denorm_src 0
		.amdhsa_exception_fp_ieee_div_zero 0
		.amdhsa_exception_fp_ieee_overflow 0
		.amdhsa_exception_fp_ieee_underflow 0
		.amdhsa_exception_fp_ieee_inexact 0
		.amdhsa_exception_int_div_zero 0
	.end_amdhsa_kernel
	.section	.text._ZN7rocprim17ROCPRIM_400000_NS6detail17trampoline_kernelINS0_14default_configENS1_22reduce_config_selectorIbEEZNS1_11reduce_implILb1ES3_N6hipcub16HIPCUB_304000_NS22TransformInputIteratorIbN2at6native12_GLOBAL__N_19NonZeroOpIN3c108BFloat16EEEPKSF_lEEPiiNS8_6detail34convert_binary_result_type_wrapperINS8_3SumESJ_iEEEE10hipError_tPvRmT1_T2_T3_mT4_P12ihipStream_tbEUlT_E1_NS1_11comp_targetILNS1_3genE10ELNS1_11target_archE1201ELNS1_3gpuE5ELNS1_3repE0EEENS1_30default_config_static_selectorELNS0_4arch9wavefront6targetE0EEEvSS_,"axG",@progbits,_ZN7rocprim17ROCPRIM_400000_NS6detail17trampoline_kernelINS0_14default_configENS1_22reduce_config_selectorIbEEZNS1_11reduce_implILb1ES3_N6hipcub16HIPCUB_304000_NS22TransformInputIteratorIbN2at6native12_GLOBAL__N_19NonZeroOpIN3c108BFloat16EEEPKSF_lEEPiiNS8_6detail34convert_binary_result_type_wrapperINS8_3SumESJ_iEEEE10hipError_tPvRmT1_T2_T3_mT4_P12ihipStream_tbEUlT_E1_NS1_11comp_targetILNS1_3genE10ELNS1_11target_archE1201ELNS1_3gpuE5ELNS1_3repE0EEENS1_30default_config_static_selectorELNS0_4arch9wavefront6targetE0EEEvSS_,comdat
.Lfunc_end794:
	.size	_ZN7rocprim17ROCPRIM_400000_NS6detail17trampoline_kernelINS0_14default_configENS1_22reduce_config_selectorIbEEZNS1_11reduce_implILb1ES3_N6hipcub16HIPCUB_304000_NS22TransformInputIteratorIbN2at6native12_GLOBAL__N_19NonZeroOpIN3c108BFloat16EEEPKSF_lEEPiiNS8_6detail34convert_binary_result_type_wrapperINS8_3SumESJ_iEEEE10hipError_tPvRmT1_T2_T3_mT4_P12ihipStream_tbEUlT_E1_NS1_11comp_targetILNS1_3genE10ELNS1_11target_archE1201ELNS1_3gpuE5ELNS1_3repE0EEENS1_30default_config_static_selectorELNS0_4arch9wavefront6targetE0EEEvSS_, .Lfunc_end794-_ZN7rocprim17ROCPRIM_400000_NS6detail17trampoline_kernelINS0_14default_configENS1_22reduce_config_selectorIbEEZNS1_11reduce_implILb1ES3_N6hipcub16HIPCUB_304000_NS22TransformInputIteratorIbN2at6native12_GLOBAL__N_19NonZeroOpIN3c108BFloat16EEEPKSF_lEEPiiNS8_6detail34convert_binary_result_type_wrapperINS8_3SumESJ_iEEEE10hipError_tPvRmT1_T2_T3_mT4_P12ihipStream_tbEUlT_E1_NS1_11comp_targetILNS1_3genE10ELNS1_11target_archE1201ELNS1_3gpuE5ELNS1_3repE0EEENS1_30default_config_static_selectorELNS0_4arch9wavefront6targetE0EEEvSS_
                                        ; -- End function
	.section	.AMDGPU.csdata,"",@progbits
; Kernel info:
; codeLenInByte = 0
; NumSgprs: 0
; NumVgprs: 0
; ScratchSize: 0
; MemoryBound: 0
; FloatMode: 240
; IeeeMode: 1
; LDSByteSize: 0 bytes/workgroup (compile time only)
; SGPRBlocks: 0
; VGPRBlocks: 0
; NumSGPRsForWavesPerEU: 1
; NumVGPRsForWavesPerEU: 1
; Occupancy: 16
; WaveLimiterHint : 0
; COMPUTE_PGM_RSRC2:SCRATCH_EN: 0
; COMPUTE_PGM_RSRC2:USER_SGPR: 15
; COMPUTE_PGM_RSRC2:TRAP_HANDLER: 0
; COMPUTE_PGM_RSRC2:TGID_X_EN: 1
; COMPUTE_PGM_RSRC2:TGID_Y_EN: 0
; COMPUTE_PGM_RSRC2:TGID_Z_EN: 0
; COMPUTE_PGM_RSRC2:TIDIG_COMP_CNT: 0
	.section	.text._ZN7rocprim17ROCPRIM_400000_NS6detail17trampoline_kernelINS0_14default_configENS1_22reduce_config_selectorIbEEZNS1_11reduce_implILb1ES3_N6hipcub16HIPCUB_304000_NS22TransformInputIteratorIbN2at6native12_GLOBAL__N_19NonZeroOpIN3c108BFloat16EEEPKSF_lEEPiiNS8_6detail34convert_binary_result_type_wrapperINS8_3SumESJ_iEEEE10hipError_tPvRmT1_T2_T3_mT4_P12ihipStream_tbEUlT_E1_NS1_11comp_targetILNS1_3genE10ELNS1_11target_archE1200ELNS1_3gpuE4ELNS1_3repE0EEENS1_30default_config_static_selectorELNS0_4arch9wavefront6targetE0EEEvSS_,"axG",@progbits,_ZN7rocprim17ROCPRIM_400000_NS6detail17trampoline_kernelINS0_14default_configENS1_22reduce_config_selectorIbEEZNS1_11reduce_implILb1ES3_N6hipcub16HIPCUB_304000_NS22TransformInputIteratorIbN2at6native12_GLOBAL__N_19NonZeroOpIN3c108BFloat16EEEPKSF_lEEPiiNS8_6detail34convert_binary_result_type_wrapperINS8_3SumESJ_iEEEE10hipError_tPvRmT1_T2_T3_mT4_P12ihipStream_tbEUlT_E1_NS1_11comp_targetILNS1_3genE10ELNS1_11target_archE1200ELNS1_3gpuE4ELNS1_3repE0EEENS1_30default_config_static_selectorELNS0_4arch9wavefront6targetE0EEEvSS_,comdat
	.globl	_ZN7rocprim17ROCPRIM_400000_NS6detail17trampoline_kernelINS0_14default_configENS1_22reduce_config_selectorIbEEZNS1_11reduce_implILb1ES3_N6hipcub16HIPCUB_304000_NS22TransformInputIteratorIbN2at6native12_GLOBAL__N_19NonZeroOpIN3c108BFloat16EEEPKSF_lEEPiiNS8_6detail34convert_binary_result_type_wrapperINS8_3SumESJ_iEEEE10hipError_tPvRmT1_T2_T3_mT4_P12ihipStream_tbEUlT_E1_NS1_11comp_targetILNS1_3genE10ELNS1_11target_archE1200ELNS1_3gpuE4ELNS1_3repE0EEENS1_30default_config_static_selectorELNS0_4arch9wavefront6targetE0EEEvSS_ ; -- Begin function _ZN7rocprim17ROCPRIM_400000_NS6detail17trampoline_kernelINS0_14default_configENS1_22reduce_config_selectorIbEEZNS1_11reduce_implILb1ES3_N6hipcub16HIPCUB_304000_NS22TransformInputIteratorIbN2at6native12_GLOBAL__N_19NonZeroOpIN3c108BFloat16EEEPKSF_lEEPiiNS8_6detail34convert_binary_result_type_wrapperINS8_3SumESJ_iEEEE10hipError_tPvRmT1_T2_T3_mT4_P12ihipStream_tbEUlT_E1_NS1_11comp_targetILNS1_3genE10ELNS1_11target_archE1200ELNS1_3gpuE4ELNS1_3repE0EEENS1_30default_config_static_selectorELNS0_4arch9wavefront6targetE0EEEvSS_
	.p2align	8
	.type	_ZN7rocprim17ROCPRIM_400000_NS6detail17trampoline_kernelINS0_14default_configENS1_22reduce_config_selectorIbEEZNS1_11reduce_implILb1ES3_N6hipcub16HIPCUB_304000_NS22TransformInputIteratorIbN2at6native12_GLOBAL__N_19NonZeroOpIN3c108BFloat16EEEPKSF_lEEPiiNS8_6detail34convert_binary_result_type_wrapperINS8_3SumESJ_iEEEE10hipError_tPvRmT1_T2_T3_mT4_P12ihipStream_tbEUlT_E1_NS1_11comp_targetILNS1_3genE10ELNS1_11target_archE1200ELNS1_3gpuE4ELNS1_3repE0EEENS1_30default_config_static_selectorELNS0_4arch9wavefront6targetE0EEEvSS_,@function
_ZN7rocprim17ROCPRIM_400000_NS6detail17trampoline_kernelINS0_14default_configENS1_22reduce_config_selectorIbEEZNS1_11reduce_implILb1ES3_N6hipcub16HIPCUB_304000_NS22TransformInputIteratorIbN2at6native12_GLOBAL__N_19NonZeroOpIN3c108BFloat16EEEPKSF_lEEPiiNS8_6detail34convert_binary_result_type_wrapperINS8_3SumESJ_iEEEE10hipError_tPvRmT1_T2_T3_mT4_P12ihipStream_tbEUlT_E1_NS1_11comp_targetILNS1_3genE10ELNS1_11target_archE1200ELNS1_3gpuE4ELNS1_3repE0EEENS1_30default_config_static_selectorELNS0_4arch9wavefront6targetE0EEEvSS_: ; @_ZN7rocprim17ROCPRIM_400000_NS6detail17trampoline_kernelINS0_14default_configENS1_22reduce_config_selectorIbEEZNS1_11reduce_implILb1ES3_N6hipcub16HIPCUB_304000_NS22TransformInputIteratorIbN2at6native12_GLOBAL__N_19NonZeroOpIN3c108BFloat16EEEPKSF_lEEPiiNS8_6detail34convert_binary_result_type_wrapperINS8_3SumESJ_iEEEE10hipError_tPvRmT1_T2_T3_mT4_P12ihipStream_tbEUlT_E1_NS1_11comp_targetILNS1_3genE10ELNS1_11target_archE1200ELNS1_3gpuE4ELNS1_3repE0EEENS1_30default_config_static_selectorELNS0_4arch9wavefront6targetE0EEEvSS_
; %bb.0:
	.section	.rodata,"a",@progbits
	.p2align	6, 0x0
	.amdhsa_kernel _ZN7rocprim17ROCPRIM_400000_NS6detail17trampoline_kernelINS0_14default_configENS1_22reduce_config_selectorIbEEZNS1_11reduce_implILb1ES3_N6hipcub16HIPCUB_304000_NS22TransformInputIteratorIbN2at6native12_GLOBAL__N_19NonZeroOpIN3c108BFloat16EEEPKSF_lEEPiiNS8_6detail34convert_binary_result_type_wrapperINS8_3SumESJ_iEEEE10hipError_tPvRmT1_T2_T3_mT4_P12ihipStream_tbEUlT_E1_NS1_11comp_targetILNS1_3genE10ELNS1_11target_archE1200ELNS1_3gpuE4ELNS1_3repE0EEENS1_30default_config_static_selectorELNS0_4arch9wavefront6targetE0EEEvSS_
		.amdhsa_group_segment_fixed_size 0
		.amdhsa_private_segment_fixed_size 0
		.amdhsa_kernarg_size 48
		.amdhsa_user_sgpr_count 15
		.amdhsa_user_sgpr_dispatch_ptr 0
		.amdhsa_user_sgpr_queue_ptr 0
		.amdhsa_user_sgpr_kernarg_segment_ptr 1
		.amdhsa_user_sgpr_dispatch_id 0
		.amdhsa_user_sgpr_private_segment_size 0
		.amdhsa_wavefront_size32 1
		.amdhsa_uses_dynamic_stack 0
		.amdhsa_enable_private_segment 0
		.amdhsa_system_sgpr_workgroup_id_x 1
		.amdhsa_system_sgpr_workgroup_id_y 0
		.amdhsa_system_sgpr_workgroup_id_z 0
		.amdhsa_system_sgpr_workgroup_info 0
		.amdhsa_system_vgpr_workitem_id 0
		.amdhsa_next_free_vgpr 1
		.amdhsa_next_free_sgpr 1
		.amdhsa_reserve_vcc 0
		.amdhsa_float_round_mode_32 0
		.amdhsa_float_round_mode_16_64 0
		.amdhsa_float_denorm_mode_32 3
		.amdhsa_float_denorm_mode_16_64 3
		.amdhsa_dx10_clamp 1
		.amdhsa_ieee_mode 1
		.amdhsa_fp16_overflow 0
		.amdhsa_workgroup_processor_mode 1
		.amdhsa_memory_ordered 1
		.amdhsa_forward_progress 0
		.amdhsa_shared_vgpr_count 0
		.amdhsa_exception_fp_ieee_invalid_op 0
		.amdhsa_exception_fp_denorm_src 0
		.amdhsa_exception_fp_ieee_div_zero 0
		.amdhsa_exception_fp_ieee_overflow 0
		.amdhsa_exception_fp_ieee_underflow 0
		.amdhsa_exception_fp_ieee_inexact 0
		.amdhsa_exception_int_div_zero 0
	.end_amdhsa_kernel
	.section	.text._ZN7rocprim17ROCPRIM_400000_NS6detail17trampoline_kernelINS0_14default_configENS1_22reduce_config_selectorIbEEZNS1_11reduce_implILb1ES3_N6hipcub16HIPCUB_304000_NS22TransformInputIteratorIbN2at6native12_GLOBAL__N_19NonZeroOpIN3c108BFloat16EEEPKSF_lEEPiiNS8_6detail34convert_binary_result_type_wrapperINS8_3SumESJ_iEEEE10hipError_tPvRmT1_T2_T3_mT4_P12ihipStream_tbEUlT_E1_NS1_11comp_targetILNS1_3genE10ELNS1_11target_archE1200ELNS1_3gpuE4ELNS1_3repE0EEENS1_30default_config_static_selectorELNS0_4arch9wavefront6targetE0EEEvSS_,"axG",@progbits,_ZN7rocprim17ROCPRIM_400000_NS6detail17trampoline_kernelINS0_14default_configENS1_22reduce_config_selectorIbEEZNS1_11reduce_implILb1ES3_N6hipcub16HIPCUB_304000_NS22TransformInputIteratorIbN2at6native12_GLOBAL__N_19NonZeroOpIN3c108BFloat16EEEPKSF_lEEPiiNS8_6detail34convert_binary_result_type_wrapperINS8_3SumESJ_iEEEE10hipError_tPvRmT1_T2_T3_mT4_P12ihipStream_tbEUlT_E1_NS1_11comp_targetILNS1_3genE10ELNS1_11target_archE1200ELNS1_3gpuE4ELNS1_3repE0EEENS1_30default_config_static_selectorELNS0_4arch9wavefront6targetE0EEEvSS_,comdat
.Lfunc_end795:
	.size	_ZN7rocprim17ROCPRIM_400000_NS6detail17trampoline_kernelINS0_14default_configENS1_22reduce_config_selectorIbEEZNS1_11reduce_implILb1ES3_N6hipcub16HIPCUB_304000_NS22TransformInputIteratorIbN2at6native12_GLOBAL__N_19NonZeroOpIN3c108BFloat16EEEPKSF_lEEPiiNS8_6detail34convert_binary_result_type_wrapperINS8_3SumESJ_iEEEE10hipError_tPvRmT1_T2_T3_mT4_P12ihipStream_tbEUlT_E1_NS1_11comp_targetILNS1_3genE10ELNS1_11target_archE1200ELNS1_3gpuE4ELNS1_3repE0EEENS1_30default_config_static_selectorELNS0_4arch9wavefront6targetE0EEEvSS_, .Lfunc_end795-_ZN7rocprim17ROCPRIM_400000_NS6detail17trampoline_kernelINS0_14default_configENS1_22reduce_config_selectorIbEEZNS1_11reduce_implILb1ES3_N6hipcub16HIPCUB_304000_NS22TransformInputIteratorIbN2at6native12_GLOBAL__N_19NonZeroOpIN3c108BFloat16EEEPKSF_lEEPiiNS8_6detail34convert_binary_result_type_wrapperINS8_3SumESJ_iEEEE10hipError_tPvRmT1_T2_T3_mT4_P12ihipStream_tbEUlT_E1_NS1_11comp_targetILNS1_3genE10ELNS1_11target_archE1200ELNS1_3gpuE4ELNS1_3repE0EEENS1_30default_config_static_selectorELNS0_4arch9wavefront6targetE0EEEvSS_
                                        ; -- End function
	.section	.AMDGPU.csdata,"",@progbits
; Kernel info:
; codeLenInByte = 0
; NumSgprs: 0
; NumVgprs: 0
; ScratchSize: 0
; MemoryBound: 0
; FloatMode: 240
; IeeeMode: 1
; LDSByteSize: 0 bytes/workgroup (compile time only)
; SGPRBlocks: 0
; VGPRBlocks: 0
; NumSGPRsForWavesPerEU: 1
; NumVGPRsForWavesPerEU: 1
; Occupancy: 16
; WaveLimiterHint : 0
; COMPUTE_PGM_RSRC2:SCRATCH_EN: 0
; COMPUTE_PGM_RSRC2:USER_SGPR: 15
; COMPUTE_PGM_RSRC2:TRAP_HANDLER: 0
; COMPUTE_PGM_RSRC2:TGID_X_EN: 1
; COMPUTE_PGM_RSRC2:TGID_Y_EN: 0
; COMPUTE_PGM_RSRC2:TGID_Z_EN: 0
; COMPUTE_PGM_RSRC2:TIDIG_COMP_CNT: 0
	.section	.text._ZN7rocprim17ROCPRIM_400000_NS6detail17trampoline_kernelINS0_14default_configENS1_22reduce_config_selectorIbEEZNS1_11reduce_implILb1ES3_N6hipcub16HIPCUB_304000_NS22TransformInputIteratorIbN2at6native12_GLOBAL__N_19NonZeroOpIN3c108BFloat16EEEPKSF_lEEPiiNS8_6detail34convert_binary_result_type_wrapperINS8_3SumESJ_iEEEE10hipError_tPvRmT1_T2_T3_mT4_P12ihipStream_tbEUlT_E1_NS1_11comp_targetILNS1_3genE9ELNS1_11target_archE1100ELNS1_3gpuE3ELNS1_3repE0EEENS1_30default_config_static_selectorELNS0_4arch9wavefront6targetE0EEEvSS_,"axG",@progbits,_ZN7rocprim17ROCPRIM_400000_NS6detail17trampoline_kernelINS0_14default_configENS1_22reduce_config_selectorIbEEZNS1_11reduce_implILb1ES3_N6hipcub16HIPCUB_304000_NS22TransformInputIteratorIbN2at6native12_GLOBAL__N_19NonZeroOpIN3c108BFloat16EEEPKSF_lEEPiiNS8_6detail34convert_binary_result_type_wrapperINS8_3SumESJ_iEEEE10hipError_tPvRmT1_T2_T3_mT4_P12ihipStream_tbEUlT_E1_NS1_11comp_targetILNS1_3genE9ELNS1_11target_archE1100ELNS1_3gpuE3ELNS1_3repE0EEENS1_30default_config_static_selectorELNS0_4arch9wavefront6targetE0EEEvSS_,comdat
	.globl	_ZN7rocprim17ROCPRIM_400000_NS6detail17trampoline_kernelINS0_14default_configENS1_22reduce_config_selectorIbEEZNS1_11reduce_implILb1ES3_N6hipcub16HIPCUB_304000_NS22TransformInputIteratorIbN2at6native12_GLOBAL__N_19NonZeroOpIN3c108BFloat16EEEPKSF_lEEPiiNS8_6detail34convert_binary_result_type_wrapperINS8_3SumESJ_iEEEE10hipError_tPvRmT1_T2_T3_mT4_P12ihipStream_tbEUlT_E1_NS1_11comp_targetILNS1_3genE9ELNS1_11target_archE1100ELNS1_3gpuE3ELNS1_3repE0EEENS1_30default_config_static_selectorELNS0_4arch9wavefront6targetE0EEEvSS_ ; -- Begin function _ZN7rocprim17ROCPRIM_400000_NS6detail17trampoline_kernelINS0_14default_configENS1_22reduce_config_selectorIbEEZNS1_11reduce_implILb1ES3_N6hipcub16HIPCUB_304000_NS22TransformInputIteratorIbN2at6native12_GLOBAL__N_19NonZeroOpIN3c108BFloat16EEEPKSF_lEEPiiNS8_6detail34convert_binary_result_type_wrapperINS8_3SumESJ_iEEEE10hipError_tPvRmT1_T2_T3_mT4_P12ihipStream_tbEUlT_E1_NS1_11comp_targetILNS1_3genE9ELNS1_11target_archE1100ELNS1_3gpuE3ELNS1_3repE0EEENS1_30default_config_static_selectorELNS0_4arch9wavefront6targetE0EEEvSS_
	.p2align	8
	.type	_ZN7rocprim17ROCPRIM_400000_NS6detail17trampoline_kernelINS0_14default_configENS1_22reduce_config_selectorIbEEZNS1_11reduce_implILb1ES3_N6hipcub16HIPCUB_304000_NS22TransformInputIteratorIbN2at6native12_GLOBAL__N_19NonZeroOpIN3c108BFloat16EEEPKSF_lEEPiiNS8_6detail34convert_binary_result_type_wrapperINS8_3SumESJ_iEEEE10hipError_tPvRmT1_T2_T3_mT4_P12ihipStream_tbEUlT_E1_NS1_11comp_targetILNS1_3genE9ELNS1_11target_archE1100ELNS1_3gpuE3ELNS1_3repE0EEENS1_30default_config_static_selectorELNS0_4arch9wavefront6targetE0EEEvSS_,@function
_ZN7rocprim17ROCPRIM_400000_NS6detail17trampoline_kernelINS0_14default_configENS1_22reduce_config_selectorIbEEZNS1_11reduce_implILb1ES3_N6hipcub16HIPCUB_304000_NS22TransformInputIteratorIbN2at6native12_GLOBAL__N_19NonZeroOpIN3c108BFloat16EEEPKSF_lEEPiiNS8_6detail34convert_binary_result_type_wrapperINS8_3SumESJ_iEEEE10hipError_tPvRmT1_T2_T3_mT4_P12ihipStream_tbEUlT_E1_NS1_11comp_targetILNS1_3genE9ELNS1_11target_archE1100ELNS1_3gpuE3ELNS1_3repE0EEENS1_30default_config_static_selectorELNS0_4arch9wavefront6targetE0EEEvSS_: ; @_ZN7rocprim17ROCPRIM_400000_NS6detail17trampoline_kernelINS0_14default_configENS1_22reduce_config_selectorIbEEZNS1_11reduce_implILb1ES3_N6hipcub16HIPCUB_304000_NS22TransformInputIteratorIbN2at6native12_GLOBAL__N_19NonZeroOpIN3c108BFloat16EEEPKSF_lEEPiiNS8_6detail34convert_binary_result_type_wrapperINS8_3SumESJ_iEEEE10hipError_tPvRmT1_T2_T3_mT4_P12ihipStream_tbEUlT_E1_NS1_11comp_targetILNS1_3genE9ELNS1_11target_archE1100ELNS1_3gpuE3ELNS1_3repE0EEENS1_30default_config_static_selectorELNS0_4arch9wavefront6targetE0EEEvSS_
; %bb.0:
	s_clause 0x2
	s_load_b32 s26, s[0:1], 0x4
	s_load_b64 s[24:25], s[0:1], 0x8
	s_load_b128 s[20:23], s[0:1], 0x18
	s_mov_b32 s18, s15
	s_waitcnt lgkmcnt(0)
	s_cmp_lt_i32 s26, 16
	s_cbranch_scc1 .LBB796_12
; %bb.1:
	s_cmp_gt_i32 s26, 63
	s_cbranch_scc0 .LBB796_13
; %bb.2:
	s_cmpk_gt_i32 s26, 0x7f
	s_cbranch_scc0 .LBB796_22
; %bb.3:
	s_cmpk_eq_i32 s26, 0x80
	s_mov_b32 s6, 0
	s_cbranch_scc0 .LBB796_23
; %bb.4:
	s_mov_b32 s19, 0
	s_lshl_b32 s4, s18, 14
	s_mov_b32 s5, s19
	s_lshr_b64 s[8:9], s[20:21], 14
	s_lshl_b64 s[2:3], s[4:5], 1
	s_delay_alu instid0(SALU_CYCLE_1)
	s_add_u32 s2, s24, s2
	s_addc_u32 s3, s25, s3
	s_cmp_lg_u64 s[8:9], s[18:19]
	s_cbranch_scc0 .LBB796_34
; %bb.5:
	v_lshlrev_b32_e32 v6, 1, v0
	s_clause 0xf
	global_load_u16 v1, v6, s[2:3]
	global_load_u16 v2, v6, s[2:3] offset:256
	global_load_u16 v3, v6, s[2:3] offset:512
	;; [unrolled: 1-line block ×15, first 2 shown]
	v_add_co_u32 v12, s5, s2, v6
	s_delay_alu instid0(VALU_DEP_1) | instskip(SKIP_1) | instid1(VALU_DEP_2)
	v_add_co_ci_u32_e64 v13, null, s3, 0, s5
	s_mov_b32 s5, exec_lo
	v_add_co_u32 v6, vcc_lo, 0x1000, v12
	s_delay_alu instid0(VALU_DEP_2)
	v_add_co_ci_u32_e32 v7, vcc_lo, 0, v13, vcc_lo
	v_add_co_u32 v8, vcc_lo, v12, 0x2000
	v_add_co_ci_u32_e32 v9, vcc_lo, 0, v13, vcc_lo
	v_add_co_u32 v10, vcc_lo, 0x2000, v12
	s_clause 0x7
	global_load_u16 v25, v[6:7], off offset:256
	global_load_u16 v26, v[6:7], off offset:512
	;; [unrolled: 1-line block ×8, first 2 shown]
	v_add_co_ci_u32_e32 v11, vcc_lo, 0, v13, vcc_lo
	s_clause 0x11
	global_load_u16 v33, v[8:9], off offset:-4096
	global_load_u16 v34, v[8:9], off
	global_load_u16 v35, v[6:7], off offset:2304
	global_load_u16 v36, v[6:7], off offset:2560
	;; [unrolled: 1-line block ×16, first 2 shown]
	v_add_co_u32 v6, vcc_lo, 0x3000, v12
	v_add_co_ci_u32_e32 v7, vcc_lo, 0, v13, vcc_lo
	s_clause 0xf
	global_load_u16 v51, v[10:11], off offset:2560
	global_load_u16 v52, v[10:11], off offset:2816
	;; [unrolled: 1-line block ×16, first 2 shown]
	v_add_co_u32 v8, vcc_lo, v12, 0x4000
	v_add_co_ci_u32_e32 v9, vcc_lo, 0, v13, vcc_lo
	v_add_co_u32 v10, vcc_lo, 0x4000, v12
	v_add_co_ci_u32_e32 v11, vcc_lo, 0, v13, vcc_lo
	s_clause 0x11
	global_load_u16 v67, v[8:9], off offset:-4096
	global_load_u16 v68, v[8:9], off
	global_load_u16 v69, v[6:7], off offset:2816
	global_load_u16 v70, v[6:7], off offset:3072
	;; [unrolled: 1-line block ×16, first 2 shown]
	v_add_co_u32 v6, vcc_lo, v12, 0x6000
	v_add_co_ci_u32_e32 v7, vcc_lo, 0, v13, vcc_lo
	v_add_co_u32 v8, vcc_lo, 0x5000, v12
	v_add_co_ci_u32_e32 v9, vcc_lo, 0, v13, vcc_lo
	s_clause 0x10
	global_load_u16 v85, v[6:7], off offset:-4096
	global_load_u16 v86, v[10:11], off offset:3072
	global_load_u16 v87, v[10:11], off offset:3328
	;; [unrolled: 1-line block ×16, first 2 shown]
	v_add_co_u32 v10, vcc_lo, 0x6000, v12
	v_add_co_ci_u32_e32 v11, vcc_lo, 0, v13, vcc_lo
	s_clause 0x8
	global_load_u16 v102, v[6:7], off
	global_load_u16 v103, v[8:9], off offset:3328
	global_load_u16 v104, v[8:9], off offset:3584
	;; [unrolled: 1-line block ×8, first 2 shown]
	v_add_co_u32 v6, vcc_lo, 0x7000, v12
	v_add_co_ci_u32_e32 v7, vcc_lo, 0, v13, vcc_lo
	s_clause 0x19
	global_load_u16 v12, v[10:11], off offset:1536
	global_load_u16 v13, v[10:11], off offset:1792
	;; [unrolled: 1-line block ×10, first 2 shown]
	global_load_u16 v11, v[6:7], off
	global_load_u16 v116, v[6:7], off offset:256
	global_load_u16 v117, v[6:7], off offset:512
	;; [unrolled: 1-line block ×15, first 2 shown]
	s_waitcnt vmcnt(62)
	v_and_b32_e32 v1, 0x7fff, v1
	v_and_b32_e32 v2, 0x7fff, v2
	;; [unrolled: 1-line block ×5, first 2 shown]
	v_cmp_ne_u16_e32 vcc_lo, 0, v1
	v_and_b32_e32 v7, 0x7fff, v14
	v_and_b32_e32 v14, 0x7fff, v15
	v_and_b32_e32 v15, 0x7fff, v16
	v_and_b32_e32 v16, 0x7fff, v17
	v_cndmask_b32_e64 v1, 0, 1, vcc_lo
	v_cmp_ne_u16_e32 vcc_lo, 0, v3
	v_and_b32_e32 v17, 0x7fff, v18
	v_and_b32_e32 v18, 0x7fff, v19
	v_and_b32_e32 v19, 0x7fff, v20
	v_and_b32_e32 v20, 0x7fff, v21
	v_cndmask_b32_e64 v3, 0, 1, vcc_lo
	;; [unrolled: 6-line block ×8, first 2 shown]
	v_cmp_ne_u16_e32 vcc_lo, 0, v2
	v_and_b32_e32 v45, 0x7fff, v46
	v_and_b32_e32 v46, 0x7fff, v47
	v_and_b32_e32 v47, 0x7fff, v48
	v_and_b32_e32 v48, 0x7fff, v49
	v_add_co_ci_u32_e32 v1, vcc_lo, 0, v1, vcc_lo
	v_cmp_ne_u16_e32 vcc_lo, 0, v4
	v_and_b32_e32 v49, 0x7fff, v50
	v_and_b32_e32 v50, 0x7fff, v51
	v_and_b32_e32 v51, 0x7fff, v52
	v_and_b32_e32 v52, 0x7fff, v53
	v_add_co_ci_u32_e32 v1, vcc_lo, v1, v3, vcc_lo
	;; [unrolled: 6-line block ×7, first 2 shown]
	v_cmp_ne_u16_e32 vcc_lo, 0, v24
	v_and_b32_e32 v73, 0x7fff, v74
	s_waitcnt vmcnt(61)
	v_and_b32_e32 v74, 0x7fff, v75
	s_waitcnt vmcnt(60)
	;; [unrolled: 2-line block ×3, first 2 shown]
	v_and_b32_e32 v76, 0x7fff, v77
	v_cndmask_b32_e64 v20, 0, 1, vcc_lo
	v_cmp_ne_u16_e32 vcc_lo, 0, v23
	s_waitcnt vmcnt(58)
	v_and_b32_e32 v77, 0x7fff, v78
	s_waitcnt vmcnt(57)
	v_and_b32_e32 v78, 0x7fff, v79
	;; [unrolled: 2-line block ×4, first 2 shown]
	v_add_co_ci_u32_e32 v1, vcc_lo, v1, v22, vcc_lo
	v_cmp_ne_u16_e32 vcc_lo, 0, v26
	s_waitcnt vmcnt(54)
	v_and_b32_e32 v81, 0x7fff, v82
	s_waitcnt vmcnt(53)
	v_and_b32_e32 v82, 0x7fff, v83
	;; [unrolled: 2-line block ×4, first 2 shown]
	v_cndmask_b32_e64 v21, 0, 1, vcc_lo
	v_cmp_ne_u16_e32 vcc_lo, 0, v25
	s_waitcnt vmcnt(49)
	v_and_b32_e32 v86, 0x7fff, v87
	s_waitcnt vmcnt(48)
	v_and_b32_e32 v87, 0x7fff, v88
	v_and_b32_e32 v85, 0x7fff, v85
	s_waitcnt vmcnt(47)
	v_and_b32_e32 v88, 0x7fff, v89
	v_add_co_ci_u32_e32 v1, vcc_lo, v1, v20, vcc_lo
	v_cmp_ne_u16_e32 vcc_lo, 0, v28
	s_waitcnt vmcnt(46)
	v_and_b32_e32 v89, 0x7fff, v90
	s_waitcnt vmcnt(45)
	v_and_b32_e32 v90, 0x7fff, v91
	;; [unrolled: 2-line block ×4, first 2 shown]
	v_cndmask_b32_e64 v20, 0, 1, vcc_lo
	v_cmp_ne_u16_e32 vcc_lo, 0, v27
	s_waitcnt vmcnt(42)
	v_and_b32_e32 v93, 0x7fff, v94
	s_waitcnt vmcnt(41)
	v_and_b32_e32 v94, 0x7fff, v95
	;; [unrolled: 2-line block ×4, first 2 shown]
	v_add_co_ci_u32_e32 v1, vcc_lo, v1, v21, vcc_lo
	v_cmp_ne_u16_e32 vcc_lo, 0, v30
	s_waitcnt vmcnt(38)
	v_and_b32_e32 v97, 0x7fff, v98
	s_waitcnt vmcnt(37)
	v_and_b32_e32 v98, 0x7fff, v99
	;; [unrolled: 2-line block ×4, first 2 shown]
	v_cndmask_b32_e64 v21, 0, 1, vcc_lo
	v_cmp_ne_u16_e32 vcc_lo, 0, v29
	s_waitcnt vmcnt(33)
	v_and_b32_e32 v101, 0x7fff, v103
	s_waitcnt vmcnt(32)
	v_and_b32_e32 v103, 0x7fff, v104
	v_and_b32_e32 v102, 0x7fff, v102
	s_waitcnt vmcnt(31)
	v_and_b32_e32 v8, 0x7fff, v8
	v_add_co_ci_u32_e32 v1, vcc_lo, v1, v20, vcc_lo
	v_cmp_ne_u16_e32 vcc_lo, 0, v32
	s_waitcnt vmcnt(29)
	v_and_b32_e32 v104, 0x7fff, v105
	v_and_b32_e32 v9, 0x7fff, v9
	s_waitcnt vmcnt(28)
	v_and_b32_e32 v105, 0x7fff, v106
	s_waitcnt vmcnt(27)
	v_and_b32_e32 v106, 0x7fff, v107
	v_cndmask_b32_e64 v20, 0, 1, vcc_lo
	v_cmp_ne_u16_e32 vcc_lo, 0, v31
	s_waitcnt vmcnt(25)
	v_and_b32_e32 v12, 0x7fff, v12
	v_and_b32_e32 v107, 0x7fff, v108
	s_waitcnt vmcnt(23)
	v_and_b32_e32 v108, 0x7fff, v109
	v_and_b32_e32 v13, 0x7fff, v13
	v_add_co_ci_u32_e32 v1, vcc_lo, v1, v21, vcc_lo
	v_cmp_ne_u16_e32 vcc_lo, 0, v35
	s_waitcnt vmcnt(22)
	v_and_b32_e32 v109, 0x7fff, v110
	s_waitcnt vmcnt(21)
	v_and_b32_e32 v110, 0x7fff, v111
	;; [unrolled: 2-line block ×4, first 2 shown]
	v_cndmask_b32_e64 v21, 0, 1, vcc_lo
	v_cmp_ne_u16_e32 vcc_lo, 0, v33
	s_waitcnt vmcnt(18)
	v_and_b32_e32 v113, 0x7fff, v114
	s_waitcnt vmcnt(17)
	v_and_b32_e32 v114, 0x7fff, v115
	;; [unrolled: 2-line block ×3, first 2 shown]
	v_and_b32_e32 v10, 0x7fff, v10
	v_add_co_ci_u32_e32 v1, vcc_lo, v1, v20, vcc_lo
	v_cmp_ne_u16_e32 vcc_lo, 0, v37
	s_waitcnt vmcnt(14)
	v_and_b32_e32 v115, 0x7fff, v116
	s_waitcnt vmcnt(13)
	v_and_b32_e32 v116, 0x7fff, v117
	;; [unrolled: 2-line block ×3, first 2 shown]
	v_and_b32_e32 v2, 0x7fff, v118
	v_cndmask_b32_e64 v20, 0, 1, vcc_lo
	v_cmp_ne_u16_e32 vcc_lo, 0, v36
	s_waitcnt vmcnt(9)
	v_and_b32_e32 v4, 0x7fff, v121
	v_and_b32_e32 v3, 0x7fff, v120
	s_waitcnt vmcnt(7)
	v_and_b32_e32 v7, 0x7fff, v123
	v_and_b32_e32 v5, 0x7fff, v122
	v_add_co_ci_u32_e32 v1, vcc_lo, v1, v21, vcc_lo
	v_cmp_ne_u16_e32 vcc_lo, 0, v39
	s_waitcnt vmcnt(5)
	v_and_b32_e32 v15, 0x7fff, v125
	v_and_b32_e32 v14, 0x7fff, v124
	s_waitcnt vmcnt(3)
	v_and_b32_e32 v17, 0x7fff, v127
	v_and_b32_e32 v16, 0x7fff, v126
	v_cndmask_b32_e64 v21, 0, 1, vcc_lo
	v_cmp_ne_u16_e32 vcc_lo, 0, v38
	s_waitcnt vmcnt(1)
	v_and_b32_e32 v19, 0x7fff, v129
	v_and_b32_e32 v18, 0x7fff, v128
	v_add_co_ci_u32_e32 v1, vcc_lo, v1, v20, vcc_lo
	v_cmp_ne_u16_e32 vcc_lo, 0, v34
	v_cndmask_b32_e64 v20, 0, 1, vcc_lo
	v_cmp_ne_u16_e32 vcc_lo, 0, v40
	s_delay_alu instid0(VALU_DEP_4) | instskip(SKIP_3) | instid1(VALU_DEP_4)
	v_add_co_ci_u32_e32 v1, vcc_lo, v1, v21, vcc_lo
	v_cmp_ne_u16_e32 vcc_lo, 0, v42
	v_cndmask_b32_e64 v21, 0, 1, vcc_lo
	v_cmp_ne_u16_e32 vcc_lo, 0, v41
	v_add_co_ci_u32_e32 v1, vcc_lo, v1, v20, vcc_lo
	v_cmp_ne_u16_e32 vcc_lo, 0, v44
	v_cndmask_b32_e64 v20, 0, 1, vcc_lo
	v_cmp_ne_u16_e32 vcc_lo, 0, v43
	s_delay_alu instid0(VALU_DEP_4) | instskip(SKIP_3) | instid1(VALU_DEP_4)
	v_add_co_ci_u32_e32 v1, vcc_lo, v1, v21, vcc_lo
	v_cmp_ne_u16_e32 vcc_lo, 0, v46
	v_cndmask_b32_e64 v21, 0, 1, vcc_lo
	v_cmp_ne_u16_e32 vcc_lo, 0, v45
	;; [unrolled: 9-line block ×21, first 2 shown]
	v_add_co_ci_u32_e32 v1, vcc_lo, v1, v9, vcc_lo
	v_cmp_ne_u16_e32 vcc_lo, 0, v117
	v_cndmask_b32_e64 v9, 0, 1, vcc_lo
	v_cmp_ne_u16_e32 vcc_lo, 0, v2
	s_delay_alu instid0(VALU_DEP_4)
	v_add_co_ci_u32_e32 v1, vcc_lo, v1, v8, vcc_lo
	v_cmp_ne_u16_e32 vcc_lo, 0, v4
	s_waitcnt vmcnt(0)
	v_and_b32_e32 v4, 0x7fff, v6
	v_cndmask_b32_e64 v2, 0, 1, vcc_lo
	v_cmp_ne_u16_e32 vcc_lo, 0, v3
	v_add_co_ci_u32_e32 v1, vcc_lo, v1, v9, vcc_lo
	v_cmp_ne_u16_e32 vcc_lo, 0, v7
	v_cndmask_b32_e64 v3, 0, 1, vcc_lo
	v_cmp_ne_u16_e32 vcc_lo, 0, v5
	s_delay_alu instid0(VALU_DEP_4) | instskip(SKIP_3) | instid1(VALU_DEP_4)
	v_add_co_ci_u32_e32 v1, vcc_lo, v1, v2, vcc_lo
	v_cmp_ne_u16_e32 vcc_lo, 0, v15
	v_cndmask_b32_e64 v2, 0, 1, vcc_lo
	v_cmp_ne_u16_e32 vcc_lo, 0, v14
	v_add_co_ci_u32_e32 v1, vcc_lo, v1, v3, vcc_lo
	v_cmp_ne_u16_e32 vcc_lo, 0, v17
	v_cndmask_b32_e64 v3, 0, 1, vcc_lo
	v_cmp_ne_u16_e32 vcc_lo, 0, v16
	s_delay_alu instid0(VALU_DEP_4) | instskip(SKIP_3) | instid1(VALU_DEP_4)
	v_add_co_ci_u32_e32 v1, vcc_lo, v1, v2, vcc_lo
	v_cmp_ne_u16_e32 vcc_lo, 0, v19
	v_cndmask_b32_e64 v2, 0, 1, vcc_lo
	v_cmp_ne_u16_e32 vcc_lo, 0, v18
	v_add_co_ci_u32_e32 v1, vcc_lo, v1, v3, vcc_lo
	v_mov_b32_e32 v3, 0
	v_cmp_ne_u16_e32 vcc_lo, 0, v4
	s_delay_alu instid0(VALU_DEP_3) | instskip(NEXT) | instid1(VALU_DEP_1)
	v_add_co_ci_u32_e32 v1, vcc_lo, v1, v2, vcc_lo
	v_mov_b32_dpp v2, v1 quad_perm:[1,0,3,2] row_mask:0xf bank_mask:0xf
	s_delay_alu instid0(VALU_DEP_1) | instskip(NEXT) | instid1(VALU_DEP_1)
	v_add_nc_u32_e32 v1, v1, v2
	v_mov_b32_dpp v2, v1 quad_perm:[2,3,0,1] row_mask:0xf bank_mask:0xf
	s_delay_alu instid0(VALU_DEP_1) | instskip(NEXT) | instid1(VALU_DEP_1)
	v_add_nc_u32_e32 v1, v1, v2
	v_mov_b32_dpp v2, v1 row_ror:4 row_mask:0xf bank_mask:0xf
	s_delay_alu instid0(VALU_DEP_1) | instskip(NEXT) | instid1(VALU_DEP_1)
	v_add_nc_u32_e32 v1, v1, v2
	v_mov_b32_dpp v2, v1 row_ror:8 row_mask:0xf bank_mask:0xf
	s_delay_alu instid0(VALU_DEP_1)
	v_add_nc_u32_e32 v1, v1, v2
	ds_swizzle_b32 v2, v1 offset:swizzle(BROADCAST,32,15)
	s_waitcnt lgkmcnt(0)
	v_add_nc_u32_e32 v1, v1, v2
	v_mbcnt_lo_u32_b32 v2, -1, 0
	ds_bpermute_b32 v1, v3, v1 offset:124
	v_cmpx_eq_u32_e32 0, v2
	s_cbranch_execz .LBB796_7
; %bb.6:
	v_lshrrev_b32_e32 v3, 3, v0
	s_delay_alu instid0(VALU_DEP_1)
	v_and_b32_e32 v3, 12, v3
	s_waitcnt lgkmcnt(0)
	ds_store_b32 v3, v1
.LBB796_7:
	s_or_b32 exec_lo, exec_lo, s5
	s_delay_alu instid0(SALU_CYCLE_1)
	s_mov_b32 s5, exec_lo
	s_waitcnt lgkmcnt(0)
	s_barrier
	buffer_gl0_inv
	v_cmpx_gt_u32_e32 32, v0
	s_cbranch_execz .LBB796_9
; %bb.8:
	v_and_b32_e32 v1, 3, v2
	s_delay_alu instid0(VALU_DEP_1) | instskip(SKIP_4) | instid1(VALU_DEP_2)
	v_lshlrev_b32_e32 v3, 2, v1
	v_cmp_ne_u32_e32 vcc_lo, 3, v1
	ds_load_b32 v3, v3
	v_add_co_ci_u32_e32 v4, vcc_lo, 0, v2, vcc_lo
	v_cmp_gt_u32_e32 vcc_lo, 2, v1
	v_lshlrev_b32_e32 v4, 2, v4
	v_cndmask_b32_e64 v1, 0, 1, vcc_lo
	s_delay_alu instid0(VALU_DEP_1) | instskip(NEXT) | instid1(VALU_DEP_1)
	v_lshlrev_b32_e32 v1, 1, v1
	v_add_lshl_u32 v1, v1, v2, 2
	s_waitcnt lgkmcnt(0)
	ds_bpermute_b32 v4, v4, v3
	s_waitcnt lgkmcnt(0)
	v_add_nc_u32_e32 v3, v4, v3
	ds_bpermute_b32 v1, v1, v3
	s_waitcnt lgkmcnt(0)
	v_add_nc_u32_e32 v1, v1, v3
.LBB796_9:
	s_or_b32 exec_lo, exec_lo, s5
.LBB796_10:
	v_cmp_eq_u32_e64 s2, 0, v0
	s_and_b32 vcc_lo, exec_lo, s6
	s_cbranch_vccnz .LBB796_24
.LBB796_11:
	s_branch .LBB796_512
.LBB796_12:
	s_mov_b32 s2, 0
                                        ; implicit-def: $vgpr1
	s_cbranch_execz .LBB796_623
	s_branch .LBB796_513
.LBB796_13:
	s_mov_b32 s2, 0
                                        ; implicit-def: $vgpr1
	s_cbranch_execz .LBB796_512
; %bb.14:
	s_cmp_gt_i32 s26, 31
	s_cbranch_scc0 .LBB796_31
; %bb.15:
	s_cmp_eq_u32 s26, 32
	s_cbranch_scc0 .LBB796_32
; %bb.16:
	s_mov_b32 s19, 0
	s_lshl_b32 s4, s18, 12
	s_mov_b32 s5, s19
	s_lshr_b64 s[6:7], s[20:21], 12
	s_lshl_b64 s[2:3], s[4:5], 1
	s_delay_alu instid0(SALU_CYCLE_1)
	s_add_u32 s2, s24, s2
	s_addc_u32 s3, s25, s3
	s_cmp_lg_u64 s[6:7], s[18:19]
	s_cbranch_scc0 .LBB796_296
; %bb.17:
	v_lshlrev_b32_e32 v1, 1, v0
	s_clause 0xf
	global_load_u16 v3, v1, s[2:3]
	global_load_u16 v4, v1, s[2:3] offset:256
	global_load_u16 v5, v1, s[2:3] offset:512
	;; [unrolled: 1-line block ×15, first 2 shown]
	v_add_co_u32 v1, s5, s2, v1
	s_delay_alu instid0(VALU_DEP_1) | instskip(SKIP_1) | instid1(VALU_DEP_2)
	v_add_co_ci_u32_e64 v2, null, s3, 0, s5
	s_mov_b32 s5, exec_lo
	v_add_co_u32 v1, vcc_lo, 0x1000, v1
	s_delay_alu instid0(VALU_DEP_2)
	v_add_co_ci_u32_e32 v2, vcc_lo, 0, v2, vcc_lo
	s_clause 0xf
	global_load_u16 v19, v[1:2], off
	global_load_u16 v20, v[1:2], off offset:256
	global_load_u16 v21, v[1:2], off offset:512
	;; [unrolled: 1-line block ×15, first 2 shown]
	s_waitcnt vmcnt(31)
	v_and_b32_e32 v2, 0x7fff, v3
	s_waitcnt vmcnt(30)
	v_and_b32_e32 v3, 0x7fff, v4
	;; [unrolled: 2-line block ×5, first 2 shown]
	v_cmp_ne_u16_e32 vcc_lo, 0, v2
	s_waitcnt vmcnt(26)
	v_and_b32_e32 v7, 0x7fff, v8
	s_waitcnt vmcnt(25)
	v_and_b32_e32 v8, 0x7fff, v9
	s_waitcnt vmcnt(24)
	v_and_b32_e32 v9, 0x7fff, v10
	s_waitcnt vmcnt(23)
	v_and_b32_e32 v10, 0x7fff, v11
	v_cndmask_b32_e64 v2, 0, 1, vcc_lo
	v_cmp_ne_u16_e32 vcc_lo, 0, v4
	s_waitcnt vmcnt(22)
	v_and_b32_e32 v11, 0x7fff, v12
	s_waitcnt vmcnt(21)
	v_and_b32_e32 v12, 0x7fff, v13
	s_waitcnt vmcnt(20)
	v_and_b32_e32 v13, 0x7fff, v14
	s_waitcnt vmcnt(19)
	v_and_b32_e32 v14, 0x7fff, v15
	v_cndmask_b32_e64 v4, 0, 1, vcc_lo
	;; [unrolled: 10-line block ×3, first 2 shown]
	v_cmp_ne_u16_e32 vcc_lo, 0, v8
	s_waitcnt vmcnt(14)
	v_and_b32_e32 v19, 0x7fff, v20
	s_waitcnt vmcnt(13)
	v_and_b32_e32 v20, 0x7fff, v21
	;; [unrolled: 2-line block ×3, first 2 shown]
	v_cndmask_b32_e64 v8, 0, 1, vcc_lo
	v_cmp_ne_u16_e32 vcc_lo, 0, v10
	s_waitcnt vmcnt(0)
	v_and_b32_e32 v1, 0x7fff, v1
	v_cndmask_b32_e64 v10, 0, 1, vcc_lo
	v_cmp_ne_u16_e32 vcc_lo, 0, v12
	v_cndmask_b32_e64 v12, 0, 1, vcc_lo
	v_cmp_ne_u16_e32 vcc_lo, 0, v14
	;; [unrolled: 2-line block ×4, first 2 shown]
	v_and_b32_e32 v3, 0x7fff, v22
	v_add_co_ci_u32_e32 v2, vcc_lo, 0, v2, vcc_lo
	v_cmp_ne_u16_e32 vcc_lo, 0, v5
	v_and_b32_e32 v5, 0x7fff, v25
	s_delay_alu instid0(VALU_DEP_3) | instskip(SKIP_3) | instid1(VALU_DEP_4)
	v_add_co_ci_u32_e32 v2, vcc_lo, v2, v4, vcc_lo
	v_cmp_ne_u16_e32 vcc_lo, 0, v7
	v_and_b32_e32 v4, 0x7fff, v24
	v_and_b32_e32 v7, 0x7fff, v27
	v_add_co_ci_u32_e32 v2, vcc_lo, v2, v6, vcc_lo
	v_cmp_ne_u16_e32 vcc_lo, 0, v9
	v_and_b32_e32 v6, 0x7fff, v26
	v_and_b32_e32 v9, 0x7fff, v29
	s_delay_alu instid0(VALU_DEP_4) | instskip(SKIP_3) | instid1(VALU_DEP_4)
	v_add_co_ci_u32_e32 v2, vcc_lo, v2, v8, vcc_lo
	v_cmp_ne_u16_e32 vcc_lo, 0, v11
	v_and_b32_e32 v8, 0x7fff, v28
	v_and_b32_e32 v11, 0x7fff, v31
	v_add_co_ci_u32_e32 v2, vcc_lo, v2, v10, vcc_lo
	v_cmp_ne_u16_e32 vcc_lo, 0, v13
	v_and_b32_e32 v10, 0x7fff, v30
	v_and_b32_e32 v13, 0x7fff, v33
	s_delay_alu instid0(VALU_DEP_4) | instskip(SKIP_2) | instid1(VALU_DEP_3)
	v_add_co_ci_u32_e32 v2, vcc_lo, v2, v12, vcc_lo
	v_cmp_ne_u16_e32 vcc_lo, 0, v15
	v_and_b32_e32 v12, 0x7fff, v32
	v_add_co_ci_u32_e32 v2, vcc_lo, v2, v14, vcc_lo
	v_cmp_ne_u16_e32 vcc_lo, 0, v18
	v_cndmask_b32_e64 v14, 0, 1, vcc_lo
	v_cmp_ne_u16_e32 vcc_lo, 0, v17
	s_delay_alu instid0(VALU_DEP_4) | instskip(SKIP_3) | instid1(VALU_DEP_4)
	v_add_co_ci_u32_e32 v2, vcc_lo, v2, v16, vcc_lo
	v_cmp_ne_u16_e32 vcc_lo, 0, v20
	v_cndmask_b32_e64 v15, 0, 1, vcc_lo
	v_cmp_ne_u16_e32 vcc_lo, 0, v19
	v_add_co_ci_u32_e32 v2, vcc_lo, v2, v14, vcc_lo
	v_cmp_ne_u16_e32 vcc_lo, 0, v21
	v_cndmask_b32_e64 v14, 0, 1, vcc_lo
	v_cmp_ne_u16_e32 vcc_lo, 0, v3
	s_delay_alu instid0(VALU_DEP_4) | instskip(SKIP_3) | instid1(VALU_DEP_4)
	v_add_co_ci_u32_e32 v2, vcc_lo, v2, v15, vcc_lo
	v_cmp_ne_u16_e32 vcc_lo, 0, v5
	v_cndmask_b32_e64 v3, 0, 1, vcc_lo
	v_cmp_ne_u16_e32 vcc_lo, 0, v4
	;; [unrolled: 9-line block ×4, first 2 shown]
	v_add_co_ci_u32_e32 v2, vcc_lo, v2, v4, vcc_lo
	v_cmp_ne_u16_e32 vcc_lo, 0, v1
	s_delay_alu instid0(VALU_DEP_2) | instskip(SKIP_1) | instid1(VALU_DEP_2)
	v_add_co_ci_u32_e32 v1, vcc_lo, v2, v3, vcc_lo
	v_mov_b32_e32 v3, 0
	v_mov_b32_dpp v2, v1 quad_perm:[1,0,3,2] row_mask:0xf bank_mask:0xf
	s_delay_alu instid0(VALU_DEP_1) | instskip(NEXT) | instid1(VALU_DEP_1)
	v_add_nc_u32_e32 v1, v1, v2
	v_mov_b32_dpp v2, v1 quad_perm:[2,3,0,1] row_mask:0xf bank_mask:0xf
	s_delay_alu instid0(VALU_DEP_1) | instskip(NEXT) | instid1(VALU_DEP_1)
	v_add_nc_u32_e32 v1, v1, v2
	v_mov_b32_dpp v2, v1 row_ror:4 row_mask:0xf bank_mask:0xf
	s_delay_alu instid0(VALU_DEP_1) | instskip(NEXT) | instid1(VALU_DEP_1)
	v_add_nc_u32_e32 v1, v1, v2
	v_mov_b32_dpp v2, v1 row_ror:8 row_mask:0xf bank_mask:0xf
	s_delay_alu instid0(VALU_DEP_1)
	v_add_nc_u32_e32 v1, v1, v2
	ds_swizzle_b32 v2, v1 offset:swizzle(BROADCAST,32,15)
	s_waitcnt lgkmcnt(0)
	v_add_nc_u32_e32 v1, v1, v2
	v_mbcnt_lo_u32_b32 v2, -1, 0
	ds_bpermute_b32 v1, v3, v1 offset:124
	v_cmpx_eq_u32_e32 0, v2
	s_cbranch_execz .LBB796_19
; %bb.18:
	v_lshrrev_b32_e32 v3, 3, v0
	s_delay_alu instid0(VALU_DEP_1)
	v_and_b32_e32 v3, 12, v3
	s_waitcnt lgkmcnt(0)
	ds_store_b32 v3, v1 offset:64
.LBB796_19:
	s_or_b32 exec_lo, exec_lo, s5
	s_delay_alu instid0(SALU_CYCLE_1)
	s_mov_b32 s5, exec_lo
	s_waitcnt lgkmcnt(0)
	s_barrier
	buffer_gl0_inv
	v_cmpx_gt_u32_e32 32, v0
	s_cbranch_execz .LBB796_21
; %bb.20:
	v_and_b32_e32 v1, 3, v2
	s_delay_alu instid0(VALU_DEP_1) | instskip(SKIP_4) | instid1(VALU_DEP_2)
	v_lshlrev_b32_e32 v3, 2, v1
	v_cmp_ne_u32_e32 vcc_lo, 3, v1
	ds_load_b32 v3, v3 offset:64
	v_add_co_ci_u32_e32 v4, vcc_lo, 0, v2, vcc_lo
	v_cmp_gt_u32_e32 vcc_lo, 2, v1
	v_lshlrev_b32_e32 v4, 2, v4
	v_cndmask_b32_e64 v1, 0, 1, vcc_lo
	s_delay_alu instid0(VALU_DEP_1) | instskip(NEXT) | instid1(VALU_DEP_1)
	v_lshlrev_b32_e32 v1, 1, v1
	v_add_lshl_u32 v1, v1, v2, 2
	s_waitcnt lgkmcnt(0)
	ds_bpermute_b32 v4, v4, v3
	s_waitcnt lgkmcnt(0)
	v_add_nc_u32_e32 v3, v4, v3
	ds_bpermute_b32 v1, v1, v3
	s_waitcnt lgkmcnt(0)
	v_add_nc_u32_e32 v1, v1, v3
.LBB796_21:
	s_or_b32 exec_lo, exec_lo, s5
	s_mov_b32 s5, 0
	s_branch .LBB796_297
.LBB796_22:
	s_mov_b32 s6, -1
.LBB796_23:
	s_mov_b32 s2, 0
                                        ; implicit-def: $vgpr1
	s_and_b32 vcc_lo, exec_lo, s6
	s_cbranch_vccz .LBB796_11
.LBB796_24:
	s_cmp_eq_u32 s26, 64
	s_cbranch_scc0 .LBB796_33
; %bb.25:
	s_mov_b32 s19, 0
	s_lshl_b32 s4, s18, 13
	s_mov_b32 s5, s19
	s_lshr_b64 s[6:7], s[20:21], 13
	s_lshl_b64 s[2:3], s[4:5], 1
	s_delay_alu instid0(SALU_CYCLE_1)
	s_add_u32 s2, s24, s2
	s_addc_u32 s3, s25, s3
	s_cmp_lg_u64 s[6:7], s[18:19]
	s_cbranch_scc0 .LBB796_376
; %bb.26:
	v_lshlrev_b32_e32 v1, 1, v0
	s_clause 0xf
	global_load_u16 v9, v1, s[2:3]
	global_load_u16 v10, v1, s[2:3] offset:256
	global_load_u16 v11, v1, s[2:3] offset:512
	;; [unrolled: 1-line block ×15, first 2 shown]
	v_add_co_u32 v7, s5, s2, v1
	s_delay_alu instid0(VALU_DEP_1) | instskip(SKIP_1) | instid1(VALU_DEP_2)
	v_add_co_ci_u32_e64 v8, null, s3, 0, s5
	s_mov_b32 s5, exec_lo
	v_add_co_u32 v1, vcc_lo, 0x1000, v7
	s_delay_alu instid0(VALU_DEP_2)
	v_add_co_ci_u32_e32 v2, vcc_lo, 0, v8, vcc_lo
	v_add_co_u32 v3, vcc_lo, v7, 0x2000
	v_add_co_ci_u32_e32 v4, vcc_lo, 0, v8, vcc_lo
	v_add_co_u32 v5, vcc_lo, 0x2000, v7
	;; [unrolled: 2-line block ×3, first 2 shown]
	v_add_co_ci_u32_e32 v8, vcc_lo, 0, v8, vcc_lo
	s_clause 0x1f
	global_load_u16 v25, v[3:4], off offset:-4096
	global_load_u16 v26, v[1:2], off offset:256
	global_load_u16 v27, v[1:2], off offset:512
	;; [unrolled: 1-line block ×15, first 2 shown]
	global_load_u16 v2, v[3:4], off
	global_load_u16 v3, v[5:6], off offset:256
	global_load_u16 v4, v[5:6], off offset:512
	;; [unrolled: 1-line block ×15, first 2 shown]
	s_clause 0xf
	global_load_u16 v6, v[7:8], off
	global_load_u16 v52, v[7:8], off offset:256
	global_load_u16 v53, v[7:8], off offset:512
	;; [unrolled: 1-line block ×15, first 2 shown]
	s_waitcnt vmcnt(62)
	v_and_b32_e32 v8, 0x7fff, v9
	v_and_b32_e32 v9, 0x7fff, v10
	s_waitcnt vmcnt(61)
	v_and_b32_e32 v10, 0x7fff, v11
	s_waitcnt vmcnt(60)
	;; [unrolled: 2-line block ×3, first 2 shown]
	v_and_b32_e32 v12, 0x7fff, v13
	v_cmp_ne_u16_e32 vcc_lo, 0, v8
	s_waitcnt vmcnt(58)
	v_and_b32_e32 v13, 0x7fff, v14
	s_waitcnt vmcnt(57)
	v_and_b32_e32 v14, 0x7fff, v15
	s_waitcnt vmcnt(56)
	v_and_b32_e32 v15, 0x7fff, v16
	s_waitcnt vmcnt(55)
	v_and_b32_e32 v16, 0x7fff, v17
	v_cndmask_b32_e64 v8, 0, 1, vcc_lo
	v_cmp_ne_u16_e32 vcc_lo, 0, v10
	s_waitcnt vmcnt(54)
	v_and_b32_e32 v17, 0x7fff, v18
	s_waitcnt vmcnt(53)
	v_and_b32_e32 v18, 0x7fff, v19
	s_waitcnt vmcnt(52)
	v_and_b32_e32 v19, 0x7fff, v20
	s_waitcnt vmcnt(51)
	v_and_b32_e32 v20, 0x7fff, v21
	v_cndmask_b32_e64 v10, 0, 1, vcc_lo
	;; [unrolled: 10-line block ×6, first 2 shown]
	v_cmp_ne_u16_e32 vcc_lo, 0, v20
	s_waitcnt vmcnt(34)
	v_and_b32_e32 v37, 0x7fff, v38
	s_waitcnt vmcnt(33)
	v_and_b32_e32 v38, 0x7fff, v39
	;; [unrolled: 2-line block ×3, first 2 shown]
	v_and_b32_e32 v1, 0x7fff, v1
	v_cndmask_b32_e64 v20, 0, 1, vcc_lo
	v_cmp_ne_u16_e32 vcc_lo, 0, v22
	s_waitcnt vmcnt(29)
	v_and_b32_e32 v4, 0x7fff, v4
	v_and_b32_e32 v3, 0x7fff, v3
	s_waitcnt vmcnt(28)
	v_and_b32_e32 v39, 0x7fff, v40
	s_waitcnt vmcnt(27)
	v_and_b32_e32 v40, 0x7fff, v41
	v_cndmask_b32_e64 v22, 0, 1, vcc_lo
	v_cmp_ne_u16_e32 vcc_lo, 0, v9
	s_waitcnt vmcnt(26)
	v_and_b32_e32 v41, 0x7fff, v42
	s_waitcnt vmcnt(25)
	v_and_b32_e32 v42, 0x7fff, v43
	;; [unrolled: 2-line block ×4, first 2 shown]
	v_add_co_ci_u32_e32 v8, vcc_lo, 0, v8, vcc_lo
	v_cmp_ne_u16_e32 vcc_lo, 0, v11
	s_waitcnt vmcnt(22)
	v_and_b32_e32 v45, 0x7fff, v46
	s_waitcnt vmcnt(21)
	v_and_b32_e32 v46, 0x7fff, v47
	;; [unrolled: 2-line block ×4, first 2 shown]
	v_add_co_ci_u32_e32 v8, vcc_lo, v8, v10, vcc_lo
	v_cmp_ne_u16_e32 vcc_lo, 0, v13
	s_waitcnt vmcnt(18)
	v_and_b32_e32 v49, 0x7fff, v50
	s_waitcnt vmcnt(17)
	v_and_b32_e32 v50, 0x7fff, v51
	s_waitcnt vmcnt(15)
	v_and_b32_e32 v6, 0x7fff, v6
	v_and_b32_e32 v5, 0x7fff, v5
	v_add_co_ci_u32_e32 v8, vcc_lo, v8, v12, vcc_lo
	v_cmp_ne_u16_e32 vcc_lo, 0, v15
	s_waitcnt vmcnt(14)
	v_and_b32_e32 v51, 0x7fff, v52
	s_waitcnt vmcnt(13)
	v_and_b32_e32 v52, 0x7fff, v53
	;; [unrolled: 2-line block ×3, first 2 shown]
	v_and_b32_e32 v9, 0x7fff, v54
	v_add_co_ci_u32_e32 v8, vcc_lo, v8, v14, vcc_lo
	v_cmp_ne_u16_e32 vcc_lo, 0, v17
	s_waitcnt vmcnt(9)
	v_and_b32_e32 v11, 0x7fff, v57
	v_and_b32_e32 v10, 0x7fff, v56
	s_waitcnt vmcnt(7)
	v_and_b32_e32 v13, 0x7fff, v59
	v_and_b32_e32 v12, 0x7fff, v58
	v_add_co_ci_u32_e32 v8, vcc_lo, v8, v16, vcc_lo
	v_cmp_ne_u16_e32 vcc_lo, 0, v19
	s_waitcnt vmcnt(5)
	v_and_b32_e32 v15, 0x7fff, v61
	v_and_b32_e32 v14, 0x7fff, v60
	s_waitcnt vmcnt(3)
	v_and_b32_e32 v17, 0x7fff, v63
	v_and_b32_e32 v16, 0x7fff, v62
	v_add_co_ci_u32_e32 v8, vcc_lo, v8, v18, vcc_lo
	v_cmp_ne_u16_e32 vcc_lo, 0, v21
	s_waitcnt vmcnt(1)
	v_and_b32_e32 v19, 0x7fff, v65
	v_and_b32_e32 v18, 0x7fff, v64
	v_add_co_ci_u32_e32 v8, vcc_lo, v8, v20, vcc_lo
	v_cmp_ne_u16_e32 vcc_lo, 0, v24
	v_cndmask_b32_e64 v20, 0, 1, vcc_lo
	v_cmp_ne_u16_e32 vcc_lo, 0, v23
	s_delay_alu instid0(VALU_DEP_4) | instskip(SKIP_3) | instid1(VALU_DEP_4)
	v_add_co_ci_u32_e32 v8, vcc_lo, v8, v22, vcc_lo
	v_cmp_ne_u16_e32 vcc_lo, 0, v26
	v_cndmask_b32_e64 v21, 0, 1, vcc_lo
	v_cmp_ne_u16_e32 vcc_lo, 0, v25
	v_add_co_ci_u32_e32 v8, vcc_lo, v8, v20, vcc_lo
	v_cmp_ne_u16_e32 vcc_lo, 0, v28
	v_cndmask_b32_e64 v20, 0, 1, vcc_lo
	v_cmp_ne_u16_e32 vcc_lo, 0, v27
	s_delay_alu instid0(VALU_DEP_4) | instskip(SKIP_3) | instid1(VALU_DEP_4)
	v_add_co_ci_u32_e32 v8, vcc_lo, v8, v21, vcc_lo
	v_cmp_ne_u16_e32 vcc_lo, 0, v30
	v_cndmask_b32_e64 v21, 0, 1, vcc_lo
	v_cmp_ne_u16_e32 vcc_lo, 0, v29
	v_add_co_ci_u32_e32 v8, vcc_lo, v8, v20, vcc_lo
	v_cmp_ne_u16_e32 vcc_lo, 0, v32
	v_cndmask_b32_e64 v20, 0, 1, vcc_lo
	v_cmp_ne_u16_e32 vcc_lo, 0, v31
	s_delay_alu instid0(VALU_DEP_4) | instskip(SKIP_3) | instid1(VALU_DEP_4)
	v_add_co_ci_u32_e32 v8, vcc_lo, v8, v21, vcc_lo
	v_cmp_ne_u16_e32 vcc_lo, 0, v34
	v_cndmask_b32_e64 v21, 0, 1, vcc_lo
	v_cmp_ne_u16_e32 vcc_lo, 0, v33
	v_add_co_ci_u32_e32 v8, vcc_lo, v8, v20, vcc_lo
	v_cmp_ne_u16_e32 vcc_lo, 0, v36
	v_cndmask_b32_e64 v20, 0, 1, vcc_lo
	v_cmp_ne_u16_e32 vcc_lo, 0, v35
	s_delay_alu instid0(VALU_DEP_4) | instskip(SKIP_3) | instid1(VALU_DEP_4)
	v_add_co_ci_u32_e32 v8, vcc_lo, v8, v21, vcc_lo
	v_cmp_ne_u16_e32 vcc_lo, 0, v38
	v_cndmask_b32_e64 v21, 0, 1, vcc_lo
	v_cmp_ne_u16_e32 vcc_lo, 0, v37
	v_add_co_ci_u32_e32 v8, vcc_lo, v8, v20, vcc_lo
	v_cmp_ne_u16_e32 vcc_lo, 0, v2
	v_cndmask_b32_e64 v2, 0, 1, vcc_lo
	v_cmp_ne_u16_e32 vcc_lo, 0, v1
	s_delay_alu instid0(VALU_DEP_4) | instskip(SKIP_3) | instid1(VALU_DEP_4)
	v_add_co_ci_u32_e32 v1, vcc_lo, v8, v21, vcc_lo
	v_cmp_ne_u16_e32 vcc_lo, 0, v4
	v_cndmask_b32_e64 v4, 0, 1, vcc_lo
	v_cmp_ne_u16_e32 vcc_lo, 0, v3
	v_add_co_ci_u32_e32 v1, vcc_lo, v1, v2, vcc_lo
	v_cmp_ne_u16_e32 vcc_lo, 0, v40
	v_cndmask_b32_e64 v2, 0, 1, vcc_lo
	v_cmp_ne_u16_e32 vcc_lo, 0, v39
	s_delay_alu instid0(VALU_DEP_4)
	v_add_co_ci_u32_e32 v1, vcc_lo, v1, v4, vcc_lo
	v_cmp_ne_u16_e32 vcc_lo, 0, v42
	s_waitcnt vmcnt(0)
	v_and_b32_e32 v4, 0x7fff, v7
	v_cndmask_b32_e64 v3, 0, 1, vcc_lo
	v_cmp_ne_u16_e32 vcc_lo, 0, v41
	v_add_co_ci_u32_e32 v1, vcc_lo, v1, v2, vcc_lo
	v_cmp_ne_u16_e32 vcc_lo, 0, v44
	v_cndmask_b32_e64 v2, 0, 1, vcc_lo
	v_cmp_ne_u16_e32 vcc_lo, 0, v43
	s_delay_alu instid0(VALU_DEP_4) | instskip(SKIP_3) | instid1(VALU_DEP_4)
	v_add_co_ci_u32_e32 v1, vcc_lo, v1, v3, vcc_lo
	v_cmp_ne_u16_e32 vcc_lo, 0, v46
	v_cndmask_b32_e64 v3, 0, 1, vcc_lo
	v_cmp_ne_u16_e32 vcc_lo, 0, v45
	v_add_co_ci_u32_e32 v1, vcc_lo, v1, v2, vcc_lo
	v_cmp_ne_u16_e32 vcc_lo, 0, v48
	v_cndmask_b32_e64 v2, 0, 1, vcc_lo
	v_cmp_ne_u16_e32 vcc_lo, 0, v47
	s_delay_alu instid0(VALU_DEP_4) | instskip(SKIP_3) | instid1(VALU_DEP_4)
	v_add_co_ci_u32_e32 v1, vcc_lo, v1, v3, vcc_lo
	v_cmp_ne_u16_e32 vcc_lo, 0, v50
	;; [unrolled: 9-line block ×6, first 2 shown]
	v_cndmask_b32_e64 v3, 0, 1, vcc_lo
	v_cmp_ne_u16_e32 vcc_lo, 0, v18
	v_add_co_ci_u32_e32 v1, vcc_lo, v1, v2, vcc_lo
	v_cmp_ne_u16_e32 vcc_lo, 0, v4
	s_delay_alu instid0(VALU_DEP_2) | instskip(SKIP_1) | instid1(VALU_DEP_2)
	v_add_co_ci_u32_e32 v1, vcc_lo, v1, v3, vcc_lo
	v_mov_b32_e32 v3, 0
	v_mov_b32_dpp v2, v1 quad_perm:[1,0,3,2] row_mask:0xf bank_mask:0xf
	s_delay_alu instid0(VALU_DEP_1) | instskip(NEXT) | instid1(VALU_DEP_1)
	v_add_nc_u32_e32 v1, v1, v2
	v_mov_b32_dpp v2, v1 quad_perm:[2,3,0,1] row_mask:0xf bank_mask:0xf
	s_delay_alu instid0(VALU_DEP_1) | instskip(NEXT) | instid1(VALU_DEP_1)
	v_add_nc_u32_e32 v1, v1, v2
	v_mov_b32_dpp v2, v1 row_ror:4 row_mask:0xf bank_mask:0xf
	s_delay_alu instid0(VALU_DEP_1) | instskip(NEXT) | instid1(VALU_DEP_1)
	v_add_nc_u32_e32 v1, v1, v2
	v_mov_b32_dpp v2, v1 row_ror:8 row_mask:0xf bank_mask:0xf
	s_delay_alu instid0(VALU_DEP_1)
	v_add_nc_u32_e32 v1, v1, v2
	ds_swizzle_b32 v2, v1 offset:swizzle(BROADCAST,32,15)
	s_waitcnt lgkmcnt(0)
	v_add_nc_u32_e32 v1, v1, v2
	v_mbcnt_lo_u32_b32 v2, -1, 0
	ds_bpermute_b32 v1, v3, v1 offset:124
	v_cmpx_eq_u32_e32 0, v2
	s_cbranch_execz .LBB796_28
; %bb.27:
	v_lshrrev_b32_e32 v3, 3, v0
	s_delay_alu instid0(VALU_DEP_1)
	v_and_b32_e32 v3, 12, v3
	s_waitcnt lgkmcnt(0)
	ds_store_b32 v3, v1 offset:96
.LBB796_28:
	s_or_b32 exec_lo, exec_lo, s5
	s_delay_alu instid0(SALU_CYCLE_1)
	s_mov_b32 s5, exec_lo
	s_waitcnt lgkmcnt(0)
	s_barrier
	buffer_gl0_inv
	v_cmpx_gt_u32_e32 32, v0
	s_cbranch_execz .LBB796_30
; %bb.29:
	v_and_b32_e32 v1, 3, v2
	s_delay_alu instid0(VALU_DEP_1) | instskip(SKIP_4) | instid1(VALU_DEP_2)
	v_lshlrev_b32_e32 v3, 2, v1
	v_cmp_ne_u32_e32 vcc_lo, 3, v1
	ds_load_b32 v3, v3 offset:96
	v_add_co_ci_u32_e32 v4, vcc_lo, 0, v2, vcc_lo
	v_cmp_gt_u32_e32 vcc_lo, 2, v1
	v_lshlrev_b32_e32 v4, 2, v4
	v_cndmask_b32_e64 v1, 0, 1, vcc_lo
	s_delay_alu instid0(VALU_DEP_1) | instskip(NEXT) | instid1(VALU_DEP_1)
	v_lshlrev_b32_e32 v1, 1, v1
	v_add_lshl_u32 v1, v1, v2, 2
	s_waitcnt lgkmcnt(0)
	ds_bpermute_b32 v4, v4, v3
	s_waitcnt lgkmcnt(0)
	v_add_nc_u32_e32 v3, v4, v3
	ds_bpermute_b32 v1, v1, v3
	s_waitcnt lgkmcnt(0)
	v_add_nc_u32_e32 v1, v1, v3
.LBB796_30:
	s_or_b32 exec_lo, exec_lo, s5
	s_mov_b32 s5, 0
	s_branch .LBB796_377
.LBB796_31:
                                        ; implicit-def: $vgpr1
	s_cbranch_execz .LBB796_512
	s_branch .LBB796_368
.LBB796_32:
                                        ; implicit-def: $vgpr1
	s_branch .LBB796_512
.LBB796_33:
                                        ; implicit-def: $vgpr1
	s_branch .LBB796_512
.LBB796_34:
                                        ; implicit-def: $vgpr1
	s_cbranch_execz .LBB796_10
; %bb.35:
	s_sub_i32 s4, s20, s4
	s_mov_b32 s5, exec_lo
                                        ; implicit-def: $vgpr1
	v_cmpx_gt_u32_e64 s4, v0
	s_cbranch_execz .LBB796_37
; %bb.36:
	v_lshlrev_b32_e32 v1, 1, v0
	global_load_u16 v1, v1, s[2:3]
	s_waitcnt vmcnt(0)
	v_and_b32_e32 v1, 0x7fff, v1
	s_delay_alu instid0(VALU_DEP_1)
	v_cmp_ne_u16_e32 vcc_lo, 0, v1
	v_cndmask_b32_e64 v1, 0, 1, vcc_lo
.LBB796_37:
	s_or_b32 exec_lo, exec_lo, s5
	v_or_b32_e32 v3, 0x80, v0
	v_mov_b32_e32 v2, 0
	s_delay_alu instid0(VALU_DEP_2)
	v_cmp_gt_u32_e32 vcc_lo, s4, v3
	v_mov_b32_e32 v3, 0
	s_and_saveexec_b32 s5, vcc_lo
	s_cbranch_execz .LBB796_39
; %bb.38:
	v_lshlrev_b32_e32 v3, 1, v0
	global_load_u16 v3, v3, s[2:3] offset:256
	s_waitcnt vmcnt(0)
	v_and_b32_e32 v3, 0x7fff, v3
	s_delay_alu instid0(VALU_DEP_1)
	v_cmp_ne_u16_e32 vcc_lo, 0, v3
	v_cndmask_b32_e64 v3, 0, 1, vcc_lo
.LBB796_39:
	s_or_b32 exec_lo, exec_lo, s5
	v_or_b32_e32 v4, 0x100, v0
	s_mov_b32 s5, exec_lo
	s_delay_alu instid0(VALU_DEP_1)
	v_cmpx_gt_u32_e64 s4, v4
	s_cbranch_execz .LBB796_41
; %bb.40:
	v_lshlrev_b32_e32 v2, 1, v0
	global_load_u16 v2, v2, s[2:3] offset:512
	s_waitcnt vmcnt(0)
	v_and_b32_e32 v2, 0x7fff, v2
	s_delay_alu instid0(VALU_DEP_1)
	v_cmp_ne_u16_e32 vcc_lo, 0, v2
	v_cndmask_b32_e64 v2, 0, 1, vcc_lo
.LBB796_41:
	s_or_b32 exec_lo, exec_lo, s5
	v_or_b32_e32 v5, 0x180, v0
	v_mov_b32_e32 v4, 0
	s_delay_alu instid0(VALU_DEP_2)
	v_cmp_gt_u32_e32 vcc_lo, s4, v5
	v_mov_b32_e32 v5, 0
	s_and_saveexec_b32 s5, vcc_lo
	s_cbranch_execz .LBB796_43
; %bb.42:
	v_lshlrev_b32_e32 v5, 1, v0
	global_load_u16 v5, v5, s[2:3] offset:768
	s_waitcnt vmcnt(0)
	v_and_b32_e32 v5, 0x7fff, v5
	s_delay_alu instid0(VALU_DEP_1)
	v_cmp_ne_u16_e32 vcc_lo, 0, v5
	v_cndmask_b32_e64 v5, 0, 1, vcc_lo
.LBB796_43:
	s_or_b32 exec_lo, exec_lo, s5
	v_or_b32_e32 v6, 0x200, v0
	s_mov_b32 s5, exec_lo
	s_delay_alu instid0(VALU_DEP_1)
	v_cmpx_gt_u32_e64 s4, v6
	s_cbranch_execz .LBB796_45
; %bb.44:
	v_lshlrev_b32_e32 v4, 1, v0
	global_load_u16 v4, v4, s[2:3] offset:1024
	s_waitcnt vmcnt(0)
	v_and_b32_e32 v4, 0x7fff, v4
	s_delay_alu instid0(VALU_DEP_1)
	v_cmp_ne_u16_e32 vcc_lo, 0, v4
	v_cndmask_b32_e64 v4, 0, 1, vcc_lo
.LBB796_45:
	;; [unrolled: 32-line block ×7, first 2 shown]
	s_or_b32 exec_lo, exec_lo, s5
	v_or_b32_e32 v17, 0x780, v0
	v_mov_b32_e32 v16, 0
	s_delay_alu instid0(VALU_DEP_2)
	v_cmp_gt_u32_e32 vcc_lo, s4, v17
	v_mov_b32_e32 v17, 0
	s_and_saveexec_b32 s5, vcc_lo
	s_cbranch_execz .LBB796_67
; %bb.66:
	v_lshlrev_b32_e32 v17, 1, v0
	global_load_u16 v17, v17, s[2:3] offset:3840
	s_waitcnt vmcnt(0)
	v_and_b32_e32 v17, 0x7fff, v17
	s_delay_alu instid0(VALU_DEP_1)
	v_cmp_ne_u16_e32 vcc_lo, 0, v17
	v_cndmask_b32_e64 v17, 0, 1, vcc_lo
.LBB796_67:
	s_or_b32 exec_lo, exec_lo, s5
	v_or_b32_e32 v18, 0x800, v0
	s_mov_b32 s5, exec_lo
	s_delay_alu instid0(VALU_DEP_1)
	v_cmpx_gt_u32_e64 s4, v18
	s_cbranch_execz .LBB796_69
; %bb.68:
	v_lshlrev_b32_e32 v16, 1, v18
	global_load_u16 v16, v16, s[2:3]
	s_waitcnt vmcnt(0)
	v_and_b32_e32 v16, 0x7fff, v16
	s_delay_alu instid0(VALU_DEP_1)
	v_cmp_ne_u16_e32 vcc_lo, 0, v16
	v_cndmask_b32_e64 v16, 0, 1, vcc_lo
.LBB796_69:
	s_or_b32 exec_lo, exec_lo, s5
	v_or_b32_e32 v20, 0x880, v0
	v_dual_mov_b32 v18, 0 :: v_dual_mov_b32 v19, 0
	s_mov_b32 s5, exec_lo
	s_delay_alu instid0(VALU_DEP_2)
	v_cmpx_gt_u32_e64 s4, v20
	s_cbranch_execz .LBB796_71
; %bb.70:
	v_lshlrev_b32_e32 v19, 1, v20
	global_load_u16 v19, v19, s[2:3]
	s_waitcnt vmcnt(0)
	v_and_b32_e32 v19, 0x7fff, v19
	s_delay_alu instid0(VALU_DEP_1)
	v_cmp_ne_u16_e32 vcc_lo, 0, v19
	v_cndmask_b32_e64 v19, 0, 1, vcc_lo
.LBB796_71:
	s_or_b32 exec_lo, exec_lo, s5
	v_or_b32_e32 v20, 0x900, v0
	s_mov_b32 s5, exec_lo
	s_delay_alu instid0(VALU_DEP_1)
	v_cmpx_gt_u32_e64 s4, v20
	s_cbranch_execz .LBB796_73
; %bb.72:
	v_lshlrev_b32_e32 v18, 1, v20
	global_load_u16 v18, v18, s[2:3]
	s_waitcnt vmcnt(0)
	v_and_b32_e32 v18, 0x7fff, v18
	s_delay_alu instid0(VALU_DEP_1)
	v_cmp_ne_u16_e32 vcc_lo, 0, v18
	v_cndmask_b32_e64 v18, 0, 1, vcc_lo
.LBB796_73:
	s_or_b32 exec_lo, exec_lo, s5
	v_or_b32_e32 v22, 0x980, v0
	v_dual_mov_b32 v20, 0 :: v_dual_mov_b32 v21, 0
	s_mov_b32 s5, exec_lo
	s_delay_alu instid0(VALU_DEP_2)
	v_cmpx_gt_u32_e64 s4, v22
	s_cbranch_execz .LBB796_75
; %bb.74:
	v_lshlrev_b32_e32 v21, 1, v22
	global_load_u16 v21, v21, s[2:3]
	s_waitcnt vmcnt(0)
	v_and_b32_e32 v21, 0x7fff, v21
	s_delay_alu instid0(VALU_DEP_1)
	v_cmp_ne_u16_e32 vcc_lo, 0, v21
	v_cndmask_b32_e64 v21, 0, 1, vcc_lo
.LBB796_75:
	s_or_b32 exec_lo, exec_lo, s5
	v_or_b32_e32 v22, 0xa00, v0
	s_mov_b32 s5, exec_lo
	s_delay_alu instid0(VALU_DEP_1)
	v_cmpx_gt_u32_e64 s4, v22
	s_cbranch_execz .LBB796_77
; %bb.76:
	v_lshlrev_b32_e32 v20, 1, v22
	global_load_u16 v20, v20, s[2:3]
	s_waitcnt vmcnt(0)
	v_and_b32_e32 v20, 0x7fff, v20
	s_delay_alu instid0(VALU_DEP_1)
	v_cmp_ne_u16_e32 vcc_lo, 0, v20
	v_cndmask_b32_e64 v20, 0, 1, vcc_lo
.LBB796_77:
	s_or_b32 exec_lo, exec_lo, s5
	v_or_b32_e32 v24, 0xa80, v0
	v_dual_mov_b32 v22, 0 :: v_dual_mov_b32 v23, 0
	s_mov_b32 s5, exec_lo
	s_delay_alu instid0(VALU_DEP_2)
	v_cmpx_gt_u32_e64 s4, v24
	s_cbranch_execz .LBB796_79
; %bb.78:
	v_lshlrev_b32_e32 v23, 1, v24
	global_load_u16 v23, v23, s[2:3]
	s_waitcnt vmcnt(0)
	v_and_b32_e32 v23, 0x7fff, v23
	s_delay_alu instid0(VALU_DEP_1)
	v_cmp_ne_u16_e32 vcc_lo, 0, v23
	v_cndmask_b32_e64 v23, 0, 1, vcc_lo
.LBB796_79:
	s_or_b32 exec_lo, exec_lo, s5
	v_or_b32_e32 v24, 0xb00, v0
	s_mov_b32 s5, exec_lo
	s_delay_alu instid0(VALU_DEP_1)
	v_cmpx_gt_u32_e64 s4, v24
	s_cbranch_execz .LBB796_81
; %bb.80:
	v_lshlrev_b32_e32 v22, 1, v24
	global_load_u16 v22, v22, s[2:3]
	s_waitcnt vmcnt(0)
	v_and_b32_e32 v22, 0x7fff, v22
	s_delay_alu instid0(VALU_DEP_1)
	v_cmp_ne_u16_e32 vcc_lo, 0, v22
	v_cndmask_b32_e64 v22, 0, 1, vcc_lo
.LBB796_81:
	s_or_b32 exec_lo, exec_lo, s5
	v_or_b32_e32 v26, 0xb80, v0
	v_dual_mov_b32 v24, 0 :: v_dual_mov_b32 v25, 0
	s_mov_b32 s5, exec_lo
	s_delay_alu instid0(VALU_DEP_2)
	v_cmpx_gt_u32_e64 s4, v26
	s_cbranch_execz .LBB796_83
; %bb.82:
	v_lshlrev_b32_e32 v25, 1, v26
	global_load_u16 v25, v25, s[2:3]
	s_waitcnt vmcnt(0)
	v_and_b32_e32 v25, 0x7fff, v25
	s_delay_alu instid0(VALU_DEP_1)
	v_cmp_ne_u16_e32 vcc_lo, 0, v25
	v_cndmask_b32_e64 v25, 0, 1, vcc_lo
.LBB796_83:
	s_or_b32 exec_lo, exec_lo, s5
	v_or_b32_e32 v26, 0xc00, v0
	s_mov_b32 s5, exec_lo
	s_delay_alu instid0(VALU_DEP_1)
	v_cmpx_gt_u32_e64 s4, v26
	s_cbranch_execz .LBB796_85
; %bb.84:
	v_lshlrev_b32_e32 v24, 1, v26
	global_load_u16 v24, v24, s[2:3]
	s_waitcnt vmcnt(0)
	v_and_b32_e32 v24, 0x7fff, v24
	s_delay_alu instid0(VALU_DEP_1)
	v_cmp_ne_u16_e32 vcc_lo, 0, v24
	v_cndmask_b32_e64 v24, 0, 1, vcc_lo
.LBB796_85:
	s_or_b32 exec_lo, exec_lo, s5
	v_or_b32_e32 v28, 0xc80, v0
	v_dual_mov_b32 v26, 0 :: v_dual_mov_b32 v27, 0
	s_mov_b32 s5, exec_lo
	s_delay_alu instid0(VALU_DEP_2)
	v_cmpx_gt_u32_e64 s4, v28
	s_cbranch_execz .LBB796_87
; %bb.86:
	v_lshlrev_b32_e32 v27, 1, v28
	global_load_u16 v27, v27, s[2:3]
	s_waitcnt vmcnt(0)
	v_and_b32_e32 v27, 0x7fff, v27
	s_delay_alu instid0(VALU_DEP_1)
	v_cmp_ne_u16_e32 vcc_lo, 0, v27
	v_cndmask_b32_e64 v27, 0, 1, vcc_lo
.LBB796_87:
	s_or_b32 exec_lo, exec_lo, s5
	v_or_b32_e32 v28, 0xd00, v0
	s_mov_b32 s5, exec_lo
	s_delay_alu instid0(VALU_DEP_1)
	v_cmpx_gt_u32_e64 s4, v28
	s_cbranch_execz .LBB796_89
; %bb.88:
	v_lshlrev_b32_e32 v26, 1, v28
	global_load_u16 v26, v26, s[2:3]
	s_waitcnt vmcnt(0)
	v_and_b32_e32 v26, 0x7fff, v26
	s_delay_alu instid0(VALU_DEP_1)
	v_cmp_ne_u16_e32 vcc_lo, 0, v26
	v_cndmask_b32_e64 v26, 0, 1, vcc_lo
.LBB796_89:
	s_or_b32 exec_lo, exec_lo, s5
	v_or_b32_e32 v30, 0xd80, v0
	v_dual_mov_b32 v28, 0 :: v_dual_mov_b32 v29, 0
	s_mov_b32 s5, exec_lo
	s_delay_alu instid0(VALU_DEP_2)
	v_cmpx_gt_u32_e64 s4, v30
	s_cbranch_execz .LBB796_91
; %bb.90:
	v_lshlrev_b32_e32 v29, 1, v30
	global_load_u16 v29, v29, s[2:3]
	s_waitcnt vmcnt(0)
	v_and_b32_e32 v29, 0x7fff, v29
	s_delay_alu instid0(VALU_DEP_1)
	v_cmp_ne_u16_e32 vcc_lo, 0, v29
	v_cndmask_b32_e64 v29, 0, 1, vcc_lo
.LBB796_91:
	s_or_b32 exec_lo, exec_lo, s5
	v_or_b32_e32 v30, 0xe00, v0
	s_mov_b32 s5, exec_lo
	s_delay_alu instid0(VALU_DEP_1)
	v_cmpx_gt_u32_e64 s4, v30
	s_cbranch_execz .LBB796_93
; %bb.92:
	v_lshlrev_b32_e32 v28, 1, v30
	global_load_u16 v28, v28, s[2:3]
	s_waitcnt vmcnt(0)
	v_and_b32_e32 v28, 0x7fff, v28
	s_delay_alu instid0(VALU_DEP_1)
	v_cmp_ne_u16_e32 vcc_lo, 0, v28
	v_cndmask_b32_e64 v28, 0, 1, vcc_lo
.LBB796_93:
	s_or_b32 exec_lo, exec_lo, s5
	v_or_b32_e32 v32, 0xe80, v0
	v_dual_mov_b32 v30, 0 :: v_dual_mov_b32 v31, 0
	s_mov_b32 s5, exec_lo
	s_delay_alu instid0(VALU_DEP_2)
	v_cmpx_gt_u32_e64 s4, v32
	s_cbranch_execz .LBB796_95
; %bb.94:
	v_lshlrev_b32_e32 v31, 1, v32
	global_load_u16 v31, v31, s[2:3]
	s_waitcnt vmcnt(0)
	v_and_b32_e32 v31, 0x7fff, v31
	s_delay_alu instid0(VALU_DEP_1)
	v_cmp_ne_u16_e32 vcc_lo, 0, v31
	v_cndmask_b32_e64 v31, 0, 1, vcc_lo
.LBB796_95:
	s_or_b32 exec_lo, exec_lo, s5
	v_or_b32_e32 v32, 0xf00, v0
	s_mov_b32 s5, exec_lo
	s_delay_alu instid0(VALU_DEP_1)
	v_cmpx_gt_u32_e64 s4, v32
	s_cbranch_execz .LBB796_97
; %bb.96:
	v_lshlrev_b32_e32 v30, 1, v32
	global_load_u16 v30, v30, s[2:3]
	s_waitcnt vmcnt(0)
	v_and_b32_e32 v30, 0x7fff, v30
	s_delay_alu instid0(VALU_DEP_1)
	v_cmp_ne_u16_e32 vcc_lo, 0, v30
	v_cndmask_b32_e64 v30, 0, 1, vcc_lo
.LBB796_97:
	s_or_b32 exec_lo, exec_lo, s5
	v_or_b32_e32 v34, 0xf80, v0
	v_dual_mov_b32 v32, 0 :: v_dual_mov_b32 v33, 0
	s_mov_b32 s5, exec_lo
	s_delay_alu instid0(VALU_DEP_2)
	v_cmpx_gt_u32_e64 s4, v34
	s_cbranch_execz .LBB796_99
; %bb.98:
	v_lshlrev_b32_e32 v33, 1, v34
	global_load_u16 v33, v33, s[2:3]
	s_waitcnt vmcnt(0)
	v_and_b32_e32 v33, 0x7fff, v33
	s_delay_alu instid0(VALU_DEP_1)
	v_cmp_ne_u16_e32 vcc_lo, 0, v33
	v_cndmask_b32_e64 v33, 0, 1, vcc_lo
.LBB796_99:
	s_or_b32 exec_lo, exec_lo, s5
	v_or_b32_e32 v34, 0x1000, v0
	s_mov_b32 s5, exec_lo
	s_delay_alu instid0(VALU_DEP_1)
	v_cmpx_gt_u32_e64 s4, v34
	s_cbranch_execz .LBB796_101
; %bb.100:
	v_lshlrev_b32_e32 v32, 1, v34
	global_load_u16 v32, v32, s[2:3]
	s_waitcnt vmcnt(0)
	v_and_b32_e32 v32, 0x7fff, v32
	s_delay_alu instid0(VALU_DEP_1)
	v_cmp_ne_u16_e32 vcc_lo, 0, v32
	v_cndmask_b32_e64 v32, 0, 1, vcc_lo
.LBB796_101:
	s_or_b32 exec_lo, exec_lo, s5
	v_or_b32_e32 v36, 0x1080, v0
	v_dual_mov_b32 v34, 0 :: v_dual_mov_b32 v35, 0
	s_mov_b32 s5, exec_lo
	s_delay_alu instid0(VALU_DEP_2)
	v_cmpx_gt_u32_e64 s4, v36
	s_cbranch_execz .LBB796_103
; %bb.102:
	v_lshlrev_b32_e32 v35, 1, v36
	global_load_u16 v35, v35, s[2:3]
	s_waitcnt vmcnt(0)
	v_and_b32_e32 v35, 0x7fff, v35
	s_delay_alu instid0(VALU_DEP_1)
	v_cmp_ne_u16_e32 vcc_lo, 0, v35
	v_cndmask_b32_e64 v35, 0, 1, vcc_lo
.LBB796_103:
	s_or_b32 exec_lo, exec_lo, s5
	v_or_b32_e32 v36, 0x1100, v0
	s_mov_b32 s5, exec_lo
	s_delay_alu instid0(VALU_DEP_1)
	v_cmpx_gt_u32_e64 s4, v36
	s_cbranch_execz .LBB796_105
; %bb.104:
	v_lshlrev_b32_e32 v34, 1, v36
	global_load_u16 v34, v34, s[2:3]
	s_waitcnt vmcnt(0)
	v_and_b32_e32 v34, 0x7fff, v34
	s_delay_alu instid0(VALU_DEP_1)
	v_cmp_ne_u16_e32 vcc_lo, 0, v34
	v_cndmask_b32_e64 v34, 0, 1, vcc_lo
.LBB796_105:
	s_or_b32 exec_lo, exec_lo, s5
	v_or_b32_e32 v38, 0x1180, v0
	v_dual_mov_b32 v36, 0 :: v_dual_mov_b32 v37, 0
	s_mov_b32 s5, exec_lo
	s_delay_alu instid0(VALU_DEP_2)
	v_cmpx_gt_u32_e64 s4, v38
	s_cbranch_execz .LBB796_107
; %bb.106:
	v_lshlrev_b32_e32 v37, 1, v38
	global_load_u16 v37, v37, s[2:3]
	s_waitcnt vmcnt(0)
	v_and_b32_e32 v37, 0x7fff, v37
	s_delay_alu instid0(VALU_DEP_1)
	v_cmp_ne_u16_e32 vcc_lo, 0, v37
	v_cndmask_b32_e64 v37, 0, 1, vcc_lo
.LBB796_107:
	s_or_b32 exec_lo, exec_lo, s5
	v_or_b32_e32 v38, 0x1200, v0
	s_mov_b32 s5, exec_lo
	s_delay_alu instid0(VALU_DEP_1)
	v_cmpx_gt_u32_e64 s4, v38
	s_cbranch_execz .LBB796_109
; %bb.108:
	v_lshlrev_b32_e32 v36, 1, v38
	global_load_u16 v36, v36, s[2:3]
	s_waitcnt vmcnt(0)
	v_and_b32_e32 v36, 0x7fff, v36
	s_delay_alu instid0(VALU_DEP_1)
	v_cmp_ne_u16_e32 vcc_lo, 0, v36
	v_cndmask_b32_e64 v36, 0, 1, vcc_lo
.LBB796_109:
	s_or_b32 exec_lo, exec_lo, s5
	v_or_b32_e32 v40, 0x1280, v0
	v_dual_mov_b32 v38, 0 :: v_dual_mov_b32 v39, 0
	s_mov_b32 s5, exec_lo
	s_delay_alu instid0(VALU_DEP_2)
	v_cmpx_gt_u32_e64 s4, v40
	s_cbranch_execz .LBB796_111
; %bb.110:
	v_lshlrev_b32_e32 v39, 1, v40
	global_load_u16 v39, v39, s[2:3]
	s_waitcnt vmcnt(0)
	v_and_b32_e32 v39, 0x7fff, v39
	s_delay_alu instid0(VALU_DEP_1)
	v_cmp_ne_u16_e32 vcc_lo, 0, v39
	v_cndmask_b32_e64 v39, 0, 1, vcc_lo
.LBB796_111:
	s_or_b32 exec_lo, exec_lo, s5
	v_or_b32_e32 v40, 0x1300, v0
	s_mov_b32 s5, exec_lo
	s_delay_alu instid0(VALU_DEP_1)
	v_cmpx_gt_u32_e64 s4, v40
	s_cbranch_execz .LBB796_113
; %bb.112:
	v_lshlrev_b32_e32 v38, 1, v40
	global_load_u16 v38, v38, s[2:3]
	s_waitcnt vmcnt(0)
	v_and_b32_e32 v38, 0x7fff, v38
	s_delay_alu instid0(VALU_DEP_1)
	v_cmp_ne_u16_e32 vcc_lo, 0, v38
	v_cndmask_b32_e64 v38, 0, 1, vcc_lo
.LBB796_113:
	s_or_b32 exec_lo, exec_lo, s5
	v_or_b32_e32 v42, 0x1380, v0
	v_dual_mov_b32 v40, 0 :: v_dual_mov_b32 v41, 0
	s_mov_b32 s5, exec_lo
	s_delay_alu instid0(VALU_DEP_2)
	v_cmpx_gt_u32_e64 s4, v42
	s_cbranch_execz .LBB796_115
; %bb.114:
	v_lshlrev_b32_e32 v41, 1, v42
	global_load_u16 v41, v41, s[2:3]
	s_waitcnt vmcnt(0)
	v_and_b32_e32 v41, 0x7fff, v41
	s_delay_alu instid0(VALU_DEP_1)
	v_cmp_ne_u16_e32 vcc_lo, 0, v41
	v_cndmask_b32_e64 v41, 0, 1, vcc_lo
.LBB796_115:
	s_or_b32 exec_lo, exec_lo, s5
	v_or_b32_e32 v42, 0x1400, v0
	s_mov_b32 s5, exec_lo
	s_delay_alu instid0(VALU_DEP_1)
	v_cmpx_gt_u32_e64 s4, v42
	s_cbranch_execz .LBB796_117
; %bb.116:
	v_lshlrev_b32_e32 v40, 1, v42
	global_load_u16 v40, v40, s[2:3]
	s_waitcnt vmcnt(0)
	v_and_b32_e32 v40, 0x7fff, v40
	s_delay_alu instid0(VALU_DEP_1)
	v_cmp_ne_u16_e32 vcc_lo, 0, v40
	v_cndmask_b32_e64 v40, 0, 1, vcc_lo
.LBB796_117:
	s_or_b32 exec_lo, exec_lo, s5
	v_or_b32_e32 v44, 0x1480, v0
	v_dual_mov_b32 v42, 0 :: v_dual_mov_b32 v43, 0
	s_mov_b32 s5, exec_lo
	s_delay_alu instid0(VALU_DEP_2)
	v_cmpx_gt_u32_e64 s4, v44
	s_cbranch_execz .LBB796_119
; %bb.118:
	v_lshlrev_b32_e32 v43, 1, v44
	global_load_u16 v43, v43, s[2:3]
	s_waitcnt vmcnt(0)
	v_and_b32_e32 v43, 0x7fff, v43
	s_delay_alu instid0(VALU_DEP_1)
	v_cmp_ne_u16_e32 vcc_lo, 0, v43
	v_cndmask_b32_e64 v43, 0, 1, vcc_lo
.LBB796_119:
	s_or_b32 exec_lo, exec_lo, s5
	v_or_b32_e32 v44, 0x1500, v0
	s_mov_b32 s5, exec_lo
	s_delay_alu instid0(VALU_DEP_1)
	v_cmpx_gt_u32_e64 s4, v44
	s_cbranch_execz .LBB796_121
; %bb.120:
	v_lshlrev_b32_e32 v42, 1, v44
	global_load_u16 v42, v42, s[2:3]
	s_waitcnt vmcnt(0)
	v_and_b32_e32 v42, 0x7fff, v42
	s_delay_alu instid0(VALU_DEP_1)
	v_cmp_ne_u16_e32 vcc_lo, 0, v42
	v_cndmask_b32_e64 v42, 0, 1, vcc_lo
.LBB796_121:
	s_or_b32 exec_lo, exec_lo, s5
	v_or_b32_e32 v46, 0x1580, v0
	v_dual_mov_b32 v44, 0 :: v_dual_mov_b32 v45, 0
	s_mov_b32 s5, exec_lo
	s_delay_alu instid0(VALU_DEP_2)
	v_cmpx_gt_u32_e64 s4, v46
	s_cbranch_execz .LBB796_123
; %bb.122:
	v_lshlrev_b32_e32 v45, 1, v46
	global_load_u16 v45, v45, s[2:3]
	s_waitcnt vmcnt(0)
	v_and_b32_e32 v45, 0x7fff, v45
	s_delay_alu instid0(VALU_DEP_1)
	v_cmp_ne_u16_e32 vcc_lo, 0, v45
	v_cndmask_b32_e64 v45, 0, 1, vcc_lo
.LBB796_123:
	s_or_b32 exec_lo, exec_lo, s5
	v_or_b32_e32 v46, 0x1600, v0
	s_mov_b32 s5, exec_lo
	s_delay_alu instid0(VALU_DEP_1)
	v_cmpx_gt_u32_e64 s4, v46
	s_cbranch_execz .LBB796_125
; %bb.124:
	v_lshlrev_b32_e32 v44, 1, v46
	global_load_u16 v44, v44, s[2:3]
	s_waitcnt vmcnt(0)
	v_and_b32_e32 v44, 0x7fff, v44
	s_delay_alu instid0(VALU_DEP_1)
	v_cmp_ne_u16_e32 vcc_lo, 0, v44
	v_cndmask_b32_e64 v44, 0, 1, vcc_lo
.LBB796_125:
	s_or_b32 exec_lo, exec_lo, s5
	v_or_b32_e32 v48, 0x1680, v0
	v_dual_mov_b32 v46, 0 :: v_dual_mov_b32 v47, 0
	s_mov_b32 s5, exec_lo
	s_delay_alu instid0(VALU_DEP_2)
	v_cmpx_gt_u32_e64 s4, v48
	s_cbranch_execz .LBB796_127
; %bb.126:
	v_lshlrev_b32_e32 v47, 1, v48
	global_load_u16 v47, v47, s[2:3]
	s_waitcnt vmcnt(0)
	v_and_b32_e32 v47, 0x7fff, v47
	s_delay_alu instid0(VALU_DEP_1)
	v_cmp_ne_u16_e32 vcc_lo, 0, v47
	v_cndmask_b32_e64 v47, 0, 1, vcc_lo
.LBB796_127:
	s_or_b32 exec_lo, exec_lo, s5
	v_or_b32_e32 v48, 0x1700, v0
	s_mov_b32 s5, exec_lo
	s_delay_alu instid0(VALU_DEP_1)
	v_cmpx_gt_u32_e64 s4, v48
	s_cbranch_execz .LBB796_129
; %bb.128:
	v_lshlrev_b32_e32 v46, 1, v48
	global_load_u16 v46, v46, s[2:3]
	s_waitcnt vmcnt(0)
	v_and_b32_e32 v46, 0x7fff, v46
	s_delay_alu instid0(VALU_DEP_1)
	v_cmp_ne_u16_e32 vcc_lo, 0, v46
	v_cndmask_b32_e64 v46, 0, 1, vcc_lo
.LBB796_129:
	s_or_b32 exec_lo, exec_lo, s5
	v_or_b32_e32 v50, 0x1780, v0
	v_dual_mov_b32 v48, 0 :: v_dual_mov_b32 v49, 0
	s_mov_b32 s5, exec_lo
	s_delay_alu instid0(VALU_DEP_2)
	v_cmpx_gt_u32_e64 s4, v50
	s_cbranch_execz .LBB796_131
; %bb.130:
	v_lshlrev_b32_e32 v49, 1, v50
	global_load_u16 v49, v49, s[2:3]
	s_waitcnt vmcnt(0)
	v_and_b32_e32 v49, 0x7fff, v49
	s_delay_alu instid0(VALU_DEP_1)
	v_cmp_ne_u16_e32 vcc_lo, 0, v49
	v_cndmask_b32_e64 v49, 0, 1, vcc_lo
.LBB796_131:
	s_or_b32 exec_lo, exec_lo, s5
	v_or_b32_e32 v50, 0x1800, v0
	s_mov_b32 s5, exec_lo
	s_delay_alu instid0(VALU_DEP_1)
	v_cmpx_gt_u32_e64 s4, v50
	s_cbranch_execz .LBB796_133
; %bb.132:
	v_lshlrev_b32_e32 v48, 1, v50
	global_load_u16 v48, v48, s[2:3]
	s_waitcnt vmcnt(0)
	v_and_b32_e32 v48, 0x7fff, v48
	s_delay_alu instid0(VALU_DEP_1)
	v_cmp_ne_u16_e32 vcc_lo, 0, v48
	v_cndmask_b32_e64 v48, 0, 1, vcc_lo
.LBB796_133:
	s_or_b32 exec_lo, exec_lo, s5
	v_or_b32_e32 v52, 0x1880, v0
	v_dual_mov_b32 v50, 0 :: v_dual_mov_b32 v51, 0
	s_mov_b32 s5, exec_lo
	s_delay_alu instid0(VALU_DEP_2)
	v_cmpx_gt_u32_e64 s4, v52
	s_cbranch_execz .LBB796_135
; %bb.134:
	v_lshlrev_b32_e32 v51, 1, v52
	global_load_u16 v51, v51, s[2:3]
	s_waitcnt vmcnt(0)
	v_and_b32_e32 v51, 0x7fff, v51
	s_delay_alu instid0(VALU_DEP_1)
	v_cmp_ne_u16_e32 vcc_lo, 0, v51
	v_cndmask_b32_e64 v51, 0, 1, vcc_lo
.LBB796_135:
	s_or_b32 exec_lo, exec_lo, s5
	v_or_b32_e32 v52, 0x1900, v0
	s_mov_b32 s5, exec_lo
	s_delay_alu instid0(VALU_DEP_1)
	v_cmpx_gt_u32_e64 s4, v52
	s_cbranch_execz .LBB796_137
; %bb.136:
	v_lshlrev_b32_e32 v50, 1, v52
	global_load_u16 v50, v50, s[2:3]
	s_waitcnt vmcnt(0)
	v_and_b32_e32 v50, 0x7fff, v50
	s_delay_alu instid0(VALU_DEP_1)
	v_cmp_ne_u16_e32 vcc_lo, 0, v50
	v_cndmask_b32_e64 v50, 0, 1, vcc_lo
.LBB796_137:
	s_or_b32 exec_lo, exec_lo, s5
	v_or_b32_e32 v54, 0x1980, v0
	v_dual_mov_b32 v52, 0 :: v_dual_mov_b32 v53, 0
	s_mov_b32 s5, exec_lo
	s_delay_alu instid0(VALU_DEP_2)
	v_cmpx_gt_u32_e64 s4, v54
	s_cbranch_execz .LBB796_139
; %bb.138:
	v_lshlrev_b32_e32 v53, 1, v54
	global_load_u16 v53, v53, s[2:3]
	s_waitcnt vmcnt(0)
	v_and_b32_e32 v53, 0x7fff, v53
	s_delay_alu instid0(VALU_DEP_1)
	v_cmp_ne_u16_e32 vcc_lo, 0, v53
	v_cndmask_b32_e64 v53, 0, 1, vcc_lo
.LBB796_139:
	s_or_b32 exec_lo, exec_lo, s5
	v_or_b32_e32 v54, 0x1a00, v0
	s_mov_b32 s5, exec_lo
	s_delay_alu instid0(VALU_DEP_1)
	v_cmpx_gt_u32_e64 s4, v54
	s_cbranch_execz .LBB796_141
; %bb.140:
	v_lshlrev_b32_e32 v52, 1, v54
	global_load_u16 v52, v52, s[2:3]
	s_waitcnt vmcnt(0)
	v_and_b32_e32 v52, 0x7fff, v52
	s_delay_alu instid0(VALU_DEP_1)
	v_cmp_ne_u16_e32 vcc_lo, 0, v52
	v_cndmask_b32_e64 v52, 0, 1, vcc_lo
.LBB796_141:
	s_or_b32 exec_lo, exec_lo, s5
	v_or_b32_e32 v56, 0x1a80, v0
	v_dual_mov_b32 v54, 0 :: v_dual_mov_b32 v55, 0
	s_mov_b32 s5, exec_lo
	s_delay_alu instid0(VALU_DEP_2)
	v_cmpx_gt_u32_e64 s4, v56
	s_cbranch_execz .LBB796_143
; %bb.142:
	v_lshlrev_b32_e32 v55, 1, v56
	global_load_u16 v55, v55, s[2:3]
	s_waitcnt vmcnt(0)
	v_and_b32_e32 v55, 0x7fff, v55
	s_delay_alu instid0(VALU_DEP_1)
	v_cmp_ne_u16_e32 vcc_lo, 0, v55
	v_cndmask_b32_e64 v55, 0, 1, vcc_lo
.LBB796_143:
	s_or_b32 exec_lo, exec_lo, s5
	v_or_b32_e32 v56, 0x1b00, v0
	s_mov_b32 s5, exec_lo
	s_delay_alu instid0(VALU_DEP_1)
	v_cmpx_gt_u32_e64 s4, v56
	s_cbranch_execz .LBB796_145
; %bb.144:
	v_lshlrev_b32_e32 v54, 1, v56
	global_load_u16 v54, v54, s[2:3]
	s_waitcnt vmcnt(0)
	v_and_b32_e32 v54, 0x7fff, v54
	s_delay_alu instid0(VALU_DEP_1)
	v_cmp_ne_u16_e32 vcc_lo, 0, v54
	v_cndmask_b32_e64 v54, 0, 1, vcc_lo
.LBB796_145:
	s_or_b32 exec_lo, exec_lo, s5
	v_or_b32_e32 v58, 0x1b80, v0
	v_dual_mov_b32 v56, 0 :: v_dual_mov_b32 v57, 0
	s_mov_b32 s5, exec_lo
	s_delay_alu instid0(VALU_DEP_2)
	v_cmpx_gt_u32_e64 s4, v58
	s_cbranch_execz .LBB796_147
; %bb.146:
	v_lshlrev_b32_e32 v57, 1, v58
	global_load_u16 v57, v57, s[2:3]
	s_waitcnt vmcnt(0)
	v_and_b32_e32 v57, 0x7fff, v57
	s_delay_alu instid0(VALU_DEP_1)
	v_cmp_ne_u16_e32 vcc_lo, 0, v57
	v_cndmask_b32_e64 v57, 0, 1, vcc_lo
.LBB796_147:
	s_or_b32 exec_lo, exec_lo, s5
	v_or_b32_e32 v58, 0x1c00, v0
	s_mov_b32 s5, exec_lo
	s_delay_alu instid0(VALU_DEP_1)
	v_cmpx_gt_u32_e64 s4, v58
	s_cbranch_execz .LBB796_149
; %bb.148:
	v_lshlrev_b32_e32 v56, 1, v58
	global_load_u16 v56, v56, s[2:3]
	s_waitcnt vmcnt(0)
	v_and_b32_e32 v56, 0x7fff, v56
	s_delay_alu instid0(VALU_DEP_1)
	v_cmp_ne_u16_e32 vcc_lo, 0, v56
	v_cndmask_b32_e64 v56, 0, 1, vcc_lo
.LBB796_149:
	s_or_b32 exec_lo, exec_lo, s5
	v_or_b32_e32 v60, 0x1c80, v0
	v_dual_mov_b32 v58, 0 :: v_dual_mov_b32 v59, 0
	s_mov_b32 s5, exec_lo
	s_delay_alu instid0(VALU_DEP_2)
	v_cmpx_gt_u32_e64 s4, v60
	s_cbranch_execz .LBB796_151
; %bb.150:
	v_lshlrev_b32_e32 v59, 1, v60
	global_load_u16 v59, v59, s[2:3]
	s_waitcnt vmcnt(0)
	v_and_b32_e32 v59, 0x7fff, v59
	s_delay_alu instid0(VALU_DEP_1)
	v_cmp_ne_u16_e32 vcc_lo, 0, v59
	v_cndmask_b32_e64 v59, 0, 1, vcc_lo
.LBB796_151:
	s_or_b32 exec_lo, exec_lo, s5
	v_or_b32_e32 v60, 0x1d00, v0
	s_mov_b32 s5, exec_lo
	s_delay_alu instid0(VALU_DEP_1)
	v_cmpx_gt_u32_e64 s4, v60
	s_cbranch_execz .LBB796_153
; %bb.152:
	v_lshlrev_b32_e32 v58, 1, v60
	global_load_u16 v58, v58, s[2:3]
	s_waitcnt vmcnt(0)
	v_and_b32_e32 v58, 0x7fff, v58
	s_delay_alu instid0(VALU_DEP_1)
	v_cmp_ne_u16_e32 vcc_lo, 0, v58
	v_cndmask_b32_e64 v58, 0, 1, vcc_lo
.LBB796_153:
	s_or_b32 exec_lo, exec_lo, s5
	v_or_b32_e32 v62, 0x1d80, v0
	v_dual_mov_b32 v60, 0 :: v_dual_mov_b32 v61, 0
	s_mov_b32 s5, exec_lo
	s_delay_alu instid0(VALU_DEP_2)
	v_cmpx_gt_u32_e64 s4, v62
	s_cbranch_execz .LBB796_155
; %bb.154:
	v_lshlrev_b32_e32 v61, 1, v62
	global_load_u16 v61, v61, s[2:3]
	s_waitcnt vmcnt(0)
	v_and_b32_e32 v61, 0x7fff, v61
	s_delay_alu instid0(VALU_DEP_1)
	v_cmp_ne_u16_e32 vcc_lo, 0, v61
	v_cndmask_b32_e64 v61, 0, 1, vcc_lo
.LBB796_155:
	s_or_b32 exec_lo, exec_lo, s5
	v_or_b32_e32 v62, 0x1e00, v0
	s_mov_b32 s5, exec_lo
	s_delay_alu instid0(VALU_DEP_1)
	v_cmpx_gt_u32_e64 s4, v62
	s_cbranch_execz .LBB796_157
; %bb.156:
	v_lshlrev_b32_e32 v60, 1, v62
	global_load_u16 v60, v60, s[2:3]
	s_waitcnt vmcnt(0)
	v_and_b32_e32 v60, 0x7fff, v60
	s_delay_alu instid0(VALU_DEP_1)
	v_cmp_ne_u16_e32 vcc_lo, 0, v60
	v_cndmask_b32_e64 v60, 0, 1, vcc_lo
.LBB796_157:
	s_or_b32 exec_lo, exec_lo, s5
	v_or_b32_e32 v64, 0x1e80, v0
	v_dual_mov_b32 v62, 0 :: v_dual_mov_b32 v63, 0
	s_mov_b32 s5, exec_lo
	s_delay_alu instid0(VALU_DEP_2)
	v_cmpx_gt_u32_e64 s4, v64
	s_cbranch_execz .LBB796_159
; %bb.158:
	v_lshlrev_b32_e32 v63, 1, v64
	global_load_u16 v63, v63, s[2:3]
	s_waitcnt vmcnt(0)
	v_and_b32_e32 v63, 0x7fff, v63
	s_delay_alu instid0(VALU_DEP_1)
	v_cmp_ne_u16_e32 vcc_lo, 0, v63
	v_cndmask_b32_e64 v63, 0, 1, vcc_lo
.LBB796_159:
	s_or_b32 exec_lo, exec_lo, s5
	v_or_b32_e32 v64, 0x1f00, v0
	s_mov_b32 s5, exec_lo
	s_delay_alu instid0(VALU_DEP_1)
	v_cmpx_gt_u32_e64 s4, v64
	s_cbranch_execz .LBB796_161
; %bb.160:
	v_lshlrev_b32_e32 v62, 1, v64
	global_load_u16 v62, v62, s[2:3]
	s_waitcnt vmcnt(0)
	v_and_b32_e32 v62, 0x7fff, v62
	s_delay_alu instid0(VALU_DEP_1)
	v_cmp_ne_u16_e32 vcc_lo, 0, v62
	v_cndmask_b32_e64 v62, 0, 1, vcc_lo
.LBB796_161:
	s_or_b32 exec_lo, exec_lo, s5
	v_or_b32_e32 v66, 0x1f80, v0
	v_dual_mov_b32 v64, 0 :: v_dual_mov_b32 v65, 0
	s_mov_b32 s5, exec_lo
	s_delay_alu instid0(VALU_DEP_2)
	v_cmpx_gt_u32_e64 s4, v66
	s_cbranch_execz .LBB796_163
; %bb.162:
	v_lshlrev_b32_e32 v65, 1, v66
	global_load_u16 v65, v65, s[2:3]
	s_waitcnt vmcnt(0)
	v_and_b32_e32 v65, 0x7fff, v65
	s_delay_alu instid0(VALU_DEP_1)
	v_cmp_ne_u16_e32 vcc_lo, 0, v65
	v_cndmask_b32_e64 v65, 0, 1, vcc_lo
.LBB796_163:
	s_or_b32 exec_lo, exec_lo, s5
	v_or_b32_e32 v66, 0x2000, v0
	s_mov_b32 s5, exec_lo
	s_delay_alu instid0(VALU_DEP_1)
	v_cmpx_gt_u32_e64 s4, v66
	s_cbranch_execz .LBB796_165
; %bb.164:
	v_lshlrev_b32_e32 v64, 1, v66
	global_load_u16 v64, v64, s[2:3]
	s_waitcnt vmcnt(0)
	v_and_b32_e32 v64, 0x7fff, v64
	s_delay_alu instid0(VALU_DEP_1)
	v_cmp_ne_u16_e32 vcc_lo, 0, v64
	v_cndmask_b32_e64 v64, 0, 1, vcc_lo
.LBB796_165:
	s_or_b32 exec_lo, exec_lo, s5
	v_or_b32_e32 v68, 0x2080, v0
	v_dual_mov_b32 v66, 0 :: v_dual_mov_b32 v67, 0
	s_mov_b32 s5, exec_lo
	s_delay_alu instid0(VALU_DEP_2)
	v_cmpx_gt_u32_e64 s4, v68
	s_cbranch_execz .LBB796_167
; %bb.166:
	v_lshlrev_b32_e32 v67, 1, v68
	global_load_u16 v67, v67, s[2:3]
	s_waitcnt vmcnt(0)
	v_and_b32_e32 v67, 0x7fff, v67
	s_delay_alu instid0(VALU_DEP_1)
	v_cmp_ne_u16_e32 vcc_lo, 0, v67
	v_cndmask_b32_e64 v67, 0, 1, vcc_lo
.LBB796_167:
	s_or_b32 exec_lo, exec_lo, s5
	v_or_b32_e32 v68, 0x2100, v0
	s_mov_b32 s5, exec_lo
	s_delay_alu instid0(VALU_DEP_1)
	v_cmpx_gt_u32_e64 s4, v68
	s_cbranch_execz .LBB796_169
; %bb.168:
	v_lshlrev_b32_e32 v66, 1, v68
	global_load_u16 v66, v66, s[2:3]
	s_waitcnt vmcnt(0)
	v_and_b32_e32 v66, 0x7fff, v66
	s_delay_alu instid0(VALU_DEP_1)
	v_cmp_ne_u16_e32 vcc_lo, 0, v66
	v_cndmask_b32_e64 v66, 0, 1, vcc_lo
.LBB796_169:
	s_or_b32 exec_lo, exec_lo, s5
	v_or_b32_e32 v70, 0x2180, v0
	v_dual_mov_b32 v68, 0 :: v_dual_mov_b32 v69, 0
	s_mov_b32 s5, exec_lo
	s_delay_alu instid0(VALU_DEP_2)
	v_cmpx_gt_u32_e64 s4, v70
	s_cbranch_execz .LBB796_171
; %bb.170:
	v_lshlrev_b32_e32 v69, 1, v70
	global_load_u16 v69, v69, s[2:3]
	s_waitcnt vmcnt(0)
	v_and_b32_e32 v69, 0x7fff, v69
	s_delay_alu instid0(VALU_DEP_1)
	v_cmp_ne_u16_e32 vcc_lo, 0, v69
	v_cndmask_b32_e64 v69, 0, 1, vcc_lo
.LBB796_171:
	s_or_b32 exec_lo, exec_lo, s5
	v_or_b32_e32 v70, 0x2200, v0
	s_mov_b32 s5, exec_lo
	s_delay_alu instid0(VALU_DEP_1)
	v_cmpx_gt_u32_e64 s4, v70
	s_cbranch_execz .LBB796_173
; %bb.172:
	v_lshlrev_b32_e32 v68, 1, v70
	global_load_u16 v68, v68, s[2:3]
	s_waitcnt vmcnt(0)
	v_and_b32_e32 v68, 0x7fff, v68
	s_delay_alu instid0(VALU_DEP_1)
	v_cmp_ne_u16_e32 vcc_lo, 0, v68
	v_cndmask_b32_e64 v68, 0, 1, vcc_lo
.LBB796_173:
	s_or_b32 exec_lo, exec_lo, s5
	v_or_b32_e32 v72, 0x2280, v0
	v_dual_mov_b32 v70, 0 :: v_dual_mov_b32 v71, 0
	s_mov_b32 s5, exec_lo
	s_delay_alu instid0(VALU_DEP_2)
	v_cmpx_gt_u32_e64 s4, v72
	s_cbranch_execz .LBB796_175
; %bb.174:
	v_lshlrev_b32_e32 v71, 1, v72
	global_load_u16 v71, v71, s[2:3]
	s_waitcnt vmcnt(0)
	v_and_b32_e32 v71, 0x7fff, v71
	s_delay_alu instid0(VALU_DEP_1)
	v_cmp_ne_u16_e32 vcc_lo, 0, v71
	v_cndmask_b32_e64 v71, 0, 1, vcc_lo
.LBB796_175:
	s_or_b32 exec_lo, exec_lo, s5
	v_or_b32_e32 v72, 0x2300, v0
	s_mov_b32 s5, exec_lo
	s_delay_alu instid0(VALU_DEP_1)
	v_cmpx_gt_u32_e64 s4, v72
	s_cbranch_execz .LBB796_177
; %bb.176:
	v_lshlrev_b32_e32 v70, 1, v72
	global_load_u16 v70, v70, s[2:3]
	s_waitcnt vmcnt(0)
	v_and_b32_e32 v70, 0x7fff, v70
	s_delay_alu instid0(VALU_DEP_1)
	v_cmp_ne_u16_e32 vcc_lo, 0, v70
	v_cndmask_b32_e64 v70, 0, 1, vcc_lo
.LBB796_177:
	s_or_b32 exec_lo, exec_lo, s5
	v_or_b32_e32 v74, 0x2380, v0
	v_dual_mov_b32 v72, 0 :: v_dual_mov_b32 v73, 0
	s_mov_b32 s5, exec_lo
	s_delay_alu instid0(VALU_DEP_2)
	v_cmpx_gt_u32_e64 s4, v74
	s_cbranch_execz .LBB796_179
; %bb.178:
	v_lshlrev_b32_e32 v73, 1, v74
	global_load_u16 v73, v73, s[2:3]
	s_waitcnt vmcnt(0)
	v_and_b32_e32 v73, 0x7fff, v73
	s_delay_alu instid0(VALU_DEP_1)
	v_cmp_ne_u16_e32 vcc_lo, 0, v73
	v_cndmask_b32_e64 v73, 0, 1, vcc_lo
.LBB796_179:
	s_or_b32 exec_lo, exec_lo, s5
	v_or_b32_e32 v74, 0x2400, v0
	s_mov_b32 s5, exec_lo
	s_delay_alu instid0(VALU_DEP_1)
	v_cmpx_gt_u32_e64 s4, v74
	s_cbranch_execz .LBB796_181
; %bb.180:
	v_lshlrev_b32_e32 v72, 1, v74
	global_load_u16 v72, v72, s[2:3]
	s_waitcnt vmcnt(0)
	v_and_b32_e32 v72, 0x7fff, v72
	s_delay_alu instid0(VALU_DEP_1)
	v_cmp_ne_u16_e32 vcc_lo, 0, v72
	v_cndmask_b32_e64 v72, 0, 1, vcc_lo
.LBB796_181:
	s_or_b32 exec_lo, exec_lo, s5
	v_or_b32_e32 v76, 0x2480, v0
	v_dual_mov_b32 v74, 0 :: v_dual_mov_b32 v75, 0
	s_mov_b32 s5, exec_lo
	s_delay_alu instid0(VALU_DEP_2)
	v_cmpx_gt_u32_e64 s4, v76
	s_cbranch_execz .LBB796_183
; %bb.182:
	v_lshlrev_b32_e32 v75, 1, v76
	global_load_u16 v75, v75, s[2:3]
	s_waitcnt vmcnt(0)
	v_and_b32_e32 v75, 0x7fff, v75
	s_delay_alu instid0(VALU_DEP_1)
	v_cmp_ne_u16_e32 vcc_lo, 0, v75
	v_cndmask_b32_e64 v75, 0, 1, vcc_lo
.LBB796_183:
	s_or_b32 exec_lo, exec_lo, s5
	v_or_b32_e32 v76, 0x2500, v0
	s_mov_b32 s5, exec_lo
	s_delay_alu instid0(VALU_DEP_1)
	v_cmpx_gt_u32_e64 s4, v76
	s_cbranch_execz .LBB796_185
; %bb.184:
	v_lshlrev_b32_e32 v74, 1, v76
	global_load_u16 v74, v74, s[2:3]
	s_waitcnt vmcnt(0)
	v_and_b32_e32 v74, 0x7fff, v74
	s_delay_alu instid0(VALU_DEP_1)
	v_cmp_ne_u16_e32 vcc_lo, 0, v74
	v_cndmask_b32_e64 v74, 0, 1, vcc_lo
.LBB796_185:
	s_or_b32 exec_lo, exec_lo, s5
	v_or_b32_e32 v78, 0x2580, v0
	v_dual_mov_b32 v76, 0 :: v_dual_mov_b32 v77, 0
	s_mov_b32 s5, exec_lo
	s_delay_alu instid0(VALU_DEP_2)
	v_cmpx_gt_u32_e64 s4, v78
	s_cbranch_execz .LBB796_187
; %bb.186:
	v_lshlrev_b32_e32 v77, 1, v78
	global_load_u16 v77, v77, s[2:3]
	s_waitcnt vmcnt(0)
	v_and_b32_e32 v77, 0x7fff, v77
	s_delay_alu instid0(VALU_DEP_1)
	v_cmp_ne_u16_e32 vcc_lo, 0, v77
	v_cndmask_b32_e64 v77, 0, 1, vcc_lo
.LBB796_187:
	s_or_b32 exec_lo, exec_lo, s5
	v_or_b32_e32 v78, 0x2600, v0
	s_mov_b32 s5, exec_lo
	s_delay_alu instid0(VALU_DEP_1)
	v_cmpx_gt_u32_e64 s4, v78
	s_cbranch_execz .LBB796_189
; %bb.188:
	v_lshlrev_b32_e32 v76, 1, v78
	global_load_u16 v76, v76, s[2:3]
	s_waitcnt vmcnt(0)
	v_and_b32_e32 v76, 0x7fff, v76
	s_delay_alu instid0(VALU_DEP_1)
	v_cmp_ne_u16_e32 vcc_lo, 0, v76
	v_cndmask_b32_e64 v76, 0, 1, vcc_lo
.LBB796_189:
	s_or_b32 exec_lo, exec_lo, s5
	v_or_b32_e32 v80, 0x2680, v0
	v_dual_mov_b32 v78, 0 :: v_dual_mov_b32 v79, 0
	s_mov_b32 s5, exec_lo
	s_delay_alu instid0(VALU_DEP_2)
	v_cmpx_gt_u32_e64 s4, v80
	s_cbranch_execz .LBB796_191
; %bb.190:
	v_lshlrev_b32_e32 v79, 1, v80
	global_load_u16 v79, v79, s[2:3]
	s_waitcnt vmcnt(0)
	v_and_b32_e32 v79, 0x7fff, v79
	s_delay_alu instid0(VALU_DEP_1)
	v_cmp_ne_u16_e32 vcc_lo, 0, v79
	v_cndmask_b32_e64 v79, 0, 1, vcc_lo
.LBB796_191:
	s_or_b32 exec_lo, exec_lo, s5
	v_or_b32_e32 v80, 0x2700, v0
	s_mov_b32 s5, exec_lo
	s_delay_alu instid0(VALU_DEP_1)
	v_cmpx_gt_u32_e64 s4, v80
	s_cbranch_execz .LBB796_193
; %bb.192:
	v_lshlrev_b32_e32 v78, 1, v80
	global_load_u16 v78, v78, s[2:3]
	s_waitcnt vmcnt(0)
	v_and_b32_e32 v78, 0x7fff, v78
	s_delay_alu instid0(VALU_DEP_1)
	v_cmp_ne_u16_e32 vcc_lo, 0, v78
	v_cndmask_b32_e64 v78, 0, 1, vcc_lo
.LBB796_193:
	s_or_b32 exec_lo, exec_lo, s5
	v_or_b32_e32 v82, 0x2780, v0
	v_dual_mov_b32 v80, 0 :: v_dual_mov_b32 v81, 0
	s_mov_b32 s5, exec_lo
	s_delay_alu instid0(VALU_DEP_2)
	v_cmpx_gt_u32_e64 s4, v82
	s_cbranch_execz .LBB796_195
; %bb.194:
	v_lshlrev_b32_e32 v81, 1, v82
	global_load_u16 v81, v81, s[2:3]
	s_waitcnt vmcnt(0)
	v_and_b32_e32 v81, 0x7fff, v81
	s_delay_alu instid0(VALU_DEP_1)
	v_cmp_ne_u16_e32 vcc_lo, 0, v81
	v_cndmask_b32_e64 v81, 0, 1, vcc_lo
.LBB796_195:
	s_or_b32 exec_lo, exec_lo, s5
	v_or_b32_e32 v82, 0x2800, v0
	s_mov_b32 s5, exec_lo
	s_delay_alu instid0(VALU_DEP_1)
	v_cmpx_gt_u32_e64 s4, v82
	s_cbranch_execz .LBB796_197
; %bb.196:
	v_lshlrev_b32_e32 v80, 1, v82
	global_load_u16 v80, v80, s[2:3]
	s_waitcnt vmcnt(0)
	v_and_b32_e32 v80, 0x7fff, v80
	s_delay_alu instid0(VALU_DEP_1)
	v_cmp_ne_u16_e32 vcc_lo, 0, v80
	v_cndmask_b32_e64 v80, 0, 1, vcc_lo
.LBB796_197:
	s_or_b32 exec_lo, exec_lo, s5
	v_or_b32_e32 v84, 0x2880, v0
	v_dual_mov_b32 v82, 0 :: v_dual_mov_b32 v83, 0
	s_mov_b32 s5, exec_lo
	s_delay_alu instid0(VALU_DEP_2)
	v_cmpx_gt_u32_e64 s4, v84
	s_cbranch_execz .LBB796_199
; %bb.198:
	v_lshlrev_b32_e32 v83, 1, v84
	global_load_u16 v83, v83, s[2:3]
	s_waitcnt vmcnt(0)
	v_and_b32_e32 v83, 0x7fff, v83
	s_delay_alu instid0(VALU_DEP_1)
	v_cmp_ne_u16_e32 vcc_lo, 0, v83
	v_cndmask_b32_e64 v83, 0, 1, vcc_lo
.LBB796_199:
	s_or_b32 exec_lo, exec_lo, s5
	v_or_b32_e32 v84, 0x2900, v0
	s_mov_b32 s5, exec_lo
	s_delay_alu instid0(VALU_DEP_1)
	v_cmpx_gt_u32_e64 s4, v84
	s_cbranch_execz .LBB796_201
; %bb.200:
	v_lshlrev_b32_e32 v82, 1, v84
	global_load_u16 v82, v82, s[2:3]
	s_waitcnt vmcnt(0)
	v_and_b32_e32 v82, 0x7fff, v82
	s_delay_alu instid0(VALU_DEP_1)
	v_cmp_ne_u16_e32 vcc_lo, 0, v82
	v_cndmask_b32_e64 v82, 0, 1, vcc_lo
.LBB796_201:
	s_or_b32 exec_lo, exec_lo, s5
	v_or_b32_e32 v86, 0x2980, v0
	v_dual_mov_b32 v84, 0 :: v_dual_mov_b32 v85, 0
	s_mov_b32 s5, exec_lo
	s_delay_alu instid0(VALU_DEP_2)
	v_cmpx_gt_u32_e64 s4, v86
	s_cbranch_execz .LBB796_203
; %bb.202:
	v_lshlrev_b32_e32 v85, 1, v86
	global_load_u16 v85, v85, s[2:3]
	s_waitcnt vmcnt(0)
	v_and_b32_e32 v85, 0x7fff, v85
	s_delay_alu instid0(VALU_DEP_1)
	v_cmp_ne_u16_e32 vcc_lo, 0, v85
	v_cndmask_b32_e64 v85, 0, 1, vcc_lo
.LBB796_203:
	s_or_b32 exec_lo, exec_lo, s5
	v_or_b32_e32 v86, 0x2a00, v0
	s_mov_b32 s5, exec_lo
	s_delay_alu instid0(VALU_DEP_1)
	v_cmpx_gt_u32_e64 s4, v86
	s_cbranch_execz .LBB796_205
; %bb.204:
	v_lshlrev_b32_e32 v84, 1, v86
	global_load_u16 v84, v84, s[2:3]
	s_waitcnt vmcnt(0)
	v_and_b32_e32 v84, 0x7fff, v84
	s_delay_alu instid0(VALU_DEP_1)
	v_cmp_ne_u16_e32 vcc_lo, 0, v84
	v_cndmask_b32_e64 v84, 0, 1, vcc_lo
.LBB796_205:
	s_or_b32 exec_lo, exec_lo, s5
	v_or_b32_e32 v88, 0x2a80, v0
	v_dual_mov_b32 v86, 0 :: v_dual_mov_b32 v87, 0
	s_mov_b32 s5, exec_lo
	s_delay_alu instid0(VALU_DEP_2)
	v_cmpx_gt_u32_e64 s4, v88
	s_cbranch_execz .LBB796_207
; %bb.206:
	v_lshlrev_b32_e32 v87, 1, v88
	global_load_u16 v87, v87, s[2:3]
	s_waitcnt vmcnt(0)
	v_and_b32_e32 v87, 0x7fff, v87
	s_delay_alu instid0(VALU_DEP_1)
	v_cmp_ne_u16_e32 vcc_lo, 0, v87
	v_cndmask_b32_e64 v87, 0, 1, vcc_lo
.LBB796_207:
	s_or_b32 exec_lo, exec_lo, s5
	v_or_b32_e32 v88, 0x2b00, v0
	s_mov_b32 s5, exec_lo
	s_delay_alu instid0(VALU_DEP_1)
	v_cmpx_gt_u32_e64 s4, v88
	s_cbranch_execz .LBB796_209
; %bb.208:
	v_lshlrev_b32_e32 v86, 1, v88
	global_load_u16 v86, v86, s[2:3]
	s_waitcnt vmcnt(0)
	v_and_b32_e32 v86, 0x7fff, v86
	s_delay_alu instid0(VALU_DEP_1)
	v_cmp_ne_u16_e32 vcc_lo, 0, v86
	v_cndmask_b32_e64 v86, 0, 1, vcc_lo
.LBB796_209:
	s_or_b32 exec_lo, exec_lo, s5
	v_or_b32_e32 v90, 0x2b80, v0
	v_dual_mov_b32 v88, 0 :: v_dual_mov_b32 v89, 0
	s_mov_b32 s5, exec_lo
	s_delay_alu instid0(VALU_DEP_2)
	v_cmpx_gt_u32_e64 s4, v90
	s_cbranch_execz .LBB796_211
; %bb.210:
	v_lshlrev_b32_e32 v89, 1, v90
	global_load_u16 v89, v89, s[2:3]
	s_waitcnt vmcnt(0)
	v_and_b32_e32 v89, 0x7fff, v89
	s_delay_alu instid0(VALU_DEP_1)
	v_cmp_ne_u16_e32 vcc_lo, 0, v89
	v_cndmask_b32_e64 v89, 0, 1, vcc_lo
.LBB796_211:
	s_or_b32 exec_lo, exec_lo, s5
	v_or_b32_e32 v90, 0x2c00, v0
	s_mov_b32 s5, exec_lo
	s_delay_alu instid0(VALU_DEP_1)
	v_cmpx_gt_u32_e64 s4, v90
	s_cbranch_execz .LBB796_213
; %bb.212:
	v_lshlrev_b32_e32 v88, 1, v90
	global_load_u16 v88, v88, s[2:3]
	s_waitcnt vmcnt(0)
	v_and_b32_e32 v88, 0x7fff, v88
	s_delay_alu instid0(VALU_DEP_1)
	v_cmp_ne_u16_e32 vcc_lo, 0, v88
	v_cndmask_b32_e64 v88, 0, 1, vcc_lo
.LBB796_213:
	s_or_b32 exec_lo, exec_lo, s5
	v_or_b32_e32 v92, 0x2c80, v0
	v_dual_mov_b32 v90, 0 :: v_dual_mov_b32 v91, 0
	s_mov_b32 s5, exec_lo
	s_delay_alu instid0(VALU_DEP_2)
	v_cmpx_gt_u32_e64 s4, v92
	s_cbranch_execz .LBB796_215
; %bb.214:
	v_lshlrev_b32_e32 v91, 1, v92
	global_load_u16 v91, v91, s[2:3]
	s_waitcnt vmcnt(0)
	v_and_b32_e32 v91, 0x7fff, v91
	s_delay_alu instid0(VALU_DEP_1)
	v_cmp_ne_u16_e32 vcc_lo, 0, v91
	v_cndmask_b32_e64 v91, 0, 1, vcc_lo
.LBB796_215:
	s_or_b32 exec_lo, exec_lo, s5
	v_or_b32_e32 v92, 0x2d00, v0
	s_mov_b32 s5, exec_lo
	s_delay_alu instid0(VALU_DEP_1)
	v_cmpx_gt_u32_e64 s4, v92
	s_cbranch_execz .LBB796_217
; %bb.216:
	v_lshlrev_b32_e32 v90, 1, v92
	global_load_u16 v90, v90, s[2:3]
	s_waitcnt vmcnt(0)
	v_and_b32_e32 v90, 0x7fff, v90
	s_delay_alu instid0(VALU_DEP_1)
	v_cmp_ne_u16_e32 vcc_lo, 0, v90
	v_cndmask_b32_e64 v90, 0, 1, vcc_lo
.LBB796_217:
	s_or_b32 exec_lo, exec_lo, s5
	v_or_b32_e32 v94, 0x2d80, v0
	v_dual_mov_b32 v92, 0 :: v_dual_mov_b32 v93, 0
	s_mov_b32 s5, exec_lo
	s_delay_alu instid0(VALU_DEP_2)
	v_cmpx_gt_u32_e64 s4, v94
	s_cbranch_execz .LBB796_219
; %bb.218:
	v_lshlrev_b32_e32 v93, 1, v94
	global_load_u16 v93, v93, s[2:3]
	s_waitcnt vmcnt(0)
	v_and_b32_e32 v93, 0x7fff, v93
	s_delay_alu instid0(VALU_DEP_1)
	v_cmp_ne_u16_e32 vcc_lo, 0, v93
	v_cndmask_b32_e64 v93, 0, 1, vcc_lo
.LBB796_219:
	s_or_b32 exec_lo, exec_lo, s5
	v_or_b32_e32 v94, 0x2e00, v0
	s_mov_b32 s5, exec_lo
	s_delay_alu instid0(VALU_DEP_1)
	v_cmpx_gt_u32_e64 s4, v94
	s_cbranch_execz .LBB796_221
; %bb.220:
	v_lshlrev_b32_e32 v92, 1, v94
	global_load_u16 v92, v92, s[2:3]
	s_waitcnt vmcnt(0)
	v_and_b32_e32 v92, 0x7fff, v92
	s_delay_alu instid0(VALU_DEP_1)
	v_cmp_ne_u16_e32 vcc_lo, 0, v92
	v_cndmask_b32_e64 v92, 0, 1, vcc_lo
.LBB796_221:
	s_or_b32 exec_lo, exec_lo, s5
	v_or_b32_e32 v96, 0x2e80, v0
	v_dual_mov_b32 v94, 0 :: v_dual_mov_b32 v95, 0
	s_mov_b32 s5, exec_lo
	s_delay_alu instid0(VALU_DEP_2)
	v_cmpx_gt_u32_e64 s4, v96
	s_cbranch_execz .LBB796_223
; %bb.222:
	v_lshlrev_b32_e32 v95, 1, v96
	global_load_u16 v95, v95, s[2:3]
	s_waitcnt vmcnt(0)
	v_and_b32_e32 v95, 0x7fff, v95
	s_delay_alu instid0(VALU_DEP_1)
	v_cmp_ne_u16_e32 vcc_lo, 0, v95
	v_cndmask_b32_e64 v95, 0, 1, vcc_lo
.LBB796_223:
	s_or_b32 exec_lo, exec_lo, s5
	v_or_b32_e32 v96, 0x2f00, v0
	s_mov_b32 s5, exec_lo
	s_delay_alu instid0(VALU_DEP_1)
	v_cmpx_gt_u32_e64 s4, v96
	s_cbranch_execz .LBB796_225
; %bb.224:
	v_lshlrev_b32_e32 v94, 1, v96
	global_load_u16 v94, v94, s[2:3]
	s_waitcnt vmcnt(0)
	v_and_b32_e32 v94, 0x7fff, v94
	s_delay_alu instid0(VALU_DEP_1)
	v_cmp_ne_u16_e32 vcc_lo, 0, v94
	v_cndmask_b32_e64 v94, 0, 1, vcc_lo
.LBB796_225:
	s_or_b32 exec_lo, exec_lo, s5
	v_or_b32_e32 v98, 0x2f80, v0
	v_dual_mov_b32 v96, 0 :: v_dual_mov_b32 v97, 0
	s_mov_b32 s5, exec_lo
	s_delay_alu instid0(VALU_DEP_2)
	v_cmpx_gt_u32_e64 s4, v98
	s_cbranch_execz .LBB796_227
; %bb.226:
	v_lshlrev_b32_e32 v97, 1, v98
	global_load_u16 v97, v97, s[2:3]
	s_waitcnt vmcnt(0)
	v_and_b32_e32 v97, 0x7fff, v97
	s_delay_alu instid0(VALU_DEP_1)
	v_cmp_ne_u16_e32 vcc_lo, 0, v97
	v_cndmask_b32_e64 v97, 0, 1, vcc_lo
.LBB796_227:
	s_or_b32 exec_lo, exec_lo, s5
	v_or_b32_e32 v98, 0x3000, v0
	s_mov_b32 s5, exec_lo
	s_delay_alu instid0(VALU_DEP_1)
	v_cmpx_gt_u32_e64 s4, v98
	s_cbranch_execz .LBB796_229
; %bb.228:
	v_lshlrev_b32_e32 v96, 1, v98
	global_load_u16 v96, v96, s[2:3]
	s_waitcnt vmcnt(0)
	v_and_b32_e32 v96, 0x7fff, v96
	s_delay_alu instid0(VALU_DEP_1)
	v_cmp_ne_u16_e32 vcc_lo, 0, v96
	v_cndmask_b32_e64 v96, 0, 1, vcc_lo
.LBB796_229:
	s_or_b32 exec_lo, exec_lo, s5
	v_or_b32_e32 v100, 0x3080, v0
	v_dual_mov_b32 v98, 0 :: v_dual_mov_b32 v99, 0
	s_mov_b32 s5, exec_lo
	s_delay_alu instid0(VALU_DEP_2)
	v_cmpx_gt_u32_e64 s4, v100
	s_cbranch_execz .LBB796_231
; %bb.230:
	v_lshlrev_b32_e32 v99, 1, v100
	global_load_u16 v99, v99, s[2:3]
	s_waitcnt vmcnt(0)
	v_and_b32_e32 v99, 0x7fff, v99
	s_delay_alu instid0(VALU_DEP_1)
	v_cmp_ne_u16_e32 vcc_lo, 0, v99
	v_cndmask_b32_e64 v99, 0, 1, vcc_lo
.LBB796_231:
	s_or_b32 exec_lo, exec_lo, s5
	v_or_b32_e32 v100, 0x3100, v0
	s_mov_b32 s5, exec_lo
	s_delay_alu instid0(VALU_DEP_1)
	v_cmpx_gt_u32_e64 s4, v100
	s_cbranch_execz .LBB796_233
; %bb.232:
	v_lshlrev_b32_e32 v98, 1, v100
	global_load_u16 v98, v98, s[2:3]
	s_waitcnt vmcnt(0)
	v_and_b32_e32 v98, 0x7fff, v98
	s_delay_alu instid0(VALU_DEP_1)
	v_cmp_ne_u16_e32 vcc_lo, 0, v98
	v_cndmask_b32_e64 v98, 0, 1, vcc_lo
.LBB796_233:
	s_or_b32 exec_lo, exec_lo, s5
	v_or_b32_e32 v102, 0x3180, v0
	v_dual_mov_b32 v100, 0 :: v_dual_mov_b32 v101, 0
	s_mov_b32 s5, exec_lo
	s_delay_alu instid0(VALU_DEP_2)
	v_cmpx_gt_u32_e64 s4, v102
	s_cbranch_execz .LBB796_235
; %bb.234:
	v_lshlrev_b32_e32 v101, 1, v102
	global_load_u16 v101, v101, s[2:3]
	s_waitcnt vmcnt(0)
	v_and_b32_e32 v101, 0x7fff, v101
	s_delay_alu instid0(VALU_DEP_1)
	v_cmp_ne_u16_e32 vcc_lo, 0, v101
	v_cndmask_b32_e64 v101, 0, 1, vcc_lo
.LBB796_235:
	s_or_b32 exec_lo, exec_lo, s5
	v_or_b32_e32 v102, 0x3200, v0
	s_mov_b32 s5, exec_lo
	s_delay_alu instid0(VALU_DEP_1)
	v_cmpx_gt_u32_e64 s4, v102
	s_cbranch_execz .LBB796_237
; %bb.236:
	v_lshlrev_b32_e32 v100, 1, v102
	global_load_u16 v100, v100, s[2:3]
	s_waitcnt vmcnt(0)
	v_and_b32_e32 v100, 0x7fff, v100
	s_delay_alu instid0(VALU_DEP_1)
	v_cmp_ne_u16_e32 vcc_lo, 0, v100
	v_cndmask_b32_e64 v100, 0, 1, vcc_lo
.LBB796_237:
	s_or_b32 exec_lo, exec_lo, s5
	v_or_b32_e32 v104, 0x3280, v0
	v_dual_mov_b32 v102, 0 :: v_dual_mov_b32 v103, 0
	s_mov_b32 s5, exec_lo
	s_delay_alu instid0(VALU_DEP_2)
	v_cmpx_gt_u32_e64 s4, v104
	s_cbranch_execz .LBB796_239
; %bb.238:
	v_lshlrev_b32_e32 v103, 1, v104
	global_load_u16 v103, v103, s[2:3]
	s_waitcnt vmcnt(0)
	v_and_b32_e32 v103, 0x7fff, v103
	s_delay_alu instid0(VALU_DEP_1)
	v_cmp_ne_u16_e32 vcc_lo, 0, v103
	v_cndmask_b32_e64 v103, 0, 1, vcc_lo
.LBB796_239:
	s_or_b32 exec_lo, exec_lo, s5
	v_or_b32_e32 v104, 0x3300, v0
	s_mov_b32 s5, exec_lo
	s_delay_alu instid0(VALU_DEP_1)
	v_cmpx_gt_u32_e64 s4, v104
	s_cbranch_execz .LBB796_241
; %bb.240:
	v_lshlrev_b32_e32 v102, 1, v104
	global_load_u16 v102, v102, s[2:3]
	s_waitcnt vmcnt(0)
	v_and_b32_e32 v102, 0x7fff, v102
	s_delay_alu instid0(VALU_DEP_1)
	v_cmp_ne_u16_e32 vcc_lo, 0, v102
	v_cndmask_b32_e64 v102, 0, 1, vcc_lo
.LBB796_241:
	s_or_b32 exec_lo, exec_lo, s5
	v_or_b32_e32 v106, 0x3380, v0
	v_dual_mov_b32 v104, 0 :: v_dual_mov_b32 v105, 0
	s_mov_b32 s5, exec_lo
	s_delay_alu instid0(VALU_DEP_2)
	v_cmpx_gt_u32_e64 s4, v106
	s_cbranch_execz .LBB796_243
; %bb.242:
	v_lshlrev_b32_e32 v105, 1, v106
	global_load_u16 v105, v105, s[2:3]
	s_waitcnt vmcnt(0)
	v_and_b32_e32 v105, 0x7fff, v105
	s_delay_alu instid0(VALU_DEP_1)
	v_cmp_ne_u16_e32 vcc_lo, 0, v105
	v_cndmask_b32_e64 v105, 0, 1, vcc_lo
.LBB796_243:
	s_or_b32 exec_lo, exec_lo, s5
	v_or_b32_e32 v106, 0x3400, v0
	s_mov_b32 s5, exec_lo
	s_delay_alu instid0(VALU_DEP_1)
	v_cmpx_gt_u32_e64 s4, v106
	s_cbranch_execz .LBB796_245
; %bb.244:
	v_lshlrev_b32_e32 v104, 1, v106
	global_load_u16 v104, v104, s[2:3]
	s_waitcnt vmcnt(0)
	v_and_b32_e32 v104, 0x7fff, v104
	s_delay_alu instid0(VALU_DEP_1)
	v_cmp_ne_u16_e32 vcc_lo, 0, v104
	v_cndmask_b32_e64 v104, 0, 1, vcc_lo
.LBB796_245:
	s_or_b32 exec_lo, exec_lo, s5
	v_or_b32_e32 v108, 0x3480, v0
	v_dual_mov_b32 v106, 0 :: v_dual_mov_b32 v107, 0
	s_mov_b32 s5, exec_lo
	s_delay_alu instid0(VALU_DEP_2)
	v_cmpx_gt_u32_e64 s4, v108
	s_cbranch_execz .LBB796_247
; %bb.246:
	v_lshlrev_b32_e32 v107, 1, v108
	global_load_u16 v107, v107, s[2:3]
	s_waitcnt vmcnt(0)
	v_and_b32_e32 v107, 0x7fff, v107
	s_delay_alu instid0(VALU_DEP_1)
	v_cmp_ne_u16_e32 vcc_lo, 0, v107
	v_cndmask_b32_e64 v107, 0, 1, vcc_lo
.LBB796_247:
	s_or_b32 exec_lo, exec_lo, s5
	v_or_b32_e32 v108, 0x3500, v0
	s_mov_b32 s5, exec_lo
	s_delay_alu instid0(VALU_DEP_1)
	v_cmpx_gt_u32_e64 s4, v108
	s_cbranch_execz .LBB796_249
; %bb.248:
	v_lshlrev_b32_e32 v106, 1, v108
	global_load_u16 v106, v106, s[2:3]
	s_waitcnt vmcnt(0)
	v_and_b32_e32 v106, 0x7fff, v106
	s_delay_alu instid0(VALU_DEP_1)
	v_cmp_ne_u16_e32 vcc_lo, 0, v106
	v_cndmask_b32_e64 v106, 0, 1, vcc_lo
.LBB796_249:
	s_or_b32 exec_lo, exec_lo, s5
	v_or_b32_e32 v110, 0x3580, v0
	v_dual_mov_b32 v108, 0 :: v_dual_mov_b32 v109, 0
	s_mov_b32 s5, exec_lo
	s_delay_alu instid0(VALU_DEP_2)
	v_cmpx_gt_u32_e64 s4, v110
	s_cbranch_execz .LBB796_251
; %bb.250:
	v_lshlrev_b32_e32 v109, 1, v110
	global_load_u16 v109, v109, s[2:3]
	s_waitcnt vmcnt(0)
	v_and_b32_e32 v109, 0x7fff, v109
	s_delay_alu instid0(VALU_DEP_1)
	v_cmp_ne_u16_e32 vcc_lo, 0, v109
	v_cndmask_b32_e64 v109, 0, 1, vcc_lo
.LBB796_251:
	s_or_b32 exec_lo, exec_lo, s5
	v_or_b32_e32 v110, 0x3600, v0
	s_mov_b32 s5, exec_lo
	s_delay_alu instid0(VALU_DEP_1)
	v_cmpx_gt_u32_e64 s4, v110
	s_cbranch_execz .LBB796_253
; %bb.252:
	v_lshlrev_b32_e32 v108, 1, v110
	global_load_u16 v108, v108, s[2:3]
	s_waitcnt vmcnt(0)
	v_and_b32_e32 v108, 0x7fff, v108
	s_delay_alu instid0(VALU_DEP_1)
	v_cmp_ne_u16_e32 vcc_lo, 0, v108
	v_cndmask_b32_e64 v108, 0, 1, vcc_lo
.LBB796_253:
	s_or_b32 exec_lo, exec_lo, s5
	v_or_b32_e32 v112, 0x3680, v0
	v_dual_mov_b32 v110, 0 :: v_dual_mov_b32 v111, 0
	s_mov_b32 s5, exec_lo
	s_delay_alu instid0(VALU_DEP_2)
	v_cmpx_gt_u32_e64 s4, v112
	s_cbranch_execz .LBB796_255
; %bb.254:
	v_lshlrev_b32_e32 v111, 1, v112
	global_load_u16 v111, v111, s[2:3]
	s_waitcnt vmcnt(0)
	v_and_b32_e32 v111, 0x7fff, v111
	s_delay_alu instid0(VALU_DEP_1)
	v_cmp_ne_u16_e32 vcc_lo, 0, v111
	v_cndmask_b32_e64 v111, 0, 1, vcc_lo
.LBB796_255:
	s_or_b32 exec_lo, exec_lo, s5
	v_or_b32_e32 v112, 0x3700, v0
	s_mov_b32 s5, exec_lo
	s_delay_alu instid0(VALU_DEP_1)
	v_cmpx_gt_u32_e64 s4, v112
	s_cbranch_execz .LBB796_257
; %bb.256:
	v_lshlrev_b32_e32 v110, 1, v112
	global_load_u16 v110, v110, s[2:3]
	s_waitcnt vmcnt(0)
	v_and_b32_e32 v110, 0x7fff, v110
	s_delay_alu instid0(VALU_DEP_1)
	v_cmp_ne_u16_e32 vcc_lo, 0, v110
	v_cndmask_b32_e64 v110, 0, 1, vcc_lo
.LBB796_257:
	s_or_b32 exec_lo, exec_lo, s5
	v_or_b32_e32 v114, 0x3780, v0
	v_dual_mov_b32 v112, 0 :: v_dual_mov_b32 v113, 0
	s_mov_b32 s5, exec_lo
	s_delay_alu instid0(VALU_DEP_2)
	v_cmpx_gt_u32_e64 s4, v114
	s_cbranch_execz .LBB796_259
; %bb.258:
	v_lshlrev_b32_e32 v113, 1, v114
	global_load_u16 v113, v113, s[2:3]
	s_waitcnt vmcnt(0)
	v_and_b32_e32 v113, 0x7fff, v113
	s_delay_alu instid0(VALU_DEP_1)
	v_cmp_ne_u16_e32 vcc_lo, 0, v113
	v_cndmask_b32_e64 v113, 0, 1, vcc_lo
.LBB796_259:
	s_or_b32 exec_lo, exec_lo, s5
	v_or_b32_e32 v114, 0x3800, v0
	s_mov_b32 s5, exec_lo
	s_delay_alu instid0(VALU_DEP_1)
	v_cmpx_gt_u32_e64 s4, v114
	s_cbranch_execz .LBB796_261
; %bb.260:
	v_lshlrev_b32_e32 v112, 1, v114
	global_load_u16 v112, v112, s[2:3]
	s_waitcnt vmcnt(0)
	v_and_b32_e32 v112, 0x7fff, v112
	s_delay_alu instid0(VALU_DEP_1)
	v_cmp_ne_u16_e32 vcc_lo, 0, v112
	v_cndmask_b32_e64 v112, 0, 1, vcc_lo
.LBB796_261:
	s_or_b32 exec_lo, exec_lo, s5
	v_or_b32_e32 v116, 0x3880, v0
	v_dual_mov_b32 v114, 0 :: v_dual_mov_b32 v115, 0
	s_mov_b32 s5, exec_lo
	s_delay_alu instid0(VALU_DEP_2)
	v_cmpx_gt_u32_e64 s4, v116
	s_cbranch_execz .LBB796_263
; %bb.262:
	v_lshlrev_b32_e32 v115, 1, v116
	global_load_u16 v115, v115, s[2:3]
	s_waitcnt vmcnt(0)
	v_and_b32_e32 v115, 0x7fff, v115
	s_delay_alu instid0(VALU_DEP_1)
	v_cmp_ne_u16_e32 vcc_lo, 0, v115
	v_cndmask_b32_e64 v115, 0, 1, vcc_lo
.LBB796_263:
	s_or_b32 exec_lo, exec_lo, s5
	v_or_b32_e32 v116, 0x3900, v0
	s_mov_b32 s5, exec_lo
	s_delay_alu instid0(VALU_DEP_1)
	v_cmpx_gt_u32_e64 s4, v116
	s_cbranch_execz .LBB796_265
; %bb.264:
	v_lshlrev_b32_e32 v114, 1, v116
	global_load_u16 v114, v114, s[2:3]
	s_waitcnt vmcnt(0)
	v_and_b32_e32 v114, 0x7fff, v114
	s_delay_alu instid0(VALU_DEP_1)
	v_cmp_ne_u16_e32 vcc_lo, 0, v114
	v_cndmask_b32_e64 v114, 0, 1, vcc_lo
.LBB796_265:
	s_or_b32 exec_lo, exec_lo, s5
	v_or_b32_e32 v118, 0x3980, v0
	v_dual_mov_b32 v116, 0 :: v_dual_mov_b32 v117, 0
	s_mov_b32 s5, exec_lo
	s_delay_alu instid0(VALU_DEP_2)
	v_cmpx_gt_u32_e64 s4, v118
	s_cbranch_execz .LBB796_267
; %bb.266:
	v_lshlrev_b32_e32 v117, 1, v118
	global_load_u16 v117, v117, s[2:3]
	s_waitcnt vmcnt(0)
	v_and_b32_e32 v117, 0x7fff, v117
	s_delay_alu instid0(VALU_DEP_1)
	v_cmp_ne_u16_e32 vcc_lo, 0, v117
	v_cndmask_b32_e64 v117, 0, 1, vcc_lo
.LBB796_267:
	s_or_b32 exec_lo, exec_lo, s5
	v_or_b32_e32 v118, 0x3a00, v0
	s_mov_b32 s5, exec_lo
	s_delay_alu instid0(VALU_DEP_1)
	v_cmpx_gt_u32_e64 s4, v118
	s_cbranch_execz .LBB796_269
; %bb.268:
	v_lshlrev_b32_e32 v116, 1, v118
	global_load_u16 v116, v116, s[2:3]
	s_waitcnt vmcnt(0)
	v_and_b32_e32 v116, 0x7fff, v116
	s_delay_alu instid0(VALU_DEP_1)
	v_cmp_ne_u16_e32 vcc_lo, 0, v116
	v_cndmask_b32_e64 v116, 0, 1, vcc_lo
.LBB796_269:
	s_or_b32 exec_lo, exec_lo, s5
	v_or_b32_e32 v120, 0x3a80, v0
	v_dual_mov_b32 v118, 0 :: v_dual_mov_b32 v119, 0
	s_mov_b32 s5, exec_lo
	s_delay_alu instid0(VALU_DEP_2)
	v_cmpx_gt_u32_e64 s4, v120
	s_cbranch_execz .LBB796_271
; %bb.270:
	v_lshlrev_b32_e32 v119, 1, v120
	global_load_u16 v119, v119, s[2:3]
	s_waitcnt vmcnt(0)
	v_and_b32_e32 v119, 0x7fff, v119
	s_delay_alu instid0(VALU_DEP_1)
	v_cmp_ne_u16_e32 vcc_lo, 0, v119
	v_cndmask_b32_e64 v119, 0, 1, vcc_lo
.LBB796_271:
	s_or_b32 exec_lo, exec_lo, s5
	v_or_b32_e32 v120, 0x3b00, v0
	s_mov_b32 s5, exec_lo
	s_delay_alu instid0(VALU_DEP_1)
	v_cmpx_gt_u32_e64 s4, v120
	s_cbranch_execz .LBB796_273
; %bb.272:
	v_lshlrev_b32_e32 v118, 1, v120
	global_load_u16 v118, v118, s[2:3]
	s_waitcnt vmcnt(0)
	v_and_b32_e32 v118, 0x7fff, v118
	s_delay_alu instid0(VALU_DEP_1)
	v_cmp_ne_u16_e32 vcc_lo, 0, v118
	v_cndmask_b32_e64 v118, 0, 1, vcc_lo
.LBB796_273:
	s_or_b32 exec_lo, exec_lo, s5
	v_or_b32_e32 v122, 0x3b80, v0
	v_dual_mov_b32 v120, 0 :: v_dual_mov_b32 v121, 0
	s_mov_b32 s5, exec_lo
	s_delay_alu instid0(VALU_DEP_2)
	v_cmpx_gt_u32_e64 s4, v122
	s_cbranch_execz .LBB796_275
; %bb.274:
	v_lshlrev_b32_e32 v121, 1, v122
	global_load_u16 v121, v121, s[2:3]
	s_waitcnt vmcnt(0)
	v_and_b32_e32 v121, 0x7fff, v121
	s_delay_alu instid0(VALU_DEP_1)
	v_cmp_ne_u16_e32 vcc_lo, 0, v121
	v_cndmask_b32_e64 v121, 0, 1, vcc_lo
.LBB796_275:
	s_or_b32 exec_lo, exec_lo, s5
	v_or_b32_e32 v122, 0x3c00, v0
	s_mov_b32 s5, exec_lo
	s_delay_alu instid0(VALU_DEP_1)
	v_cmpx_gt_u32_e64 s4, v122
	s_cbranch_execz .LBB796_277
; %bb.276:
	v_lshlrev_b32_e32 v120, 1, v122
	global_load_u16 v120, v120, s[2:3]
	s_waitcnt vmcnt(0)
	v_and_b32_e32 v120, 0x7fff, v120
	s_delay_alu instid0(VALU_DEP_1)
	v_cmp_ne_u16_e32 vcc_lo, 0, v120
	v_cndmask_b32_e64 v120, 0, 1, vcc_lo
.LBB796_277:
	s_or_b32 exec_lo, exec_lo, s5
	v_or_b32_e32 v124, 0x3c80, v0
	v_dual_mov_b32 v122, 0 :: v_dual_mov_b32 v123, 0
	s_mov_b32 s5, exec_lo
	s_delay_alu instid0(VALU_DEP_2)
	v_cmpx_gt_u32_e64 s4, v124
	s_cbranch_execz .LBB796_279
; %bb.278:
	v_lshlrev_b32_e32 v123, 1, v124
	global_load_u16 v123, v123, s[2:3]
	s_waitcnt vmcnt(0)
	v_and_b32_e32 v123, 0x7fff, v123
	s_delay_alu instid0(VALU_DEP_1)
	v_cmp_ne_u16_e32 vcc_lo, 0, v123
	v_cndmask_b32_e64 v123, 0, 1, vcc_lo
.LBB796_279:
	s_or_b32 exec_lo, exec_lo, s5
	v_or_b32_e32 v124, 0x3d00, v0
	s_mov_b32 s5, exec_lo
	s_delay_alu instid0(VALU_DEP_1)
	v_cmpx_gt_u32_e64 s4, v124
	s_cbranch_execz .LBB796_281
; %bb.280:
	v_lshlrev_b32_e32 v122, 1, v124
	global_load_u16 v122, v122, s[2:3]
	s_waitcnt vmcnt(0)
	v_and_b32_e32 v122, 0x7fff, v122
	s_delay_alu instid0(VALU_DEP_1)
	v_cmp_ne_u16_e32 vcc_lo, 0, v122
	v_cndmask_b32_e64 v122, 0, 1, vcc_lo
.LBB796_281:
	s_or_b32 exec_lo, exec_lo, s5
	v_or_b32_e32 v126, 0x3d80, v0
	v_dual_mov_b32 v124, 0 :: v_dual_mov_b32 v125, 0
	s_mov_b32 s5, exec_lo
	s_delay_alu instid0(VALU_DEP_2)
	v_cmpx_gt_u32_e64 s4, v126
	s_cbranch_execz .LBB796_283
; %bb.282:
	v_lshlrev_b32_e32 v125, 1, v126
	global_load_u16 v125, v125, s[2:3]
	s_waitcnt vmcnt(0)
	v_and_b32_e32 v125, 0x7fff, v125
	s_delay_alu instid0(VALU_DEP_1)
	v_cmp_ne_u16_e32 vcc_lo, 0, v125
	v_cndmask_b32_e64 v125, 0, 1, vcc_lo
.LBB796_283:
	s_or_b32 exec_lo, exec_lo, s5
	v_or_b32_e32 v126, 0x3e00, v0
	s_mov_b32 s5, exec_lo
	s_delay_alu instid0(VALU_DEP_1)
	v_cmpx_gt_u32_e64 s4, v126
	s_cbranch_execz .LBB796_285
; %bb.284:
	v_lshlrev_b32_e32 v124, 1, v126
	global_load_u16 v124, v124, s[2:3]
	s_waitcnt vmcnt(0)
	v_and_b32_e32 v124, 0x7fff, v124
	s_delay_alu instid0(VALU_DEP_1)
	v_cmp_ne_u16_e32 vcc_lo, 0, v124
	v_cndmask_b32_e64 v124, 0, 1, vcc_lo
.LBB796_285:
	s_or_b32 exec_lo, exec_lo, s5
	v_or_b32_e32 v128, 0x3e80, v0
	v_dual_mov_b32 v126, 0 :: v_dual_mov_b32 v127, 0
	s_mov_b32 s5, exec_lo
	s_delay_alu instid0(VALU_DEP_2)
	v_cmpx_gt_u32_e64 s4, v128
	s_cbranch_execz .LBB796_287
; %bb.286:
	v_lshlrev_b32_e32 v127, 1, v128
	global_load_u16 v127, v127, s[2:3]
	s_waitcnt vmcnt(0)
	v_and_b32_e32 v127, 0x7fff, v127
	s_delay_alu instid0(VALU_DEP_1)
	v_cmp_ne_u16_e32 vcc_lo, 0, v127
	v_cndmask_b32_e64 v127, 0, 1, vcc_lo
.LBB796_287:
	s_or_b32 exec_lo, exec_lo, s5
	v_or_b32_e32 v128, 0x3f00, v0
	s_mov_b32 s5, exec_lo
	s_delay_alu instid0(VALU_DEP_1)
	v_cmpx_gt_u32_e64 s4, v128
	s_cbranch_execz .LBB796_289
; %bb.288:
	v_lshlrev_b32_e32 v126, 1, v128
	global_load_u16 v126, v126, s[2:3]
	s_waitcnt vmcnt(0)
	v_and_b32_e32 v126, 0x7fff, v126
	s_delay_alu instid0(VALU_DEP_1)
	v_cmp_ne_u16_e32 vcc_lo, 0, v126
	v_cndmask_b32_e64 v126, 0, 1, vcc_lo
.LBB796_289:
	s_or_b32 exec_lo, exec_lo, s5
	v_or_b32_e32 v129, 0x3f80, v0
	v_mov_b32_e32 v128, 0
	s_mov_b32 s5, exec_lo
	s_delay_alu instid0(VALU_DEP_2)
	v_cmpx_gt_u32_e64 s4, v129
	s_cbranch_execz .LBB796_291
; %bb.290:
	v_lshlrev_b32_e32 v128, 1, v129
	global_load_u16 v128, v128, s[2:3]
	s_waitcnt vmcnt(0)
	v_and_b32_e32 v128, 0x7fff, v128
	s_delay_alu instid0(VALU_DEP_1) | instskip(NEXT) | instid1(VALU_DEP_1)
	v_cmp_ne_u16_e64 vcc_lo, 0, v128
	v_cndmask_b32_e64 v128, 0, 1, vcc_lo
.LBB796_291:
	s_or_b32 exec_lo, exec_lo, s5
	v_add_nc_u32_e32 v1, v3, v1
	s_min_u32 s2, s4, 0x80
	s_mov_b32 s3, exec_lo
	s_delay_alu instid0(VALU_DEP_1) | instskip(SKIP_1) | instid1(VALU_DEP_2)
	v_add3_u32 v1, v1, v2, v5
	v_mbcnt_lo_u32_b32 v2, -1, 0
	v_add3_u32 v1, v1, v4, v7
	s_delay_alu instid0(VALU_DEP_2) | instskip(NEXT) | instid1(VALU_DEP_2)
	v_cmp_ne_u32_e32 vcc_lo, 31, v2
	v_add3_u32 v1, v1, v6, v9
	v_add_co_ci_u32_e32 v3, vcc_lo, 0, v2, vcc_lo
	v_cmp_gt_u32_e32 vcc_lo, 30, v2
	v_add_nc_u32_e32 v6, 1, v2
	s_delay_alu instid0(VALU_DEP_4) | instskip(NEXT) | instid1(VALU_DEP_4)
	v_add3_u32 v1, v1, v8, v11
	v_lshlrev_b32_e32 v3, 2, v3
	v_cndmask_b32_e64 v5, 0, 1, vcc_lo
	s_delay_alu instid0(VALU_DEP_3) | instskip(NEXT) | instid1(VALU_DEP_2)
	v_add3_u32 v1, v1, v10, v13
	v_lshlrev_b32_e32 v5, 1, v5
	s_delay_alu instid0(VALU_DEP_2) | instskip(NEXT) | instid1(VALU_DEP_2)
	v_add3_u32 v1, v1, v12, v15
	v_add_lshl_u32 v5, v5, v2, 2
	s_delay_alu instid0(VALU_DEP_2) | instskip(NEXT) | instid1(VALU_DEP_1)
	v_add3_u32 v1, v1, v14, v17
	v_add3_u32 v1, v1, v16, v19
	s_delay_alu instid0(VALU_DEP_1) | instskip(NEXT) | instid1(VALU_DEP_1)
	v_add3_u32 v1, v1, v18, v21
	v_add3_u32 v1, v1, v20, v23
	s_delay_alu instid0(VALU_DEP_1) | instskip(NEXT) | instid1(VALU_DEP_1)
	;; [unrolled: 3-line block ×27, first 2 shown]
	v_add3_u32 v1, v1, v122, v125
	v_add3_u32 v1, v1, v124, v127
	s_delay_alu instid0(VALU_DEP_1) | instskip(SKIP_2) | instid1(VALU_DEP_1)
	v_add3_u32 v1, v1, v126, v128
	ds_bpermute_b32 v3, v3, v1
	v_and_b32_e32 v4, 0x60, v0
	v_sub_nc_u32_e64 v4, s2, v4 clamp
	s_delay_alu instid0(VALU_DEP_1) | instskip(SKIP_3) | instid1(VALU_DEP_2)
	v_cmp_lt_u32_e32 vcc_lo, v6, v4
	s_waitcnt lgkmcnt(0)
	v_dual_cndmask_b32 v3, 0, v3 :: v_dual_add_nc_u32 v6, 2, v2
	v_cmp_gt_u32_e32 vcc_lo, 28, v2
	v_add_nc_u32_e32 v1, v3, v1
	ds_bpermute_b32 v3, v5, v1
	v_cndmask_b32_e64 v5, 0, 1, vcc_lo
	v_cmp_lt_u32_e32 vcc_lo, v6, v4
	v_add_nc_u32_e32 v6, 4, v2
	s_delay_alu instid0(VALU_DEP_3) | instskip(NEXT) | instid1(VALU_DEP_1)
	v_lshlrev_b32_e32 v5, 2, v5
	v_add_lshl_u32 v5, v5, v2, 2
	s_waitcnt lgkmcnt(0)
	v_cndmask_b32_e32 v3, 0, v3, vcc_lo
	v_cmp_gt_u32_e32 vcc_lo, 24, v2
	s_delay_alu instid0(VALU_DEP_2) | instskip(SKIP_4) | instid1(VALU_DEP_3)
	v_add_nc_u32_e32 v1, v1, v3
	ds_bpermute_b32 v3, v5, v1
	v_cndmask_b32_e64 v5, 0, 1, vcc_lo
	v_cmp_lt_u32_e32 vcc_lo, v6, v4
	v_add_nc_u32_e32 v6, 8, v2
	v_lshlrev_b32_e32 v5, 3, v5
	s_delay_alu instid0(VALU_DEP_1) | instskip(SKIP_3) | instid1(VALU_DEP_2)
	v_add_lshl_u32 v5, v5, v2, 2
	s_waitcnt lgkmcnt(0)
	v_cndmask_b32_e32 v3, 0, v3, vcc_lo
	v_cmp_gt_u32_e32 vcc_lo, 16, v2
	v_add_nc_u32_e32 v1, v1, v3
	ds_bpermute_b32 v3, v5, v1
	v_cndmask_b32_e64 v5, 0, 1, vcc_lo
	v_cmp_lt_u32_e32 vcc_lo, v6, v4
	s_delay_alu instid0(VALU_DEP_2) | instskip(NEXT) | instid1(VALU_DEP_1)
	v_lshlrev_b32_e32 v5, 4, v5
	v_add_lshl_u32 v5, v5, v2, 2
	s_waitcnt lgkmcnt(0)
	v_cndmask_b32_e32 v3, 0, v3, vcc_lo
	s_delay_alu instid0(VALU_DEP_1) | instskip(SKIP_2) | instid1(VALU_DEP_1)
	v_add_nc_u32_e32 v1, v1, v3
	ds_bpermute_b32 v3, v5, v1
	v_add_nc_u32_e32 v5, 16, v2
	v_cmp_lt_u32_e32 vcc_lo, v5, v4
	s_waitcnt lgkmcnt(0)
	v_cndmask_b32_e32 v3, 0, v3, vcc_lo
	s_delay_alu instid0(VALU_DEP_1)
	v_add_nc_u32_e32 v1, v1, v3
	v_cmpx_eq_u32_e32 0, v2
	s_cbranch_execz .LBB796_293
; %bb.292:
	v_lshrrev_b32_e32 v3, 3, v0
	s_delay_alu instid0(VALU_DEP_1)
	v_and_b32_e32 v3, 12, v3
	ds_store_b32 v3, v1 offset:128
.LBB796_293:
	s_or_b32 exec_lo, exec_lo, s3
	s_delay_alu instid0(SALU_CYCLE_1)
	s_mov_b32 s3, exec_lo
	s_waitcnt lgkmcnt(0)
	s_barrier
	buffer_gl0_inv
	v_cmpx_gt_u32_e32 4, v0
	s_cbranch_execz .LBB796_295
; %bb.294:
	v_and_b32_e32 v3, 3, v2
	s_add_i32 s2, s2, 31
	s_delay_alu instid0(SALU_CYCLE_1) | instskip(NEXT) | instid1(VALU_DEP_1)
	s_lshr_b32 s2, s2, 5
	v_cmp_ne_u32_e32 vcc_lo, 3, v3
	v_add_nc_u32_e32 v5, 1, v3
	v_add_co_ci_u32_e32 v4, vcc_lo, 0, v2, vcc_lo
	v_cmp_gt_u32_e32 vcc_lo, 2, v3
	v_add_nc_u32_e32 v3, 2, v3
	s_delay_alu instid0(VALU_DEP_3) | instskip(SKIP_3) | instid1(VALU_DEP_3)
	v_lshlrev_b32_e32 v4, 2, v4
	v_cndmask_b32_e64 v6, 0, 1, vcc_lo
	v_cmp_gt_u32_e32 vcc_lo, s2, v5
	v_lshlrev_b32_e32 v1, 2, v2
	v_lshlrev_b32_e32 v5, 1, v6
	ds_load_b32 v1, v1 offset:128
	v_add_lshl_u32 v2, v5, v2, 2
	s_waitcnt lgkmcnt(0)
	ds_bpermute_b32 v4, v4, v1
	s_waitcnt lgkmcnt(0)
	v_cndmask_b32_e32 v4, 0, v4, vcc_lo
	v_cmp_gt_u32_e32 vcc_lo, s2, v3
	s_delay_alu instid0(VALU_DEP_2) | instskip(SKIP_3) | instid1(VALU_DEP_1)
	v_add_nc_u32_e32 v1, v4, v1
	ds_bpermute_b32 v2, v2, v1
	s_waitcnt lgkmcnt(0)
	v_cndmask_b32_e32 v2, 0, v2, vcc_lo
	v_add_nc_u32_e32 v1, v1, v2
.LBB796_295:
	s_or_b32 exec_lo, exec_lo, s3
	v_cmp_eq_u32_e64 s2, 0, v0
	s_and_b32 vcc_lo, exec_lo, s6
	s_cbranch_vccnz .LBB796_24
	s_branch .LBB796_11
.LBB796_296:
	s_mov_b32 s5, -1
                                        ; implicit-def: $vgpr1
.LBB796_297:
	s_delay_alu instid0(SALU_CYCLE_1)
	s_and_b32 vcc_lo, exec_lo, s5
	s_cbranch_vccz .LBB796_367
; %bb.298:
	s_sub_i32 s4, s20, s4
	s_mov_b32 s5, exec_lo
                                        ; implicit-def: $vgpr1
	v_cmpx_gt_u32_e64 s4, v0
	s_cbranch_execz .LBB796_300
; %bb.299:
	v_lshlrev_b32_e32 v1, 1, v0
	global_load_u16 v1, v1, s[2:3]
	s_waitcnt vmcnt(0)
	v_and_b32_e32 v1, 0x7fff, v1
	s_delay_alu instid0(VALU_DEP_1)
	v_cmp_ne_u16_e32 vcc_lo, 0, v1
	v_cndmask_b32_e64 v1, 0, 1, vcc_lo
.LBB796_300:
	s_or_b32 exec_lo, exec_lo, s5
	v_or_b32_e32 v3, 0x80, v0
	v_mov_b32_e32 v2, 0
	s_delay_alu instid0(VALU_DEP_2)
	v_cmp_gt_u32_e32 vcc_lo, s4, v3
	v_mov_b32_e32 v3, 0
	s_and_saveexec_b32 s5, vcc_lo
	s_cbranch_execz .LBB796_302
; %bb.301:
	v_lshlrev_b32_e32 v3, 1, v0
	global_load_u16 v3, v3, s[2:3] offset:256
	s_waitcnt vmcnt(0)
	v_and_b32_e32 v3, 0x7fff, v3
	s_delay_alu instid0(VALU_DEP_1)
	v_cmp_ne_u16_e32 vcc_lo, 0, v3
	v_cndmask_b32_e64 v3, 0, 1, vcc_lo
.LBB796_302:
	s_or_b32 exec_lo, exec_lo, s5
	v_or_b32_e32 v4, 0x100, v0
	s_mov_b32 s5, exec_lo
	s_delay_alu instid0(VALU_DEP_1)
	v_cmpx_gt_u32_e64 s4, v4
	s_cbranch_execz .LBB796_304
; %bb.303:
	v_lshlrev_b32_e32 v2, 1, v0
	global_load_u16 v2, v2, s[2:3] offset:512
	s_waitcnt vmcnt(0)
	v_and_b32_e32 v2, 0x7fff, v2
	s_delay_alu instid0(VALU_DEP_1)
	v_cmp_ne_u16_e32 vcc_lo, 0, v2
	v_cndmask_b32_e64 v2, 0, 1, vcc_lo
.LBB796_304:
	s_or_b32 exec_lo, exec_lo, s5
	v_or_b32_e32 v5, 0x180, v0
	v_mov_b32_e32 v4, 0
	s_delay_alu instid0(VALU_DEP_2)
	v_cmp_gt_u32_e32 vcc_lo, s4, v5
	v_mov_b32_e32 v5, 0
	s_and_saveexec_b32 s5, vcc_lo
	s_cbranch_execz .LBB796_306
; %bb.305:
	v_lshlrev_b32_e32 v5, 1, v0
	global_load_u16 v5, v5, s[2:3] offset:768
	s_waitcnt vmcnt(0)
	v_and_b32_e32 v5, 0x7fff, v5
	s_delay_alu instid0(VALU_DEP_1)
	v_cmp_ne_u16_e32 vcc_lo, 0, v5
	v_cndmask_b32_e64 v5, 0, 1, vcc_lo
.LBB796_306:
	s_or_b32 exec_lo, exec_lo, s5
	v_or_b32_e32 v6, 0x200, v0
	s_mov_b32 s5, exec_lo
	s_delay_alu instid0(VALU_DEP_1)
	v_cmpx_gt_u32_e64 s4, v6
	s_cbranch_execz .LBB796_308
; %bb.307:
	v_lshlrev_b32_e32 v4, 1, v0
	global_load_u16 v4, v4, s[2:3] offset:1024
	s_waitcnt vmcnt(0)
	v_and_b32_e32 v4, 0x7fff, v4
	s_delay_alu instid0(VALU_DEP_1)
	v_cmp_ne_u16_e32 vcc_lo, 0, v4
	v_cndmask_b32_e64 v4, 0, 1, vcc_lo
.LBB796_308:
	;; [unrolled: 32-line block ×7, first 2 shown]
	s_or_b32 exec_lo, exec_lo, s5
	v_or_b32_e32 v17, 0x780, v0
	v_mov_b32_e32 v16, 0
	s_delay_alu instid0(VALU_DEP_2)
	v_cmp_gt_u32_e32 vcc_lo, s4, v17
	v_mov_b32_e32 v17, 0
	s_and_saveexec_b32 s5, vcc_lo
	s_cbranch_execz .LBB796_330
; %bb.329:
	v_lshlrev_b32_e32 v17, 1, v0
	global_load_u16 v17, v17, s[2:3] offset:3840
	s_waitcnt vmcnt(0)
	v_and_b32_e32 v17, 0x7fff, v17
	s_delay_alu instid0(VALU_DEP_1)
	v_cmp_ne_u16_e32 vcc_lo, 0, v17
	v_cndmask_b32_e64 v17, 0, 1, vcc_lo
.LBB796_330:
	s_or_b32 exec_lo, exec_lo, s5
	v_or_b32_e32 v18, 0x800, v0
	s_mov_b32 s5, exec_lo
	s_delay_alu instid0(VALU_DEP_1)
	v_cmpx_gt_u32_e64 s4, v18
	s_cbranch_execz .LBB796_332
; %bb.331:
	v_lshlrev_b32_e32 v16, 1, v18
	global_load_u16 v16, v16, s[2:3]
	s_waitcnt vmcnt(0)
	v_and_b32_e32 v16, 0x7fff, v16
	s_delay_alu instid0(VALU_DEP_1)
	v_cmp_ne_u16_e32 vcc_lo, 0, v16
	v_cndmask_b32_e64 v16, 0, 1, vcc_lo
.LBB796_332:
	s_or_b32 exec_lo, exec_lo, s5
	v_or_b32_e32 v20, 0x880, v0
	v_dual_mov_b32 v18, 0 :: v_dual_mov_b32 v19, 0
	s_mov_b32 s5, exec_lo
	s_delay_alu instid0(VALU_DEP_2)
	v_cmpx_gt_u32_e64 s4, v20
	s_cbranch_execz .LBB796_334
; %bb.333:
	v_lshlrev_b32_e32 v19, 1, v20
	global_load_u16 v19, v19, s[2:3]
	s_waitcnt vmcnt(0)
	v_and_b32_e32 v19, 0x7fff, v19
	s_delay_alu instid0(VALU_DEP_1)
	v_cmp_ne_u16_e32 vcc_lo, 0, v19
	v_cndmask_b32_e64 v19, 0, 1, vcc_lo
.LBB796_334:
	s_or_b32 exec_lo, exec_lo, s5
	v_or_b32_e32 v20, 0x900, v0
	s_mov_b32 s5, exec_lo
	s_delay_alu instid0(VALU_DEP_1)
	v_cmpx_gt_u32_e64 s4, v20
	s_cbranch_execz .LBB796_336
; %bb.335:
	v_lshlrev_b32_e32 v18, 1, v20
	global_load_u16 v18, v18, s[2:3]
	s_waitcnt vmcnt(0)
	v_and_b32_e32 v18, 0x7fff, v18
	s_delay_alu instid0(VALU_DEP_1)
	v_cmp_ne_u16_e32 vcc_lo, 0, v18
	v_cndmask_b32_e64 v18, 0, 1, vcc_lo
.LBB796_336:
	s_or_b32 exec_lo, exec_lo, s5
	v_or_b32_e32 v22, 0x980, v0
	v_dual_mov_b32 v20, 0 :: v_dual_mov_b32 v21, 0
	s_mov_b32 s5, exec_lo
	s_delay_alu instid0(VALU_DEP_2)
	v_cmpx_gt_u32_e64 s4, v22
	s_cbranch_execz .LBB796_338
; %bb.337:
	v_lshlrev_b32_e32 v21, 1, v22
	global_load_u16 v21, v21, s[2:3]
	s_waitcnt vmcnt(0)
	v_and_b32_e32 v21, 0x7fff, v21
	s_delay_alu instid0(VALU_DEP_1)
	v_cmp_ne_u16_e32 vcc_lo, 0, v21
	v_cndmask_b32_e64 v21, 0, 1, vcc_lo
.LBB796_338:
	;; [unrolled: 31-line block ×7, first 2 shown]
	s_or_b32 exec_lo, exec_lo, s5
	v_or_b32_e32 v32, 0xf00, v0
	s_mov_b32 s5, exec_lo
	s_delay_alu instid0(VALU_DEP_1)
	v_cmpx_gt_u32_e64 s4, v32
	s_cbranch_execz .LBB796_360
; %bb.359:
	v_lshlrev_b32_e32 v30, 1, v32
	global_load_u16 v30, v30, s[2:3]
	s_waitcnt vmcnt(0)
	v_and_b32_e32 v30, 0x7fff, v30
	s_delay_alu instid0(VALU_DEP_1)
	v_cmp_ne_u16_e32 vcc_lo, 0, v30
	v_cndmask_b32_e64 v30, 0, 1, vcc_lo
.LBB796_360:
	s_or_b32 exec_lo, exec_lo, s5
	v_or_b32_e32 v33, 0xf80, v0
	v_mov_b32_e32 v32, 0
	s_mov_b32 s5, exec_lo
	s_delay_alu instid0(VALU_DEP_2)
	v_cmpx_gt_u32_e64 s4, v33
	s_cbranch_execz .LBB796_362
; %bb.361:
	v_lshlrev_b32_e32 v32, 1, v33
	global_load_u16 v32, v32, s[2:3]
	s_waitcnt vmcnt(0)
	v_and_b32_e32 v32, 0x7fff, v32
	s_delay_alu instid0(VALU_DEP_1)
	v_cmp_ne_u16_e32 vcc_lo, 0, v32
	v_cndmask_b32_e64 v32, 0, 1, vcc_lo
.LBB796_362:
	s_or_b32 exec_lo, exec_lo, s5
	v_add_nc_u32_e32 v1, v3, v1
	s_min_u32 s2, s4, 0x80
	s_mov_b32 s3, exec_lo
	s_delay_alu instid0(VALU_DEP_1) | instskip(SKIP_1) | instid1(VALU_DEP_2)
	v_add3_u32 v1, v1, v2, v5
	v_mbcnt_lo_u32_b32 v2, -1, 0
	v_add3_u32 v1, v1, v4, v7
	s_delay_alu instid0(VALU_DEP_2) | instskip(NEXT) | instid1(VALU_DEP_2)
	v_cmp_ne_u32_e32 vcc_lo, 31, v2
	v_add3_u32 v1, v1, v6, v9
	v_add_co_ci_u32_e32 v3, vcc_lo, 0, v2, vcc_lo
	v_cmp_gt_u32_e32 vcc_lo, 30, v2
	v_add_nc_u32_e32 v6, 1, v2
	s_delay_alu instid0(VALU_DEP_4) | instskip(NEXT) | instid1(VALU_DEP_4)
	v_add3_u32 v1, v1, v8, v11
	v_lshlrev_b32_e32 v3, 2, v3
	v_cndmask_b32_e64 v5, 0, 1, vcc_lo
	s_delay_alu instid0(VALU_DEP_3) | instskip(NEXT) | instid1(VALU_DEP_2)
	v_add3_u32 v1, v1, v10, v13
	v_lshlrev_b32_e32 v5, 1, v5
	s_delay_alu instid0(VALU_DEP_2) | instskip(NEXT) | instid1(VALU_DEP_2)
	v_add3_u32 v1, v1, v12, v15
	v_add_lshl_u32 v5, v5, v2, 2
	s_delay_alu instid0(VALU_DEP_2) | instskip(NEXT) | instid1(VALU_DEP_1)
	v_add3_u32 v1, v1, v14, v17
	v_add3_u32 v1, v1, v16, v19
	s_delay_alu instid0(VALU_DEP_1) | instskip(NEXT) | instid1(VALU_DEP_1)
	v_add3_u32 v1, v1, v18, v21
	v_add3_u32 v1, v1, v20, v23
	s_delay_alu instid0(VALU_DEP_1) | instskip(NEXT) | instid1(VALU_DEP_1)
	;; [unrolled: 3-line block ×3, first 2 shown]
	v_add3_u32 v1, v1, v26, v29
	v_add3_u32 v1, v1, v28, v31
	s_delay_alu instid0(VALU_DEP_1) | instskip(SKIP_2) | instid1(VALU_DEP_1)
	v_add3_u32 v1, v1, v30, v32
	ds_bpermute_b32 v3, v3, v1
	v_and_b32_e32 v4, 0x60, v0
	v_sub_nc_u32_e64 v4, s2, v4 clamp
	s_delay_alu instid0(VALU_DEP_1) | instskip(SKIP_3) | instid1(VALU_DEP_2)
	v_cmp_lt_u32_e32 vcc_lo, v6, v4
	s_waitcnt lgkmcnt(0)
	v_dual_cndmask_b32 v3, 0, v3 :: v_dual_add_nc_u32 v6, 2, v2
	v_cmp_gt_u32_e32 vcc_lo, 28, v2
	v_add_nc_u32_e32 v1, v3, v1
	ds_bpermute_b32 v3, v5, v1
	v_cndmask_b32_e64 v5, 0, 1, vcc_lo
	v_cmp_lt_u32_e32 vcc_lo, v6, v4
	v_add_nc_u32_e32 v6, 4, v2
	s_delay_alu instid0(VALU_DEP_3) | instskip(NEXT) | instid1(VALU_DEP_1)
	v_lshlrev_b32_e32 v5, 2, v5
	v_add_lshl_u32 v5, v5, v2, 2
	s_waitcnt lgkmcnt(0)
	v_cndmask_b32_e32 v3, 0, v3, vcc_lo
	v_cmp_gt_u32_e32 vcc_lo, 24, v2
	s_delay_alu instid0(VALU_DEP_2) | instskip(SKIP_4) | instid1(VALU_DEP_3)
	v_add_nc_u32_e32 v1, v1, v3
	ds_bpermute_b32 v3, v5, v1
	v_cndmask_b32_e64 v5, 0, 1, vcc_lo
	v_cmp_lt_u32_e32 vcc_lo, v6, v4
	v_add_nc_u32_e32 v6, 8, v2
	v_lshlrev_b32_e32 v5, 3, v5
	s_delay_alu instid0(VALU_DEP_1) | instskip(SKIP_3) | instid1(VALU_DEP_2)
	v_add_lshl_u32 v5, v5, v2, 2
	s_waitcnt lgkmcnt(0)
	v_cndmask_b32_e32 v3, 0, v3, vcc_lo
	v_cmp_gt_u32_e32 vcc_lo, 16, v2
	v_add_nc_u32_e32 v1, v1, v3
	ds_bpermute_b32 v3, v5, v1
	v_cndmask_b32_e64 v5, 0, 1, vcc_lo
	v_cmp_lt_u32_e32 vcc_lo, v6, v4
	s_delay_alu instid0(VALU_DEP_2) | instskip(NEXT) | instid1(VALU_DEP_1)
	v_lshlrev_b32_e32 v5, 4, v5
	v_add_lshl_u32 v5, v5, v2, 2
	s_waitcnt lgkmcnt(0)
	v_cndmask_b32_e32 v3, 0, v3, vcc_lo
	s_delay_alu instid0(VALU_DEP_1) | instskip(SKIP_2) | instid1(VALU_DEP_1)
	v_add_nc_u32_e32 v1, v1, v3
	ds_bpermute_b32 v3, v5, v1
	v_add_nc_u32_e32 v5, 16, v2
	v_cmp_lt_u32_e32 vcc_lo, v5, v4
	s_waitcnt lgkmcnt(0)
	v_cndmask_b32_e32 v3, 0, v3, vcc_lo
	s_delay_alu instid0(VALU_DEP_1)
	v_add_nc_u32_e32 v1, v1, v3
	v_cmpx_eq_u32_e32 0, v2
	s_cbranch_execz .LBB796_364
; %bb.363:
	v_lshrrev_b32_e32 v3, 3, v0
	s_delay_alu instid0(VALU_DEP_1)
	v_and_b32_e32 v3, 12, v3
	ds_store_b32 v3, v1 offset:128
.LBB796_364:
	s_or_b32 exec_lo, exec_lo, s3
	s_delay_alu instid0(SALU_CYCLE_1)
	s_mov_b32 s3, exec_lo
	s_waitcnt lgkmcnt(0)
	s_barrier
	buffer_gl0_inv
	v_cmpx_gt_u32_e32 4, v0
	s_cbranch_execz .LBB796_366
; %bb.365:
	v_and_b32_e32 v3, 3, v2
	s_add_i32 s2, s2, 31
	s_delay_alu instid0(SALU_CYCLE_1) | instskip(NEXT) | instid1(VALU_DEP_1)
	s_lshr_b32 s2, s2, 5
	v_cmp_ne_u32_e32 vcc_lo, 3, v3
	v_add_nc_u32_e32 v5, 1, v3
	v_add_co_ci_u32_e32 v4, vcc_lo, 0, v2, vcc_lo
	v_cmp_gt_u32_e32 vcc_lo, 2, v3
	v_add_nc_u32_e32 v3, 2, v3
	s_delay_alu instid0(VALU_DEP_3) | instskip(SKIP_3) | instid1(VALU_DEP_3)
	v_lshlrev_b32_e32 v4, 2, v4
	v_cndmask_b32_e64 v6, 0, 1, vcc_lo
	v_cmp_gt_u32_e32 vcc_lo, s2, v5
	v_lshlrev_b32_e32 v1, 2, v2
	v_lshlrev_b32_e32 v5, 1, v6
	ds_load_b32 v1, v1 offset:128
	v_add_lshl_u32 v2, v5, v2, 2
	s_waitcnt lgkmcnt(0)
	ds_bpermute_b32 v4, v4, v1
	s_waitcnt lgkmcnt(0)
	v_cndmask_b32_e32 v4, 0, v4, vcc_lo
	v_cmp_gt_u32_e32 vcc_lo, s2, v3
	s_delay_alu instid0(VALU_DEP_2) | instskip(SKIP_3) | instid1(VALU_DEP_1)
	v_add_nc_u32_e32 v1, v4, v1
	ds_bpermute_b32 v2, v2, v1
	s_waitcnt lgkmcnt(0)
	v_cndmask_b32_e32 v2, 0, v2, vcc_lo
	v_add_nc_u32_e32 v1, v1, v2
.LBB796_366:
	s_or_b32 exec_lo, exec_lo, s3
.LBB796_367:
	v_cmp_eq_u32_e64 s2, 0, v0
	s_branch .LBB796_512
.LBB796_368:
	s_cmp_eq_u32 s26, 16
	s_cbranch_scc0 .LBB796_375
; %bb.369:
	s_mov_b32 s19, 0
	s_lshl_b32 s2, s18, 11
	s_mov_b32 s3, s19
	s_lshr_b64 s[6:7], s[20:21], 11
	s_lshl_b64 s[4:5], s[2:3], 1
	s_delay_alu instid0(SALU_CYCLE_1)
	s_add_u32 s16, s24, s4
	s_addc_u32 s17, s25, s5
	s_cmp_lg_u64 s[6:7], s[18:19]
	s_cbranch_scc0 .LBB796_533
; %bb.370:
	v_lshlrev_b32_e32 v1, 1, v0
	s_mov_b32 s3, exec_lo
	s_clause 0xf
	global_load_u16 v2, v1, s[16:17]
	global_load_u16 v3, v1, s[16:17] offset:256
	global_load_u16 v4, v1, s[16:17] offset:512
	;; [unrolled: 1-line block ×15, first 2 shown]
	s_waitcnt vmcnt(15)
	v_and_b32_e32 v2, 0x7fff, v2
	s_waitcnt vmcnt(14)
	v_and_b32_e32 v3, 0x7fff, v3
	;; [unrolled: 2-line block ×5, first 2 shown]
	v_cmp_ne_u16_e32 vcc_lo, 0, v2
	s_waitcnt vmcnt(9)
	v_and_b32_e32 v8, 0x7fff, v8
	v_and_b32_e32 v7, 0x7fff, v7
	s_waitcnt vmcnt(7)
	v_and_b32_e32 v10, 0x7fff, v10
	v_and_b32_e32 v9, 0x7fff, v9
	v_cndmask_b32_e64 v2, 0, 1, vcc_lo
	v_cmp_ne_u16_e32 vcc_lo, 0, v4
	s_waitcnt vmcnt(5)
	v_and_b32_e32 v12, 0x7fff, v12
	v_and_b32_e32 v11, 0x7fff, v11
	s_waitcnt vmcnt(3)
	v_and_b32_e32 v14, 0x7fff, v14
	v_and_b32_e32 v13, 0x7fff, v13
	v_cndmask_b32_e64 v4, 0, 1, vcc_lo
	v_cmp_ne_u16_e32 vcc_lo, 0, v3
	s_waitcnt vmcnt(1)
	v_and_b32_e32 v16, 0x7fff, v16
	v_and_b32_e32 v15, 0x7fff, v15
	s_waitcnt vmcnt(0)
	v_and_b32_e32 v1, 0x7fff, v1
	v_add_co_ci_u32_e32 v2, vcc_lo, 0, v2, vcc_lo
	v_cmp_ne_u16_e32 vcc_lo, 0, v6
	v_cndmask_b32_e64 v3, 0, 1, vcc_lo
	v_cmp_ne_u16_e32 vcc_lo, 0, v5
	s_delay_alu instid0(VALU_DEP_4) | instskip(SKIP_3) | instid1(VALU_DEP_4)
	v_add_co_ci_u32_e32 v2, vcc_lo, v2, v4, vcc_lo
	v_cmp_ne_u16_e32 vcc_lo, 0, v8
	v_cndmask_b32_e64 v4, 0, 1, vcc_lo
	v_cmp_ne_u16_e32 vcc_lo, 0, v7
	v_add_co_ci_u32_e32 v2, vcc_lo, v2, v3, vcc_lo
	v_cmp_ne_u16_e32 vcc_lo, 0, v10
	v_cndmask_b32_e64 v3, 0, 1, vcc_lo
	v_cmp_ne_u16_e32 vcc_lo, 0, v9
	s_delay_alu instid0(VALU_DEP_4) | instskip(SKIP_3) | instid1(VALU_DEP_4)
	v_add_co_ci_u32_e32 v2, vcc_lo, v2, v4, vcc_lo
	v_cmp_ne_u16_e32 vcc_lo, 0, v12
	v_cndmask_b32_e64 v4, 0, 1, vcc_lo
	v_cmp_ne_u16_e32 vcc_lo, 0, v11
	;; [unrolled: 9-line block ×3, first 2 shown]
	v_add_co_ci_u32_e32 v2, vcc_lo, v2, v3, vcc_lo
	v_cmp_ne_u16_e32 vcc_lo, 0, v1
	s_delay_alu instid0(VALU_DEP_2) | instskip(NEXT) | instid1(VALU_DEP_1)
	v_add_co_ci_u32_e32 v1, vcc_lo, v2, v4, vcc_lo
	v_mov_b32_dpp v2, v1 quad_perm:[1,0,3,2] row_mask:0xf bank_mask:0xf
	s_delay_alu instid0(VALU_DEP_1) | instskip(NEXT) | instid1(VALU_DEP_1)
	v_add_nc_u32_e32 v1, v1, v2
	v_mov_b32_dpp v2, v1 quad_perm:[2,3,0,1] row_mask:0xf bank_mask:0xf
	s_delay_alu instid0(VALU_DEP_1) | instskip(NEXT) | instid1(VALU_DEP_1)
	v_add_nc_u32_e32 v1, v1, v2
	v_mov_b32_dpp v2, v1 row_ror:4 row_mask:0xf bank_mask:0xf
	s_delay_alu instid0(VALU_DEP_1) | instskip(NEXT) | instid1(VALU_DEP_1)
	v_add_nc_u32_e32 v1, v1, v2
	v_mov_b32_dpp v2, v1 row_ror:8 row_mask:0xf bank_mask:0xf
	s_delay_alu instid0(VALU_DEP_1)
	v_add_nc_u32_e32 v1, v1, v2
	ds_swizzle_b32 v2, v1 offset:swizzle(BROADCAST,32,15)
	s_waitcnt lgkmcnt(0)
	v_dual_mov_b32 v2, 0 :: v_dual_add_nc_u32 v1, v1, v2
	ds_bpermute_b32 v1, v2, v1 offset:124
	v_mbcnt_lo_u32_b32 v2, -1, 0
	s_delay_alu instid0(VALU_DEP_1)
	v_cmpx_eq_u32_e32 0, v2
	s_cbranch_execz .LBB796_372
; %bb.371:
	v_lshrrev_b32_e32 v3, 3, v0
	s_delay_alu instid0(VALU_DEP_1)
	v_and_b32_e32 v3, 12, v3
	s_waitcnt lgkmcnt(0)
	ds_store_b32 v3, v1 offset:16
.LBB796_372:
	s_or_b32 exec_lo, exec_lo, s3
	s_delay_alu instid0(SALU_CYCLE_1)
	s_mov_b32 s3, exec_lo
	s_waitcnt lgkmcnt(0)
	s_barrier
	buffer_gl0_inv
	v_cmpx_gt_u32_e32 32, v0
	s_cbranch_execz .LBB796_374
; %bb.373:
	v_and_b32_e32 v1, 3, v2
	s_delay_alu instid0(VALU_DEP_1) | instskip(SKIP_4) | instid1(VALU_DEP_2)
	v_lshlrev_b32_e32 v3, 2, v1
	v_cmp_ne_u32_e32 vcc_lo, 3, v1
	ds_load_b32 v3, v3 offset:16
	v_add_co_ci_u32_e32 v4, vcc_lo, 0, v2, vcc_lo
	v_cmp_gt_u32_e32 vcc_lo, 2, v1
	v_lshlrev_b32_e32 v4, 2, v4
	v_cndmask_b32_e64 v1, 0, 1, vcc_lo
	s_delay_alu instid0(VALU_DEP_1) | instskip(NEXT) | instid1(VALU_DEP_1)
	v_lshlrev_b32_e32 v1, 1, v1
	v_add_lshl_u32 v1, v1, v2, 2
	s_waitcnt lgkmcnt(0)
	ds_bpermute_b32 v4, v4, v3
	s_waitcnt lgkmcnt(0)
	v_add_nc_u32_e32 v3, v4, v3
	ds_bpermute_b32 v1, v1, v3
	s_waitcnt lgkmcnt(0)
	v_add_nc_u32_e32 v1, v1, v3
.LBB796_374:
	s_or_b32 exec_lo, exec_lo, s3
	s_mov_b32 s3, 0
	s_branch .LBB796_534
.LBB796_375:
                                        ; implicit-def: $vgpr1
	s_branch .LBB796_623
.LBB796_376:
	s_mov_b32 s5, -1
                                        ; implicit-def: $vgpr1
.LBB796_377:
	s_delay_alu instid0(SALU_CYCLE_1)
	s_and_b32 vcc_lo, exec_lo, s5
	s_cbranch_vccz .LBB796_511
; %bb.378:
	s_sub_i32 s4, s20, s4
	s_mov_b32 s5, exec_lo
                                        ; implicit-def: $vgpr1
	v_cmpx_gt_u32_e64 s4, v0
	s_cbranch_execz .LBB796_380
; %bb.379:
	v_lshlrev_b32_e32 v1, 1, v0
	global_load_u16 v1, v1, s[2:3]
	s_waitcnt vmcnt(0)
	v_and_b32_e32 v1, 0x7fff, v1
	s_delay_alu instid0(VALU_DEP_1)
	v_cmp_ne_u16_e32 vcc_lo, 0, v1
	v_cndmask_b32_e64 v1, 0, 1, vcc_lo
.LBB796_380:
	s_or_b32 exec_lo, exec_lo, s5
	v_or_b32_e32 v3, 0x80, v0
	v_mov_b32_e32 v2, 0
	s_delay_alu instid0(VALU_DEP_2)
	v_cmp_gt_u32_e32 vcc_lo, s4, v3
	v_mov_b32_e32 v3, 0
	s_and_saveexec_b32 s5, vcc_lo
	s_cbranch_execz .LBB796_382
; %bb.381:
	v_lshlrev_b32_e32 v3, 1, v0
	global_load_u16 v3, v3, s[2:3] offset:256
	s_waitcnt vmcnt(0)
	v_and_b32_e32 v3, 0x7fff, v3
	s_delay_alu instid0(VALU_DEP_1)
	v_cmp_ne_u16_e32 vcc_lo, 0, v3
	v_cndmask_b32_e64 v3, 0, 1, vcc_lo
.LBB796_382:
	s_or_b32 exec_lo, exec_lo, s5
	v_or_b32_e32 v4, 0x100, v0
	s_mov_b32 s5, exec_lo
	s_delay_alu instid0(VALU_DEP_1)
	v_cmpx_gt_u32_e64 s4, v4
	s_cbranch_execz .LBB796_384
; %bb.383:
	v_lshlrev_b32_e32 v2, 1, v0
	global_load_u16 v2, v2, s[2:3] offset:512
	s_waitcnt vmcnt(0)
	v_and_b32_e32 v2, 0x7fff, v2
	s_delay_alu instid0(VALU_DEP_1)
	v_cmp_ne_u16_e32 vcc_lo, 0, v2
	v_cndmask_b32_e64 v2, 0, 1, vcc_lo
.LBB796_384:
	s_or_b32 exec_lo, exec_lo, s5
	v_or_b32_e32 v5, 0x180, v0
	v_mov_b32_e32 v4, 0
	s_delay_alu instid0(VALU_DEP_2)
	v_cmp_gt_u32_e32 vcc_lo, s4, v5
	v_mov_b32_e32 v5, 0
	s_and_saveexec_b32 s5, vcc_lo
	s_cbranch_execz .LBB796_386
; %bb.385:
	v_lshlrev_b32_e32 v5, 1, v0
	global_load_u16 v5, v5, s[2:3] offset:768
	s_waitcnt vmcnt(0)
	v_and_b32_e32 v5, 0x7fff, v5
	s_delay_alu instid0(VALU_DEP_1)
	v_cmp_ne_u16_e32 vcc_lo, 0, v5
	v_cndmask_b32_e64 v5, 0, 1, vcc_lo
.LBB796_386:
	s_or_b32 exec_lo, exec_lo, s5
	v_or_b32_e32 v6, 0x200, v0
	s_mov_b32 s5, exec_lo
	s_delay_alu instid0(VALU_DEP_1)
	v_cmpx_gt_u32_e64 s4, v6
	s_cbranch_execz .LBB796_388
; %bb.387:
	v_lshlrev_b32_e32 v4, 1, v0
	global_load_u16 v4, v4, s[2:3] offset:1024
	s_waitcnt vmcnt(0)
	v_and_b32_e32 v4, 0x7fff, v4
	s_delay_alu instid0(VALU_DEP_1)
	v_cmp_ne_u16_e32 vcc_lo, 0, v4
	v_cndmask_b32_e64 v4, 0, 1, vcc_lo
.LBB796_388:
	s_or_b32 exec_lo, exec_lo, s5
	v_or_b32_e32 v7, 0x280, v0
	v_mov_b32_e32 v6, 0
	s_delay_alu instid0(VALU_DEP_2)
	v_cmp_gt_u32_e32 vcc_lo, s4, v7
	v_mov_b32_e32 v7, 0
	s_and_saveexec_b32 s5, vcc_lo
	s_cbranch_execz .LBB796_390
; %bb.389:
	v_lshlrev_b32_e32 v7, 1, v0
	global_load_u16 v7, v7, s[2:3] offset:1280
	s_waitcnt vmcnt(0)
	v_and_b32_e32 v7, 0x7fff, v7
	s_delay_alu instid0(VALU_DEP_1)
	v_cmp_ne_u16_e32 vcc_lo, 0, v7
	v_cndmask_b32_e64 v7, 0, 1, vcc_lo
.LBB796_390:
	s_or_b32 exec_lo, exec_lo, s5
	v_or_b32_e32 v8, 0x300, v0
	s_mov_b32 s5, exec_lo
	s_delay_alu instid0(VALU_DEP_1)
	v_cmpx_gt_u32_e64 s4, v8
	s_cbranch_execz .LBB796_392
; %bb.391:
	v_lshlrev_b32_e32 v6, 1, v0
	global_load_u16 v6, v6, s[2:3] offset:1536
	s_waitcnt vmcnt(0)
	v_and_b32_e32 v6, 0x7fff, v6
	s_delay_alu instid0(VALU_DEP_1)
	v_cmp_ne_u16_e32 vcc_lo, 0, v6
	v_cndmask_b32_e64 v6, 0, 1, vcc_lo
.LBB796_392:
	s_or_b32 exec_lo, exec_lo, s5
	v_or_b32_e32 v9, 0x380, v0
	v_mov_b32_e32 v8, 0
	s_delay_alu instid0(VALU_DEP_2)
	v_cmp_gt_u32_e32 vcc_lo, s4, v9
	v_mov_b32_e32 v9, 0
	s_and_saveexec_b32 s5, vcc_lo
	s_cbranch_execz .LBB796_394
; %bb.393:
	v_lshlrev_b32_e32 v9, 1, v0
	global_load_u16 v9, v9, s[2:3] offset:1792
	s_waitcnt vmcnt(0)
	v_and_b32_e32 v9, 0x7fff, v9
	s_delay_alu instid0(VALU_DEP_1)
	v_cmp_ne_u16_e32 vcc_lo, 0, v9
	v_cndmask_b32_e64 v9, 0, 1, vcc_lo
.LBB796_394:
	s_or_b32 exec_lo, exec_lo, s5
	v_or_b32_e32 v10, 0x400, v0
	s_mov_b32 s5, exec_lo
	s_delay_alu instid0(VALU_DEP_1)
	v_cmpx_gt_u32_e64 s4, v10
	s_cbranch_execz .LBB796_396
; %bb.395:
	v_lshlrev_b32_e32 v8, 1, v0
	global_load_u16 v8, v8, s[2:3] offset:2048
	s_waitcnt vmcnt(0)
	v_and_b32_e32 v8, 0x7fff, v8
	s_delay_alu instid0(VALU_DEP_1)
	v_cmp_ne_u16_e32 vcc_lo, 0, v8
	v_cndmask_b32_e64 v8, 0, 1, vcc_lo
.LBB796_396:
	s_or_b32 exec_lo, exec_lo, s5
	v_or_b32_e32 v11, 0x480, v0
	v_mov_b32_e32 v10, 0
	s_delay_alu instid0(VALU_DEP_2)
	v_cmp_gt_u32_e32 vcc_lo, s4, v11
	v_mov_b32_e32 v11, 0
	s_and_saveexec_b32 s5, vcc_lo
	s_cbranch_execz .LBB796_398
; %bb.397:
	v_lshlrev_b32_e32 v11, 1, v0
	global_load_u16 v11, v11, s[2:3] offset:2304
	s_waitcnt vmcnt(0)
	v_and_b32_e32 v11, 0x7fff, v11
	s_delay_alu instid0(VALU_DEP_1)
	v_cmp_ne_u16_e32 vcc_lo, 0, v11
	v_cndmask_b32_e64 v11, 0, 1, vcc_lo
.LBB796_398:
	s_or_b32 exec_lo, exec_lo, s5
	v_or_b32_e32 v12, 0x500, v0
	s_mov_b32 s5, exec_lo
	s_delay_alu instid0(VALU_DEP_1)
	v_cmpx_gt_u32_e64 s4, v12
	s_cbranch_execz .LBB796_400
; %bb.399:
	v_lshlrev_b32_e32 v10, 1, v0
	global_load_u16 v10, v10, s[2:3] offset:2560
	s_waitcnt vmcnt(0)
	v_and_b32_e32 v10, 0x7fff, v10
	s_delay_alu instid0(VALU_DEP_1)
	v_cmp_ne_u16_e32 vcc_lo, 0, v10
	v_cndmask_b32_e64 v10, 0, 1, vcc_lo
.LBB796_400:
	s_or_b32 exec_lo, exec_lo, s5
	v_or_b32_e32 v13, 0x580, v0
	v_mov_b32_e32 v12, 0
	s_delay_alu instid0(VALU_DEP_2)
	v_cmp_gt_u32_e32 vcc_lo, s4, v13
	v_mov_b32_e32 v13, 0
	s_and_saveexec_b32 s5, vcc_lo
	s_cbranch_execz .LBB796_402
; %bb.401:
	v_lshlrev_b32_e32 v13, 1, v0
	global_load_u16 v13, v13, s[2:3] offset:2816
	s_waitcnt vmcnt(0)
	v_and_b32_e32 v13, 0x7fff, v13
	s_delay_alu instid0(VALU_DEP_1)
	v_cmp_ne_u16_e32 vcc_lo, 0, v13
	v_cndmask_b32_e64 v13, 0, 1, vcc_lo
.LBB796_402:
	s_or_b32 exec_lo, exec_lo, s5
	v_or_b32_e32 v14, 0x600, v0
	s_mov_b32 s5, exec_lo
	s_delay_alu instid0(VALU_DEP_1)
	v_cmpx_gt_u32_e64 s4, v14
	s_cbranch_execz .LBB796_404
; %bb.403:
	v_lshlrev_b32_e32 v12, 1, v0
	global_load_u16 v12, v12, s[2:3] offset:3072
	s_waitcnt vmcnt(0)
	v_and_b32_e32 v12, 0x7fff, v12
	s_delay_alu instid0(VALU_DEP_1)
	v_cmp_ne_u16_e32 vcc_lo, 0, v12
	v_cndmask_b32_e64 v12, 0, 1, vcc_lo
.LBB796_404:
	s_or_b32 exec_lo, exec_lo, s5
	v_or_b32_e32 v15, 0x680, v0
	v_mov_b32_e32 v14, 0
	s_delay_alu instid0(VALU_DEP_2)
	v_cmp_gt_u32_e32 vcc_lo, s4, v15
	v_mov_b32_e32 v15, 0
	s_and_saveexec_b32 s5, vcc_lo
	s_cbranch_execz .LBB796_406
; %bb.405:
	v_lshlrev_b32_e32 v15, 1, v0
	global_load_u16 v15, v15, s[2:3] offset:3328
	s_waitcnt vmcnt(0)
	v_and_b32_e32 v15, 0x7fff, v15
	s_delay_alu instid0(VALU_DEP_1)
	v_cmp_ne_u16_e32 vcc_lo, 0, v15
	v_cndmask_b32_e64 v15, 0, 1, vcc_lo
.LBB796_406:
	s_or_b32 exec_lo, exec_lo, s5
	v_or_b32_e32 v16, 0x700, v0
	s_mov_b32 s5, exec_lo
	s_delay_alu instid0(VALU_DEP_1)
	v_cmpx_gt_u32_e64 s4, v16
	s_cbranch_execz .LBB796_408
; %bb.407:
	v_lshlrev_b32_e32 v14, 1, v0
	global_load_u16 v14, v14, s[2:3] offset:3584
	s_waitcnt vmcnt(0)
	v_and_b32_e32 v14, 0x7fff, v14
	s_delay_alu instid0(VALU_DEP_1)
	v_cmp_ne_u16_e32 vcc_lo, 0, v14
	v_cndmask_b32_e64 v14, 0, 1, vcc_lo
.LBB796_408:
	s_or_b32 exec_lo, exec_lo, s5
	v_or_b32_e32 v17, 0x780, v0
	v_mov_b32_e32 v16, 0
	s_delay_alu instid0(VALU_DEP_2)
	v_cmp_gt_u32_e32 vcc_lo, s4, v17
	v_mov_b32_e32 v17, 0
	s_and_saveexec_b32 s5, vcc_lo
	s_cbranch_execz .LBB796_410
; %bb.409:
	v_lshlrev_b32_e32 v17, 1, v0
	global_load_u16 v17, v17, s[2:3] offset:3840
	s_waitcnt vmcnt(0)
	v_and_b32_e32 v17, 0x7fff, v17
	s_delay_alu instid0(VALU_DEP_1)
	v_cmp_ne_u16_e32 vcc_lo, 0, v17
	v_cndmask_b32_e64 v17, 0, 1, vcc_lo
.LBB796_410:
	s_or_b32 exec_lo, exec_lo, s5
	v_or_b32_e32 v18, 0x800, v0
	s_mov_b32 s5, exec_lo
	s_delay_alu instid0(VALU_DEP_1)
	v_cmpx_gt_u32_e64 s4, v18
	s_cbranch_execz .LBB796_412
; %bb.411:
	v_lshlrev_b32_e32 v16, 1, v18
	global_load_u16 v16, v16, s[2:3]
	s_waitcnt vmcnt(0)
	v_and_b32_e32 v16, 0x7fff, v16
	s_delay_alu instid0(VALU_DEP_1)
	v_cmp_ne_u16_e32 vcc_lo, 0, v16
	v_cndmask_b32_e64 v16, 0, 1, vcc_lo
.LBB796_412:
	s_or_b32 exec_lo, exec_lo, s5
	v_or_b32_e32 v20, 0x880, v0
	v_dual_mov_b32 v18, 0 :: v_dual_mov_b32 v19, 0
	s_mov_b32 s5, exec_lo
	s_delay_alu instid0(VALU_DEP_2)
	v_cmpx_gt_u32_e64 s4, v20
	s_cbranch_execz .LBB796_414
; %bb.413:
	v_lshlrev_b32_e32 v19, 1, v20
	global_load_u16 v19, v19, s[2:3]
	s_waitcnt vmcnt(0)
	v_and_b32_e32 v19, 0x7fff, v19
	s_delay_alu instid0(VALU_DEP_1)
	v_cmp_ne_u16_e32 vcc_lo, 0, v19
	v_cndmask_b32_e64 v19, 0, 1, vcc_lo
.LBB796_414:
	s_or_b32 exec_lo, exec_lo, s5
	v_or_b32_e32 v20, 0x900, v0
	s_mov_b32 s5, exec_lo
	s_delay_alu instid0(VALU_DEP_1)
	v_cmpx_gt_u32_e64 s4, v20
	s_cbranch_execz .LBB796_416
; %bb.415:
	v_lshlrev_b32_e32 v18, 1, v20
	global_load_u16 v18, v18, s[2:3]
	s_waitcnt vmcnt(0)
	v_and_b32_e32 v18, 0x7fff, v18
	s_delay_alu instid0(VALU_DEP_1)
	v_cmp_ne_u16_e32 vcc_lo, 0, v18
	v_cndmask_b32_e64 v18, 0, 1, vcc_lo
.LBB796_416:
	s_or_b32 exec_lo, exec_lo, s5
	v_or_b32_e32 v22, 0x980, v0
	v_dual_mov_b32 v20, 0 :: v_dual_mov_b32 v21, 0
	s_mov_b32 s5, exec_lo
	s_delay_alu instid0(VALU_DEP_2)
	v_cmpx_gt_u32_e64 s4, v22
	s_cbranch_execz .LBB796_418
; %bb.417:
	v_lshlrev_b32_e32 v21, 1, v22
	global_load_u16 v21, v21, s[2:3]
	s_waitcnt vmcnt(0)
	v_and_b32_e32 v21, 0x7fff, v21
	s_delay_alu instid0(VALU_DEP_1)
	v_cmp_ne_u16_e32 vcc_lo, 0, v21
	v_cndmask_b32_e64 v21, 0, 1, vcc_lo
.LBB796_418:
	;; [unrolled: 31-line block ×23, first 2 shown]
	s_or_b32 exec_lo, exec_lo, s5
	v_or_b32_e32 v64, 0x1f00, v0
	s_mov_b32 s5, exec_lo
	s_delay_alu instid0(VALU_DEP_1)
	v_cmpx_gt_u32_e64 s4, v64
	s_cbranch_execz .LBB796_504
; %bb.503:
	v_lshlrev_b32_e32 v62, 1, v64
	global_load_u16 v62, v62, s[2:3]
	s_waitcnt vmcnt(0)
	v_and_b32_e32 v62, 0x7fff, v62
	s_delay_alu instid0(VALU_DEP_1)
	v_cmp_ne_u16_e32 vcc_lo, 0, v62
	v_cndmask_b32_e64 v62, 0, 1, vcc_lo
.LBB796_504:
	s_or_b32 exec_lo, exec_lo, s5
	v_or_b32_e32 v65, 0x1f80, v0
	v_mov_b32_e32 v64, 0
	s_mov_b32 s5, exec_lo
	s_delay_alu instid0(VALU_DEP_2)
	v_cmpx_gt_u32_e64 s4, v65
	s_cbranch_execz .LBB796_506
; %bb.505:
	v_lshlrev_b32_e32 v64, 1, v65
	global_load_u16 v64, v64, s[2:3]
	s_waitcnt vmcnt(0)
	v_and_b32_e32 v64, 0x7fff, v64
	s_delay_alu instid0(VALU_DEP_1)
	v_cmp_ne_u16_e32 vcc_lo, 0, v64
	v_cndmask_b32_e64 v64, 0, 1, vcc_lo
.LBB796_506:
	s_or_b32 exec_lo, exec_lo, s5
	v_add_nc_u32_e32 v1, v3, v1
	s_min_u32 s2, s4, 0x80
	s_mov_b32 s3, exec_lo
	s_delay_alu instid0(VALU_DEP_1) | instskip(SKIP_1) | instid1(VALU_DEP_2)
	v_add3_u32 v1, v1, v2, v5
	v_mbcnt_lo_u32_b32 v2, -1, 0
	v_add3_u32 v1, v1, v4, v7
	s_delay_alu instid0(VALU_DEP_2) | instskip(NEXT) | instid1(VALU_DEP_2)
	v_cmp_ne_u32_e32 vcc_lo, 31, v2
	v_add3_u32 v1, v1, v6, v9
	v_add_co_ci_u32_e32 v3, vcc_lo, 0, v2, vcc_lo
	v_cmp_gt_u32_e32 vcc_lo, 30, v2
	v_add_nc_u32_e32 v6, 1, v2
	s_delay_alu instid0(VALU_DEP_4) | instskip(NEXT) | instid1(VALU_DEP_4)
	v_add3_u32 v1, v1, v8, v11
	v_lshlrev_b32_e32 v3, 2, v3
	v_cndmask_b32_e64 v5, 0, 1, vcc_lo
	s_delay_alu instid0(VALU_DEP_3) | instskip(NEXT) | instid1(VALU_DEP_2)
	v_add3_u32 v1, v1, v10, v13
	v_lshlrev_b32_e32 v5, 1, v5
	s_delay_alu instid0(VALU_DEP_2) | instskip(NEXT) | instid1(VALU_DEP_2)
	v_add3_u32 v1, v1, v12, v15
	v_add_lshl_u32 v5, v5, v2, 2
	s_delay_alu instid0(VALU_DEP_2) | instskip(NEXT) | instid1(VALU_DEP_1)
	v_add3_u32 v1, v1, v14, v17
	v_add3_u32 v1, v1, v16, v19
	s_delay_alu instid0(VALU_DEP_1) | instskip(NEXT) | instid1(VALU_DEP_1)
	v_add3_u32 v1, v1, v18, v21
	v_add3_u32 v1, v1, v20, v23
	s_delay_alu instid0(VALU_DEP_1) | instskip(NEXT) | instid1(VALU_DEP_1)
	;; [unrolled: 3-line block ×11, first 2 shown]
	v_add3_u32 v1, v1, v58, v61
	v_add3_u32 v1, v1, v60, v63
	s_delay_alu instid0(VALU_DEP_1) | instskip(SKIP_2) | instid1(VALU_DEP_1)
	v_add3_u32 v1, v1, v62, v64
	ds_bpermute_b32 v3, v3, v1
	v_and_b32_e32 v4, 0x60, v0
	v_sub_nc_u32_e64 v4, s2, v4 clamp
	s_delay_alu instid0(VALU_DEP_1) | instskip(SKIP_3) | instid1(VALU_DEP_2)
	v_cmp_lt_u32_e32 vcc_lo, v6, v4
	s_waitcnt lgkmcnt(0)
	v_dual_cndmask_b32 v3, 0, v3 :: v_dual_add_nc_u32 v6, 2, v2
	v_cmp_gt_u32_e32 vcc_lo, 28, v2
	v_add_nc_u32_e32 v1, v3, v1
	ds_bpermute_b32 v3, v5, v1
	v_cndmask_b32_e64 v5, 0, 1, vcc_lo
	v_cmp_lt_u32_e32 vcc_lo, v6, v4
	v_add_nc_u32_e32 v6, 4, v2
	s_delay_alu instid0(VALU_DEP_3) | instskip(NEXT) | instid1(VALU_DEP_1)
	v_lshlrev_b32_e32 v5, 2, v5
	v_add_lshl_u32 v5, v5, v2, 2
	s_waitcnt lgkmcnt(0)
	v_cndmask_b32_e32 v3, 0, v3, vcc_lo
	v_cmp_gt_u32_e32 vcc_lo, 24, v2
	s_delay_alu instid0(VALU_DEP_2) | instskip(SKIP_4) | instid1(VALU_DEP_3)
	v_add_nc_u32_e32 v1, v1, v3
	ds_bpermute_b32 v3, v5, v1
	v_cndmask_b32_e64 v5, 0, 1, vcc_lo
	v_cmp_lt_u32_e32 vcc_lo, v6, v4
	v_add_nc_u32_e32 v6, 8, v2
	v_lshlrev_b32_e32 v5, 3, v5
	s_delay_alu instid0(VALU_DEP_1) | instskip(SKIP_3) | instid1(VALU_DEP_2)
	v_add_lshl_u32 v5, v5, v2, 2
	s_waitcnt lgkmcnt(0)
	v_cndmask_b32_e32 v3, 0, v3, vcc_lo
	v_cmp_gt_u32_e32 vcc_lo, 16, v2
	v_add_nc_u32_e32 v1, v1, v3
	ds_bpermute_b32 v3, v5, v1
	v_cndmask_b32_e64 v5, 0, 1, vcc_lo
	v_cmp_lt_u32_e32 vcc_lo, v6, v4
	s_delay_alu instid0(VALU_DEP_2) | instskip(NEXT) | instid1(VALU_DEP_1)
	v_lshlrev_b32_e32 v5, 4, v5
	v_add_lshl_u32 v5, v5, v2, 2
	s_waitcnt lgkmcnt(0)
	v_cndmask_b32_e32 v3, 0, v3, vcc_lo
	s_delay_alu instid0(VALU_DEP_1) | instskip(SKIP_2) | instid1(VALU_DEP_1)
	v_add_nc_u32_e32 v1, v1, v3
	ds_bpermute_b32 v3, v5, v1
	v_add_nc_u32_e32 v5, 16, v2
	v_cmp_lt_u32_e32 vcc_lo, v5, v4
	s_waitcnt lgkmcnt(0)
	v_cndmask_b32_e32 v3, 0, v3, vcc_lo
	s_delay_alu instid0(VALU_DEP_1)
	v_add_nc_u32_e32 v1, v1, v3
	v_cmpx_eq_u32_e32 0, v2
	s_cbranch_execz .LBB796_508
; %bb.507:
	v_lshrrev_b32_e32 v3, 3, v0
	s_delay_alu instid0(VALU_DEP_1)
	v_and_b32_e32 v3, 12, v3
	ds_store_b32 v3, v1 offset:128
.LBB796_508:
	s_or_b32 exec_lo, exec_lo, s3
	s_delay_alu instid0(SALU_CYCLE_1)
	s_mov_b32 s3, exec_lo
	s_waitcnt lgkmcnt(0)
	s_barrier
	buffer_gl0_inv
	v_cmpx_gt_u32_e32 4, v0
	s_cbranch_execz .LBB796_510
; %bb.509:
	v_and_b32_e32 v3, 3, v2
	s_add_i32 s2, s2, 31
	s_delay_alu instid0(SALU_CYCLE_1) | instskip(NEXT) | instid1(VALU_DEP_1)
	s_lshr_b32 s2, s2, 5
	v_cmp_ne_u32_e32 vcc_lo, 3, v3
	v_add_nc_u32_e32 v5, 1, v3
	v_add_co_ci_u32_e32 v4, vcc_lo, 0, v2, vcc_lo
	v_cmp_gt_u32_e32 vcc_lo, 2, v3
	v_add_nc_u32_e32 v3, 2, v3
	s_delay_alu instid0(VALU_DEP_3) | instskip(SKIP_3) | instid1(VALU_DEP_3)
	v_lshlrev_b32_e32 v4, 2, v4
	v_cndmask_b32_e64 v6, 0, 1, vcc_lo
	v_cmp_gt_u32_e32 vcc_lo, s2, v5
	v_lshlrev_b32_e32 v1, 2, v2
	v_lshlrev_b32_e32 v5, 1, v6
	ds_load_b32 v1, v1 offset:128
	v_add_lshl_u32 v2, v5, v2, 2
	s_waitcnt lgkmcnt(0)
	ds_bpermute_b32 v4, v4, v1
	s_waitcnt lgkmcnt(0)
	v_cndmask_b32_e32 v4, 0, v4, vcc_lo
	v_cmp_gt_u32_e32 vcc_lo, s2, v3
	s_delay_alu instid0(VALU_DEP_2) | instskip(SKIP_3) | instid1(VALU_DEP_1)
	v_add_nc_u32_e32 v1, v4, v1
	ds_bpermute_b32 v2, v2, v1
	s_waitcnt lgkmcnt(0)
	v_cndmask_b32_e32 v2, 0, v2, vcc_lo
	v_add_nc_u32_e32 v1, v1, v2
.LBB796_510:
	s_or_b32 exec_lo, exec_lo, s3
.LBB796_511:
	v_cmp_eq_u32_e64 s2, 0, v0
.LBB796_512:
	s_branch .LBB796_623
.LBB796_513:
	s_cmp_gt_i32 s26, 3
	s_cbranch_scc0 .LBB796_522
; %bb.514:
	s_cmp_gt_i32 s26, 7
	s_cbranch_scc0 .LBB796_523
; %bb.515:
	s_cmp_eq_u32 s26, 8
	s_cbranch_scc0 .LBB796_531
; %bb.516:
	s_mov_b32 s19, 0
	s_lshl_b32 s2, s18, 10
	s_mov_b32 s3, s19
	s_lshr_b64 s[6:7], s[20:21], 10
	s_lshl_b64 s[4:5], s[2:3], 1
	s_delay_alu instid0(SALU_CYCLE_1)
	s_add_u32 s8, s24, s4
	s_addc_u32 s9, s25, s5
	s_cmp_lg_u64 s[6:7], s[18:19]
	s_cbranch_scc0 .LBB796_573
; %bb.517:
	v_lshlrev_b32_e32 v1, 1, v0
	s_mov_b32 s3, exec_lo
	s_clause 0x7
	global_load_u16 v2, v1, s[8:9]
	global_load_u16 v3, v1, s[8:9] offset:256
	global_load_u16 v4, v1, s[8:9] offset:512
	;; [unrolled: 1-line block ×7, first 2 shown]
	s_waitcnt vmcnt(7)
	v_and_b32_e32 v2, 0x7fff, v2
	s_waitcnt vmcnt(6)
	v_and_b32_e32 v3, 0x7fff, v3
	;; [unrolled: 2-line block ×5, first 2 shown]
	v_cmp_ne_u16_e32 vcc_lo, 0, v2
	s_waitcnt vmcnt(1)
	v_and_b32_e32 v8, 0x7fff, v8
	v_and_b32_e32 v7, 0x7fff, v7
	s_waitcnt vmcnt(0)
	v_and_b32_e32 v1, 0x7fff, v1
	v_cndmask_b32_e64 v2, 0, 1, vcc_lo
	v_cmp_ne_u16_e32 vcc_lo, 0, v4
	v_cndmask_b32_e64 v4, 0, 1, vcc_lo
	v_cmp_ne_u16_e32 vcc_lo, 0, v3
	s_delay_alu instid0(VALU_DEP_4) | instskip(SKIP_3) | instid1(VALU_DEP_4)
	v_add_co_ci_u32_e32 v2, vcc_lo, 0, v2, vcc_lo
	v_cmp_ne_u16_e32 vcc_lo, 0, v6
	v_cndmask_b32_e64 v3, 0, 1, vcc_lo
	v_cmp_ne_u16_e32 vcc_lo, 0, v5
	v_add_co_ci_u32_e32 v2, vcc_lo, v2, v4, vcc_lo
	v_cmp_ne_u16_e32 vcc_lo, 0, v8
	v_cndmask_b32_e64 v4, 0, 1, vcc_lo
	v_cmp_ne_u16_e32 vcc_lo, 0, v7
	s_delay_alu instid0(VALU_DEP_4) | instskip(SKIP_1) | instid1(VALU_DEP_2)
	v_add_co_ci_u32_e32 v2, vcc_lo, v2, v3, vcc_lo
	v_cmp_ne_u16_e32 vcc_lo, 0, v1
	v_add_co_ci_u32_e32 v1, vcc_lo, v2, v4, vcc_lo
	s_delay_alu instid0(VALU_DEP_1) | instskip(NEXT) | instid1(VALU_DEP_1)
	v_mov_b32_dpp v2, v1 quad_perm:[1,0,3,2] row_mask:0xf bank_mask:0xf
	v_add_nc_u32_e32 v1, v1, v2
	s_delay_alu instid0(VALU_DEP_1) | instskip(NEXT) | instid1(VALU_DEP_1)
	v_mov_b32_dpp v2, v1 quad_perm:[2,3,0,1] row_mask:0xf bank_mask:0xf
	v_add_nc_u32_e32 v1, v1, v2
	s_delay_alu instid0(VALU_DEP_1) | instskip(NEXT) | instid1(VALU_DEP_1)
	v_mov_b32_dpp v2, v1 row_ror:4 row_mask:0xf bank_mask:0xf
	v_add_nc_u32_e32 v1, v1, v2
	s_delay_alu instid0(VALU_DEP_1) | instskip(NEXT) | instid1(VALU_DEP_1)
	v_mov_b32_dpp v2, v1 row_ror:8 row_mask:0xf bank_mask:0xf
	v_add_nc_u32_e32 v1, v1, v2
	ds_swizzle_b32 v2, v1 offset:swizzle(BROADCAST,32,15)
	s_waitcnt lgkmcnt(0)
	v_dual_mov_b32 v2, 0 :: v_dual_add_nc_u32 v1, v1, v2
	ds_bpermute_b32 v1, v2, v1 offset:124
	v_mbcnt_lo_u32_b32 v2, -1, 0
	s_delay_alu instid0(VALU_DEP_1)
	v_cmpx_eq_u32_e32 0, v2
	s_cbranch_execz .LBB796_519
; %bb.518:
	v_lshrrev_b32_e32 v3, 3, v0
	s_delay_alu instid0(VALU_DEP_1)
	v_and_b32_e32 v3, 12, v3
	s_waitcnt lgkmcnt(0)
	ds_store_b32 v3, v1 offset:112
.LBB796_519:
	s_or_b32 exec_lo, exec_lo, s3
	s_delay_alu instid0(SALU_CYCLE_1)
	s_mov_b32 s3, exec_lo
	s_waitcnt lgkmcnt(0)
	s_barrier
	buffer_gl0_inv
	v_cmpx_gt_u32_e32 32, v0
	s_cbranch_execz .LBB796_521
; %bb.520:
	v_lshl_or_b32 v1, v2, 2, 0x70
	v_and_b32_e32 v3, 3, v2
	ds_load_b32 v1, v1
	v_cmp_ne_u32_e32 vcc_lo, 3, v3
	v_add_co_ci_u32_e32 v4, vcc_lo, 0, v2, vcc_lo
	v_cmp_gt_u32_e32 vcc_lo, 2, v3
	s_delay_alu instid0(VALU_DEP_2) | instskip(SKIP_1) | instid1(VALU_DEP_1)
	v_lshlrev_b32_e32 v4, 2, v4
	v_cndmask_b32_e64 v3, 0, 1, vcc_lo
	v_lshlrev_b32_e32 v3, 1, v3
	s_waitcnt lgkmcnt(0)
	ds_bpermute_b32 v4, v4, v1
	v_add_lshl_u32 v2, v3, v2, 2
	s_waitcnt lgkmcnt(0)
	v_add_nc_u32_e32 v1, v4, v1
	ds_bpermute_b32 v2, v2, v1
	s_waitcnt lgkmcnt(0)
	v_add_nc_u32_e32 v1, v2, v1
.LBB796_521:
	s_or_b32 exec_lo, exec_lo, s3
	s_mov_b32 s3, 0
	s_branch .LBB796_574
.LBB796_522:
                                        ; implicit-def: $vgpr1
	s_cbranch_execnz .LBB796_614
	s_branch .LBB796_623
.LBB796_523:
                                        ; implicit-def: $vgpr1
	s_cbranch_execz .LBB796_597
; %bb.524:
	s_cmp_eq_u32 s26, 4
	s_cbranch_scc0 .LBB796_532
; %bb.525:
	s_mov_b32 s19, 0
	s_lshl_b32 s2, s18, 9
	s_mov_b32 s3, s19
	s_lshr_b64 s[6:7], s[20:21], 9
	s_lshl_b64 s[4:5], s[2:3], 1
	s_delay_alu instid0(SALU_CYCLE_1)
	s_add_u32 s4, s24, s4
	s_addc_u32 s5, s25, s5
	s_cmp_lg_u64 s[6:7], s[18:19]
	s_cbranch_scc0 .LBB796_598
; %bb.526:
	v_lshlrev_b32_e32 v1, 1, v0
	s_mov_b32 s3, exec_lo
	s_clause 0x3
	global_load_u16 v2, v1, s[4:5]
	global_load_u16 v3, v1, s[4:5] offset:512
	global_load_u16 v4, v1, s[4:5] offset:256
	;; [unrolled: 1-line block ×3, first 2 shown]
	s_waitcnt vmcnt(3)
	v_and_b32_e32 v2, 0x7fff, v2
	s_waitcnt vmcnt(2)
	v_and_b32_e32 v3, 0x7fff, v3
	;; [unrolled: 2-line block ×4, first 2 shown]
	v_cmp_ne_u16_e32 vcc_lo, 0, v2
	v_cndmask_b32_e64 v2, 0, 1, vcc_lo
	v_cmp_ne_u16_e32 vcc_lo, 0, v3
	v_cndmask_b32_e64 v3, 0, 1, vcc_lo
	v_cmp_ne_u16_e32 vcc_lo, 0, v4
	s_delay_alu instid0(VALU_DEP_4) | instskip(SKIP_1) | instid1(VALU_DEP_2)
	v_add_co_ci_u32_e32 v2, vcc_lo, 0, v2, vcc_lo
	v_cmp_ne_u16_e32 vcc_lo, 0, v1
	v_add_co_ci_u32_e32 v1, vcc_lo, v2, v3, vcc_lo
	s_delay_alu instid0(VALU_DEP_1) | instskip(NEXT) | instid1(VALU_DEP_1)
	v_mov_b32_dpp v2, v1 quad_perm:[1,0,3,2] row_mask:0xf bank_mask:0xf
	v_add_nc_u32_e32 v1, v1, v2
	s_delay_alu instid0(VALU_DEP_1) | instskip(NEXT) | instid1(VALU_DEP_1)
	v_mov_b32_dpp v2, v1 quad_perm:[2,3,0,1] row_mask:0xf bank_mask:0xf
	v_add_nc_u32_e32 v1, v1, v2
	s_delay_alu instid0(VALU_DEP_1) | instskip(NEXT) | instid1(VALU_DEP_1)
	v_mov_b32_dpp v2, v1 row_ror:4 row_mask:0xf bank_mask:0xf
	v_add_nc_u32_e32 v1, v1, v2
	s_delay_alu instid0(VALU_DEP_1) | instskip(NEXT) | instid1(VALU_DEP_1)
	v_mov_b32_dpp v2, v1 row_ror:8 row_mask:0xf bank_mask:0xf
	v_add_nc_u32_e32 v1, v1, v2
	ds_swizzle_b32 v2, v1 offset:swizzle(BROADCAST,32,15)
	s_waitcnt lgkmcnt(0)
	v_dual_mov_b32 v2, 0 :: v_dual_add_nc_u32 v1, v1, v2
	ds_bpermute_b32 v1, v2, v1 offset:124
	v_mbcnt_lo_u32_b32 v2, -1, 0
	s_delay_alu instid0(VALU_DEP_1)
	v_cmpx_eq_u32_e32 0, v2
	s_cbranch_execz .LBB796_528
; %bb.527:
	v_lshrrev_b32_e32 v3, 3, v0
	s_delay_alu instid0(VALU_DEP_1)
	v_and_b32_e32 v3, 12, v3
	s_waitcnt lgkmcnt(0)
	ds_store_b32 v3, v1 offset:80
.LBB796_528:
	s_or_b32 exec_lo, exec_lo, s3
	s_delay_alu instid0(SALU_CYCLE_1)
	s_mov_b32 s3, exec_lo
	s_waitcnt lgkmcnt(0)
	s_barrier
	buffer_gl0_inv
	v_cmpx_gt_u32_e32 32, v0
	s_cbranch_execz .LBB796_530
; %bb.529:
	v_and_b32_e32 v1, 3, v2
	s_delay_alu instid0(VALU_DEP_1) | instskip(SKIP_4) | instid1(VALU_DEP_2)
	v_lshlrev_b32_e32 v3, 2, v1
	v_cmp_ne_u32_e32 vcc_lo, 3, v1
	ds_load_b32 v3, v3 offset:80
	v_add_co_ci_u32_e32 v4, vcc_lo, 0, v2, vcc_lo
	v_cmp_gt_u32_e32 vcc_lo, 2, v1
	v_lshlrev_b32_e32 v4, 2, v4
	v_cndmask_b32_e64 v1, 0, 1, vcc_lo
	s_delay_alu instid0(VALU_DEP_1) | instskip(NEXT) | instid1(VALU_DEP_1)
	v_lshlrev_b32_e32 v1, 1, v1
	v_add_lshl_u32 v1, v1, v2, 2
	s_waitcnt lgkmcnt(0)
	ds_bpermute_b32 v4, v4, v3
	s_waitcnt lgkmcnt(0)
	v_add_nc_u32_e32 v3, v4, v3
	ds_bpermute_b32 v1, v1, v3
	s_waitcnt lgkmcnt(0)
	v_add_nc_u32_e32 v1, v1, v3
.LBB796_530:
	s_or_b32 exec_lo, exec_lo, s3
	s_mov_b32 s3, 0
	s_branch .LBB796_599
.LBB796_531:
                                        ; implicit-def: $vgpr1
	s_branch .LBB796_597
.LBB796_532:
                                        ; implicit-def: $vgpr1
	s_branch .LBB796_623
.LBB796_533:
	s_mov_b32 s3, -1
                                        ; implicit-def: $vgpr1
.LBB796_534:
	s_delay_alu instid0(SALU_CYCLE_1)
	s_and_b32 vcc_lo, exec_lo, s3
	s_cbranch_vccz .LBB796_572
; %bb.535:
	s_sub_i32 s27, s20, s2
	s_mov_b32 s2, exec_lo
                                        ; implicit-def: $vgpr1_vgpr2_vgpr3_vgpr4_vgpr5_vgpr6_vgpr7_vgpr8_vgpr9_vgpr10_vgpr11_vgpr12_vgpr13_vgpr14_vgpr15_vgpr16
	v_cmpx_gt_u32_e64 s27, v0
	s_cbranch_execz .LBB796_537
; %bb.536:
	v_lshlrev_b32_e32 v1, 1, v0
	global_load_u16 v1, v1, s[16:17]
	s_waitcnt vmcnt(0)
	v_and_b32_e32 v1, 0x7fff, v1
	s_delay_alu instid0(VALU_DEP_1)
	v_cmp_ne_u16_e32 vcc_lo, 0, v1
	v_cndmask_b32_e64 v1, 0, 1, vcc_lo
.LBB796_537:
	s_or_b32 exec_lo, exec_lo, s2
	v_or_b32_e32 v17, 0x80, v0
	s_delay_alu instid0(VALU_DEP_1)
	v_cmp_gt_u32_e32 vcc_lo, s27, v17
	s_and_saveexec_b32 s3, vcc_lo
	s_cbranch_execz .LBB796_539
; %bb.538:
	v_lshlrev_b32_e32 v2, 1, v0
	global_load_u16 v2, v2, s[16:17] offset:256
	s_waitcnt vmcnt(0)
	v_and_b32_e32 v2, 0x7fff, v2
	s_delay_alu instid0(VALU_DEP_1) | instskip(NEXT) | instid1(VALU_DEP_1)
	v_cmp_ne_u16_e64 s2, 0, v2
	v_cndmask_b32_e64 v2, 0, 1, s2
.LBB796_539:
	s_or_b32 exec_lo, exec_lo, s3
	v_or_b32_e32 v17, 0x100, v0
	s_delay_alu instid0(VALU_DEP_1) | instskip(NEXT) | instid1(VALU_DEP_1)
	v_cmp_gt_u32_e64 s2, s27, v17
	s_and_saveexec_b32 s4, s2
	s_cbranch_execz .LBB796_541
; %bb.540:
	v_lshlrev_b32_e32 v3, 1, v0
	global_load_u16 v3, v3, s[16:17] offset:512
	s_waitcnt vmcnt(0)
	v_and_b32_e32 v3, 0x7fff, v3
	s_delay_alu instid0(VALU_DEP_1) | instskip(NEXT) | instid1(VALU_DEP_1)
	v_cmp_ne_u16_e64 s3, 0, v3
	v_cndmask_b32_e64 v3, 0, 1, s3
.LBB796_541:
	s_or_b32 exec_lo, exec_lo, s4
	v_or_b32_e32 v17, 0x180, v0
	s_delay_alu instid0(VALU_DEP_1) | instskip(NEXT) | instid1(VALU_DEP_1)
	v_cmp_gt_u32_e64 s3, s27, v17
	s_and_saveexec_b32 s5, s3
	;; [unrolled: 15-line block ×14, first 2 shown]
	s_cbranch_execz .LBB796_567
; %bb.566:
	v_lshlrev_b32_e32 v16, 1, v0
	global_load_u16 v16, v16, s[16:17] offset:3840
	s_waitcnt vmcnt(0)
	v_and_b32_e32 v16, 0x7fff, v16
	s_delay_alu instid0(VALU_DEP_1) | instskip(NEXT) | instid1(VALU_DEP_1)
	v_cmp_ne_u16_e64 s16, 0, v16
	v_cndmask_b32_e64 v16, 0, 1, s16
.LBB796_567:
	s_or_b32 exec_lo, exec_lo, s28
	v_cndmask_b32_e32 v2, 0, v2, vcc_lo
	v_cndmask_b32_e64 v3, 0, v3, s2
	v_cndmask_b32_e64 v4, 0, v4, s3
	s_min_u32 s2, s27, 0x80
	s_mov_b32 s3, exec_lo
	v_add_nc_u32_e32 v1, v2, v1
	v_cndmask_b32_e64 v2, 0, v5, s4
	v_cndmask_b32_e64 v5, 0, v6, s5
	v_cndmask_b32_e64 v6, 0, v14, s13
	s_delay_alu instid0(VALU_DEP_4) | instskip(SKIP_3) | instid1(VALU_DEP_4)
	v_add3_u32 v1, v1, v3, v4
	v_cndmask_b32_e64 v3, 0, v7, s6
	v_cndmask_b32_e64 v4, 0, v8, s7
	;; [unrolled: 1-line block ×3, first 2 shown]
	v_add3_u32 v1, v1, v2, v5
	v_cndmask_b32_e64 v2, 0, v9, s8
	v_cndmask_b32_e64 v5, 0, v10, s9
	s_delay_alu instid0(VALU_DEP_3) | instskip(SKIP_2) | instid1(VALU_DEP_3)
	v_add3_u32 v1, v1, v3, v4
	v_cndmask_b32_e64 v3, 0, v11, s10
	v_cndmask_b32_e64 v4, 0, v12, s11
	v_add3_u32 v1, v1, v2, v5
	v_mbcnt_lo_u32_b32 v2, -1, 0
	v_cndmask_b32_e64 v5, 0, v13, s12
	s_delay_alu instid0(VALU_DEP_3) | instskip(NEXT) | instid1(VALU_DEP_3)
	v_add3_u32 v1, v1, v3, v4
	v_cmp_ne_u32_e32 vcc_lo, 31, v2
	v_cndmask_b32_e64 v3, 0, v16, s15
	s_delay_alu instid0(VALU_DEP_3) | instskip(SKIP_3) | instid1(VALU_DEP_4)
	v_add3_u32 v1, v1, v5, v6
	v_add_co_ci_u32_e32 v4, vcc_lo, 0, v2, vcc_lo
	v_cmp_gt_u32_e32 vcc_lo, 30, v2
	v_add_nc_u32_e32 v6, 1, v2
	v_add3_u32 v1, v1, v7, v3
	s_delay_alu instid0(VALU_DEP_4) | instskip(SKIP_4) | instid1(VALU_DEP_2)
	v_lshlrev_b32_e32 v4, 2, v4
	v_cndmask_b32_e64 v5, 0, 1, vcc_lo
	ds_bpermute_b32 v3, v4, v1
	v_and_b32_e32 v4, 0x60, v0
	v_lshlrev_b32_e32 v5, 1, v5
	v_sub_nc_u32_e64 v4, s2, v4 clamp
	s_delay_alu instid0(VALU_DEP_2) | instskip(NEXT) | instid1(VALU_DEP_2)
	v_add_lshl_u32 v5, v5, v2, 2
	v_cmp_lt_u32_e32 vcc_lo, v6, v4
	s_waitcnt lgkmcnt(0)
	v_dual_cndmask_b32 v3, 0, v3 :: v_dual_add_nc_u32 v6, 2, v2
	v_cmp_gt_u32_e32 vcc_lo, 28, v2
	s_delay_alu instid0(VALU_DEP_2) | instskip(SKIP_4) | instid1(VALU_DEP_3)
	v_add_nc_u32_e32 v1, v1, v3
	ds_bpermute_b32 v3, v5, v1
	v_cndmask_b32_e64 v5, 0, 1, vcc_lo
	v_cmp_lt_u32_e32 vcc_lo, v6, v4
	v_add_nc_u32_e32 v6, 4, v2
	v_lshlrev_b32_e32 v5, 2, v5
	s_delay_alu instid0(VALU_DEP_1) | instskip(SKIP_3) | instid1(VALU_DEP_2)
	v_add_lshl_u32 v5, v5, v2, 2
	s_waitcnt lgkmcnt(0)
	v_cndmask_b32_e32 v3, 0, v3, vcc_lo
	v_cmp_gt_u32_e32 vcc_lo, 24, v2
	v_add_nc_u32_e32 v1, v1, v3
	ds_bpermute_b32 v3, v5, v1
	v_cndmask_b32_e64 v5, 0, 1, vcc_lo
	v_cmp_lt_u32_e32 vcc_lo, v6, v4
	v_add_nc_u32_e32 v6, 8, v2
	s_delay_alu instid0(VALU_DEP_3) | instskip(NEXT) | instid1(VALU_DEP_1)
	v_lshlrev_b32_e32 v5, 3, v5
	v_add_lshl_u32 v5, v5, v2, 2
	s_waitcnt lgkmcnt(0)
	v_cndmask_b32_e32 v3, 0, v3, vcc_lo
	v_cmp_gt_u32_e32 vcc_lo, 16, v2
	s_delay_alu instid0(VALU_DEP_2) | instskip(SKIP_3) | instid1(VALU_DEP_2)
	v_add_nc_u32_e32 v1, v1, v3
	ds_bpermute_b32 v3, v5, v1
	v_cndmask_b32_e64 v5, 0, 1, vcc_lo
	v_cmp_lt_u32_e32 vcc_lo, v6, v4
	v_lshlrev_b32_e32 v5, 4, v5
	s_delay_alu instid0(VALU_DEP_1) | instskip(SKIP_2) | instid1(VALU_DEP_1)
	v_add_lshl_u32 v5, v5, v2, 2
	s_waitcnt lgkmcnt(0)
	v_cndmask_b32_e32 v3, 0, v3, vcc_lo
	v_add_nc_u32_e32 v1, v1, v3
	ds_bpermute_b32 v3, v5, v1
	v_add_nc_u32_e32 v5, 16, v2
	s_delay_alu instid0(VALU_DEP_1) | instskip(SKIP_2) | instid1(VALU_DEP_1)
	v_cmp_lt_u32_e32 vcc_lo, v5, v4
	s_waitcnt lgkmcnt(0)
	v_cndmask_b32_e32 v3, 0, v3, vcc_lo
	v_add_nc_u32_e32 v1, v1, v3
	v_cmpx_eq_u32_e32 0, v2
	s_cbranch_execz .LBB796_569
; %bb.568:
	v_lshrrev_b32_e32 v3, 3, v0
	s_delay_alu instid0(VALU_DEP_1)
	v_and_b32_e32 v3, 12, v3
	ds_store_b32 v3, v1 offset:128
.LBB796_569:
	s_or_b32 exec_lo, exec_lo, s3
	s_delay_alu instid0(SALU_CYCLE_1)
	s_mov_b32 s3, exec_lo
	s_waitcnt lgkmcnt(0)
	s_barrier
	buffer_gl0_inv
	v_cmpx_gt_u32_e32 4, v0
	s_cbranch_execz .LBB796_571
; %bb.570:
	v_and_b32_e32 v3, 3, v2
	s_add_i32 s2, s2, 31
	s_delay_alu instid0(SALU_CYCLE_1) | instskip(NEXT) | instid1(VALU_DEP_1)
	s_lshr_b32 s2, s2, 5
	v_cmp_ne_u32_e32 vcc_lo, 3, v3
	v_add_nc_u32_e32 v5, 1, v3
	v_add_co_ci_u32_e32 v4, vcc_lo, 0, v2, vcc_lo
	v_cmp_gt_u32_e32 vcc_lo, 2, v3
	v_add_nc_u32_e32 v3, 2, v3
	s_delay_alu instid0(VALU_DEP_3) | instskip(SKIP_3) | instid1(VALU_DEP_3)
	v_lshlrev_b32_e32 v4, 2, v4
	v_cndmask_b32_e64 v6, 0, 1, vcc_lo
	v_cmp_gt_u32_e32 vcc_lo, s2, v5
	v_lshlrev_b32_e32 v1, 2, v2
	v_lshlrev_b32_e32 v5, 1, v6
	ds_load_b32 v1, v1 offset:128
	v_add_lshl_u32 v2, v5, v2, 2
	s_waitcnt lgkmcnt(0)
	ds_bpermute_b32 v4, v4, v1
	s_waitcnt lgkmcnt(0)
	v_cndmask_b32_e32 v4, 0, v4, vcc_lo
	v_cmp_gt_u32_e32 vcc_lo, s2, v3
	s_delay_alu instid0(VALU_DEP_2) | instskip(SKIP_3) | instid1(VALU_DEP_1)
	v_add_nc_u32_e32 v1, v4, v1
	ds_bpermute_b32 v2, v2, v1
	s_waitcnt lgkmcnt(0)
	v_cndmask_b32_e32 v2, 0, v2, vcc_lo
	v_add_nc_u32_e32 v1, v1, v2
.LBB796_571:
	s_or_b32 exec_lo, exec_lo, s3
.LBB796_572:
	v_cmp_eq_u32_e64 s2, 0, v0
	s_branch .LBB796_623
.LBB796_573:
	s_mov_b32 s3, -1
                                        ; implicit-def: $vgpr1
.LBB796_574:
	s_delay_alu instid0(SALU_CYCLE_1)
	s_and_b32 vcc_lo, exec_lo, s3
	s_cbranch_vccz .LBB796_596
; %bb.575:
	s_sub_i32 s10, s20, s2
	s_mov_b32 s2, exec_lo
                                        ; implicit-def: $vgpr1_vgpr2_vgpr3_vgpr4_vgpr5_vgpr6_vgpr7_vgpr8
	v_cmpx_gt_u32_e64 s10, v0
	s_cbranch_execz .LBB796_577
; %bb.576:
	v_lshlrev_b32_e32 v1, 1, v0
	global_load_u16 v1, v1, s[8:9]
	s_waitcnt vmcnt(0)
	v_and_b32_e32 v1, 0x7fff, v1
	s_delay_alu instid0(VALU_DEP_1)
	v_cmp_ne_u16_e32 vcc_lo, 0, v1
	v_cndmask_b32_e64 v1, 0, 1, vcc_lo
.LBB796_577:
	s_or_b32 exec_lo, exec_lo, s2
	v_or_b32_e32 v9, 0x80, v0
	s_delay_alu instid0(VALU_DEP_1)
	v_cmp_gt_u32_e32 vcc_lo, s10, v9
	s_and_saveexec_b32 s3, vcc_lo
	s_cbranch_execz .LBB796_579
; %bb.578:
	v_lshlrev_b32_e32 v2, 1, v0
	global_load_u16 v2, v2, s[8:9] offset:256
	s_waitcnt vmcnt(0)
	v_and_b32_e32 v2, 0x7fff, v2
	s_delay_alu instid0(VALU_DEP_1) | instskip(NEXT) | instid1(VALU_DEP_1)
	v_cmp_ne_u16_e64 s2, 0, v2
	v_cndmask_b32_e64 v2, 0, 1, s2
.LBB796_579:
	s_or_b32 exec_lo, exec_lo, s3
	v_or_b32_e32 v9, 0x100, v0
	s_delay_alu instid0(VALU_DEP_1) | instskip(NEXT) | instid1(VALU_DEP_1)
	v_cmp_gt_u32_e64 s2, s10, v9
	s_and_saveexec_b32 s4, s2
	s_cbranch_execz .LBB796_581
; %bb.580:
	v_lshlrev_b32_e32 v3, 1, v0
	global_load_u16 v3, v3, s[8:9] offset:512
	s_waitcnt vmcnt(0)
	v_and_b32_e32 v3, 0x7fff, v3
	s_delay_alu instid0(VALU_DEP_1) | instskip(NEXT) | instid1(VALU_DEP_1)
	v_cmp_ne_u16_e64 s3, 0, v3
	v_cndmask_b32_e64 v3, 0, 1, s3
.LBB796_581:
	s_or_b32 exec_lo, exec_lo, s4
	v_or_b32_e32 v9, 0x180, v0
	s_delay_alu instid0(VALU_DEP_1) | instskip(NEXT) | instid1(VALU_DEP_1)
	v_cmp_gt_u32_e64 s3, s10, v9
	s_and_saveexec_b32 s5, s3
	;; [unrolled: 15-line block ×6, first 2 shown]
	s_cbranch_execz .LBB796_591
; %bb.590:
	v_lshlrev_b32_e32 v8, 1, v0
	global_load_u16 v8, v8, s[8:9] offset:1792
	s_waitcnt vmcnt(0)
	v_and_b32_e32 v8, 0x7fff, v8
	s_delay_alu instid0(VALU_DEP_1) | instskip(NEXT) | instid1(VALU_DEP_1)
	v_cmp_ne_u16_e64 s8, 0, v8
	v_cndmask_b32_e64 v8, 0, 1, s8
.LBB796_591:
	s_or_b32 exec_lo, exec_lo, s11
	v_cndmask_b32_e32 v2, 0, v2, vcc_lo
	v_cndmask_b32_e64 v3, 0, v3, s2
	v_cndmask_b32_e64 v4, 0, v4, s3
	;; [unrolled: 1-line block ×4, first 2 shown]
	v_add_nc_u32_e32 v1, v2, v1
	v_mbcnt_lo_u32_b32 v2, -1, 0
	v_cndmask_b32_e64 v7, 0, v7, s6
	s_min_u32 s2, s10, 0x80
	s_mov_b32 s3, exec_lo
	v_add3_u32 v1, v1, v3, v4
	v_cmp_ne_u32_e32 vcc_lo, 31, v2
	v_cndmask_b32_e64 v3, 0, v8, s7
	s_delay_alu instid0(VALU_DEP_3) | instskip(SKIP_3) | instid1(VALU_DEP_4)
	v_add3_u32 v1, v1, v5, v6
	v_add_co_ci_u32_e32 v4, vcc_lo, 0, v2, vcc_lo
	v_cmp_gt_u32_e32 vcc_lo, 30, v2
	v_add_nc_u32_e32 v6, 1, v2
	v_add3_u32 v1, v1, v7, v3
	s_delay_alu instid0(VALU_DEP_4) | instskip(SKIP_4) | instid1(VALU_DEP_2)
	v_lshlrev_b32_e32 v4, 2, v4
	v_cndmask_b32_e64 v5, 0, 1, vcc_lo
	ds_bpermute_b32 v3, v4, v1
	v_and_b32_e32 v4, 0x60, v0
	v_lshlrev_b32_e32 v5, 1, v5
	v_sub_nc_u32_e64 v4, s2, v4 clamp
	s_delay_alu instid0(VALU_DEP_2) | instskip(NEXT) | instid1(VALU_DEP_2)
	v_add_lshl_u32 v5, v5, v2, 2
	v_cmp_lt_u32_e32 vcc_lo, v6, v4
	s_waitcnt lgkmcnt(0)
	v_dual_cndmask_b32 v3, 0, v3 :: v_dual_add_nc_u32 v6, 2, v2
	v_cmp_gt_u32_e32 vcc_lo, 28, v2
	s_delay_alu instid0(VALU_DEP_2) | instskip(SKIP_4) | instid1(VALU_DEP_3)
	v_add_nc_u32_e32 v1, v1, v3
	ds_bpermute_b32 v3, v5, v1
	v_cndmask_b32_e64 v5, 0, 1, vcc_lo
	v_cmp_lt_u32_e32 vcc_lo, v6, v4
	v_add_nc_u32_e32 v6, 4, v2
	v_lshlrev_b32_e32 v5, 2, v5
	s_delay_alu instid0(VALU_DEP_1) | instskip(SKIP_3) | instid1(VALU_DEP_2)
	v_add_lshl_u32 v5, v5, v2, 2
	s_waitcnt lgkmcnt(0)
	v_cndmask_b32_e32 v3, 0, v3, vcc_lo
	v_cmp_gt_u32_e32 vcc_lo, 24, v2
	v_add_nc_u32_e32 v1, v1, v3
	ds_bpermute_b32 v3, v5, v1
	v_cndmask_b32_e64 v5, 0, 1, vcc_lo
	v_cmp_lt_u32_e32 vcc_lo, v6, v4
	v_add_nc_u32_e32 v6, 8, v2
	s_delay_alu instid0(VALU_DEP_3) | instskip(NEXT) | instid1(VALU_DEP_1)
	v_lshlrev_b32_e32 v5, 3, v5
	v_add_lshl_u32 v5, v5, v2, 2
	s_waitcnt lgkmcnt(0)
	v_cndmask_b32_e32 v3, 0, v3, vcc_lo
	v_cmp_gt_u32_e32 vcc_lo, 16, v2
	s_delay_alu instid0(VALU_DEP_2) | instskip(SKIP_3) | instid1(VALU_DEP_2)
	v_add_nc_u32_e32 v1, v1, v3
	ds_bpermute_b32 v3, v5, v1
	v_cndmask_b32_e64 v5, 0, 1, vcc_lo
	v_cmp_lt_u32_e32 vcc_lo, v6, v4
	v_lshlrev_b32_e32 v5, 4, v5
	s_delay_alu instid0(VALU_DEP_1) | instskip(SKIP_2) | instid1(VALU_DEP_1)
	v_add_lshl_u32 v5, v5, v2, 2
	s_waitcnt lgkmcnt(0)
	v_cndmask_b32_e32 v3, 0, v3, vcc_lo
	v_add_nc_u32_e32 v1, v1, v3
	ds_bpermute_b32 v3, v5, v1
	v_add_nc_u32_e32 v5, 16, v2
	s_delay_alu instid0(VALU_DEP_1) | instskip(SKIP_2) | instid1(VALU_DEP_1)
	v_cmp_lt_u32_e32 vcc_lo, v5, v4
	s_waitcnt lgkmcnt(0)
	v_cndmask_b32_e32 v3, 0, v3, vcc_lo
	v_add_nc_u32_e32 v1, v1, v3
	v_cmpx_eq_u32_e32 0, v2
	s_cbranch_execz .LBB796_593
; %bb.592:
	v_lshrrev_b32_e32 v3, 3, v0
	s_delay_alu instid0(VALU_DEP_1)
	v_and_b32_e32 v3, 12, v3
	ds_store_b32 v3, v1 offset:128
.LBB796_593:
	s_or_b32 exec_lo, exec_lo, s3
	s_delay_alu instid0(SALU_CYCLE_1)
	s_mov_b32 s3, exec_lo
	s_waitcnt lgkmcnt(0)
	s_barrier
	buffer_gl0_inv
	v_cmpx_gt_u32_e32 4, v0
	s_cbranch_execz .LBB796_595
; %bb.594:
	v_and_b32_e32 v3, 3, v2
	s_add_i32 s2, s2, 31
	s_delay_alu instid0(SALU_CYCLE_1) | instskip(NEXT) | instid1(VALU_DEP_1)
	s_lshr_b32 s2, s2, 5
	v_cmp_ne_u32_e32 vcc_lo, 3, v3
	v_add_nc_u32_e32 v5, 1, v3
	v_add_co_ci_u32_e32 v4, vcc_lo, 0, v2, vcc_lo
	v_cmp_gt_u32_e32 vcc_lo, 2, v3
	v_add_nc_u32_e32 v3, 2, v3
	s_delay_alu instid0(VALU_DEP_3) | instskip(SKIP_3) | instid1(VALU_DEP_3)
	v_lshlrev_b32_e32 v4, 2, v4
	v_cndmask_b32_e64 v6, 0, 1, vcc_lo
	v_cmp_gt_u32_e32 vcc_lo, s2, v5
	v_lshlrev_b32_e32 v1, 2, v2
	v_lshlrev_b32_e32 v5, 1, v6
	ds_load_b32 v1, v1 offset:128
	v_add_lshl_u32 v2, v5, v2, 2
	s_waitcnt lgkmcnt(0)
	ds_bpermute_b32 v4, v4, v1
	s_waitcnt lgkmcnt(0)
	v_cndmask_b32_e32 v4, 0, v4, vcc_lo
	v_cmp_gt_u32_e32 vcc_lo, s2, v3
	s_delay_alu instid0(VALU_DEP_2) | instskip(SKIP_3) | instid1(VALU_DEP_1)
	v_add_nc_u32_e32 v1, v4, v1
	ds_bpermute_b32 v2, v2, v1
	s_waitcnt lgkmcnt(0)
	v_cndmask_b32_e32 v2, 0, v2, vcc_lo
	v_add_nc_u32_e32 v1, v1, v2
.LBB796_595:
	s_or_b32 exec_lo, exec_lo, s3
.LBB796_596:
	v_cmp_eq_u32_e64 s2, 0, v0
.LBB796_597:
	s_branch .LBB796_623
.LBB796_598:
	s_mov_b32 s3, -1
                                        ; implicit-def: $vgpr1
.LBB796_599:
	s_delay_alu instid0(SALU_CYCLE_1)
	s_and_b32 vcc_lo, exec_lo, s3
	s_cbranch_vccz .LBB796_613
; %bb.600:
	s_sub_i32 s6, s20, s2
	s_mov_b32 s2, exec_lo
                                        ; implicit-def: $vgpr1_vgpr2_vgpr3_vgpr4
	v_cmpx_gt_u32_e64 s6, v0
	s_cbranch_execz .LBB796_602
; %bb.601:
	v_lshlrev_b32_e32 v1, 1, v0
	global_load_u16 v1, v1, s[4:5]
	s_waitcnt vmcnt(0)
	v_and_b32_e32 v1, 0x7fff, v1
	s_delay_alu instid0(VALU_DEP_1)
	v_cmp_ne_u16_e32 vcc_lo, 0, v1
	v_cndmask_b32_e64 v1, 0, 1, vcc_lo
.LBB796_602:
	s_or_b32 exec_lo, exec_lo, s2
	v_or_b32_e32 v5, 0x80, v0
	s_delay_alu instid0(VALU_DEP_1)
	v_cmp_gt_u32_e32 vcc_lo, s6, v5
	s_and_saveexec_b32 s3, vcc_lo
	s_cbranch_execz .LBB796_604
; %bb.603:
	v_lshlrev_b32_e32 v2, 1, v0
	global_load_u16 v2, v2, s[4:5] offset:256
	s_waitcnt vmcnt(0)
	v_and_b32_e32 v2, 0x7fff, v2
	s_delay_alu instid0(VALU_DEP_1) | instskip(NEXT) | instid1(VALU_DEP_1)
	v_cmp_ne_u16_e64 s2, 0, v2
	v_cndmask_b32_e64 v2, 0, 1, s2
.LBB796_604:
	s_or_b32 exec_lo, exec_lo, s3
	v_or_b32_e32 v5, 0x100, v0
	s_delay_alu instid0(VALU_DEP_1) | instskip(NEXT) | instid1(VALU_DEP_1)
	v_cmp_gt_u32_e64 s2, s6, v5
	s_and_saveexec_b32 s7, s2
	s_cbranch_execz .LBB796_606
; %bb.605:
	v_lshlrev_b32_e32 v3, 1, v0
	global_load_u16 v3, v3, s[4:5] offset:512
	s_waitcnt vmcnt(0)
	v_and_b32_e32 v3, 0x7fff, v3
	s_delay_alu instid0(VALU_DEP_1) | instskip(NEXT) | instid1(VALU_DEP_1)
	v_cmp_ne_u16_e64 s3, 0, v3
	v_cndmask_b32_e64 v3, 0, 1, s3
.LBB796_606:
	s_or_b32 exec_lo, exec_lo, s7
	v_or_b32_e32 v5, 0x180, v0
	s_delay_alu instid0(VALU_DEP_1) | instskip(NEXT) | instid1(VALU_DEP_1)
	v_cmp_gt_u32_e64 s3, s6, v5
	s_and_saveexec_b32 s7, s3
	s_cbranch_execz .LBB796_608
; %bb.607:
	v_lshlrev_b32_e32 v4, 1, v0
	global_load_u16 v4, v4, s[4:5] offset:768
	s_waitcnt vmcnt(0)
	v_and_b32_e32 v4, 0x7fff, v4
	s_delay_alu instid0(VALU_DEP_1) | instskip(NEXT) | instid1(VALU_DEP_1)
	v_cmp_ne_u16_e64 s4, 0, v4
	v_cndmask_b32_e64 v4, 0, 1, s4
.LBB796_608:
	s_or_b32 exec_lo, exec_lo, s7
	v_cndmask_b32_e32 v5, 0, v2, vcc_lo
	v_mbcnt_lo_u32_b32 v2, -1, 0
	v_cndmask_b32_e64 v3, 0, v3, s2
	v_cndmask_b32_e64 v4, 0, v4, s3
	s_min_u32 s2, s6, 0x80
	v_add_nc_u32_e32 v1, v5, v1
	v_cmp_ne_u32_e32 vcc_lo, 31, v2
	s_mov_b32 s3, exec_lo
	s_delay_alu instid0(VALU_DEP_2) | instskip(SKIP_3) | instid1(VALU_DEP_3)
	v_add3_u32 v1, v1, v3, v4
	v_and_b32_e32 v4, 0x60, v0
	v_add_co_ci_u32_e32 v5, vcc_lo, 0, v2, vcc_lo
	v_cmp_gt_u32_e32 vcc_lo, 30, v2
	v_sub_nc_u32_e64 v4, s2, v4 clamp
	s_delay_alu instid0(VALU_DEP_3) | instskip(SKIP_4) | instid1(VALU_DEP_2)
	v_lshlrev_b32_e32 v3, 2, v5
	v_cndmask_b32_e64 v5, 0, 1, vcc_lo
	ds_bpermute_b32 v3, v3, v1
	v_add_nc_u32_e32 v6, 1, v2
	v_lshlrev_b32_e32 v5, 1, v5
	v_cmp_lt_u32_e32 vcc_lo, v6, v4
	s_delay_alu instid0(VALU_DEP_2) | instskip(SKIP_3) | instid1(VALU_DEP_2)
	v_add_lshl_u32 v5, v5, v2, 2
	s_waitcnt lgkmcnt(0)
	v_cndmask_b32_e32 v3, 0, v3, vcc_lo
	v_cmp_gt_u32_e32 vcc_lo, 28, v2
	v_add_nc_u32_e32 v1, v3, v1
	ds_bpermute_b32 v3, v5, v1
	v_add_nc_u32_e32 v6, 2, v2
	v_cndmask_b32_e64 v5, 0, 1, vcc_lo
	s_delay_alu instid0(VALU_DEP_2) | instskip(NEXT) | instid1(VALU_DEP_2)
	v_cmp_lt_u32_e32 vcc_lo, v6, v4
	v_lshlrev_b32_e32 v5, 2, v5
	s_delay_alu instid0(VALU_DEP_1) | instskip(SKIP_3) | instid1(VALU_DEP_2)
	v_add_lshl_u32 v5, v5, v2, 2
	s_waitcnt lgkmcnt(0)
	v_cndmask_b32_e32 v3, 0, v3, vcc_lo
	v_cmp_gt_u32_e32 vcc_lo, 24, v2
	v_add_nc_u32_e32 v1, v1, v3
	ds_bpermute_b32 v3, v5, v1
	v_add_nc_u32_e32 v6, 4, v2
	v_cndmask_b32_e64 v5, 0, 1, vcc_lo
	s_delay_alu instid0(VALU_DEP_2) | instskip(NEXT) | instid1(VALU_DEP_2)
	v_cmp_lt_u32_e32 vcc_lo, v6, v4
	v_lshlrev_b32_e32 v5, 3, v5
	s_delay_alu instid0(VALU_DEP_1) | instskip(SKIP_3) | instid1(VALU_DEP_2)
	v_add_lshl_u32 v5, v5, v2, 2
	s_waitcnt lgkmcnt(0)
	v_cndmask_b32_e32 v3, 0, v3, vcc_lo
	v_cmp_gt_u32_e32 vcc_lo, 16, v2
	v_add_nc_u32_e32 v1, v1, v3
	ds_bpermute_b32 v3, v5, v1
	v_add_nc_u32_e32 v6, 8, v2
	v_cndmask_b32_e64 v5, 0, 1, vcc_lo
	s_delay_alu instid0(VALU_DEP_2) | instskip(NEXT) | instid1(VALU_DEP_2)
	v_cmp_lt_u32_e32 vcc_lo, v6, v4
	v_lshlrev_b32_e32 v5, 4, v5
	s_delay_alu instid0(VALU_DEP_1) | instskip(SKIP_2) | instid1(VALU_DEP_1)
	v_add_lshl_u32 v5, v5, v2, 2
	s_waitcnt lgkmcnt(0)
	v_cndmask_b32_e32 v3, 0, v3, vcc_lo
	v_add_nc_u32_e32 v1, v1, v3
	ds_bpermute_b32 v3, v5, v1
	v_add_nc_u32_e32 v5, 16, v2
	s_delay_alu instid0(VALU_DEP_1) | instskip(SKIP_2) | instid1(VALU_DEP_1)
	v_cmp_lt_u32_e32 vcc_lo, v5, v4
	s_waitcnt lgkmcnt(0)
	v_cndmask_b32_e32 v3, 0, v3, vcc_lo
	v_add_nc_u32_e32 v1, v1, v3
	v_cmpx_eq_u32_e32 0, v2
	s_cbranch_execz .LBB796_610
; %bb.609:
	v_lshrrev_b32_e32 v3, 3, v0
	s_delay_alu instid0(VALU_DEP_1)
	v_and_b32_e32 v3, 12, v3
	ds_store_b32 v3, v1 offset:128
.LBB796_610:
	s_or_b32 exec_lo, exec_lo, s3
	s_delay_alu instid0(SALU_CYCLE_1)
	s_mov_b32 s3, exec_lo
	s_waitcnt lgkmcnt(0)
	s_barrier
	buffer_gl0_inv
	v_cmpx_gt_u32_e32 4, v0
	s_cbranch_execz .LBB796_612
; %bb.611:
	v_and_b32_e32 v3, 3, v2
	s_add_i32 s2, s2, 31
	s_delay_alu instid0(SALU_CYCLE_1) | instskip(NEXT) | instid1(VALU_DEP_1)
	s_lshr_b32 s2, s2, 5
	v_cmp_ne_u32_e32 vcc_lo, 3, v3
	v_add_nc_u32_e32 v5, 1, v3
	v_add_co_ci_u32_e32 v4, vcc_lo, 0, v2, vcc_lo
	v_cmp_gt_u32_e32 vcc_lo, 2, v3
	v_add_nc_u32_e32 v3, 2, v3
	s_delay_alu instid0(VALU_DEP_3) | instskip(SKIP_3) | instid1(VALU_DEP_3)
	v_lshlrev_b32_e32 v4, 2, v4
	v_cndmask_b32_e64 v6, 0, 1, vcc_lo
	v_cmp_gt_u32_e32 vcc_lo, s2, v5
	v_lshlrev_b32_e32 v1, 2, v2
	v_lshlrev_b32_e32 v5, 1, v6
	ds_load_b32 v1, v1 offset:128
	v_add_lshl_u32 v2, v5, v2, 2
	s_waitcnt lgkmcnt(0)
	ds_bpermute_b32 v4, v4, v1
	s_waitcnt lgkmcnt(0)
	v_cndmask_b32_e32 v4, 0, v4, vcc_lo
	v_cmp_gt_u32_e32 vcc_lo, s2, v3
	s_delay_alu instid0(VALU_DEP_2) | instskip(SKIP_3) | instid1(VALU_DEP_1)
	v_add_nc_u32_e32 v1, v4, v1
	ds_bpermute_b32 v2, v2, v1
	s_waitcnt lgkmcnt(0)
	v_cndmask_b32_e32 v2, 0, v2, vcc_lo
	v_add_nc_u32_e32 v1, v1, v2
.LBB796_612:
	s_or_b32 exec_lo, exec_lo, s3
.LBB796_613:
	v_cmp_eq_u32_e64 s2, 0, v0
	s_branch .LBB796_623
.LBB796_614:
	s_cmp_gt_i32 s26, 1
	s_cbranch_scc0 .LBB796_622
; %bb.615:
	s_cmp_eq_u32 s26, 2
	s_cbranch_scc0 .LBB796_626
; %bb.616:
	s_mov_b32 s19, 0
	s_lshl_b32 s6, s18, 8
	s_mov_b32 s7, s19
	s_lshr_b64 s[8:9], s[20:21], 8
	s_lshl_b64 s[2:3], s[6:7], 1
	s_delay_alu instid0(SALU_CYCLE_1)
	s_add_u32 s4, s24, s2
	s_addc_u32 s5, s25, s3
	s_cmp_lg_u64 s[8:9], s[18:19]
	s_cbranch_scc0 .LBB796_627
; %bb.617:
	v_lshlrev_b32_e32 v1, 1, v0
	s_clause 0x1
	global_load_u16 v2, v1, s[4:5]
	global_load_u16 v1, v1, s[4:5] offset:256
	s_waitcnt vmcnt(1)
	v_and_b32_e32 v2, 0x7fff, v2
	s_waitcnt vmcnt(0)
	v_and_b32_e32 v1, 0x7fff, v1
	s_delay_alu instid0(VALU_DEP_2) | instskip(SKIP_1) | instid1(VALU_DEP_3)
	v_cmp_ne_u16_e32 vcc_lo, 0, v2
	v_cndmask_b32_e64 v2, 0, 1, vcc_lo
	v_cmp_ne_u16_e32 vcc_lo, 0, v1
	s_delay_alu instid0(VALU_DEP_2) | instskip(SKIP_1) | instid1(VALU_DEP_1)
	v_add_co_ci_u32_e64 v1, s2, 0, v2, vcc_lo
	s_mov_b32 s2, exec_lo
	v_mov_b32_dpp v1, v1 quad_perm:[1,0,3,2] row_mask:0xf bank_mask:0xf
	s_delay_alu instid0(VALU_DEP_1) | instskip(NEXT) | instid1(VALU_DEP_1)
	v_add_co_ci_u32_e32 v1, vcc_lo, v1, v2, vcc_lo
	v_mov_b32_dpp v2, v1 quad_perm:[2,3,0,1] row_mask:0xf bank_mask:0xf
	s_delay_alu instid0(VALU_DEP_1) | instskip(NEXT) | instid1(VALU_DEP_1)
	v_add_nc_u32_e32 v1, v1, v2
	v_mov_b32_dpp v2, v1 row_ror:4 row_mask:0xf bank_mask:0xf
	s_delay_alu instid0(VALU_DEP_1) | instskip(NEXT) | instid1(VALU_DEP_1)
	v_add_nc_u32_e32 v1, v1, v2
	v_mov_b32_dpp v2, v1 row_ror:8 row_mask:0xf bank_mask:0xf
	s_delay_alu instid0(VALU_DEP_1)
	v_add_nc_u32_e32 v1, v1, v2
	ds_swizzle_b32 v2, v1 offset:swizzle(BROADCAST,32,15)
	s_waitcnt lgkmcnt(0)
	v_dual_mov_b32 v2, 0 :: v_dual_add_nc_u32 v1, v1, v2
	ds_bpermute_b32 v1, v2, v1 offset:124
	v_mbcnt_lo_u32_b32 v2, -1, 0
	s_delay_alu instid0(VALU_DEP_1)
	v_cmpx_eq_u32_e32 0, v2
	s_cbranch_execz .LBB796_619
; %bb.618:
	v_lshrrev_b32_e32 v3, 3, v0
	s_delay_alu instid0(VALU_DEP_1)
	v_and_b32_e32 v3, 12, v3
	s_waitcnt lgkmcnt(0)
	ds_store_b32 v3, v1 offset:48
.LBB796_619:
	s_or_b32 exec_lo, exec_lo, s2
	s_delay_alu instid0(SALU_CYCLE_1)
	s_mov_b32 s2, exec_lo
	s_waitcnt lgkmcnt(0)
	s_barrier
	buffer_gl0_inv
	v_cmpx_gt_u32_e32 32, v0
	s_cbranch_execz .LBB796_621
; %bb.620:
	v_and_b32_e32 v1, 3, v2
	s_delay_alu instid0(VALU_DEP_1) | instskip(SKIP_4) | instid1(VALU_DEP_2)
	v_lshlrev_b32_e32 v3, 2, v1
	v_cmp_ne_u32_e32 vcc_lo, 3, v1
	ds_load_b32 v3, v3 offset:48
	v_add_co_ci_u32_e32 v4, vcc_lo, 0, v2, vcc_lo
	v_cmp_gt_u32_e32 vcc_lo, 2, v1
	v_lshlrev_b32_e32 v4, 2, v4
	v_cndmask_b32_e64 v1, 0, 1, vcc_lo
	s_delay_alu instid0(VALU_DEP_1) | instskip(NEXT) | instid1(VALU_DEP_1)
	v_lshlrev_b32_e32 v1, 1, v1
	v_add_lshl_u32 v1, v1, v2, 2
	s_waitcnt lgkmcnt(0)
	ds_bpermute_b32 v4, v4, v3
	s_waitcnt lgkmcnt(0)
	v_add_nc_u32_e32 v3, v4, v3
	ds_bpermute_b32 v1, v1, v3
	s_waitcnt lgkmcnt(0)
	v_add_nc_u32_e32 v1, v1, v3
.LBB796_621:
	s_or_b32 exec_lo, exec_lo, s2
	s_mov_b32 s2, 0
	s_branch .LBB796_628
.LBB796_622:
                                        ; implicit-def: $vgpr1
	s_cbranch_execnz .LBB796_639
.LBB796_623:
	s_delay_alu instid0(VALU_DEP_1)
	s_and_saveexec_b32 s3, s2
	s_cbranch_execz .LBB796_625
.LBB796_624:
	s_load_b32 s2, s[0:1], 0x28
	s_cmp_lg_u64 s[20:21], 0
	s_cselect_b32 vcc_lo, -1, 0
	s_lshl_b64 s[0:1], s[18:19], 2
	v_dual_cndmask_b32 v0, 0, v1 :: v_dual_mov_b32 v1, 0
	s_add_u32 s0, s22, s0
	s_addc_u32 s1, s23, s1
	s_waitcnt lgkmcnt(0)
	s_delay_alu instid0(VALU_DEP_1)
	v_add_nc_u32_e32 v0, s2, v0
	global_store_b32 v1, v0, s[0:1]
.LBB796_625:
	s_nop 0
	s_sendmsg sendmsg(MSG_DEALLOC_VGPRS)
	s_endpgm
.LBB796_626:
                                        ; implicit-def: $vgpr1
	s_branch .LBB796_623
.LBB796_627:
	s_mov_b32 s2, -1
                                        ; implicit-def: $vgpr1
.LBB796_628:
	s_delay_alu instid0(SALU_CYCLE_1)
	s_and_b32 vcc_lo, exec_lo, s2
	s_cbranch_vccz .LBB796_638
; %bb.629:
	s_sub_i32 s3, s20, s6
	s_mov_b32 s2, exec_lo
                                        ; implicit-def: $vgpr1_vgpr2
	v_cmpx_gt_u32_e64 s3, v0
	s_cbranch_execz .LBB796_631
; %bb.630:
	v_lshlrev_b32_e32 v1, 1, v0
	global_load_u16 v1, v1, s[4:5]
	s_waitcnt vmcnt(0)
	v_and_b32_e32 v1, 0x7fff, v1
	s_delay_alu instid0(VALU_DEP_1)
	v_cmp_ne_u16_e32 vcc_lo, 0, v1
	v_cndmask_b32_e64 v1, 0, 1, vcc_lo
.LBB796_631:
	s_or_b32 exec_lo, exec_lo, s2
	v_or_b32_e32 v3, 0x80, v0
	s_delay_alu instid0(VALU_DEP_1)
	v_cmp_gt_u32_e32 vcc_lo, s3, v3
	s_and_saveexec_b32 s6, vcc_lo
	s_cbranch_execz .LBB796_633
; %bb.632:
	v_lshlrev_b32_e32 v2, 1, v0
	global_load_u16 v2, v2, s[4:5] offset:256
	s_waitcnt vmcnt(0)
	v_and_b32_e32 v2, 0x7fff, v2
	s_delay_alu instid0(VALU_DEP_1) | instskip(NEXT) | instid1(VALU_DEP_1)
	v_cmp_ne_u16_e64 s2, 0, v2
	v_cndmask_b32_e64 v2, 0, 1, s2
.LBB796_633:
	s_or_b32 exec_lo, exec_lo, s6
	v_mbcnt_lo_u32_b32 v3, -1, 0
	s_delay_alu instid0(VALU_DEP_2) | instskip(SKIP_2) | instid1(VALU_DEP_2)
	v_cndmask_b32_e32 v2, 0, v2, vcc_lo
	s_min_u32 s2, s3, 0x80
	s_mov_b32 s3, exec_lo
	v_cmp_ne_u32_e32 vcc_lo, 31, v3
	v_add_nc_u32_e32 v6, 1, v3
	v_add_co_ci_u32_e32 v4, vcc_lo, 0, v3, vcc_lo
	v_cmp_gt_u32_e32 vcc_lo, 30, v3
	v_cndmask_b32_e64 v5, 0, 1, vcc_lo
	s_delay_alu instid0(VALU_DEP_1) | instskip(SKIP_3) | instid1(VALU_DEP_4)
	v_lshlrev_b32_e32 v5, 1, v5
	v_add_nc_u32_e32 v1, v2, v1
	v_lshlrev_b32_e32 v2, 2, v4
	v_and_b32_e32 v4, 0x60, v0
	v_add_lshl_u32 v5, v5, v3, 2
	ds_bpermute_b32 v2, v2, v1
	v_sub_nc_u32_e64 v4, s2, v4 clamp
	s_delay_alu instid0(VALU_DEP_1) | instskip(SKIP_4) | instid1(VALU_DEP_2)
	v_cmp_lt_u32_e32 vcc_lo, v6, v4
	v_add_nc_u32_e32 v6, 2, v3
	s_waitcnt lgkmcnt(0)
	v_cndmask_b32_e32 v2, 0, v2, vcc_lo
	v_cmp_gt_u32_e32 vcc_lo, 28, v3
	v_add_nc_u32_e32 v1, v2, v1
	ds_bpermute_b32 v2, v5, v1
	v_cndmask_b32_e64 v5, 0, 1, vcc_lo
	v_cmp_lt_u32_e32 vcc_lo, v6, v4
	v_add_nc_u32_e32 v6, 4, v3
	s_delay_alu instid0(VALU_DEP_3) | instskip(NEXT) | instid1(VALU_DEP_1)
	v_lshlrev_b32_e32 v5, 2, v5
	v_add_lshl_u32 v5, v5, v3, 2
	s_waitcnt lgkmcnt(0)
	v_cndmask_b32_e32 v2, 0, v2, vcc_lo
	v_cmp_gt_u32_e32 vcc_lo, 24, v3
	s_delay_alu instid0(VALU_DEP_2) | instskip(SKIP_4) | instid1(VALU_DEP_3)
	v_add_nc_u32_e32 v1, v1, v2
	ds_bpermute_b32 v2, v5, v1
	v_cndmask_b32_e64 v5, 0, 1, vcc_lo
	v_cmp_lt_u32_e32 vcc_lo, v6, v4
	v_add_nc_u32_e32 v6, 8, v3
	v_lshlrev_b32_e32 v5, 3, v5
	s_delay_alu instid0(VALU_DEP_1) | instskip(SKIP_3) | instid1(VALU_DEP_2)
	v_add_lshl_u32 v5, v5, v3, 2
	s_waitcnt lgkmcnt(0)
	v_cndmask_b32_e32 v2, 0, v2, vcc_lo
	v_cmp_gt_u32_e32 vcc_lo, 16, v3
	v_add_nc_u32_e32 v1, v1, v2
	ds_bpermute_b32 v2, v5, v1
	v_cndmask_b32_e64 v5, 0, 1, vcc_lo
	v_cmp_lt_u32_e32 vcc_lo, v6, v4
	s_delay_alu instid0(VALU_DEP_2) | instskip(NEXT) | instid1(VALU_DEP_1)
	v_lshlrev_b32_e32 v5, 4, v5
	v_add_lshl_u32 v5, v5, v3, 2
	s_waitcnt lgkmcnt(0)
	v_cndmask_b32_e32 v2, 0, v2, vcc_lo
	s_delay_alu instid0(VALU_DEP_1) | instskip(SKIP_2) | instid1(VALU_DEP_1)
	v_add_nc_u32_e32 v1, v1, v2
	ds_bpermute_b32 v2, v5, v1
	v_add_nc_u32_e32 v5, 16, v3
	v_cmp_lt_u32_e32 vcc_lo, v5, v4
	s_waitcnt lgkmcnt(0)
	v_cndmask_b32_e32 v2, 0, v2, vcc_lo
	s_delay_alu instid0(VALU_DEP_1)
	v_add_nc_u32_e32 v1, v1, v2
	v_cmpx_eq_u32_e32 0, v3
	s_cbranch_execz .LBB796_635
; %bb.634:
	v_lshrrev_b32_e32 v2, 3, v0
	s_delay_alu instid0(VALU_DEP_1)
	v_and_b32_e32 v2, 12, v2
	ds_store_b32 v2, v1 offset:128
.LBB796_635:
	s_or_b32 exec_lo, exec_lo, s3
	s_delay_alu instid0(SALU_CYCLE_1)
	s_mov_b32 s3, exec_lo
	s_waitcnt lgkmcnt(0)
	s_barrier
	buffer_gl0_inv
	v_cmpx_gt_u32_e32 4, v0
	s_cbranch_execz .LBB796_637
; %bb.636:
	v_and_b32_e32 v2, 3, v3
	s_add_i32 s2, s2, 31
	s_delay_alu instid0(SALU_CYCLE_1) | instskip(NEXT) | instid1(VALU_DEP_1)
	s_lshr_b32 s2, s2, 5
	v_cmp_ne_u32_e32 vcc_lo, 3, v2
	v_add_nc_u32_e32 v5, 1, v2
	v_add_co_ci_u32_e32 v4, vcc_lo, 0, v3, vcc_lo
	v_cmp_gt_u32_e32 vcc_lo, 2, v2
	v_add_nc_u32_e32 v2, 2, v2
	s_delay_alu instid0(VALU_DEP_3) | instskip(SKIP_3) | instid1(VALU_DEP_3)
	v_lshlrev_b32_e32 v4, 2, v4
	v_cndmask_b32_e64 v6, 0, 1, vcc_lo
	v_cmp_gt_u32_e32 vcc_lo, s2, v5
	v_lshlrev_b32_e32 v1, 2, v3
	v_lshlrev_b32_e32 v5, 1, v6
	ds_load_b32 v1, v1 offset:128
	v_add_lshl_u32 v3, v5, v3, 2
	s_waitcnt lgkmcnt(0)
	ds_bpermute_b32 v4, v4, v1
	s_waitcnt lgkmcnt(0)
	v_cndmask_b32_e32 v4, 0, v4, vcc_lo
	v_cmp_gt_u32_e32 vcc_lo, s2, v2
	s_delay_alu instid0(VALU_DEP_2) | instskip(SKIP_3) | instid1(VALU_DEP_1)
	v_add_nc_u32_e32 v1, v4, v1
	ds_bpermute_b32 v3, v3, v1
	s_waitcnt lgkmcnt(0)
	v_cndmask_b32_e32 v2, 0, v3, vcc_lo
	v_add_nc_u32_e32 v1, v1, v2
.LBB796_637:
	s_or_b32 exec_lo, exec_lo, s3
.LBB796_638:
	v_cmp_eq_u32_e64 s2, 0, v0
	s_branch .LBB796_623
.LBB796_639:
	s_cmp_eq_u32 s26, 1
	s_cbranch_scc0 .LBB796_647
; %bb.640:
	s_mov_b32 s5, 0
	v_mbcnt_lo_u32_b32 v2, -1, 0
	s_lshr_b64 s[2:3], s[20:21], 7
	s_mov_b32 s19, s5
	s_lshl_b32 s4, s18, 7
	s_cmp_lg_u64 s[2:3], s[18:19]
	s_cbranch_scc0 .LBB796_648
; %bb.641:
	s_lshl_b64 s[2:3], s[4:5], 1
	v_lshlrev_b32_e32 v1, 1, v0
	s_add_u32 s2, s24, s2
	s_addc_u32 s3, s25, s3
	global_load_u16 v1, v1, s[2:3]
	s_waitcnt vmcnt(0)
	v_and_b32_e32 v1, 0x7fff, v1
	s_delay_alu instid0(VALU_DEP_1) | instskip(SKIP_1) | instid1(VALU_DEP_1)
	v_cmp_ne_u16_e32 vcc_lo, 0, v1
	v_cndmask_b32_e64 v1, 0, 1, vcc_lo
	v_mov_b32_dpp v1, v1 quad_perm:[1,0,3,2] row_mask:0xf bank_mask:0xf
	s_delay_alu instid0(VALU_DEP_1) | instskip(SKIP_1) | instid1(VALU_DEP_1)
	v_add_co_ci_u32_e64 v3, s2, 0, v1, vcc_lo
	s_mov_b32 s2, exec_lo
	v_mov_b32_dpp v3, v3 quad_perm:[2,3,0,1] row_mask:0xf bank_mask:0xf
	s_delay_alu instid0(VALU_DEP_1) | instskip(NEXT) | instid1(VALU_DEP_1)
	v_add_co_ci_u32_e32 v1, vcc_lo, v3, v1, vcc_lo
	v_mov_b32_dpp v3, v1 row_ror:4 row_mask:0xf bank_mask:0xf
	s_delay_alu instid0(VALU_DEP_1) | instskip(NEXT) | instid1(VALU_DEP_1)
	v_add_nc_u32_e32 v1, v1, v3
	v_mov_b32_dpp v3, v1 row_ror:8 row_mask:0xf bank_mask:0xf
	s_delay_alu instid0(VALU_DEP_1)
	v_add_nc_u32_e32 v1, v1, v3
	ds_swizzle_b32 v3, v1 offset:swizzle(BROADCAST,32,15)
	s_waitcnt lgkmcnt(0)
	v_add_nc_u32_e32 v1, v1, v3
	v_mov_b32_e32 v3, 0
	ds_bpermute_b32 v1, v3, v1 offset:124
	v_cmpx_eq_u32_e32 0, v2
	s_cbranch_execz .LBB796_643
; %bb.642:
	v_lshrrev_b32_e32 v3, 3, v0
	s_delay_alu instid0(VALU_DEP_1)
	v_and_b32_e32 v3, 12, v3
	s_waitcnt lgkmcnt(0)
	ds_store_b32 v3, v1 offset:32
.LBB796_643:
	s_or_b32 exec_lo, exec_lo, s2
	s_delay_alu instid0(SALU_CYCLE_1)
	s_mov_b32 s2, exec_lo
	s_waitcnt lgkmcnt(0)
	s_barrier
	buffer_gl0_inv
	v_cmpx_gt_u32_e32 32, v0
	s_cbranch_execz .LBB796_645
; %bb.644:
	v_and_b32_e32 v1, 3, v2
	s_delay_alu instid0(VALU_DEP_1) | instskip(SKIP_4) | instid1(VALU_DEP_2)
	v_lshlrev_b32_e32 v3, 2, v1
	v_cmp_ne_u32_e32 vcc_lo, 3, v1
	ds_load_b32 v3, v3 offset:32
	v_add_co_ci_u32_e32 v4, vcc_lo, 0, v2, vcc_lo
	v_cmp_gt_u32_e32 vcc_lo, 2, v1
	v_lshlrev_b32_e32 v4, 2, v4
	v_cndmask_b32_e64 v1, 0, 1, vcc_lo
	s_delay_alu instid0(VALU_DEP_1) | instskip(NEXT) | instid1(VALU_DEP_1)
	v_lshlrev_b32_e32 v1, 1, v1
	v_add_lshl_u32 v1, v1, v2, 2
	s_waitcnt lgkmcnt(0)
	ds_bpermute_b32 v4, v4, v3
	s_waitcnt lgkmcnt(0)
	v_add_nc_u32_e32 v3, v4, v3
	ds_bpermute_b32 v1, v1, v3
	s_waitcnt lgkmcnt(0)
	v_add_nc_u32_e32 v1, v1, v3
.LBB796_645:
	s_or_b32 exec_lo, exec_lo, s2
.LBB796_646:
	v_cmp_eq_u32_e64 s2, 0, v0
	s_delay_alu instid0(VALU_DEP_1)
	s_and_saveexec_b32 s3, s2
	s_cbranch_execnz .LBB796_624
	s_branch .LBB796_625
.LBB796_647:
                                        ; implicit-def: $sgpr18_sgpr19
                                        ; implicit-def: $vgpr1
	s_and_saveexec_b32 s3, s2
	s_cbranch_execz .LBB796_625
	s_branch .LBB796_624
.LBB796_648:
                                        ; implicit-def: $vgpr1
	s_cbranch_execz .LBB796_646
; %bb.649:
	s_sub_i32 s2, s20, s4
	s_mov_b32 s3, exec_lo
                                        ; implicit-def: $vgpr1
	v_cmpx_gt_u32_e64 s2, v0
	s_cbranch_execz .LBB796_651
; %bb.650:
	s_lshl_b64 s[4:5], s[4:5], 1
	v_lshlrev_b32_e32 v1, 1, v0
	s_add_u32 s4, s24, s4
	s_addc_u32 s5, s25, s5
	global_load_u16 v1, v1, s[4:5]
	s_waitcnt vmcnt(0)
	v_and_b32_e32 v1, 0x7fff, v1
	s_delay_alu instid0(VALU_DEP_1)
	v_cmp_ne_u16_e32 vcc_lo, 0, v1
	v_cndmask_b32_e64 v1, 0, 1, vcc_lo
.LBB796_651:
	s_or_b32 exec_lo, exec_lo, s3
	v_cmp_ne_u32_e32 vcc_lo, 31, v2
	s_min_u32 s2, s2, 0x80
	v_add_nc_u32_e32 v5, 1, v2
	s_mov_b32 s3, exec_lo
	v_add_co_ci_u32_e32 v3, vcc_lo, 0, v2, vcc_lo
	v_cmp_gt_u32_e32 vcc_lo, 30, v2
	s_delay_alu instid0(VALU_DEP_2) | instskip(SKIP_4) | instid1(VALU_DEP_2)
	v_lshlrev_b32_e32 v3, 2, v3
	v_cndmask_b32_e64 v6, 0, 1, vcc_lo
	ds_bpermute_b32 v3, v3, v1
	v_and_b32_e32 v4, 0x60, v0
	v_lshlrev_b32_e32 v6, 1, v6
	v_sub_nc_u32_e64 v4, s2, v4 clamp
	s_delay_alu instid0(VALU_DEP_1) | instskip(NEXT) | instid1(VALU_DEP_3)
	v_cmp_lt_u32_e32 vcc_lo, v5, v4
	v_add_lshl_u32 v5, v6, v2, 2
	s_waitcnt lgkmcnt(0)
	v_dual_cndmask_b32 v3, 0, v3 :: v_dual_add_nc_u32 v6, 2, v2
	v_cmp_gt_u32_e32 vcc_lo, 28, v2
	s_delay_alu instid0(VALU_DEP_2) | instskip(SKIP_4) | instid1(VALU_DEP_3)
	v_add_nc_u32_e32 v1, v3, v1
	ds_bpermute_b32 v3, v5, v1
	v_cndmask_b32_e64 v5, 0, 1, vcc_lo
	v_cmp_lt_u32_e32 vcc_lo, v6, v4
	v_add_nc_u32_e32 v6, 4, v2
	v_lshlrev_b32_e32 v5, 2, v5
	s_delay_alu instid0(VALU_DEP_1) | instskip(SKIP_3) | instid1(VALU_DEP_2)
	v_add_lshl_u32 v5, v5, v2, 2
	s_waitcnt lgkmcnt(0)
	v_cndmask_b32_e32 v3, 0, v3, vcc_lo
	v_cmp_gt_u32_e32 vcc_lo, 24, v2
	v_add_nc_u32_e32 v1, v1, v3
	ds_bpermute_b32 v3, v5, v1
	v_cndmask_b32_e64 v5, 0, 1, vcc_lo
	v_cmp_lt_u32_e32 vcc_lo, v6, v4
	v_add_nc_u32_e32 v6, 8, v2
	s_delay_alu instid0(VALU_DEP_3) | instskip(NEXT) | instid1(VALU_DEP_1)
	v_lshlrev_b32_e32 v5, 3, v5
	v_add_lshl_u32 v5, v5, v2, 2
	s_waitcnt lgkmcnt(0)
	v_cndmask_b32_e32 v3, 0, v3, vcc_lo
	v_cmp_gt_u32_e32 vcc_lo, 16, v2
	s_delay_alu instid0(VALU_DEP_2) | instskip(SKIP_3) | instid1(VALU_DEP_2)
	v_add_nc_u32_e32 v1, v1, v3
	ds_bpermute_b32 v3, v5, v1
	v_cndmask_b32_e64 v5, 0, 1, vcc_lo
	v_cmp_lt_u32_e32 vcc_lo, v6, v4
	v_lshlrev_b32_e32 v5, 4, v5
	s_delay_alu instid0(VALU_DEP_1) | instskip(SKIP_2) | instid1(VALU_DEP_1)
	v_add_lshl_u32 v5, v5, v2, 2
	s_waitcnt lgkmcnt(0)
	v_cndmask_b32_e32 v3, 0, v3, vcc_lo
	v_add_nc_u32_e32 v1, v1, v3
	ds_bpermute_b32 v3, v5, v1
	v_add_nc_u32_e32 v5, 16, v2
	s_delay_alu instid0(VALU_DEP_1) | instskip(SKIP_2) | instid1(VALU_DEP_1)
	v_cmp_lt_u32_e32 vcc_lo, v5, v4
	s_waitcnt lgkmcnt(0)
	v_cndmask_b32_e32 v3, 0, v3, vcc_lo
	v_add_nc_u32_e32 v1, v1, v3
	v_cmpx_eq_u32_e32 0, v2
	s_cbranch_execz .LBB796_653
; %bb.652:
	v_lshrrev_b32_e32 v3, 3, v0
	s_delay_alu instid0(VALU_DEP_1)
	v_and_b32_e32 v3, 12, v3
	ds_store_b32 v3, v1 offset:128
.LBB796_653:
	s_or_b32 exec_lo, exec_lo, s3
	s_delay_alu instid0(SALU_CYCLE_1)
	s_mov_b32 s3, exec_lo
	s_waitcnt lgkmcnt(0)
	s_barrier
	buffer_gl0_inv
	v_cmpx_gt_u32_e32 4, v0
	s_cbranch_execz .LBB796_655
; %bb.654:
	v_and_b32_e32 v3, 3, v2
	s_add_i32 s2, s2, 31
	s_delay_alu instid0(SALU_CYCLE_1) | instskip(NEXT) | instid1(VALU_DEP_1)
	s_lshr_b32 s2, s2, 5
	v_cmp_ne_u32_e32 vcc_lo, 3, v3
	v_add_nc_u32_e32 v5, 1, v3
	v_add_co_ci_u32_e32 v4, vcc_lo, 0, v2, vcc_lo
	v_cmp_gt_u32_e32 vcc_lo, 2, v3
	v_add_nc_u32_e32 v3, 2, v3
	s_delay_alu instid0(VALU_DEP_3) | instskip(SKIP_3) | instid1(VALU_DEP_3)
	v_lshlrev_b32_e32 v4, 2, v4
	v_cndmask_b32_e64 v6, 0, 1, vcc_lo
	v_cmp_gt_u32_e32 vcc_lo, s2, v5
	v_lshlrev_b32_e32 v1, 2, v2
	v_lshlrev_b32_e32 v5, 1, v6
	ds_load_b32 v1, v1 offset:128
	v_add_lshl_u32 v2, v5, v2, 2
	s_waitcnt lgkmcnt(0)
	ds_bpermute_b32 v4, v4, v1
	s_waitcnt lgkmcnt(0)
	v_cndmask_b32_e32 v4, 0, v4, vcc_lo
	v_cmp_gt_u32_e32 vcc_lo, s2, v3
	s_delay_alu instid0(VALU_DEP_2) | instskip(SKIP_3) | instid1(VALU_DEP_1)
	v_add_nc_u32_e32 v1, v4, v1
	ds_bpermute_b32 v2, v2, v1
	s_waitcnt lgkmcnt(0)
	v_cndmask_b32_e32 v2, 0, v2, vcc_lo
	v_add_nc_u32_e32 v1, v1, v2
.LBB796_655:
	s_or_b32 exec_lo, exec_lo, s3
	v_cmp_eq_u32_e64 s2, 0, v0
	s_delay_alu instid0(VALU_DEP_1)
	s_and_saveexec_b32 s3, s2
	s_cbranch_execnz .LBB796_624
	s_branch .LBB796_625
	.section	.rodata,"a",@progbits
	.p2align	6, 0x0
	.amdhsa_kernel _ZN7rocprim17ROCPRIM_400000_NS6detail17trampoline_kernelINS0_14default_configENS1_22reduce_config_selectorIbEEZNS1_11reduce_implILb1ES3_N6hipcub16HIPCUB_304000_NS22TransformInputIteratorIbN2at6native12_GLOBAL__N_19NonZeroOpIN3c108BFloat16EEEPKSF_lEEPiiNS8_6detail34convert_binary_result_type_wrapperINS8_3SumESJ_iEEEE10hipError_tPvRmT1_T2_T3_mT4_P12ihipStream_tbEUlT_E1_NS1_11comp_targetILNS1_3genE9ELNS1_11target_archE1100ELNS1_3gpuE3ELNS1_3repE0EEENS1_30default_config_static_selectorELNS0_4arch9wavefront6targetE0EEEvSS_
		.amdhsa_group_segment_fixed_size 144
		.amdhsa_private_segment_fixed_size 0
		.amdhsa_kernarg_size 48
		.amdhsa_user_sgpr_count 15
		.amdhsa_user_sgpr_dispatch_ptr 0
		.amdhsa_user_sgpr_queue_ptr 0
		.amdhsa_user_sgpr_kernarg_segment_ptr 1
		.amdhsa_user_sgpr_dispatch_id 0
		.amdhsa_user_sgpr_private_segment_size 0
		.amdhsa_wavefront_size32 1
		.amdhsa_uses_dynamic_stack 0
		.amdhsa_enable_private_segment 0
		.amdhsa_system_sgpr_workgroup_id_x 1
		.amdhsa_system_sgpr_workgroup_id_y 0
		.amdhsa_system_sgpr_workgroup_id_z 0
		.amdhsa_system_sgpr_workgroup_info 0
		.amdhsa_system_vgpr_workitem_id 0
		.amdhsa_next_free_vgpr 130
		.amdhsa_next_free_sgpr 29
		.amdhsa_reserve_vcc 1
		.amdhsa_float_round_mode_32 0
		.amdhsa_float_round_mode_16_64 0
		.amdhsa_float_denorm_mode_32 3
		.amdhsa_float_denorm_mode_16_64 3
		.amdhsa_dx10_clamp 1
		.amdhsa_ieee_mode 1
		.amdhsa_fp16_overflow 0
		.amdhsa_workgroup_processor_mode 1
		.amdhsa_memory_ordered 1
		.amdhsa_forward_progress 0
		.amdhsa_shared_vgpr_count 0
		.amdhsa_exception_fp_ieee_invalid_op 0
		.amdhsa_exception_fp_denorm_src 0
		.amdhsa_exception_fp_ieee_div_zero 0
		.amdhsa_exception_fp_ieee_overflow 0
		.amdhsa_exception_fp_ieee_underflow 0
		.amdhsa_exception_fp_ieee_inexact 0
		.amdhsa_exception_int_div_zero 0
	.end_amdhsa_kernel
	.section	.text._ZN7rocprim17ROCPRIM_400000_NS6detail17trampoline_kernelINS0_14default_configENS1_22reduce_config_selectorIbEEZNS1_11reduce_implILb1ES3_N6hipcub16HIPCUB_304000_NS22TransformInputIteratorIbN2at6native12_GLOBAL__N_19NonZeroOpIN3c108BFloat16EEEPKSF_lEEPiiNS8_6detail34convert_binary_result_type_wrapperINS8_3SumESJ_iEEEE10hipError_tPvRmT1_T2_T3_mT4_P12ihipStream_tbEUlT_E1_NS1_11comp_targetILNS1_3genE9ELNS1_11target_archE1100ELNS1_3gpuE3ELNS1_3repE0EEENS1_30default_config_static_selectorELNS0_4arch9wavefront6targetE0EEEvSS_,"axG",@progbits,_ZN7rocprim17ROCPRIM_400000_NS6detail17trampoline_kernelINS0_14default_configENS1_22reduce_config_selectorIbEEZNS1_11reduce_implILb1ES3_N6hipcub16HIPCUB_304000_NS22TransformInputIteratorIbN2at6native12_GLOBAL__N_19NonZeroOpIN3c108BFloat16EEEPKSF_lEEPiiNS8_6detail34convert_binary_result_type_wrapperINS8_3SumESJ_iEEEE10hipError_tPvRmT1_T2_T3_mT4_P12ihipStream_tbEUlT_E1_NS1_11comp_targetILNS1_3genE9ELNS1_11target_archE1100ELNS1_3gpuE3ELNS1_3repE0EEENS1_30default_config_static_selectorELNS0_4arch9wavefront6targetE0EEEvSS_,comdat
.Lfunc_end796:
	.size	_ZN7rocprim17ROCPRIM_400000_NS6detail17trampoline_kernelINS0_14default_configENS1_22reduce_config_selectorIbEEZNS1_11reduce_implILb1ES3_N6hipcub16HIPCUB_304000_NS22TransformInputIteratorIbN2at6native12_GLOBAL__N_19NonZeroOpIN3c108BFloat16EEEPKSF_lEEPiiNS8_6detail34convert_binary_result_type_wrapperINS8_3SumESJ_iEEEE10hipError_tPvRmT1_T2_T3_mT4_P12ihipStream_tbEUlT_E1_NS1_11comp_targetILNS1_3genE9ELNS1_11target_archE1100ELNS1_3gpuE3ELNS1_3repE0EEENS1_30default_config_static_selectorELNS0_4arch9wavefront6targetE0EEEvSS_, .Lfunc_end796-_ZN7rocprim17ROCPRIM_400000_NS6detail17trampoline_kernelINS0_14default_configENS1_22reduce_config_selectorIbEEZNS1_11reduce_implILb1ES3_N6hipcub16HIPCUB_304000_NS22TransformInputIteratorIbN2at6native12_GLOBAL__N_19NonZeroOpIN3c108BFloat16EEEPKSF_lEEPiiNS8_6detail34convert_binary_result_type_wrapperINS8_3SumESJ_iEEEE10hipError_tPvRmT1_T2_T3_mT4_P12ihipStream_tbEUlT_E1_NS1_11comp_targetILNS1_3genE9ELNS1_11target_archE1100ELNS1_3gpuE3ELNS1_3repE0EEENS1_30default_config_static_selectorELNS0_4arch9wavefront6targetE0EEEvSS_
                                        ; -- End function
	.section	.AMDGPU.csdata,"",@progbits
; Kernel info:
; codeLenInByte = 35796
; NumSgprs: 31
; NumVgprs: 130
; ScratchSize: 0
; MemoryBound: 0
; FloatMode: 240
; IeeeMode: 1
; LDSByteSize: 144 bytes/workgroup (compile time only)
; SGPRBlocks: 3
; VGPRBlocks: 16
; NumSGPRsForWavesPerEU: 31
; NumVGPRsForWavesPerEU: 130
; Occupancy: 10
; WaveLimiterHint : 1
; COMPUTE_PGM_RSRC2:SCRATCH_EN: 0
; COMPUTE_PGM_RSRC2:USER_SGPR: 15
; COMPUTE_PGM_RSRC2:TRAP_HANDLER: 0
; COMPUTE_PGM_RSRC2:TGID_X_EN: 1
; COMPUTE_PGM_RSRC2:TGID_Y_EN: 0
; COMPUTE_PGM_RSRC2:TGID_Z_EN: 0
; COMPUTE_PGM_RSRC2:TIDIG_COMP_CNT: 0
	.section	.text._ZN7rocprim17ROCPRIM_400000_NS6detail17trampoline_kernelINS0_14default_configENS1_22reduce_config_selectorIbEEZNS1_11reduce_implILb1ES3_N6hipcub16HIPCUB_304000_NS22TransformInputIteratorIbN2at6native12_GLOBAL__N_19NonZeroOpIN3c108BFloat16EEEPKSF_lEEPiiNS8_6detail34convert_binary_result_type_wrapperINS8_3SumESJ_iEEEE10hipError_tPvRmT1_T2_T3_mT4_P12ihipStream_tbEUlT_E1_NS1_11comp_targetILNS1_3genE8ELNS1_11target_archE1030ELNS1_3gpuE2ELNS1_3repE0EEENS1_30default_config_static_selectorELNS0_4arch9wavefront6targetE0EEEvSS_,"axG",@progbits,_ZN7rocprim17ROCPRIM_400000_NS6detail17trampoline_kernelINS0_14default_configENS1_22reduce_config_selectorIbEEZNS1_11reduce_implILb1ES3_N6hipcub16HIPCUB_304000_NS22TransformInputIteratorIbN2at6native12_GLOBAL__N_19NonZeroOpIN3c108BFloat16EEEPKSF_lEEPiiNS8_6detail34convert_binary_result_type_wrapperINS8_3SumESJ_iEEEE10hipError_tPvRmT1_T2_T3_mT4_P12ihipStream_tbEUlT_E1_NS1_11comp_targetILNS1_3genE8ELNS1_11target_archE1030ELNS1_3gpuE2ELNS1_3repE0EEENS1_30default_config_static_selectorELNS0_4arch9wavefront6targetE0EEEvSS_,comdat
	.globl	_ZN7rocprim17ROCPRIM_400000_NS6detail17trampoline_kernelINS0_14default_configENS1_22reduce_config_selectorIbEEZNS1_11reduce_implILb1ES3_N6hipcub16HIPCUB_304000_NS22TransformInputIteratorIbN2at6native12_GLOBAL__N_19NonZeroOpIN3c108BFloat16EEEPKSF_lEEPiiNS8_6detail34convert_binary_result_type_wrapperINS8_3SumESJ_iEEEE10hipError_tPvRmT1_T2_T3_mT4_P12ihipStream_tbEUlT_E1_NS1_11comp_targetILNS1_3genE8ELNS1_11target_archE1030ELNS1_3gpuE2ELNS1_3repE0EEENS1_30default_config_static_selectorELNS0_4arch9wavefront6targetE0EEEvSS_ ; -- Begin function _ZN7rocprim17ROCPRIM_400000_NS6detail17trampoline_kernelINS0_14default_configENS1_22reduce_config_selectorIbEEZNS1_11reduce_implILb1ES3_N6hipcub16HIPCUB_304000_NS22TransformInputIteratorIbN2at6native12_GLOBAL__N_19NonZeroOpIN3c108BFloat16EEEPKSF_lEEPiiNS8_6detail34convert_binary_result_type_wrapperINS8_3SumESJ_iEEEE10hipError_tPvRmT1_T2_T3_mT4_P12ihipStream_tbEUlT_E1_NS1_11comp_targetILNS1_3genE8ELNS1_11target_archE1030ELNS1_3gpuE2ELNS1_3repE0EEENS1_30default_config_static_selectorELNS0_4arch9wavefront6targetE0EEEvSS_
	.p2align	8
	.type	_ZN7rocprim17ROCPRIM_400000_NS6detail17trampoline_kernelINS0_14default_configENS1_22reduce_config_selectorIbEEZNS1_11reduce_implILb1ES3_N6hipcub16HIPCUB_304000_NS22TransformInputIteratorIbN2at6native12_GLOBAL__N_19NonZeroOpIN3c108BFloat16EEEPKSF_lEEPiiNS8_6detail34convert_binary_result_type_wrapperINS8_3SumESJ_iEEEE10hipError_tPvRmT1_T2_T3_mT4_P12ihipStream_tbEUlT_E1_NS1_11comp_targetILNS1_3genE8ELNS1_11target_archE1030ELNS1_3gpuE2ELNS1_3repE0EEENS1_30default_config_static_selectorELNS0_4arch9wavefront6targetE0EEEvSS_,@function
_ZN7rocprim17ROCPRIM_400000_NS6detail17trampoline_kernelINS0_14default_configENS1_22reduce_config_selectorIbEEZNS1_11reduce_implILb1ES3_N6hipcub16HIPCUB_304000_NS22TransformInputIteratorIbN2at6native12_GLOBAL__N_19NonZeroOpIN3c108BFloat16EEEPKSF_lEEPiiNS8_6detail34convert_binary_result_type_wrapperINS8_3SumESJ_iEEEE10hipError_tPvRmT1_T2_T3_mT4_P12ihipStream_tbEUlT_E1_NS1_11comp_targetILNS1_3genE8ELNS1_11target_archE1030ELNS1_3gpuE2ELNS1_3repE0EEENS1_30default_config_static_selectorELNS0_4arch9wavefront6targetE0EEEvSS_: ; @_ZN7rocprim17ROCPRIM_400000_NS6detail17trampoline_kernelINS0_14default_configENS1_22reduce_config_selectorIbEEZNS1_11reduce_implILb1ES3_N6hipcub16HIPCUB_304000_NS22TransformInputIteratorIbN2at6native12_GLOBAL__N_19NonZeroOpIN3c108BFloat16EEEPKSF_lEEPiiNS8_6detail34convert_binary_result_type_wrapperINS8_3SumESJ_iEEEE10hipError_tPvRmT1_T2_T3_mT4_P12ihipStream_tbEUlT_E1_NS1_11comp_targetILNS1_3genE8ELNS1_11target_archE1030ELNS1_3gpuE2ELNS1_3repE0EEENS1_30default_config_static_selectorELNS0_4arch9wavefront6targetE0EEEvSS_
; %bb.0:
	.section	.rodata,"a",@progbits
	.p2align	6, 0x0
	.amdhsa_kernel _ZN7rocprim17ROCPRIM_400000_NS6detail17trampoline_kernelINS0_14default_configENS1_22reduce_config_selectorIbEEZNS1_11reduce_implILb1ES3_N6hipcub16HIPCUB_304000_NS22TransformInputIteratorIbN2at6native12_GLOBAL__N_19NonZeroOpIN3c108BFloat16EEEPKSF_lEEPiiNS8_6detail34convert_binary_result_type_wrapperINS8_3SumESJ_iEEEE10hipError_tPvRmT1_T2_T3_mT4_P12ihipStream_tbEUlT_E1_NS1_11comp_targetILNS1_3genE8ELNS1_11target_archE1030ELNS1_3gpuE2ELNS1_3repE0EEENS1_30default_config_static_selectorELNS0_4arch9wavefront6targetE0EEEvSS_
		.amdhsa_group_segment_fixed_size 0
		.amdhsa_private_segment_fixed_size 0
		.amdhsa_kernarg_size 48
		.amdhsa_user_sgpr_count 15
		.amdhsa_user_sgpr_dispatch_ptr 0
		.amdhsa_user_sgpr_queue_ptr 0
		.amdhsa_user_sgpr_kernarg_segment_ptr 1
		.amdhsa_user_sgpr_dispatch_id 0
		.amdhsa_user_sgpr_private_segment_size 0
		.amdhsa_wavefront_size32 1
		.amdhsa_uses_dynamic_stack 0
		.amdhsa_enable_private_segment 0
		.amdhsa_system_sgpr_workgroup_id_x 1
		.amdhsa_system_sgpr_workgroup_id_y 0
		.amdhsa_system_sgpr_workgroup_id_z 0
		.amdhsa_system_sgpr_workgroup_info 0
		.amdhsa_system_vgpr_workitem_id 0
		.amdhsa_next_free_vgpr 1
		.amdhsa_next_free_sgpr 1
		.amdhsa_reserve_vcc 0
		.amdhsa_float_round_mode_32 0
		.amdhsa_float_round_mode_16_64 0
		.amdhsa_float_denorm_mode_32 3
		.amdhsa_float_denorm_mode_16_64 3
		.amdhsa_dx10_clamp 1
		.amdhsa_ieee_mode 1
		.amdhsa_fp16_overflow 0
		.amdhsa_workgroup_processor_mode 1
		.amdhsa_memory_ordered 1
		.amdhsa_forward_progress 0
		.amdhsa_shared_vgpr_count 0
		.amdhsa_exception_fp_ieee_invalid_op 0
		.amdhsa_exception_fp_denorm_src 0
		.amdhsa_exception_fp_ieee_div_zero 0
		.amdhsa_exception_fp_ieee_overflow 0
		.amdhsa_exception_fp_ieee_underflow 0
		.amdhsa_exception_fp_ieee_inexact 0
		.amdhsa_exception_int_div_zero 0
	.end_amdhsa_kernel
	.section	.text._ZN7rocprim17ROCPRIM_400000_NS6detail17trampoline_kernelINS0_14default_configENS1_22reduce_config_selectorIbEEZNS1_11reduce_implILb1ES3_N6hipcub16HIPCUB_304000_NS22TransformInputIteratorIbN2at6native12_GLOBAL__N_19NonZeroOpIN3c108BFloat16EEEPKSF_lEEPiiNS8_6detail34convert_binary_result_type_wrapperINS8_3SumESJ_iEEEE10hipError_tPvRmT1_T2_T3_mT4_P12ihipStream_tbEUlT_E1_NS1_11comp_targetILNS1_3genE8ELNS1_11target_archE1030ELNS1_3gpuE2ELNS1_3repE0EEENS1_30default_config_static_selectorELNS0_4arch9wavefront6targetE0EEEvSS_,"axG",@progbits,_ZN7rocprim17ROCPRIM_400000_NS6detail17trampoline_kernelINS0_14default_configENS1_22reduce_config_selectorIbEEZNS1_11reduce_implILb1ES3_N6hipcub16HIPCUB_304000_NS22TransformInputIteratorIbN2at6native12_GLOBAL__N_19NonZeroOpIN3c108BFloat16EEEPKSF_lEEPiiNS8_6detail34convert_binary_result_type_wrapperINS8_3SumESJ_iEEEE10hipError_tPvRmT1_T2_T3_mT4_P12ihipStream_tbEUlT_E1_NS1_11comp_targetILNS1_3genE8ELNS1_11target_archE1030ELNS1_3gpuE2ELNS1_3repE0EEENS1_30default_config_static_selectorELNS0_4arch9wavefront6targetE0EEEvSS_,comdat
.Lfunc_end797:
	.size	_ZN7rocprim17ROCPRIM_400000_NS6detail17trampoline_kernelINS0_14default_configENS1_22reduce_config_selectorIbEEZNS1_11reduce_implILb1ES3_N6hipcub16HIPCUB_304000_NS22TransformInputIteratorIbN2at6native12_GLOBAL__N_19NonZeroOpIN3c108BFloat16EEEPKSF_lEEPiiNS8_6detail34convert_binary_result_type_wrapperINS8_3SumESJ_iEEEE10hipError_tPvRmT1_T2_T3_mT4_P12ihipStream_tbEUlT_E1_NS1_11comp_targetILNS1_3genE8ELNS1_11target_archE1030ELNS1_3gpuE2ELNS1_3repE0EEENS1_30default_config_static_selectorELNS0_4arch9wavefront6targetE0EEEvSS_, .Lfunc_end797-_ZN7rocprim17ROCPRIM_400000_NS6detail17trampoline_kernelINS0_14default_configENS1_22reduce_config_selectorIbEEZNS1_11reduce_implILb1ES3_N6hipcub16HIPCUB_304000_NS22TransformInputIteratorIbN2at6native12_GLOBAL__N_19NonZeroOpIN3c108BFloat16EEEPKSF_lEEPiiNS8_6detail34convert_binary_result_type_wrapperINS8_3SumESJ_iEEEE10hipError_tPvRmT1_T2_T3_mT4_P12ihipStream_tbEUlT_E1_NS1_11comp_targetILNS1_3genE8ELNS1_11target_archE1030ELNS1_3gpuE2ELNS1_3repE0EEENS1_30default_config_static_selectorELNS0_4arch9wavefront6targetE0EEEvSS_
                                        ; -- End function
	.section	.AMDGPU.csdata,"",@progbits
; Kernel info:
; codeLenInByte = 0
; NumSgprs: 0
; NumVgprs: 0
; ScratchSize: 0
; MemoryBound: 0
; FloatMode: 240
; IeeeMode: 1
; LDSByteSize: 0 bytes/workgroup (compile time only)
; SGPRBlocks: 0
; VGPRBlocks: 0
; NumSGPRsForWavesPerEU: 1
; NumVGPRsForWavesPerEU: 1
; Occupancy: 16
; WaveLimiterHint : 0
; COMPUTE_PGM_RSRC2:SCRATCH_EN: 0
; COMPUTE_PGM_RSRC2:USER_SGPR: 15
; COMPUTE_PGM_RSRC2:TRAP_HANDLER: 0
; COMPUTE_PGM_RSRC2:TGID_X_EN: 1
; COMPUTE_PGM_RSRC2:TGID_Y_EN: 0
; COMPUTE_PGM_RSRC2:TGID_Z_EN: 0
; COMPUTE_PGM_RSRC2:TIDIG_COMP_CNT: 0
	.section	.text._ZN7rocprim17ROCPRIM_400000_NS6detail17trampoline_kernelINS0_14default_configENS1_25partition_config_selectorILNS1_17partition_subalgoE5ElNS0_10empty_typeEbEEZZNS1_14partition_implILS5_5ELb0ES3_mN6hipcub16HIPCUB_304000_NS21CountingInputIteratorIllEEPS6_NSA_22TransformInputIteratorIbN2at6native12_GLOBAL__N_19NonZeroOpIN3c108BFloat16EEEPKSK_lEENS0_5tupleIJPlS6_EEENSP_IJSD_SD_EEES6_PiJS6_EEE10hipError_tPvRmT3_T4_T5_T6_T7_T9_mT8_P12ihipStream_tbDpT10_ENKUlT_T0_E_clISt17integral_constantIbLb0EES1D_EEDaS18_S19_EUlS18_E_NS1_11comp_targetILNS1_3genE0ELNS1_11target_archE4294967295ELNS1_3gpuE0ELNS1_3repE0EEENS1_30default_config_static_selectorELNS0_4arch9wavefront6targetE0EEEvT1_,"axG",@progbits,_ZN7rocprim17ROCPRIM_400000_NS6detail17trampoline_kernelINS0_14default_configENS1_25partition_config_selectorILNS1_17partition_subalgoE5ElNS0_10empty_typeEbEEZZNS1_14partition_implILS5_5ELb0ES3_mN6hipcub16HIPCUB_304000_NS21CountingInputIteratorIllEEPS6_NSA_22TransformInputIteratorIbN2at6native12_GLOBAL__N_19NonZeroOpIN3c108BFloat16EEEPKSK_lEENS0_5tupleIJPlS6_EEENSP_IJSD_SD_EEES6_PiJS6_EEE10hipError_tPvRmT3_T4_T5_T6_T7_T9_mT8_P12ihipStream_tbDpT10_ENKUlT_T0_E_clISt17integral_constantIbLb0EES1D_EEDaS18_S19_EUlS18_E_NS1_11comp_targetILNS1_3genE0ELNS1_11target_archE4294967295ELNS1_3gpuE0ELNS1_3repE0EEENS1_30default_config_static_selectorELNS0_4arch9wavefront6targetE0EEEvT1_,comdat
	.globl	_ZN7rocprim17ROCPRIM_400000_NS6detail17trampoline_kernelINS0_14default_configENS1_25partition_config_selectorILNS1_17partition_subalgoE5ElNS0_10empty_typeEbEEZZNS1_14partition_implILS5_5ELb0ES3_mN6hipcub16HIPCUB_304000_NS21CountingInputIteratorIllEEPS6_NSA_22TransformInputIteratorIbN2at6native12_GLOBAL__N_19NonZeroOpIN3c108BFloat16EEEPKSK_lEENS0_5tupleIJPlS6_EEENSP_IJSD_SD_EEES6_PiJS6_EEE10hipError_tPvRmT3_T4_T5_T6_T7_T9_mT8_P12ihipStream_tbDpT10_ENKUlT_T0_E_clISt17integral_constantIbLb0EES1D_EEDaS18_S19_EUlS18_E_NS1_11comp_targetILNS1_3genE0ELNS1_11target_archE4294967295ELNS1_3gpuE0ELNS1_3repE0EEENS1_30default_config_static_selectorELNS0_4arch9wavefront6targetE0EEEvT1_ ; -- Begin function _ZN7rocprim17ROCPRIM_400000_NS6detail17trampoline_kernelINS0_14default_configENS1_25partition_config_selectorILNS1_17partition_subalgoE5ElNS0_10empty_typeEbEEZZNS1_14partition_implILS5_5ELb0ES3_mN6hipcub16HIPCUB_304000_NS21CountingInputIteratorIllEEPS6_NSA_22TransformInputIteratorIbN2at6native12_GLOBAL__N_19NonZeroOpIN3c108BFloat16EEEPKSK_lEENS0_5tupleIJPlS6_EEENSP_IJSD_SD_EEES6_PiJS6_EEE10hipError_tPvRmT3_T4_T5_T6_T7_T9_mT8_P12ihipStream_tbDpT10_ENKUlT_T0_E_clISt17integral_constantIbLb0EES1D_EEDaS18_S19_EUlS18_E_NS1_11comp_targetILNS1_3genE0ELNS1_11target_archE4294967295ELNS1_3gpuE0ELNS1_3repE0EEENS1_30default_config_static_selectorELNS0_4arch9wavefront6targetE0EEEvT1_
	.p2align	8
	.type	_ZN7rocprim17ROCPRIM_400000_NS6detail17trampoline_kernelINS0_14default_configENS1_25partition_config_selectorILNS1_17partition_subalgoE5ElNS0_10empty_typeEbEEZZNS1_14partition_implILS5_5ELb0ES3_mN6hipcub16HIPCUB_304000_NS21CountingInputIteratorIllEEPS6_NSA_22TransformInputIteratorIbN2at6native12_GLOBAL__N_19NonZeroOpIN3c108BFloat16EEEPKSK_lEENS0_5tupleIJPlS6_EEENSP_IJSD_SD_EEES6_PiJS6_EEE10hipError_tPvRmT3_T4_T5_T6_T7_T9_mT8_P12ihipStream_tbDpT10_ENKUlT_T0_E_clISt17integral_constantIbLb0EES1D_EEDaS18_S19_EUlS18_E_NS1_11comp_targetILNS1_3genE0ELNS1_11target_archE4294967295ELNS1_3gpuE0ELNS1_3repE0EEENS1_30default_config_static_selectorELNS0_4arch9wavefront6targetE0EEEvT1_,@function
_ZN7rocprim17ROCPRIM_400000_NS6detail17trampoline_kernelINS0_14default_configENS1_25partition_config_selectorILNS1_17partition_subalgoE5ElNS0_10empty_typeEbEEZZNS1_14partition_implILS5_5ELb0ES3_mN6hipcub16HIPCUB_304000_NS21CountingInputIteratorIllEEPS6_NSA_22TransformInputIteratorIbN2at6native12_GLOBAL__N_19NonZeroOpIN3c108BFloat16EEEPKSK_lEENS0_5tupleIJPlS6_EEENSP_IJSD_SD_EEES6_PiJS6_EEE10hipError_tPvRmT3_T4_T5_T6_T7_T9_mT8_P12ihipStream_tbDpT10_ENKUlT_T0_E_clISt17integral_constantIbLb0EES1D_EEDaS18_S19_EUlS18_E_NS1_11comp_targetILNS1_3genE0ELNS1_11target_archE4294967295ELNS1_3gpuE0ELNS1_3repE0EEENS1_30default_config_static_selectorELNS0_4arch9wavefront6targetE0EEEvT1_: ; @_ZN7rocprim17ROCPRIM_400000_NS6detail17trampoline_kernelINS0_14default_configENS1_25partition_config_selectorILNS1_17partition_subalgoE5ElNS0_10empty_typeEbEEZZNS1_14partition_implILS5_5ELb0ES3_mN6hipcub16HIPCUB_304000_NS21CountingInputIteratorIllEEPS6_NSA_22TransformInputIteratorIbN2at6native12_GLOBAL__N_19NonZeroOpIN3c108BFloat16EEEPKSK_lEENS0_5tupleIJPlS6_EEENSP_IJSD_SD_EEES6_PiJS6_EEE10hipError_tPvRmT3_T4_T5_T6_T7_T9_mT8_P12ihipStream_tbDpT10_ENKUlT_T0_E_clISt17integral_constantIbLb0EES1D_EEDaS18_S19_EUlS18_E_NS1_11comp_targetILNS1_3genE0ELNS1_11target_archE4294967295ELNS1_3gpuE0ELNS1_3repE0EEENS1_30default_config_static_selectorELNS0_4arch9wavefront6targetE0EEEvT1_
; %bb.0:
	.section	.rodata,"a",@progbits
	.p2align	6, 0x0
	.amdhsa_kernel _ZN7rocprim17ROCPRIM_400000_NS6detail17trampoline_kernelINS0_14default_configENS1_25partition_config_selectorILNS1_17partition_subalgoE5ElNS0_10empty_typeEbEEZZNS1_14partition_implILS5_5ELb0ES3_mN6hipcub16HIPCUB_304000_NS21CountingInputIteratorIllEEPS6_NSA_22TransformInputIteratorIbN2at6native12_GLOBAL__N_19NonZeroOpIN3c108BFloat16EEEPKSK_lEENS0_5tupleIJPlS6_EEENSP_IJSD_SD_EEES6_PiJS6_EEE10hipError_tPvRmT3_T4_T5_T6_T7_T9_mT8_P12ihipStream_tbDpT10_ENKUlT_T0_E_clISt17integral_constantIbLb0EES1D_EEDaS18_S19_EUlS18_E_NS1_11comp_targetILNS1_3genE0ELNS1_11target_archE4294967295ELNS1_3gpuE0ELNS1_3repE0EEENS1_30default_config_static_selectorELNS0_4arch9wavefront6targetE0EEEvT1_
		.amdhsa_group_segment_fixed_size 0
		.amdhsa_private_segment_fixed_size 0
		.amdhsa_kernarg_size 120
		.amdhsa_user_sgpr_count 15
		.amdhsa_user_sgpr_dispatch_ptr 0
		.amdhsa_user_sgpr_queue_ptr 0
		.amdhsa_user_sgpr_kernarg_segment_ptr 1
		.amdhsa_user_sgpr_dispatch_id 0
		.amdhsa_user_sgpr_private_segment_size 0
		.amdhsa_wavefront_size32 1
		.amdhsa_uses_dynamic_stack 0
		.amdhsa_enable_private_segment 0
		.amdhsa_system_sgpr_workgroup_id_x 1
		.amdhsa_system_sgpr_workgroup_id_y 0
		.amdhsa_system_sgpr_workgroup_id_z 0
		.amdhsa_system_sgpr_workgroup_info 0
		.amdhsa_system_vgpr_workitem_id 0
		.amdhsa_next_free_vgpr 1
		.amdhsa_next_free_sgpr 1
		.amdhsa_reserve_vcc 0
		.amdhsa_float_round_mode_32 0
		.amdhsa_float_round_mode_16_64 0
		.amdhsa_float_denorm_mode_32 3
		.amdhsa_float_denorm_mode_16_64 3
		.amdhsa_dx10_clamp 1
		.amdhsa_ieee_mode 1
		.amdhsa_fp16_overflow 0
		.amdhsa_workgroup_processor_mode 1
		.amdhsa_memory_ordered 1
		.amdhsa_forward_progress 0
		.amdhsa_shared_vgpr_count 0
		.amdhsa_exception_fp_ieee_invalid_op 0
		.amdhsa_exception_fp_denorm_src 0
		.amdhsa_exception_fp_ieee_div_zero 0
		.amdhsa_exception_fp_ieee_overflow 0
		.amdhsa_exception_fp_ieee_underflow 0
		.amdhsa_exception_fp_ieee_inexact 0
		.amdhsa_exception_int_div_zero 0
	.end_amdhsa_kernel
	.section	.text._ZN7rocprim17ROCPRIM_400000_NS6detail17trampoline_kernelINS0_14default_configENS1_25partition_config_selectorILNS1_17partition_subalgoE5ElNS0_10empty_typeEbEEZZNS1_14partition_implILS5_5ELb0ES3_mN6hipcub16HIPCUB_304000_NS21CountingInputIteratorIllEEPS6_NSA_22TransformInputIteratorIbN2at6native12_GLOBAL__N_19NonZeroOpIN3c108BFloat16EEEPKSK_lEENS0_5tupleIJPlS6_EEENSP_IJSD_SD_EEES6_PiJS6_EEE10hipError_tPvRmT3_T4_T5_T6_T7_T9_mT8_P12ihipStream_tbDpT10_ENKUlT_T0_E_clISt17integral_constantIbLb0EES1D_EEDaS18_S19_EUlS18_E_NS1_11comp_targetILNS1_3genE0ELNS1_11target_archE4294967295ELNS1_3gpuE0ELNS1_3repE0EEENS1_30default_config_static_selectorELNS0_4arch9wavefront6targetE0EEEvT1_,"axG",@progbits,_ZN7rocprim17ROCPRIM_400000_NS6detail17trampoline_kernelINS0_14default_configENS1_25partition_config_selectorILNS1_17partition_subalgoE5ElNS0_10empty_typeEbEEZZNS1_14partition_implILS5_5ELb0ES3_mN6hipcub16HIPCUB_304000_NS21CountingInputIteratorIllEEPS6_NSA_22TransformInputIteratorIbN2at6native12_GLOBAL__N_19NonZeroOpIN3c108BFloat16EEEPKSK_lEENS0_5tupleIJPlS6_EEENSP_IJSD_SD_EEES6_PiJS6_EEE10hipError_tPvRmT3_T4_T5_T6_T7_T9_mT8_P12ihipStream_tbDpT10_ENKUlT_T0_E_clISt17integral_constantIbLb0EES1D_EEDaS18_S19_EUlS18_E_NS1_11comp_targetILNS1_3genE0ELNS1_11target_archE4294967295ELNS1_3gpuE0ELNS1_3repE0EEENS1_30default_config_static_selectorELNS0_4arch9wavefront6targetE0EEEvT1_,comdat
.Lfunc_end798:
	.size	_ZN7rocprim17ROCPRIM_400000_NS6detail17trampoline_kernelINS0_14default_configENS1_25partition_config_selectorILNS1_17partition_subalgoE5ElNS0_10empty_typeEbEEZZNS1_14partition_implILS5_5ELb0ES3_mN6hipcub16HIPCUB_304000_NS21CountingInputIteratorIllEEPS6_NSA_22TransformInputIteratorIbN2at6native12_GLOBAL__N_19NonZeroOpIN3c108BFloat16EEEPKSK_lEENS0_5tupleIJPlS6_EEENSP_IJSD_SD_EEES6_PiJS6_EEE10hipError_tPvRmT3_T4_T5_T6_T7_T9_mT8_P12ihipStream_tbDpT10_ENKUlT_T0_E_clISt17integral_constantIbLb0EES1D_EEDaS18_S19_EUlS18_E_NS1_11comp_targetILNS1_3genE0ELNS1_11target_archE4294967295ELNS1_3gpuE0ELNS1_3repE0EEENS1_30default_config_static_selectorELNS0_4arch9wavefront6targetE0EEEvT1_, .Lfunc_end798-_ZN7rocprim17ROCPRIM_400000_NS6detail17trampoline_kernelINS0_14default_configENS1_25partition_config_selectorILNS1_17partition_subalgoE5ElNS0_10empty_typeEbEEZZNS1_14partition_implILS5_5ELb0ES3_mN6hipcub16HIPCUB_304000_NS21CountingInputIteratorIllEEPS6_NSA_22TransformInputIteratorIbN2at6native12_GLOBAL__N_19NonZeroOpIN3c108BFloat16EEEPKSK_lEENS0_5tupleIJPlS6_EEENSP_IJSD_SD_EEES6_PiJS6_EEE10hipError_tPvRmT3_T4_T5_T6_T7_T9_mT8_P12ihipStream_tbDpT10_ENKUlT_T0_E_clISt17integral_constantIbLb0EES1D_EEDaS18_S19_EUlS18_E_NS1_11comp_targetILNS1_3genE0ELNS1_11target_archE4294967295ELNS1_3gpuE0ELNS1_3repE0EEENS1_30default_config_static_selectorELNS0_4arch9wavefront6targetE0EEEvT1_
                                        ; -- End function
	.section	.AMDGPU.csdata,"",@progbits
; Kernel info:
; codeLenInByte = 0
; NumSgprs: 0
; NumVgprs: 0
; ScratchSize: 0
; MemoryBound: 0
; FloatMode: 240
; IeeeMode: 1
; LDSByteSize: 0 bytes/workgroup (compile time only)
; SGPRBlocks: 0
; VGPRBlocks: 0
; NumSGPRsForWavesPerEU: 1
; NumVGPRsForWavesPerEU: 1
; Occupancy: 16
; WaveLimiterHint : 0
; COMPUTE_PGM_RSRC2:SCRATCH_EN: 0
; COMPUTE_PGM_RSRC2:USER_SGPR: 15
; COMPUTE_PGM_RSRC2:TRAP_HANDLER: 0
; COMPUTE_PGM_RSRC2:TGID_X_EN: 1
; COMPUTE_PGM_RSRC2:TGID_Y_EN: 0
; COMPUTE_PGM_RSRC2:TGID_Z_EN: 0
; COMPUTE_PGM_RSRC2:TIDIG_COMP_CNT: 0
	.section	.text._ZN7rocprim17ROCPRIM_400000_NS6detail17trampoline_kernelINS0_14default_configENS1_25partition_config_selectorILNS1_17partition_subalgoE5ElNS0_10empty_typeEbEEZZNS1_14partition_implILS5_5ELb0ES3_mN6hipcub16HIPCUB_304000_NS21CountingInputIteratorIllEEPS6_NSA_22TransformInputIteratorIbN2at6native12_GLOBAL__N_19NonZeroOpIN3c108BFloat16EEEPKSK_lEENS0_5tupleIJPlS6_EEENSP_IJSD_SD_EEES6_PiJS6_EEE10hipError_tPvRmT3_T4_T5_T6_T7_T9_mT8_P12ihipStream_tbDpT10_ENKUlT_T0_E_clISt17integral_constantIbLb0EES1D_EEDaS18_S19_EUlS18_E_NS1_11comp_targetILNS1_3genE5ELNS1_11target_archE942ELNS1_3gpuE9ELNS1_3repE0EEENS1_30default_config_static_selectorELNS0_4arch9wavefront6targetE0EEEvT1_,"axG",@progbits,_ZN7rocprim17ROCPRIM_400000_NS6detail17trampoline_kernelINS0_14default_configENS1_25partition_config_selectorILNS1_17partition_subalgoE5ElNS0_10empty_typeEbEEZZNS1_14partition_implILS5_5ELb0ES3_mN6hipcub16HIPCUB_304000_NS21CountingInputIteratorIllEEPS6_NSA_22TransformInputIteratorIbN2at6native12_GLOBAL__N_19NonZeroOpIN3c108BFloat16EEEPKSK_lEENS0_5tupleIJPlS6_EEENSP_IJSD_SD_EEES6_PiJS6_EEE10hipError_tPvRmT3_T4_T5_T6_T7_T9_mT8_P12ihipStream_tbDpT10_ENKUlT_T0_E_clISt17integral_constantIbLb0EES1D_EEDaS18_S19_EUlS18_E_NS1_11comp_targetILNS1_3genE5ELNS1_11target_archE942ELNS1_3gpuE9ELNS1_3repE0EEENS1_30default_config_static_selectorELNS0_4arch9wavefront6targetE0EEEvT1_,comdat
	.globl	_ZN7rocprim17ROCPRIM_400000_NS6detail17trampoline_kernelINS0_14default_configENS1_25partition_config_selectorILNS1_17partition_subalgoE5ElNS0_10empty_typeEbEEZZNS1_14partition_implILS5_5ELb0ES3_mN6hipcub16HIPCUB_304000_NS21CountingInputIteratorIllEEPS6_NSA_22TransformInputIteratorIbN2at6native12_GLOBAL__N_19NonZeroOpIN3c108BFloat16EEEPKSK_lEENS0_5tupleIJPlS6_EEENSP_IJSD_SD_EEES6_PiJS6_EEE10hipError_tPvRmT3_T4_T5_T6_T7_T9_mT8_P12ihipStream_tbDpT10_ENKUlT_T0_E_clISt17integral_constantIbLb0EES1D_EEDaS18_S19_EUlS18_E_NS1_11comp_targetILNS1_3genE5ELNS1_11target_archE942ELNS1_3gpuE9ELNS1_3repE0EEENS1_30default_config_static_selectorELNS0_4arch9wavefront6targetE0EEEvT1_ ; -- Begin function _ZN7rocprim17ROCPRIM_400000_NS6detail17trampoline_kernelINS0_14default_configENS1_25partition_config_selectorILNS1_17partition_subalgoE5ElNS0_10empty_typeEbEEZZNS1_14partition_implILS5_5ELb0ES3_mN6hipcub16HIPCUB_304000_NS21CountingInputIteratorIllEEPS6_NSA_22TransformInputIteratorIbN2at6native12_GLOBAL__N_19NonZeroOpIN3c108BFloat16EEEPKSK_lEENS0_5tupleIJPlS6_EEENSP_IJSD_SD_EEES6_PiJS6_EEE10hipError_tPvRmT3_T4_T5_T6_T7_T9_mT8_P12ihipStream_tbDpT10_ENKUlT_T0_E_clISt17integral_constantIbLb0EES1D_EEDaS18_S19_EUlS18_E_NS1_11comp_targetILNS1_3genE5ELNS1_11target_archE942ELNS1_3gpuE9ELNS1_3repE0EEENS1_30default_config_static_selectorELNS0_4arch9wavefront6targetE0EEEvT1_
	.p2align	8
	.type	_ZN7rocprim17ROCPRIM_400000_NS6detail17trampoline_kernelINS0_14default_configENS1_25partition_config_selectorILNS1_17partition_subalgoE5ElNS0_10empty_typeEbEEZZNS1_14partition_implILS5_5ELb0ES3_mN6hipcub16HIPCUB_304000_NS21CountingInputIteratorIllEEPS6_NSA_22TransformInputIteratorIbN2at6native12_GLOBAL__N_19NonZeroOpIN3c108BFloat16EEEPKSK_lEENS0_5tupleIJPlS6_EEENSP_IJSD_SD_EEES6_PiJS6_EEE10hipError_tPvRmT3_T4_T5_T6_T7_T9_mT8_P12ihipStream_tbDpT10_ENKUlT_T0_E_clISt17integral_constantIbLb0EES1D_EEDaS18_S19_EUlS18_E_NS1_11comp_targetILNS1_3genE5ELNS1_11target_archE942ELNS1_3gpuE9ELNS1_3repE0EEENS1_30default_config_static_selectorELNS0_4arch9wavefront6targetE0EEEvT1_,@function
_ZN7rocprim17ROCPRIM_400000_NS6detail17trampoline_kernelINS0_14default_configENS1_25partition_config_selectorILNS1_17partition_subalgoE5ElNS0_10empty_typeEbEEZZNS1_14partition_implILS5_5ELb0ES3_mN6hipcub16HIPCUB_304000_NS21CountingInputIteratorIllEEPS6_NSA_22TransformInputIteratorIbN2at6native12_GLOBAL__N_19NonZeroOpIN3c108BFloat16EEEPKSK_lEENS0_5tupleIJPlS6_EEENSP_IJSD_SD_EEES6_PiJS6_EEE10hipError_tPvRmT3_T4_T5_T6_T7_T9_mT8_P12ihipStream_tbDpT10_ENKUlT_T0_E_clISt17integral_constantIbLb0EES1D_EEDaS18_S19_EUlS18_E_NS1_11comp_targetILNS1_3genE5ELNS1_11target_archE942ELNS1_3gpuE9ELNS1_3repE0EEENS1_30default_config_static_selectorELNS0_4arch9wavefront6targetE0EEEvT1_: ; @_ZN7rocprim17ROCPRIM_400000_NS6detail17trampoline_kernelINS0_14default_configENS1_25partition_config_selectorILNS1_17partition_subalgoE5ElNS0_10empty_typeEbEEZZNS1_14partition_implILS5_5ELb0ES3_mN6hipcub16HIPCUB_304000_NS21CountingInputIteratorIllEEPS6_NSA_22TransformInputIteratorIbN2at6native12_GLOBAL__N_19NonZeroOpIN3c108BFloat16EEEPKSK_lEENS0_5tupleIJPlS6_EEENSP_IJSD_SD_EEES6_PiJS6_EEE10hipError_tPvRmT3_T4_T5_T6_T7_T9_mT8_P12ihipStream_tbDpT10_ENKUlT_T0_E_clISt17integral_constantIbLb0EES1D_EEDaS18_S19_EUlS18_E_NS1_11comp_targetILNS1_3genE5ELNS1_11target_archE942ELNS1_3gpuE9ELNS1_3repE0EEENS1_30default_config_static_selectorELNS0_4arch9wavefront6targetE0EEEvT1_
; %bb.0:
	.section	.rodata,"a",@progbits
	.p2align	6, 0x0
	.amdhsa_kernel _ZN7rocprim17ROCPRIM_400000_NS6detail17trampoline_kernelINS0_14default_configENS1_25partition_config_selectorILNS1_17partition_subalgoE5ElNS0_10empty_typeEbEEZZNS1_14partition_implILS5_5ELb0ES3_mN6hipcub16HIPCUB_304000_NS21CountingInputIteratorIllEEPS6_NSA_22TransformInputIteratorIbN2at6native12_GLOBAL__N_19NonZeroOpIN3c108BFloat16EEEPKSK_lEENS0_5tupleIJPlS6_EEENSP_IJSD_SD_EEES6_PiJS6_EEE10hipError_tPvRmT3_T4_T5_T6_T7_T9_mT8_P12ihipStream_tbDpT10_ENKUlT_T0_E_clISt17integral_constantIbLb0EES1D_EEDaS18_S19_EUlS18_E_NS1_11comp_targetILNS1_3genE5ELNS1_11target_archE942ELNS1_3gpuE9ELNS1_3repE0EEENS1_30default_config_static_selectorELNS0_4arch9wavefront6targetE0EEEvT1_
		.amdhsa_group_segment_fixed_size 0
		.amdhsa_private_segment_fixed_size 0
		.amdhsa_kernarg_size 120
		.amdhsa_user_sgpr_count 15
		.amdhsa_user_sgpr_dispatch_ptr 0
		.amdhsa_user_sgpr_queue_ptr 0
		.amdhsa_user_sgpr_kernarg_segment_ptr 1
		.amdhsa_user_sgpr_dispatch_id 0
		.amdhsa_user_sgpr_private_segment_size 0
		.amdhsa_wavefront_size32 1
		.amdhsa_uses_dynamic_stack 0
		.amdhsa_enable_private_segment 0
		.amdhsa_system_sgpr_workgroup_id_x 1
		.amdhsa_system_sgpr_workgroup_id_y 0
		.amdhsa_system_sgpr_workgroup_id_z 0
		.amdhsa_system_sgpr_workgroup_info 0
		.amdhsa_system_vgpr_workitem_id 0
		.amdhsa_next_free_vgpr 1
		.amdhsa_next_free_sgpr 1
		.amdhsa_reserve_vcc 0
		.amdhsa_float_round_mode_32 0
		.amdhsa_float_round_mode_16_64 0
		.amdhsa_float_denorm_mode_32 3
		.amdhsa_float_denorm_mode_16_64 3
		.amdhsa_dx10_clamp 1
		.amdhsa_ieee_mode 1
		.amdhsa_fp16_overflow 0
		.amdhsa_workgroup_processor_mode 1
		.amdhsa_memory_ordered 1
		.amdhsa_forward_progress 0
		.amdhsa_shared_vgpr_count 0
		.amdhsa_exception_fp_ieee_invalid_op 0
		.amdhsa_exception_fp_denorm_src 0
		.amdhsa_exception_fp_ieee_div_zero 0
		.amdhsa_exception_fp_ieee_overflow 0
		.amdhsa_exception_fp_ieee_underflow 0
		.amdhsa_exception_fp_ieee_inexact 0
		.amdhsa_exception_int_div_zero 0
	.end_amdhsa_kernel
	.section	.text._ZN7rocprim17ROCPRIM_400000_NS6detail17trampoline_kernelINS0_14default_configENS1_25partition_config_selectorILNS1_17partition_subalgoE5ElNS0_10empty_typeEbEEZZNS1_14partition_implILS5_5ELb0ES3_mN6hipcub16HIPCUB_304000_NS21CountingInputIteratorIllEEPS6_NSA_22TransformInputIteratorIbN2at6native12_GLOBAL__N_19NonZeroOpIN3c108BFloat16EEEPKSK_lEENS0_5tupleIJPlS6_EEENSP_IJSD_SD_EEES6_PiJS6_EEE10hipError_tPvRmT3_T4_T5_T6_T7_T9_mT8_P12ihipStream_tbDpT10_ENKUlT_T0_E_clISt17integral_constantIbLb0EES1D_EEDaS18_S19_EUlS18_E_NS1_11comp_targetILNS1_3genE5ELNS1_11target_archE942ELNS1_3gpuE9ELNS1_3repE0EEENS1_30default_config_static_selectorELNS0_4arch9wavefront6targetE0EEEvT1_,"axG",@progbits,_ZN7rocprim17ROCPRIM_400000_NS6detail17trampoline_kernelINS0_14default_configENS1_25partition_config_selectorILNS1_17partition_subalgoE5ElNS0_10empty_typeEbEEZZNS1_14partition_implILS5_5ELb0ES3_mN6hipcub16HIPCUB_304000_NS21CountingInputIteratorIllEEPS6_NSA_22TransformInputIteratorIbN2at6native12_GLOBAL__N_19NonZeroOpIN3c108BFloat16EEEPKSK_lEENS0_5tupleIJPlS6_EEENSP_IJSD_SD_EEES6_PiJS6_EEE10hipError_tPvRmT3_T4_T5_T6_T7_T9_mT8_P12ihipStream_tbDpT10_ENKUlT_T0_E_clISt17integral_constantIbLb0EES1D_EEDaS18_S19_EUlS18_E_NS1_11comp_targetILNS1_3genE5ELNS1_11target_archE942ELNS1_3gpuE9ELNS1_3repE0EEENS1_30default_config_static_selectorELNS0_4arch9wavefront6targetE0EEEvT1_,comdat
.Lfunc_end799:
	.size	_ZN7rocprim17ROCPRIM_400000_NS6detail17trampoline_kernelINS0_14default_configENS1_25partition_config_selectorILNS1_17partition_subalgoE5ElNS0_10empty_typeEbEEZZNS1_14partition_implILS5_5ELb0ES3_mN6hipcub16HIPCUB_304000_NS21CountingInputIteratorIllEEPS6_NSA_22TransformInputIteratorIbN2at6native12_GLOBAL__N_19NonZeroOpIN3c108BFloat16EEEPKSK_lEENS0_5tupleIJPlS6_EEENSP_IJSD_SD_EEES6_PiJS6_EEE10hipError_tPvRmT3_T4_T5_T6_T7_T9_mT8_P12ihipStream_tbDpT10_ENKUlT_T0_E_clISt17integral_constantIbLb0EES1D_EEDaS18_S19_EUlS18_E_NS1_11comp_targetILNS1_3genE5ELNS1_11target_archE942ELNS1_3gpuE9ELNS1_3repE0EEENS1_30default_config_static_selectorELNS0_4arch9wavefront6targetE0EEEvT1_, .Lfunc_end799-_ZN7rocprim17ROCPRIM_400000_NS6detail17trampoline_kernelINS0_14default_configENS1_25partition_config_selectorILNS1_17partition_subalgoE5ElNS0_10empty_typeEbEEZZNS1_14partition_implILS5_5ELb0ES3_mN6hipcub16HIPCUB_304000_NS21CountingInputIteratorIllEEPS6_NSA_22TransformInputIteratorIbN2at6native12_GLOBAL__N_19NonZeroOpIN3c108BFloat16EEEPKSK_lEENS0_5tupleIJPlS6_EEENSP_IJSD_SD_EEES6_PiJS6_EEE10hipError_tPvRmT3_T4_T5_T6_T7_T9_mT8_P12ihipStream_tbDpT10_ENKUlT_T0_E_clISt17integral_constantIbLb0EES1D_EEDaS18_S19_EUlS18_E_NS1_11comp_targetILNS1_3genE5ELNS1_11target_archE942ELNS1_3gpuE9ELNS1_3repE0EEENS1_30default_config_static_selectorELNS0_4arch9wavefront6targetE0EEEvT1_
                                        ; -- End function
	.section	.AMDGPU.csdata,"",@progbits
; Kernel info:
; codeLenInByte = 0
; NumSgprs: 0
; NumVgprs: 0
; ScratchSize: 0
; MemoryBound: 0
; FloatMode: 240
; IeeeMode: 1
; LDSByteSize: 0 bytes/workgroup (compile time only)
; SGPRBlocks: 0
; VGPRBlocks: 0
; NumSGPRsForWavesPerEU: 1
; NumVGPRsForWavesPerEU: 1
; Occupancy: 16
; WaveLimiterHint : 0
; COMPUTE_PGM_RSRC2:SCRATCH_EN: 0
; COMPUTE_PGM_RSRC2:USER_SGPR: 15
; COMPUTE_PGM_RSRC2:TRAP_HANDLER: 0
; COMPUTE_PGM_RSRC2:TGID_X_EN: 1
; COMPUTE_PGM_RSRC2:TGID_Y_EN: 0
; COMPUTE_PGM_RSRC2:TGID_Z_EN: 0
; COMPUTE_PGM_RSRC2:TIDIG_COMP_CNT: 0
	.section	.text._ZN7rocprim17ROCPRIM_400000_NS6detail17trampoline_kernelINS0_14default_configENS1_25partition_config_selectorILNS1_17partition_subalgoE5ElNS0_10empty_typeEbEEZZNS1_14partition_implILS5_5ELb0ES3_mN6hipcub16HIPCUB_304000_NS21CountingInputIteratorIllEEPS6_NSA_22TransformInputIteratorIbN2at6native12_GLOBAL__N_19NonZeroOpIN3c108BFloat16EEEPKSK_lEENS0_5tupleIJPlS6_EEENSP_IJSD_SD_EEES6_PiJS6_EEE10hipError_tPvRmT3_T4_T5_T6_T7_T9_mT8_P12ihipStream_tbDpT10_ENKUlT_T0_E_clISt17integral_constantIbLb0EES1D_EEDaS18_S19_EUlS18_E_NS1_11comp_targetILNS1_3genE4ELNS1_11target_archE910ELNS1_3gpuE8ELNS1_3repE0EEENS1_30default_config_static_selectorELNS0_4arch9wavefront6targetE0EEEvT1_,"axG",@progbits,_ZN7rocprim17ROCPRIM_400000_NS6detail17trampoline_kernelINS0_14default_configENS1_25partition_config_selectorILNS1_17partition_subalgoE5ElNS0_10empty_typeEbEEZZNS1_14partition_implILS5_5ELb0ES3_mN6hipcub16HIPCUB_304000_NS21CountingInputIteratorIllEEPS6_NSA_22TransformInputIteratorIbN2at6native12_GLOBAL__N_19NonZeroOpIN3c108BFloat16EEEPKSK_lEENS0_5tupleIJPlS6_EEENSP_IJSD_SD_EEES6_PiJS6_EEE10hipError_tPvRmT3_T4_T5_T6_T7_T9_mT8_P12ihipStream_tbDpT10_ENKUlT_T0_E_clISt17integral_constantIbLb0EES1D_EEDaS18_S19_EUlS18_E_NS1_11comp_targetILNS1_3genE4ELNS1_11target_archE910ELNS1_3gpuE8ELNS1_3repE0EEENS1_30default_config_static_selectorELNS0_4arch9wavefront6targetE0EEEvT1_,comdat
	.globl	_ZN7rocprim17ROCPRIM_400000_NS6detail17trampoline_kernelINS0_14default_configENS1_25partition_config_selectorILNS1_17partition_subalgoE5ElNS0_10empty_typeEbEEZZNS1_14partition_implILS5_5ELb0ES3_mN6hipcub16HIPCUB_304000_NS21CountingInputIteratorIllEEPS6_NSA_22TransformInputIteratorIbN2at6native12_GLOBAL__N_19NonZeroOpIN3c108BFloat16EEEPKSK_lEENS0_5tupleIJPlS6_EEENSP_IJSD_SD_EEES6_PiJS6_EEE10hipError_tPvRmT3_T4_T5_T6_T7_T9_mT8_P12ihipStream_tbDpT10_ENKUlT_T0_E_clISt17integral_constantIbLb0EES1D_EEDaS18_S19_EUlS18_E_NS1_11comp_targetILNS1_3genE4ELNS1_11target_archE910ELNS1_3gpuE8ELNS1_3repE0EEENS1_30default_config_static_selectorELNS0_4arch9wavefront6targetE0EEEvT1_ ; -- Begin function _ZN7rocprim17ROCPRIM_400000_NS6detail17trampoline_kernelINS0_14default_configENS1_25partition_config_selectorILNS1_17partition_subalgoE5ElNS0_10empty_typeEbEEZZNS1_14partition_implILS5_5ELb0ES3_mN6hipcub16HIPCUB_304000_NS21CountingInputIteratorIllEEPS6_NSA_22TransformInputIteratorIbN2at6native12_GLOBAL__N_19NonZeroOpIN3c108BFloat16EEEPKSK_lEENS0_5tupleIJPlS6_EEENSP_IJSD_SD_EEES6_PiJS6_EEE10hipError_tPvRmT3_T4_T5_T6_T7_T9_mT8_P12ihipStream_tbDpT10_ENKUlT_T0_E_clISt17integral_constantIbLb0EES1D_EEDaS18_S19_EUlS18_E_NS1_11comp_targetILNS1_3genE4ELNS1_11target_archE910ELNS1_3gpuE8ELNS1_3repE0EEENS1_30default_config_static_selectorELNS0_4arch9wavefront6targetE0EEEvT1_
	.p2align	8
	.type	_ZN7rocprim17ROCPRIM_400000_NS6detail17trampoline_kernelINS0_14default_configENS1_25partition_config_selectorILNS1_17partition_subalgoE5ElNS0_10empty_typeEbEEZZNS1_14partition_implILS5_5ELb0ES3_mN6hipcub16HIPCUB_304000_NS21CountingInputIteratorIllEEPS6_NSA_22TransformInputIteratorIbN2at6native12_GLOBAL__N_19NonZeroOpIN3c108BFloat16EEEPKSK_lEENS0_5tupleIJPlS6_EEENSP_IJSD_SD_EEES6_PiJS6_EEE10hipError_tPvRmT3_T4_T5_T6_T7_T9_mT8_P12ihipStream_tbDpT10_ENKUlT_T0_E_clISt17integral_constantIbLb0EES1D_EEDaS18_S19_EUlS18_E_NS1_11comp_targetILNS1_3genE4ELNS1_11target_archE910ELNS1_3gpuE8ELNS1_3repE0EEENS1_30default_config_static_selectorELNS0_4arch9wavefront6targetE0EEEvT1_,@function
_ZN7rocprim17ROCPRIM_400000_NS6detail17trampoline_kernelINS0_14default_configENS1_25partition_config_selectorILNS1_17partition_subalgoE5ElNS0_10empty_typeEbEEZZNS1_14partition_implILS5_5ELb0ES3_mN6hipcub16HIPCUB_304000_NS21CountingInputIteratorIllEEPS6_NSA_22TransformInputIteratorIbN2at6native12_GLOBAL__N_19NonZeroOpIN3c108BFloat16EEEPKSK_lEENS0_5tupleIJPlS6_EEENSP_IJSD_SD_EEES6_PiJS6_EEE10hipError_tPvRmT3_T4_T5_T6_T7_T9_mT8_P12ihipStream_tbDpT10_ENKUlT_T0_E_clISt17integral_constantIbLb0EES1D_EEDaS18_S19_EUlS18_E_NS1_11comp_targetILNS1_3genE4ELNS1_11target_archE910ELNS1_3gpuE8ELNS1_3repE0EEENS1_30default_config_static_selectorELNS0_4arch9wavefront6targetE0EEEvT1_: ; @_ZN7rocprim17ROCPRIM_400000_NS6detail17trampoline_kernelINS0_14default_configENS1_25partition_config_selectorILNS1_17partition_subalgoE5ElNS0_10empty_typeEbEEZZNS1_14partition_implILS5_5ELb0ES3_mN6hipcub16HIPCUB_304000_NS21CountingInputIteratorIllEEPS6_NSA_22TransformInputIteratorIbN2at6native12_GLOBAL__N_19NonZeroOpIN3c108BFloat16EEEPKSK_lEENS0_5tupleIJPlS6_EEENSP_IJSD_SD_EEES6_PiJS6_EEE10hipError_tPvRmT3_T4_T5_T6_T7_T9_mT8_P12ihipStream_tbDpT10_ENKUlT_T0_E_clISt17integral_constantIbLb0EES1D_EEDaS18_S19_EUlS18_E_NS1_11comp_targetILNS1_3genE4ELNS1_11target_archE910ELNS1_3gpuE8ELNS1_3repE0EEENS1_30default_config_static_selectorELNS0_4arch9wavefront6targetE0EEEvT1_
; %bb.0:
	.section	.rodata,"a",@progbits
	.p2align	6, 0x0
	.amdhsa_kernel _ZN7rocprim17ROCPRIM_400000_NS6detail17trampoline_kernelINS0_14default_configENS1_25partition_config_selectorILNS1_17partition_subalgoE5ElNS0_10empty_typeEbEEZZNS1_14partition_implILS5_5ELb0ES3_mN6hipcub16HIPCUB_304000_NS21CountingInputIteratorIllEEPS6_NSA_22TransformInputIteratorIbN2at6native12_GLOBAL__N_19NonZeroOpIN3c108BFloat16EEEPKSK_lEENS0_5tupleIJPlS6_EEENSP_IJSD_SD_EEES6_PiJS6_EEE10hipError_tPvRmT3_T4_T5_T6_T7_T9_mT8_P12ihipStream_tbDpT10_ENKUlT_T0_E_clISt17integral_constantIbLb0EES1D_EEDaS18_S19_EUlS18_E_NS1_11comp_targetILNS1_3genE4ELNS1_11target_archE910ELNS1_3gpuE8ELNS1_3repE0EEENS1_30default_config_static_selectorELNS0_4arch9wavefront6targetE0EEEvT1_
		.amdhsa_group_segment_fixed_size 0
		.amdhsa_private_segment_fixed_size 0
		.amdhsa_kernarg_size 120
		.amdhsa_user_sgpr_count 15
		.amdhsa_user_sgpr_dispatch_ptr 0
		.amdhsa_user_sgpr_queue_ptr 0
		.amdhsa_user_sgpr_kernarg_segment_ptr 1
		.amdhsa_user_sgpr_dispatch_id 0
		.amdhsa_user_sgpr_private_segment_size 0
		.amdhsa_wavefront_size32 1
		.amdhsa_uses_dynamic_stack 0
		.amdhsa_enable_private_segment 0
		.amdhsa_system_sgpr_workgroup_id_x 1
		.amdhsa_system_sgpr_workgroup_id_y 0
		.amdhsa_system_sgpr_workgroup_id_z 0
		.amdhsa_system_sgpr_workgroup_info 0
		.amdhsa_system_vgpr_workitem_id 0
		.amdhsa_next_free_vgpr 1
		.amdhsa_next_free_sgpr 1
		.amdhsa_reserve_vcc 0
		.amdhsa_float_round_mode_32 0
		.amdhsa_float_round_mode_16_64 0
		.amdhsa_float_denorm_mode_32 3
		.amdhsa_float_denorm_mode_16_64 3
		.amdhsa_dx10_clamp 1
		.amdhsa_ieee_mode 1
		.amdhsa_fp16_overflow 0
		.amdhsa_workgroup_processor_mode 1
		.amdhsa_memory_ordered 1
		.amdhsa_forward_progress 0
		.amdhsa_shared_vgpr_count 0
		.amdhsa_exception_fp_ieee_invalid_op 0
		.amdhsa_exception_fp_denorm_src 0
		.amdhsa_exception_fp_ieee_div_zero 0
		.amdhsa_exception_fp_ieee_overflow 0
		.amdhsa_exception_fp_ieee_underflow 0
		.amdhsa_exception_fp_ieee_inexact 0
		.amdhsa_exception_int_div_zero 0
	.end_amdhsa_kernel
	.section	.text._ZN7rocprim17ROCPRIM_400000_NS6detail17trampoline_kernelINS0_14default_configENS1_25partition_config_selectorILNS1_17partition_subalgoE5ElNS0_10empty_typeEbEEZZNS1_14partition_implILS5_5ELb0ES3_mN6hipcub16HIPCUB_304000_NS21CountingInputIteratorIllEEPS6_NSA_22TransformInputIteratorIbN2at6native12_GLOBAL__N_19NonZeroOpIN3c108BFloat16EEEPKSK_lEENS0_5tupleIJPlS6_EEENSP_IJSD_SD_EEES6_PiJS6_EEE10hipError_tPvRmT3_T4_T5_T6_T7_T9_mT8_P12ihipStream_tbDpT10_ENKUlT_T0_E_clISt17integral_constantIbLb0EES1D_EEDaS18_S19_EUlS18_E_NS1_11comp_targetILNS1_3genE4ELNS1_11target_archE910ELNS1_3gpuE8ELNS1_3repE0EEENS1_30default_config_static_selectorELNS0_4arch9wavefront6targetE0EEEvT1_,"axG",@progbits,_ZN7rocprim17ROCPRIM_400000_NS6detail17trampoline_kernelINS0_14default_configENS1_25partition_config_selectorILNS1_17partition_subalgoE5ElNS0_10empty_typeEbEEZZNS1_14partition_implILS5_5ELb0ES3_mN6hipcub16HIPCUB_304000_NS21CountingInputIteratorIllEEPS6_NSA_22TransformInputIteratorIbN2at6native12_GLOBAL__N_19NonZeroOpIN3c108BFloat16EEEPKSK_lEENS0_5tupleIJPlS6_EEENSP_IJSD_SD_EEES6_PiJS6_EEE10hipError_tPvRmT3_T4_T5_T6_T7_T9_mT8_P12ihipStream_tbDpT10_ENKUlT_T0_E_clISt17integral_constantIbLb0EES1D_EEDaS18_S19_EUlS18_E_NS1_11comp_targetILNS1_3genE4ELNS1_11target_archE910ELNS1_3gpuE8ELNS1_3repE0EEENS1_30default_config_static_selectorELNS0_4arch9wavefront6targetE0EEEvT1_,comdat
.Lfunc_end800:
	.size	_ZN7rocprim17ROCPRIM_400000_NS6detail17trampoline_kernelINS0_14default_configENS1_25partition_config_selectorILNS1_17partition_subalgoE5ElNS0_10empty_typeEbEEZZNS1_14partition_implILS5_5ELb0ES3_mN6hipcub16HIPCUB_304000_NS21CountingInputIteratorIllEEPS6_NSA_22TransformInputIteratorIbN2at6native12_GLOBAL__N_19NonZeroOpIN3c108BFloat16EEEPKSK_lEENS0_5tupleIJPlS6_EEENSP_IJSD_SD_EEES6_PiJS6_EEE10hipError_tPvRmT3_T4_T5_T6_T7_T9_mT8_P12ihipStream_tbDpT10_ENKUlT_T0_E_clISt17integral_constantIbLb0EES1D_EEDaS18_S19_EUlS18_E_NS1_11comp_targetILNS1_3genE4ELNS1_11target_archE910ELNS1_3gpuE8ELNS1_3repE0EEENS1_30default_config_static_selectorELNS0_4arch9wavefront6targetE0EEEvT1_, .Lfunc_end800-_ZN7rocprim17ROCPRIM_400000_NS6detail17trampoline_kernelINS0_14default_configENS1_25partition_config_selectorILNS1_17partition_subalgoE5ElNS0_10empty_typeEbEEZZNS1_14partition_implILS5_5ELb0ES3_mN6hipcub16HIPCUB_304000_NS21CountingInputIteratorIllEEPS6_NSA_22TransformInputIteratorIbN2at6native12_GLOBAL__N_19NonZeroOpIN3c108BFloat16EEEPKSK_lEENS0_5tupleIJPlS6_EEENSP_IJSD_SD_EEES6_PiJS6_EEE10hipError_tPvRmT3_T4_T5_T6_T7_T9_mT8_P12ihipStream_tbDpT10_ENKUlT_T0_E_clISt17integral_constantIbLb0EES1D_EEDaS18_S19_EUlS18_E_NS1_11comp_targetILNS1_3genE4ELNS1_11target_archE910ELNS1_3gpuE8ELNS1_3repE0EEENS1_30default_config_static_selectorELNS0_4arch9wavefront6targetE0EEEvT1_
                                        ; -- End function
	.section	.AMDGPU.csdata,"",@progbits
; Kernel info:
; codeLenInByte = 0
; NumSgprs: 0
; NumVgprs: 0
; ScratchSize: 0
; MemoryBound: 0
; FloatMode: 240
; IeeeMode: 1
; LDSByteSize: 0 bytes/workgroup (compile time only)
; SGPRBlocks: 0
; VGPRBlocks: 0
; NumSGPRsForWavesPerEU: 1
; NumVGPRsForWavesPerEU: 1
; Occupancy: 15
; WaveLimiterHint : 0
; COMPUTE_PGM_RSRC2:SCRATCH_EN: 0
; COMPUTE_PGM_RSRC2:USER_SGPR: 15
; COMPUTE_PGM_RSRC2:TRAP_HANDLER: 0
; COMPUTE_PGM_RSRC2:TGID_X_EN: 1
; COMPUTE_PGM_RSRC2:TGID_Y_EN: 0
; COMPUTE_PGM_RSRC2:TGID_Z_EN: 0
; COMPUTE_PGM_RSRC2:TIDIG_COMP_CNT: 0
	.section	.text._ZN7rocprim17ROCPRIM_400000_NS6detail17trampoline_kernelINS0_14default_configENS1_25partition_config_selectorILNS1_17partition_subalgoE5ElNS0_10empty_typeEbEEZZNS1_14partition_implILS5_5ELb0ES3_mN6hipcub16HIPCUB_304000_NS21CountingInputIteratorIllEEPS6_NSA_22TransformInputIteratorIbN2at6native12_GLOBAL__N_19NonZeroOpIN3c108BFloat16EEEPKSK_lEENS0_5tupleIJPlS6_EEENSP_IJSD_SD_EEES6_PiJS6_EEE10hipError_tPvRmT3_T4_T5_T6_T7_T9_mT8_P12ihipStream_tbDpT10_ENKUlT_T0_E_clISt17integral_constantIbLb0EES1D_EEDaS18_S19_EUlS18_E_NS1_11comp_targetILNS1_3genE3ELNS1_11target_archE908ELNS1_3gpuE7ELNS1_3repE0EEENS1_30default_config_static_selectorELNS0_4arch9wavefront6targetE0EEEvT1_,"axG",@progbits,_ZN7rocprim17ROCPRIM_400000_NS6detail17trampoline_kernelINS0_14default_configENS1_25partition_config_selectorILNS1_17partition_subalgoE5ElNS0_10empty_typeEbEEZZNS1_14partition_implILS5_5ELb0ES3_mN6hipcub16HIPCUB_304000_NS21CountingInputIteratorIllEEPS6_NSA_22TransformInputIteratorIbN2at6native12_GLOBAL__N_19NonZeroOpIN3c108BFloat16EEEPKSK_lEENS0_5tupleIJPlS6_EEENSP_IJSD_SD_EEES6_PiJS6_EEE10hipError_tPvRmT3_T4_T5_T6_T7_T9_mT8_P12ihipStream_tbDpT10_ENKUlT_T0_E_clISt17integral_constantIbLb0EES1D_EEDaS18_S19_EUlS18_E_NS1_11comp_targetILNS1_3genE3ELNS1_11target_archE908ELNS1_3gpuE7ELNS1_3repE0EEENS1_30default_config_static_selectorELNS0_4arch9wavefront6targetE0EEEvT1_,comdat
	.globl	_ZN7rocprim17ROCPRIM_400000_NS6detail17trampoline_kernelINS0_14default_configENS1_25partition_config_selectorILNS1_17partition_subalgoE5ElNS0_10empty_typeEbEEZZNS1_14partition_implILS5_5ELb0ES3_mN6hipcub16HIPCUB_304000_NS21CountingInputIteratorIllEEPS6_NSA_22TransformInputIteratorIbN2at6native12_GLOBAL__N_19NonZeroOpIN3c108BFloat16EEEPKSK_lEENS0_5tupleIJPlS6_EEENSP_IJSD_SD_EEES6_PiJS6_EEE10hipError_tPvRmT3_T4_T5_T6_T7_T9_mT8_P12ihipStream_tbDpT10_ENKUlT_T0_E_clISt17integral_constantIbLb0EES1D_EEDaS18_S19_EUlS18_E_NS1_11comp_targetILNS1_3genE3ELNS1_11target_archE908ELNS1_3gpuE7ELNS1_3repE0EEENS1_30default_config_static_selectorELNS0_4arch9wavefront6targetE0EEEvT1_ ; -- Begin function _ZN7rocprim17ROCPRIM_400000_NS6detail17trampoline_kernelINS0_14default_configENS1_25partition_config_selectorILNS1_17partition_subalgoE5ElNS0_10empty_typeEbEEZZNS1_14partition_implILS5_5ELb0ES3_mN6hipcub16HIPCUB_304000_NS21CountingInputIteratorIllEEPS6_NSA_22TransformInputIteratorIbN2at6native12_GLOBAL__N_19NonZeroOpIN3c108BFloat16EEEPKSK_lEENS0_5tupleIJPlS6_EEENSP_IJSD_SD_EEES6_PiJS6_EEE10hipError_tPvRmT3_T4_T5_T6_T7_T9_mT8_P12ihipStream_tbDpT10_ENKUlT_T0_E_clISt17integral_constantIbLb0EES1D_EEDaS18_S19_EUlS18_E_NS1_11comp_targetILNS1_3genE3ELNS1_11target_archE908ELNS1_3gpuE7ELNS1_3repE0EEENS1_30default_config_static_selectorELNS0_4arch9wavefront6targetE0EEEvT1_
	.p2align	8
	.type	_ZN7rocprim17ROCPRIM_400000_NS6detail17trampoline_kernelINS0_14default_configENS1_25partition_config_selectorILNS1_17partition_subalgoE5ElNS0_10empty_typeEbEEZZNS1_14partition_implILS5_5ELb0ES3_mN6hipcub16HIPCUB_304000_NS21CountingInputIteratorIllEEPS6_NSA_22TransformInputIteratorIbN2at6native12_GLOBAL__N_19NonZeroOpIN3c108BFloat16EEEPKSK_lEENS0_5tupleIJPlS6_EEENSP_IJSD_SD_EEES6_PiJS6_EEE10hipError_tPvRmT3_T4_T5_T6_T7_T9_mT8_P12ihipStream_tbDpT10_ENKUlT_T0_E_clISt17integral_constantIbLb0EES1D_EEDaS18_S19_EUlS18_E_NS1_11comp_targetILNS1_3genE3ELNS1_11target_archE908ELNS1_3gpuE7ELNS1_3repE0EEENS1_30default_config_static_selectorELNS0_4arch9wavefront6targetE0EEEvT1_,@function
_ZN7rocprim17ROCPRIM_400000_NS6detail17trampoline_kernelINS0_14default_configENS1_25partition_config_selectorILNS1_17partition_subalgoE5ElNS0_10empty_typeEbEEZZNS1_14partition_implILS5_5ELb0ES3_mN6hipcub16HIPCUB_304000_NS21CountingInputIteratorIllEEPS6_NSA_22TransformInputIteratorIbN2at6native12_GLOBAL__N_19NonZeroOpIN3c108BFloat16EEEPKSK_lEENS0_5tupleIJPlS6_EEENSP_IJSD_SD_EEES6_PiJS6_EEE10hipError_tPvRmT3_T4_T5_T6_T7_T9_mT8_P12ihipStream_tbDpT10_ENKUlT_T0_E_clISt17integral_constantIbLb0EES1D_EEDaS18_S19_EUlS18_E_NS1_11comp_targetILNS1_3genE3ELNS1_11target_archE908ELNS1_3gpuE7ELNS1_3repE0EEENS1_30default_config_static_selectorELNS0_4arch9wavefront6targetE0EEEvT1_: ; @_ZN7rocprim17ROCPRIM_400000_NS6detail17trampoline_kernelINS0_14default_configENS1_25partition_config_selectorILNS1_17partition_subalgoE5ElNS0_10empty_typeEbEEZZNS1_14partition_implILS5_5ELb0ES3_mN6hipcub16HIPCUB_304000_NS21CountingInputIteratorIllEEPS6_NSA_22TransformInputIteratorIbN2at6native12_GLOBAL__N_19NonZeroOpIN3c108BFloat16EEEPKSK_lEENS0_5tupleIJPlS6_EEENSP_IJSD_SD_EEES6_PiJS6_EEE10hipError_tPvRmT3_T4_T5_T6_T7_T9_mT8_P12ihipStream_tbDpT10_ENKUlT_T0_E_clISt17integral_constantIbLb0EES1D_EEDaS18_S19_EUlS18_E_NS1_11comp_targetILNS1_3genE3ELNS1_11target_archE908ELNS1_3gpuE7ELNS1_3repE0EEENS1_30default_config_static_selectorELNS0_4arch9wavefront6targetE0EEEvT1_
; %bb.0:
	.section	.rodata,"a",@progbits
	.p2align	6, 0x0
	.amdhsa_kernel _ZN7rocprim17ROCPRIM_400000_NS6detail17trampoline_kernelINS0_14default_configENS1_25partition_config_selectorILNS1_17partition_subalgoE5ElNS0_10empty_typeEbEEZZNS1_14partition_implILS5_5ELb0ES3_mN6hipcub16HIPCUB_304000_NS21CountingInputIteratorIllEEPS6_NSA_22TransformInputIteratorIbN2at6native12_GLOBAL__N_19NonZeroOpIN3c108BFloat16EEEPKSK_lEENS0_5tupleIJPlS6_EEENSP_IJSD_SD_EEES6_PiJS6_EEE10hipError_tPvRmT3_T4_T5_T6_T7_T9_mT8_P12ihipStream_tbDpT10_ENKUlT_T0_E_clISt17integral_constantIbLb0EES1D_EEDaS18_S19_EUlS18_E_NS1_11comp_targetILNS1_3genE3ELNS1_11target_archE908ELNS1_3gpuE7ELNS1_3repE0EEENS1_30default_config_static_selectorELNS0_4arch9wavefront6targetE0EEEvT1_
		.amdhsa_group_segment_fixed_size 0
		.amdhsa_private_segment_fixed_size 0
		.amdhsa_kernarg_size 120
		.amdhsa_user_sgpr_count 15
		.amdhsa_user_sgpr_dispatch_ptr 0
		.amdhsa_user_sgpr_queue_ptr 0
		.amdhsa_user_sgpr_kernarg_segment_ptr 1
		.amdhsa_user_sgpr_dispatch_id 0
		.amdhsa_user_sgpr_private_segment_size 0
		.amdhsa_wavefront_size32 1
		.amdhsa_uses_dynamic_stack 0
		.amdhsa_enable_private_segment 0
		.amdhsa_system_sgpr_workgroup_id_x 1
		.amdhsa_system_sgpr_workgroup_id_y 0
		.amdhsa_system_sgpr_workgroup_id_z 0
		.amdhsa_system_sgpr_workgroup_info 0
		.amdhsa_system_vgpr_workitem_id 0
		.amdhsa_next_free_vgpr 1
		.amdhsa_next_free_sgpr 1
		.amdhsa_reserve_vcc 0
		.amdhsa_float_round_mode_32 0
		.amdhsa_float_round_mode_16_64 0
		.amdhsa_float_denorm_mode_32 3
		.amdhsa_float_denorm_mode_16_64 3
		.amdhsa_dx10_clamp 1
		.amdhsa_ieee_mode 1
		.amdhsa_fp16_overflow 0
		.amdhsa_workgroup_processor_mode 1
		.amdhsa_memory_ordered 1
		.amdhsa_forward_progress 0
		.amdhsa_shared_vgpr_count 0
		.amdhsa_exception_fp_ieee_invalid_op 0
		.amdhsa_exception_fp_denorm_src 0
		.amdhsa_exception_fp_ieee_div_zero 0
		.amdhsa_exception_fp_ieee_overflow 0
		.amdhsa_exception_fp_ieee_underflow 0
		.amdhsa_exception_fp_ieee_inexact 0
		.amdhsa_exception_int_div_zero 0
	.end_amdhsa_kernel
	.section	.text._ZN7rocprim17ROCPRIM_400000_NS6detail17trampoline_kernelINS0_14default_configENS1_25partition_config_selectorILNS1_17partition_subalgoE5ElNS0_10empty_typeEbEEZZNS1_14partition_implILS5_5ELb0ES3_mN6hipcub16HIPCUB_304000_NS21CountingInputIteratorIllEEPS6_NSA_22TransformInputIteratorIbN2at6native12_GLOBAL__N_19NonZeroOpIN3c108BFloat16EEEPKSK_lEENS0_5tupleIJPlS6_EEENSP_IJSD_SD_EEES6_PiJS6_EEE10hipError_tPvRmT3_T4_T5_T6_T7_T9_mT8_P12ihipStream_tbDpT10_ENKUlT_T0_E_clISt17integral_constantIbLb0EES1D_EEDaS18_S19_EUlS18_E_NS1_11comp_targetILNS1_3genE3ELNS1_11target_archE908ELNS1_3gpuE7ELNS1_3repE0EEENS1_30default_config_static_selectorELNS0_4arch9wavefront6targetE0EEEvT1_,"axG",@progbits,_ZN7rocprim17ROCPRIM_400000_NS6detail17trampoline_kernelINS0_14default_configENS1_25partition_config_selectorILNS1_17partition_subalgoE5ElNS0_10empty_typeEbEEZZNS1_14partition_implILS5_5ELb0ES3_mN6hipcub16HIPCUB_304000_NS21CountingInputIteratorIllEEPS6_NSA_22TransformInputIteratorIbN2at6native12_GLOBAL__N_19NonZeroOpIN3c108BFloat16EEEPKSK_lEENS0_5tupleIJPlS6_EEENSP_IJSD_SD_EEES6_PiJS6_EEE10hipError_tPvRmT3_T4_T5_T6_T7_T9_mT8_P12ihipStream_tbDpT10_ENKUlT_T0_E_clISt17integral_constantIbLb0EES1D_EEDaS18_S19_EUlS18_E_NS1_11comp_targetILNS1_3genE3ELNS1_11target_archE908ELNS1_3gpuE7ELNS1_3repE0EEENS1_30default_config_static_selectorELNS0_4arch9wavefront6targetE0EEEvT1_,comdat
.Lfunc_end801:
	.size	_ZN7rocprim17ROCPRIM_400000_NS6detail17trampoline_kernelINS0_14default_configENS1_25partition_config_selectorILNS1_17partition_subalgoE5ElNS0_10empty_typeEbEEZZNS1_14partition_implILS5_5ELb0ES3_mN6hipcub16HIPCUB_304000_NS21CountingInputIteratorIllEEPS6_NSA_22TransformInputIteratorIbN2at6native12_GLOBAL__N_19NonZeroOpIN3c108BFloat16EEEPKSK_lEENS0_5tupleIJPlS6_EEENSP_IJSD_SD_EEES6_PiJS6_EEE10hipError_tPvRmT3_T4_T5_T6_T7_T9_mT8_P12ihipStream_tbDpT10_ENKUlT_T0_E_clISt17integral_constantIbLb0EES1D_EEDaS18_S19_EUlS18_E_NS1_11comp_targetILNS1_3genE3ELNS1_11target_archE908ELNS1_3gpuE7ELNS1_3repE0EEENS1_30default_config_static_selectorELNS0_4arch9wavefront6targetE0EEEvT1_, .Lfunc_end801-_ZN7rocprim17ROCPRIM_400000_NS6detail17trampoline_kernelINS0_14default_configENS1_25partition_config_selectorILNS1_17partition_subalgoE5ElNS0_10empty_typeEbEEZZNS1_14partition_implILS5_5ELb0ES3_mN6hipcub16HIPCUB_304000_NS21CountingInputIteratorIllEEPS6_NSA_22TransformInputIteratorIbN2at6native12_GLOBAL__N_19NonZeroOpIN3c108BFloat16EEEPKSK_lEENS0_5tupleIJPlS6_EEENSP_IJSD_SD_EEES6_PiJS6_EEE10hipError_tPvRmT3_T4_T5_T6_T7_T9_mT8_P12ihipStream_tbDpT10_ENKUlT_T0_E_clISt17integral_constantIbLb0EES1D_EEDaS18_S19_EUlS18_E_NS1_11comp_targetILNS1_3genE3ELNS1_11target_archE908ELNS1_3gpuE7ELNS1_3repE0EEENS1_30default_config_static_selectorELNS0_4arch9wavefront6targetE0EEEvT1_
                                        ; -- End function
	.section	.AMDGPU.csdata,"",@progbits
; Kernel info:
; codeLenInByte = 0
; NumSgprs: 0
; NumVgprs: 0
; ScratchSize: 0
; MemoryBound: 0
; FloatMode: 240
; IeeeMode: 1
; LDSByteSize: 0 bytes/workgroup (compile time only)
; SGPRBlocks: 0
; VGPRBlocks: 0
; NumSGPRsForWavesPerEU: 1
; NumVGPRsForWavesPerEU: 1
; Occupancy: 16
; WaveLimiterHint : 0
; COMPUTE_PGM_RSRC2:SCRATCH_EN: 0
; COMPUTE_PGM_RSRC2:USER_SGPR: 15
; COMPUTE_PGM_RSRC2:TRAP_HANDLER: 0
; COMPUTE_PGM_RSRC2:TGID_X_EN: 1
; COMPUTE_PGM_RSRC2:TGID_Y_EN: 0
; COMPUTE_PGM_RSRC2:TGID_Z_EN: 0
; COMPUTE_PGM_RSRC2:TIDIG_COMP_CNT: 0
	.section	.text._ZN7rocprim17ROCPRIM_400000_NS6detail17trampoline_kernelINS0_14default_configENS1_25partition_config_selectorILNS1_17partition_subalgoE5ElNS0_10empty_typeEbEEZZNS1_14partition_implILS5_5ELb0ES3_mN6hipcub16HIPCUB_304000_NS21CountingInputIteratorIllEEPS6_NSA_22TransformInputIteratorIbN2at6native12_GLOBAL__N_19NonZeroOpIN3c108BFloat16EEEPKSK_lEENS0_5tupleIJPlS6_EEENSP_IJSD_SD_EEES6_PiJS6_EEE10hipError_tPvRmT3_T4_T5_T6_T7_T9_mT8_P12ihipStream_tbDpT10_ENKUlT_T0_E_clISt17integral_constantIbLb0EES1D_EEDaS18_S19_EUlS18_E_NS1_11comp_targetILNS1_3genE2ELNS1_11target_archE906ELNS1_3gpuE6ELNS1_3repE0EEENS1_30default_config_static_selectorELNS0_4arch9wavefront6targetE0EEEvT1_,"axG",@progbits,_ZN7rocprim17ROCPRIM_400000_NS6detail17trampoline_kernelINS0_14default_configENS1_25partition_config_selectorILNS1_17partition_subalgoE5ElNS0_10empty_typeEbEEZZNS1_14partition_implILS5_5ELb0ES3_mN6hipcub16HIPCUB_304000_NS21CountingInputIteratorIllEEPS6_NSA_22TransformInputIteratorIbN2at6native12_GLOBAL__N_19NonZeroOpIN3c108BFloat16EEEPKSK_lEENS0_5tupleIJPlS6_EEENSP_IJSD_SD_EEES6_PiJS6_EEE10hipError_tPvRmT3_T4_T5_T6_T7_T9_mT8_P12ihipStream_tbDpT10_ENKUlT_T0_E_clISt17integral_constantIbLb0EES1D_EEDaS18_S19_EUlS18_E_NS1_11comp_targetILNS1_3genE2ELNS1_11target_archE906ELNS1_3gpuE6ELNS1_3repE0EEENS1_30default_config_static_selectorELNS0_4arch9wavefront6targetE0EEEvT1_,comdat
	.globl	_ZN7rocprim17ROCPRIM_400000_NS6detail17trampoline_kernelINS0_14default_configENS1_25partition_config_selectorILNS1_17partition_subalgoE5ElNS0_10empty_typeEbEEZZNS1_14partition_implILS5_5ELb0ES3_mN6hipcub16HIPCUB_304000_NS21CountingInputIteratorIllEEPS6_NSA_22TransformInputIteratorIbN2at6native12_GLOBAL__N_19NonZeroOpIN3c108BFloat16EEEPKSK_lEENS0_5tupleIJPlS6_EEENSP_IJSD_SD_EEES6_PiJS6_EEE10hipError_tPvRmT3_T4_T5_T6_T7_T9_mT8_P12ihipStream_tbDpT10_ENKUlT_T0_E_clISt17integral_constantIbLb0EES1D_EEDaS18_S19_EUlS18_E_NS1_11comp_targetILNS1_3genE2ELNS1_11target_archE906ELNS1_3gpuE6ELNS1_3repE0EEENS1_30default_config_static_selectorELNS0_4arch9wavefront6targetE0EEEvT1_ ; -- Begin function _ZN7rocprim17ROCPRIM_400000_NS6detail17trampoline_kernelINS0_14default_configENS1_25partition_config_selectorILNS1_17partition_subalgoE5ElNS0_10empty_typeEbEEZZNS1_14partition_implILS5_5ELb0ES3_mN6hipcub16HIPCUB_304000_NS21CountingInputIteratorIllEEPS6_NSA_22TransformInputIteratorIbN2at6native12_GLOBAL__N_19NonZeroOpIN3c108BFloat16EEEPKSK_lEENS0_5tupleIJPlS6_EEENSP_IJSD_SD_EEES6_PiJS6_EEE10hipError_tPvRmT3_T4_T5_T6_T7_T9_mT8_P12ihipStream_tbDpT10_ENKUlT_T0_E_clISt17integral_constantIbLb0EES1D_EEDaS18_S19_EUlS18_E_NS1_11comp_targetILNS1_3genE2ELNS1_11target_archE906ELNS1_3gpuE6ELNS1_3repE0EEENS1_30default_config_static_selectorELNS0_4arch9wavefront6targetE0EEEvT1_
	.p2align	8
	.type	_ZN7rocprim17ROCPRIM_400000_NS6detail17trampoline_kernelINS0_14default_configENS1_25partition_config_selectorILNS1_17partition_subalgoE5ElNS0_10empty_typeEbEEZZNS1_14partition_implILS5_5ELb0ES3_mN6hipcub16HIPCUB_304000_NS21CountingInputIteratorIllEEPS6_NSA_22TransformInputIteratorIbN2at6native12_GLOBAL__N_19NonZeroOpIN3c108BFloat16EEEPKSK_lEENS0_5tupleIJPlS6_EEENSP_IJSD_SD_EEES6_PiJS6_EEE10hipError_tPvRmT3_T4_T5_T6_T7_T9_mT8_P12ihipStream_tbDpT10_ENKUlT_T0_E_clISt17integral_constantIbLb0EES1D_EEDaS18_S19_EUlS18_E_NS1_11comp_targetILNS1_3genE2ELNS1_11target_archE906ELNS1_3gpuE6ELNS1_3repE0EEENS1_30default_config_static_selectorELNS0_4arch9wavefront6targetE0EEEvT1_,@function
_ZN7rocprim17ROCPRIM_400000_NS6detail17trampoline_kernelINS0_14default_configENS1_25partition_config_selectorILNS1_17partition_subalgoE5ElNS0_10empty_typeEbEEZZNS1_14partition_implILS5_5ELb0ES3_mN6hipcub16HIPCUB_304000_NS21CountingInputIteratorIllEEPS6_NSA_22TransformInputIteratorIbN2at6native12_GLOBAL__N_19NonZeroOpIN3c108BFloat16EEEPKSK_lEENS0_5tupleIJPlS6_EEENSP_IJSD_SD_EEES6_PiJS6_EEE10hipError_tPvRmT3_T4_T5_T6_T7_T9_mT8_P12ihipStream_tbDpT10_ENKUlT_T0_E_clISt17integral_constantIbLb0EES1D_EEDaS18_S19_EUlS18_E_NS1_11comp_targetILNS1_3genE2ELNS1_11target_archE906ELNS1_3gpuE6ELNS1_3repE0EEENS1_30default_config_static_selectorELNS0_4arch9wavefront6targetE0EEEvT1_: ; @_ZN7rocprim17ROCPRIM_400000_NS6detail17trampoline_kernelINS0_14default_configENS1_25partition_config_selectorILNS1_17partition_subalgoE5ElNS0_10empty_typeEbEEZZNS1_14partition_implILS5_5ELb0ES3_mN6hipcub16HIPCUB_304000_NS21CountingInputIteratorIllEEPS6_NSA_22TransformInputIteratorIbN2at6native12_GLOBAL__N_19NonZeroOpIN3c108BFloat16EEEPKSK_lEENS0_5tupleIJPlS6_EEENSP_IJSD_SD_EEES6_PiJS6_EEE10hipError_tPvRmT3_T4_T5_T6_T7_T9_mT8_P12ihipStream_tbDpT10_ENKUlT_T0_E_clISt17integral_constantIbLb0EES1D_EEDaS18_S19_EUlS18_E_NS1_11comp_targetILNS1_3genE2ELNS1_11target_archE906ELNS1_3gpuE6ELNS1_3repE0EEENS1_30default_config_static_selectorELNS0_4arch9wavefront6targetE0EEEvT1_
; %bb.0:
	.section	.rodata,"a",@progbits
	.p2align	6, 0x0
	.amdhsa_kernel _ZN7rocprim17ROCPRIM_400000_NS6detail17trampoline_kernelINS0_14default_configENS1_25partition_config_selectorILNS1_17partition_subalgoE5ElNS0_10empty_typeEbEEZZNS1_14partition_implILS5_5ELb0ES3_mN6hipcub16HIPCUB_304000_NS21CountingInputIteratorIllEEPS6_NSA_22TransformInputIteratorIbN2at6native12_GLOBAL__N_19NonZeroOpIN3c108BFloat16EEEPKSK_lEENS0_5tupleIJPlS6_EEENSP_IJSD_SD_EEES6_PiJS6_EEE10hipError_tPvRmT3_T4_T5_T6_T7_T9_mT8_P12ihipStream_tbDpT10_ENKUlT_T0_E_clISt17integral_constantIbLb0EES1D_EEDaS18_S19_EUlS18_E_NS1_11comp_targetILNS1_3genE2ELNS1_11target_archE906ELNS1_3gpuE6ELNS1_3repE0EEENS1_30default_config_static_selectorELNS0_4arch9wavefront6targetE0EEEvT1_
		.amdhsa_group_segment_fixed_size 0
		.amdhsa_private_segment_fixed_size 0
		.amdhsa_kernarg_size 120
		.amdhsa_user_sgpr_count 15
		.amdhsa_user_sgpr_dispatch_ptr 0
		.amdhsa_user_sgpr_queue_ptr 0
		.amdhsa_user_sgpr_kernarg_segment_ptr 1
		.amdhsa_user_sgpr_dispatch_id 0
		.amdhsa_user_sgpr_private_segment_size 0
		.amdhsa_wavefront_size32 1
		.amdhsa_uses_dynamic_stack 0
		.amdhsa_enable_private_segment 0
		.amdhsa_system_sgpr_workgroup_id_x 1
		.amdhsa_system_sgpr_workgroup_id_y 0
		.amdhsa_system_sgpr_workgroup_id_z 0
		.amdhsa_system_sgpr_workgroup_info 0
		.amdhsa_system_vgpr_workitem_id 0
		.amdhsa_next_free_vgpr 1
		.amdhsa_next_free_sgpr 1
		.amdhsa_reserve_vcc 0
		.amdhsa_float_round_mode_32 0
		.amdhsa_float_round_mode_16_64 0
		.amdhsa_float_denorm_mode_32 3
		.amdhsa_float_denorm_mode_16_64 3
		.amdhsa_dx10_clamp 1
		.amdhsa_ieee_mode 1
		.amdhsa_fp16_overflow 0
		.amdhsa_workgroup_processor_mode 1
		.amdhsa_memory_ordered 1
		.amdhsa_forward_progress 0
		.amdhsa_shared_vgpr_count 0
		.amdhsa_exception_fp_ieee_invalid_op 0
		.amdhsa_exception_fp_denorm_src 0
		.amdhsa_exception_fp_ieee_div_zero 0
		.amdhsa_exception_fp_ieee_overflow 0
		.amdhsa_exception_fp_ieee_underflow 0
		.amdhsa_exception_fp_ieee_inexact 0
		.amdhsa_exception_int_div_zero 0
	.end_amdhsa_kernel
	.section	.text._ZN7rocprim17ROCPRIM_400000_NS6detail17trampoline_kernelINS0_14default_configENS1_25partition_config_selectorILNS1_17partition_subalgoE5ElNS0_10empty_typeEbEEZZNS1_14partition_implILS5_5ELb0ES3_mN6hipcub16HIPCUB_304000_NS21CountingInputIteratorIllEEPS6_NSA_22TransformInputIteratorIbN2at6native12_GLOBAL__N_19NonZeroOpIN3c108BFloat16EEEPKSK_lEENS0_5tupleIJPlS6_EEENSP_IJSD_SD_EEES6_PiJS6_EEE10hipError_tPvRmT3_T4_T5_T6_T7_T9_mT8_P12ihipStream_tbDpT10_ENKUlT_T0_E_clISt17integral_constantIbLb0EES1D_EEDaS18_S19_EUlS18_E_NS1_11comp_targetILNS1_3genE2ELNS1_11target_archE906ELNS1_3gpuE6ELNS1_3repE0EEENS1_30default_config_static_selectorELNS0_4arch9wavefront6targetE0EEEvT1_,"axG",@progbits,_ZN7rocprim17ROCPRIM_400000_NS6detail17trampoline_kernelINS0_14default_configENS1_25partition_config_selectorILNS1_17partition_subalgoE5ElNS0_10empty_typeEbEEZZNS1_14partition_implILS5_5ELb0ES3_mN6hipcub16HIPCUB_304000_NS21CountingInputIteratorIllEEPS6_NSA_22TransformInputIteratorIbN2at6native12_GLOBAL__N_19NonZeroOpIN3c108BFloat16EEEPKSK_lEENS0_5tupleIJPlS6_EEENSP_IJSD_SD_EEES6_PiJS6_EEE10hipError_tPvRmT3_T4_T5_T6_T7_T9_mT8_P12ihipStream_tbDpT10_ENKUlT_T0_E_clISt17integral_constantIbLb0EES1D_EEDaS18_S19_EUlS18_E_NS1_11comp_targetILNS1_3genE2ELNS1_11target_archE906ELNS1_3gpuE6ELNS1_3repE0EEENS1_30default_config_static_selectorELNS0_4arch9wavefront6targetE0EEEvT1_,comdat
.Lfunc_end802:
	.size	_ZN7rocprim17ROCPRIM_400000_NS6detail17trampoline_kernelINS0_14default_configENS1_25partition_config_selectorILNS1_17partition_subalgoE5ElNS0_10empty_typeEbEEZZNS1_14partition_implILS5_5ELb0ES3_mN6hipcub16HIPCUB_304000_NS21CountingInputIteratorIllEEPS6_NSA_22TransformInputIteratorIbN2at6native12_GLOBAL__N_19NonZeroOpIN3c108BFloat16EEEPKSK_lEENS0_5tupleIJPlS6_EEENSP_IJSD_SD_EEES6_PiJS6_EEE10hipError_tPvRmT3_T4_T5_T6_T7_T9_mT8_P12ihipStream_tbDpT10_ENKUlT_T0_E_clISt17integral_constantIbLb0EES1D_EEDaS18_S19_EUlS18_E_NS1_11comp_targetILNS1_3genE2ELNS1_11target_archE906ELNS1_3gpuE6ELNS1_3repE0EEENS1_30default_config_static_selectorELNS0_4arch9wavefront6targetE0EEEvT1_, .Lfunc_end802-_ZN7rocprim17ROCPRIM_400000_NS6detail17trampoline_kernelINS0_14default_configENS1_25partition_config_selectorILNS1_17partition_subalgoE5ElNS0_10empty_typeEbEEZZNS1_14partition_implILS5_5ELb0ES3_mN6hipcub16HIPCUB_304000_NS21CountingInputIteratorIllEEPS6_NSA_22TransformInputIteratorIbN2at6native12_GLOBAL__N_19NonZeroOpIN3c108BFloat16EEEPKSK_lEENS0_5tupleIJPlS6_EEENSP_IJSD_SD_EEES6_PiJS6_EEE10hipError_tPvRmT3_T4_T5_T6_T7_T9_mT8_P12ihipStream_tbDpT10_ENKUlT_T0_E_clISt17integral_constantIbLb0EES1D_EEDaS18_S19_EUlS18_E_NS1_11comp_targetILNS1_3genE2ELNS1_11target_archE906ELNS1_3gpuE6ELNS1_3repE0EEENS1_30default_config_static_selectorELNS0_4arch9wavefront6targetE0EEEvT1_
                                        ; -- End function
	.section	.AMDGPU.csdata,"",@progbits
; Kernel info:
; codeLenInByte = 0
; NumSgprs: 0
; NumVgprs: 0
; ScratchSize: 0
; MemoryBound: 0
; FloatMode: 240
; IeeeMode: 1
; LDSByteSize: 0 bytes/workgroup (compile time only)
; SGPRBlocks: 0
; VGPRBlocks: 0
; NumSGPRsForWavesPerEU: 1
; NumVGPRsForWavesPerEU: 1
; Occupancy: 16
; WaveLimiterHint : 0
; COMPUTE_PGM_RSRC2:SCRATCH_EN: 0
; COMPUTE_PGM_RSRC2:USER_SGPR: 15
; COMPUTE_PGM_RSRC2:TRAP_HANDLER: 0
; COMPUTE_PGM_RSRC2:TGID_X_EN: 1
; COMPUTE_PGM_RSRC2:TGID_Y_EN: 0
; COMPUTE_PGM_RSRC2:TGID_Z_EN: 0
; COMPUTE_PGM_RSRC2:TIDIG_COMP_CNT: 0
	.section	.text._ZN7rocprim17ROCPRIM_400000_NS6detail17trampoline_kernelINS0_14default_configENS1_25partition_config_selectorILNS1_17partition_subalgoE5ElNS0_10empty_typeEbEEZZNS1_14partition_implILS5_5ELb0ES3_mN6hipcub16HIPCUB_304000_NS21CountingInputIteratorIllEEPS6_NSA_22TransformInputIteratorIbN2at6native12_GLOBAL__N_19NonZeroOpIN3c108BFloat16EEEPKSK_lEENS0_5tupleIJPlS6_EEENSP_IJSD_SD_EEES6_PiJS6_EEE10hipError_tPvRmT3_T4_T5_T6_T7_T9_mT8_P12ihipStream_tbDpT10_ENKUlT_T0_E_clISt17integral_constantIbLb0EES1D_EEDaS18_S19_EUlS18_E_NS1_11comp_targetILNS1_3genE10ELNS1_11target_archE1200ELNS1_3gpuE4ELNS1_3repE0EEENS1_30default_config_static_selectorELNS0_4arch9wavefront6targetE0EEEvT1_,"axG",@progbits,_ZN7rocprim17ROCPRIM_400000_NS6detail17trampoline_kernelINS0_14default_configENS1_25partition_config_selectorILNS1_17partition_subalgoE5ElNS0_10empty_typeEbEEZZNS1_14partition_implILS5_5ELb0ES3_mN6hipcub16HIPCUB_304000_NS21CountingInputIteratorIllEEPS6_NSA_22TransformInputIteratorIbN2at6native12_GLOBAL__N_19NonZeroOpIN3c108BFloat16EEEPKSK_lEENS0_5tupleIJPlS6_EEENSP_IJSD_SD_EEES6_PiJS6_EEE10hipError_tPvRmT3_T4_T5_T6_T7_T9_mT8_P12ihipStream_tbDpT10_ENKUlT_T0_E_clISt17integral_constantIbLb0EES1D_EEDaS18_S19_EUlS18_E_NS1_11comp_targetILNS1_3genE10ELNS1_11target_archE1200ELNS1_3gpuE4ELNS1_3repE0EEENS1_30default_config_static_selectorELNS0_4arch9wavefront6targetE0EEEvT1_,comdat
	.globl	_ZN7rocprim17ROCPRIM_400000_NS6detail17trampoline_kernelINS0_14default_configENS1_25partition_config_selectorILNS1_17partition_subalgoE5ElNS0_10empty_typeEbEEZZNS1_14partition_implILS5_5ELb0ES3_mN6hipcub16HIPCUB_304000_NS21CountingInputIteratorIllEEPS6_NSA_22TransformInputIteratorIbN2at6native12_GLOBAL__N_19NonZeroOpIN3c108BFloat16EEEPKSK_lEENS0_5tupleIJPlS6_EEENSP_IJSD_SD_EEES6_PiJS6_EEE10hipError_tPvRmT3_T4_T5_T6_T7_T9_mT8_P12ihipStream_tbDpT10_ENKUlT_T0_E_clISt17integral_constantIbLb0EES1D_EEDaS18_S19_EUlS18_E_NS1_11comp_targetILNS1_3genE10ELNS1_11target_archE1200ELNS1_3gpuE4ELNS1_3repE0EEENS1_30default_config_static_selectorELNS0_4arch9wavefront6targetE0EEEvT1_ ; -- Begin function _ZN7rocprim17ROCPRIM_400000_NS6detail17trampoline_kernelINS0_14default_configENS1_25partition_config_selectorILNS1_17partition_subalgoE5ElNS0_10empty_typeEbEEZZNS1_14partition_implILS5_5ELb0ES3_mN6hipcub16HIPCUB_304000_NS21CountingInputIteratorIllEEPS6_NSA_22TransformInputIteratorIbN2at6native12_GLOBAL__N_19NonZeroOpIN3c108BFloat16EEEPKSK_lEENS0_5tupleIJPlS6_EEENSP_IJSD_SD_EEES6_PiJS6_EEE10hipError_tPvRmT3_T4_T5_T6_T7_T9_mT8_P12ihipStream_tbDpT10_ENKUlT_T0_E_clISt17integral_constantIbLb0EES1D_EEDaS18_S19_EUlS18_E_NS1_11comp_targetILNS1_3genE10ELNS1_11target_archE1200ELNS1_3gpuE4ELNS1_3repE0EEENS1_30default_config_static_selectorELNS0_4arch9wavefront6targetE0EEEvT1_
	.p2align	8
	.type	_ZN7rocprim17ROCPRIM_400000_NS6detail17trampoline_kernelINS0_14default_configENS1_25partition_config_selectorILNS1_17partition_subalgoE5ElNS0_10empty_typeEbEEZZNS1_14partition_implILS5_5ELb0ES3_mN6hipcub16HIPCUB_304000_NS21CountingInputIteratorIllEEPS6_NSA_22TransformInputIteratorIbN2at6native12_GLOBAL__N_19NonZeroOpIN3c108BFloat16EEEPKSK_lEENS0_5tupleIJPlS6_EEENSP_IJSD_SD_EEES6_PiJS6_EEE10hipError_tPvRmT3_T4_T5_T6_T7_T9_mT8_P12ihipStream_tbDpT10_ENKUlT_T0_E_clISt17integral_constantIbLb0EES1D_EEDaS18_S19_EUlS18_E_NS1_11comp_targetILNS1_3genE10ELNS1_11target_archE1200ELNS1_3gpuE4ELNS1_3repE0EEENS1_30default_config_static_selectorELNS0_4arch9wavefront6targetE0EEEvT1_,@function
_ZN7rocprim17ROCPRIM_400000_NS6detail17trampoline_kernelINS0_14default_configENS1_25partition_config_selectorILNS1_17partition_subalgoE5ElNS0_10empty_typeEbEEZZNS1_14partition_implILS5_5ELb0ES3_mN6hipcub16HIPCUB_304000_NS21CountingInputIteratorIllEEPS6_NSA_22TransformInputIteratorIbN2at6native12_GLOBAL__N_19NonZeroOpIN3c108BFloat16EEEPKSK_lEENS0_5tupleIJPlS6_EEENSP_IJSD_SD_EEES6_PiJS6_EEE10hipError_tPvRmT3_T4_T5_T6_T7_T9_mT8_P12ihipStream_tbDpT10_ENKUlT_T0_E_clISt17integral_constantIbLb0EES1D_EEDaS18_S19_EUlS18_E_NS1_11comp_targetILNS1_3genE10ELNS1_11target_archE1200ELNS1_3gpuE4ELNS1_3repE0EEENS1_30default_config_static_selectorELNS0_4arch9wavefront6targetE0EEEvT1_: ; @_ZN7rocprim17ROCPRIM_400000_NS6detail17trampoline_kernelINS0_14default_configENS1_25partition_config_selectorILNS1_17partition_subalgoE5ElNS0_10empty_typeEbEEZZNS1_14partition_implILS5_5ELb0ES3_mN6hipcub16HIPCUB_304000_NS21CountingInputIteratorIllEEPS6_NSA_22TransformInputIteratorIbN2at6native12_GLOBAL__N_19NonZeroOpIN3c108BFloat16EEEPKSK_lEENS0_5tupleIJPlS6_EEENSP_IJSD_SD_EEES6_PiJS6_EEE10hipError_tPvRmT3_T4_T5_T6_T7_T9_mT8_P12ihipStream_tbDpT10_ENKUlT_T0_E_clISt17integral_constantIbLb0EES1D_EEDaS18_S19_EUlS18_E_NS1_11comp_targetILNS1_3genE10ELNS1_11target_archE1200ELNS1_3gpuE4ELNS1_3repE0EEENS1_30default_config_static_selectorELNS0_4arch9wavefront6targetE0EEEvT1_
; %bb.0:
	.section	.rodata,"a",@progbits
	.p2align	6, 0x0
	.amdhsa_kernel _ZN7rocprim17ROCPRIM_400000_NS6detail17trampoline_kernelINS0_14default_configENS1_25partition_config_selectorILNS1_17partition_subalgoE5ElNS0_10empty_typeEbEEZZNS1_14partition_implILS5_5ELb0ES3_mN6hipcub16HIPCUB_304000_NS21CountingInputIteratorIllEEPS6_NSA_22TransformInputIteratorIbN2at6native12_GLOBAL__N_19NonZeroOpIN3c108BFloat16EEEPKSK_lEENS0_5tupleIJPlS6_EEENSP_IJSD_SD_EEES6_PiJS6_EEE10hipError_tPvRmT3_T4_T5_T6_T7_T9_mT8_P12ihipStream_tbDpT10_ENKUlT_T0_E_clISt17integral_constantIbLb0EES1D_EEDaS18_S19_EUlS18_E_NS1_11comp_targetILNS1_3genE10ELNS1_11target_archE1200ELNS1_3gpuE4ELNS1_3repE0EEENS1_30default_config_static_selectorELNS0_4arch9wavefront6targetE0EEEvT1_
		.amdhsa_group_segment_fixed_size 0
		.amdhsa_private_segment_fixed_size 0
		.amdhsa_kernarg_size 120
		.amdhsa_user_sgpr_count 15
		.amdhsa_user_sgpr_dispatch_ptr 0
		.amdhsa_user_sgpr_queue_ptr 0
		.amdhsa_user_sgpr_kernarg_segment_ptr 1
		.amdhsa_user_sgpr_dispatch_id 0
		.amdhsa_user_sgpr_private_segment_size 0
		.amdhsa_wavefront_size32 1
		.amdhsa_uses_dynamic_stack 0
		.amdhsa_enable_private_segment 0
		.amdhsa_system_sgpr_workgroup_id_x 1
		.amdhsa_system_sgpr_workgroup_id_y 0
		.amdhsa_system_sgpr_workgroup_id_z 0
		.amdhsa_system_sgpr_workgroup_info 0
		.amdhsa_system_vgpr_workitem_id 0
		.amdhsa_next_free_vgpr 1
		.amdhsa_next_free_sgpr 1
		.amdhsa_reserve_vcc 0
		.amdhsa_float_round_mode_32 0
		.amdhsa_float_round_mode_16_64 0
		.amdhsa_float_denorm_mode_32 3
		.amdhsa_float_denorm_mode_16_64 3
		.amdhsa_dx10_clamp 1
		.amdhsa_ieee_mode 1
		.amdhsa_fp16_overflow 0
		.amdhsa_workgroup_processor_mode 1
		.amdhsa_memory_ordered 1
		.amdhsa_forward_progress 0
		.amdhsa_shared_vgpr_count 0
		.amdhsa_exception_fp_ieee_invalid_op 0
		.amdhsa_exception_fp_denorm_src 0
		.amdhsa_exception_fp_ieee_div_zero 0
		.amdhsa_exception_fp_ieee_overflow 0
		.amdhsa_exception_fp_ieee_underflow 0
		.amdhsa_exception_fp_ieee_inexact 0
		.amdhsa_exception_int_div_zero 0
	.end_amdhsa_kernel
	.section	.text._ZN7rocprim17ROCPRIM_400000_NS6detail17trampoline_kernelINS0_14default_configENS1_25partition_config_selectorILNS1_17partition_subalgoE5ElNS0_10empty_typeEbEEZZNS1_14partition_implILS5_5ELb0ES3_mN6hipcub16HIPCUB_304000_NS21CountingInputIteratorIllEEPS6_NSA_22TransformInputIteratorIbN2at6native12_GLOBAL__N_19NonZeroOpIN3c108BFloat16EEEPKSK_lEENS0_5tupleIJPlS6_EEENSP_IJSD_SD_EEES6_PiJS6_EEE10hipError_tPvRmT3_T4_T5_T6_T7_T9_mT8_P12ihipStream_tbDpT10_ENKUlT_T0_E_clISt17integral_constantIbLb0EES1D_EEDaS18_S19_EUlS18_E_NS1_11comp_targetILNS1_3genE10ELNS1_11target_archE1200ELNS1_3gpuE4ELNS1_3repE0EEENS1_30default_config_static_selectorELNS0_4arch9wavefront6targetE0EEEvT1_,"axG",@progbits,_ZN7rocprim17ROCPRIM_400000_NS6detail17trampoline_kernelINS0_14default_configENS1_25partition_config_selectorILNS1_17partition_subalgoE5ElNS0_10empty_typeEbEEZZNS1_14partition_implILS5_5ELb0ES3_mN6hipcub16HIPCUB_304000_NS21CountingInputIteratorIllEEPS6_NSA_22TransformInputIteratorIbN2at6native12_GLOBAL__N_19NonZeroOpIN3c108BFloat16EEEPKSK_lEENS0_5tupleIJPlS6_EEENSP_IJSD_SD_EEES6_PiJS6_EEE10hipError_tPvRmT3_T4_T5_T6_T7_T9_mT8_P12ihipStream_tbDpT10_ENKUlT_T0_E_clISt17integral_constantIbLb0EES1D_EEDaS18_S19_EUlS18_E_NS1_11comp_targetILNS1_3genE10ELNS1_11target_archE1200ELNS1_3gpuE4ELNS1_3repE0EEENS1_30default_config_static_selectorELNS0_4arch9wavefront6targetE0EEEvT1_,comdat
.Lfunc_end803:
	.size	_ZN7rocprim17ROCPRIM_400000_NS6detail17trampoline_kernelINS0_14default_configENS1_25partition_config_selectorILNS1_17partition_subalgoE5ElNS0_10empty_typeEbEEZZNS1_14partition_implILS5_5ELb0ES3_mN6hipcub16HIPCUB_304000_NS21CountingInputIteratorIllEEPS6_NSA_22TransformInputIteratorIbN2at6native12_GLOBAL__N_19NonZeroOpIN3c108BFloat16EEEPKSK_lEENS0_5tupleIJPlS6_EEENSP_IJSD_SD_EEES6_PiJS6_EEE10hipError_tPvRmT3_T4_T5_T6_T7_T9_mT8_P12ihipStream_tbDpT10_ENKUlT_T0_E_clISt17integral_constantIbLb0EES1D_EEDaS18_S19_EUlS18_E_NS1_11comp_targetILNS1_3genE10ELNS1_11target_archE1200ELNS1_3gpuE4ELNS1_3repE0EEENS1_30default_config_static_selectorELNS0_4arch9wavefront6targetE0EEEvT1_, .Lfunc_end803-_ZN7rocprim17ROCPRIM_400000_NS6detail17trampoline_kernelINS0_14default_configENS1_25partition_config_selectorILNS1_17partition_subalgoE5ElNS0_10empty_typeEbEEZZNS1_14partition_implILS5_5ELb0ES3_mN6hipcub16HIPCUB_304000_NS21CountingInputIteratorIllEEPS6_NSA_22TransformInputIteratorIbN2at6native12_GLOBAL__N_19NonZeroOpIN3c108BFloat16EEEPKSK_lEENS0_5tupleIJPlS6_EEENSP_IJSD_SD_EEES6_PiJS6_EEE10hipError_tPvRmT3_T4_T5_T6_T7_T9_mT8_P12ihipStream_tbDpT10_ENKUlT_T0_E_clISt17integral_constantIbLb0EES1D_EEDaS18_S19_EUlS18_E_NS1_11comp_targetILNS1_3genE10ELNS1_11target_archE1200ELNS1_3gpuE4ELNS1_3repE0EEENS1_30default_config_static_selectorELNS0_4arch9wavefront6targetE0EEEvT1_
                                        ; -- End function
	.section	.AMDGPU.csdata,"",@progbits
; Kernel info:
; codeLenInByte = 0
; NumSgprs: 0
; NumVgprs: 0
; ScratchSize: 0
; MemoryBound: 0
; FloatMode: 240
; IeeeMode: 1
; LDSByteSize: 0 bytes/workgroup (compile time only)
; SGPRBlocks: 0
; VGPRBlocks: 0
; NumSGPRsForWavesPerEU: 1
; NumVGPRsForWavesPerEU: 1
; Occupancy: 16
; WaveLimiterHint : 0
; COMPUTE_PGM_RSRC2:SCRATCH_EN: 0
; COMPUTE_PGM_RSRC2:USER_SGPR: 15
; COMPUTE_PGM_RSRC2:TRAP_HANDLER: 0
; COMPUTE_PGM_RSRC2:TGID_X_EN: 1
; COMPUTE_PGM_RSRC2:TGID_Y_EN: 0
; COMPUTE_PGM_RSRC2:TGID_Z_EN: 0
; COMPUTE_PGM_RSRC2:TIDIG_COMP_CNT: 0
	.section	.text._ZN7rocprim17ROCPRIM_400000_NS6detail17trampoline_kernelINS0_14default_configENS1_25partition_config_selectorILNS1_17partition_subalgoE5ElNS0_10empty_typeEbEEZZNS1_14partition_implILS5_5ELb0ES3_mN6hipcub16HIPCUB_304000_NS21CountingInputIteratorIllEEPS6_NSA_22TransformInputIteratorIbN2at6native12_GLOBAL__N_19NonZeroOpIN3c108BFloat16EEEPKSK_lEENS0_5tupleIJPlS6_EEENSP_IJSD_SD_EEES6_PiJS6_EEE10hipError_tPvRmT3_T4_T5_T6_T7_T9_mT8_P12ihipStream_tbDpT10_ENKUlT_T0_E_clISt17integral_constantIbLb0EES1D_EEDaS18_S19_EUlS18_E_NS1_11comp_targetILNS1_3genE9ELNS1_11target_archE1100ELNS1_3gpuE3ELNS1_3repE0EEENS1_30default_config_static_selectorELNS0_4arch9wavefront6targetE0EEEvT1_,"axG",@progbits,_ZN7rocprim17ROCPRIM_400000_NS6detail17trampoline_kernelINS0_14default_configENS1_25partition_config_selectorILNS1_17partition_subalgoE5ElNS0_10empty_typeEbEEZZNS1_14partition_implILS5_5ELb0ES3_mN6hipcub16HIPCUB_304000_NS21CountingInputIteratorIllEEPS6_NSA_22TransformInputIteratorIbN2at6native12_GLOBAL__N_19NonZeroOpIN3c108BFloat16EEEPKSK_lEENS0_5tupleIJPlS6_EEENSP_IJSD_SD_EEES6_PiJS6_EEE10hipError_tPvRmT3_T4_T5_T6_T7_T9_mT8_P12ihipStream_tbDpT10_ENKUlT_T0_E_clISt17integral_constantIbLb0EES1D_EEDaS18_S19_EUlS18_E_NS1_11comp_targetILNS1_3genE9ELNS1_11target_archE1100ELNS1_3gpuE3ELNS1_3repE0EEENS1_30default_config_static_selectorELNS0_4arch9wavefront6targetE0EEEvT1_,comdat
	.globl	_ZN7rocprim17ROCPRIM_400000_NS6detail17trampoline_kernelINS0_14default_configENS1_25partition_config_selectorILNS1_17partition_subalgoE5ElNS0_10empty_typeEbEEZZNS1_14partition_implILS5_5ELb0ES3_mN6hipcub16HIPCUB_304000_NS21CountingInputIteratorIllEEPS6_NSA_22TransformInputIteratorIbN2at6native12_GLOBAL__N_19NonZeroOpIN3c108BFloat16EEEPKSK_lEENS0_5tupleIJPlS6_EEENSP_IJSD_SD_EEES6_PiJS6_EEE10hipError_tPvRmT3_T4_T5_T6_T7_T9_mT8_P12ihipStream_tbDpT10_ENKUlT_T0_E_clISt17integral_constantIbLb0EES1D_EEDaS18_S19_EUlS18_E_NS1_11comp_targetILNS1_3genE9ELNS1_11target_archE1100ELNS1_3gpuE3ELNS1_3repE0EEENS1_30default_config_static_selectorELNS0_4arch9wavefront6targetE0EEEvT1_ ; -- Begin function _ZN7rocprim17ROCPRIM_400000_NS6detail17trampoline_kernelINS0_14default_configENS1_25partition_config_selectorILNS1_17partition_subalgoE5ElNS0_10empty_typeEbEEZZNS1_14partition_implILS5_5ELb0ES3_mN6hipcub16HIPCUB_304000_NS21CountingInputIteratorIllEEPS6_NSA_22TransformInputIteratorIbN2at6native12_GLOBAL__N_19NonZeroOpIN3c108BFloat16EEEPKSK_lEENS0_5tupleIJPlS6_EEENSP_IJSD_SD_EEES6_PiJS6_EEE10hipError_tPvRmT3_T4_T5_T6_T7_T9_mT8_P12ihipStream_tbDpT10_ENKUlT_T0_E_clISt17integral_constantIbLb0EES1D_EEDaS18_S19_EUlS18_E_NS1_11comp_targetILNS1_3genE9ELNS1_11target_archE1100ELNS1_3gpuE3ELNS1_3repE0EEENS1_30default_config_static_selectorELNS0_4arch9wavefront6targetE0EEEvT1_
	.p2align	8
	.type	_ZN7rocprim17ROCPRIM_400000_NS6detail17trampoline_kernelINS0_14default_configENS1_25partition_config_selectorILNS1_17partition_subalgoE5ElNS0_10empty_typeEbEEZZNS1_14partition_implILS5_5ELb0ES3_mN6hipcub16HIPCUB_304000_NS21CountingInputIteratorIllEEPS6_NSA_22TransformInputIteratorIbN2at6native12_GLOBAL__N_19NonZeroOpIN3c108BFloat16EEEPKSK_lEENS0_5tupleIJPlS6_EEENSP_IJSD_SD_EEES6_PiJS6_EEE10hipError_tPvRmT3_T4_T5_T6_T7_T9_mT8_P12ihipStream_tbDpT10_ENKUlT_T0_E_clISt17integral_constantIbLb0EES1D_EEDaS18_S19_EUlS18_E_NS1_11comp_targetILNS1_3genE9ELNS1_11target_archE1100ELNS1_3gpuE3ELNS1_3repE0EEENS1_30default_config_static_selectorELNS0_4arch9wavefront6targetE0EEEvT1_,@function
_ZN7rocprim17ROCPRIM_400000_NS6detail17trampoline_kernelINS0_14default_configENS1_25partition_config_selectorILNS1_17partition_subalgoE5ElNS0_10empty_typeEbEEZZNS1_14partition_implILS5_5ELb0ES3_mN6hipcub16HIPCUB_304000_NS21CountingInputIteratorIllEEPS6_NSA_22TransformInputIteratorIbN2at6native12_GLOBAL__N_19NonZeroOpIN3c108BFloat16EEEPKSK_lEENS0_5tupleIJPlS6_EEENSP_IJSD_SD_EEES6_PiJS6_EEE10hipError_tPvRmT3_T4_T5_T6_T7_T9_mT8_P12ihipStream_tbDpT10_ENKUlT_T0_E_clISt17integral_constantIbLb0EES1D_EEDaS18_S19_EUlS18_E_NS1_11comp_targetILNS1_3genE9ELNS1_11target_archE1100ELNS1_3gpuE3ELNS1_3repE0EEENS1_30default_config_static_selectorELNS0_4arch9wavefront6targetE0EEEvT1_: ; @_ZN7rocprim17ROCPRIM_400000_NS6detail17trampoline_kernelINS0_14default_configENS1_25partition_config_selectorILNS1_17partition_subalgoE5ElNS0_10empty_typeEbEEZZNS1_14partition_implILS5_5ELb0ES3_mN6hipcub16HIPCUB_304000_NS21CountingInputIteratorIllEEPS6_NSA_22TransformInputIteratorIbN2at6native12_GLOBAL__N_19NonZeroOpIN3c108BFloat16EEEPKSK_lEENS0_5tupleIJPlS6_EEENSP_IJSD_SD_EEES6_PiJS6_EEE10hipError_tPvRmT3_T4_T5_T6_T7_T9_mT8_P12ihipStream_tbDpT10_ENKUlT_T0_E_clISt17integral_constantIbLb0EES1D_EEDaS18_S19_EUlS18_E_NS1_11comp_targetILNS1_3genE9ELNS1_11target_archE1100ELNS1_3gpuE3ELNS1_3repE0EEENS1_30default_config_static_selectorELNS0_4arch9wavefront6targetE0EEEvT1_
; %bb.0:
	s_clause 0x4
	s_load_b128 s[8:11], s[0:1], 0x8
	s_load_b128 s[4:7], s[0:1], 0x48
	s_load_b32 s14, s[0:1], 0x70
	s_load_b64 s[2:3], s[0:1], 0x58
	s_load_b64 s[12:13], s[0:1], 0x20
	s_waitcnt lgkmcnt(0)
	s_add_u32 s18, s10, s8
	s_load_b64 s[6:7], s[6:7], 0x0
	s_mul_i32 s17, s14, 0x300
	s_addc_u32 s19, s11, s9
	s_add_i32 s14, s14, -1
	s_add_u32 s8, s10, s17
	s_addc_u32 s9, s11, 0
	s_cmp_eq_u32 s15, s14
	v_cmp_ge_u64_e64 s3, s[8:9], s[2:3]
	s_cselect_b32 s14, -1, 0
	s_mul_i32 s8, s15, 0x300
	s_mov_b32 s9, 0
	s_delay_alu instid0(VALU_DEP_1) | instskip(NEXT) | instid1(SALU_CYCLE_1)
	s_and_b32 s3, s14, s3
	s_xor_b32 s16, s3, -1
	s_mov_b32 s3, -1
	s_and_b32 vcc_lo, exec_lo, s16
	s_cbranch_vccz .LBB804_2
; %bb.1:
	s_add_u32 s3, s18, s8
	s_addc_u32 s20, s19, 0
	v_add_co_u32 v1, s3, s3, v0
	s_delay_alu instid0(VALU_DEP_1) | instskip(SKIP_1) | instid1(VALU_DEP_3)
	v_add_co_ci_u32_e64 v2, null, s20, 0, s3
	v_lshlrev_b32_e32 v13, 3, v0
	v_add_co_u32 v3, vcc_lo, 0x80, v1
	s_delay_alu instid0(VALU_DEP_3)
	v_add_co_ci_u32_e32 v4, vcc_lo, 0, v2, vcc_lo
	v_add_co_u32 v5, vcc_lo, 0x100, v1
	v_add_co_ci_u32_e32 v6, vcc_lo, 0, v2, vcc_lo
	v_add_co_u32 v7, vcc_lo, 0x180, v1
	v_add_co_ci_u32_e32 v8, vcc_lo, 0, v2, vcc_lo
	v_add_co_u32 v9, vcc_lo, 0x200, v1
	v_add_co_ci_u32_e32 v10, vcc_lo, 0, v2, vcc_lo
	v_add_co_u32 v11, vcc_lo, 0x280, v1
	v_add_co_ci_u32_e32 v12, vcc_lo, 0, v2, vcc_lo
	ds_store_2addr_stride64_b64 v13, v[1:2], v[3:4] offset1:2
	ds_store_2addr_stride64_b64 v13, v[5:6], v[7:8] offset0:4 offset1:6
	ds_store_2addr_stride64_b64 v13, v[9:10], v[11:12] offset0:8 offset1:10
	s_waitcnt lgkmcnt(0)
	s_mov_b32 s3, s9
	s_barrier
.LBB804_2:
	v_or_b32_e32 v17, 0x100, v0
	v_or_b32_e32 v16, 0x180, v0
	;; [unrolled: 1-line block ×4, first 2 shown]
	s_and_not1_b32 vcc_lo, exec_lo, s3
	s_cbranch_vccnz .LBB804_4
; %bb.3:
	v_or_b32_e32 v3, 0x80, v0
	s_add_u32 s3, s18, s8
	s_addc_u32 s18, s19, 0
	v_add_co_u32 v1, s19, s3, v0
	s_delay_alu instid0(VALU_DEP_1) | instskip(SKIP_1) | instid1(VALU_DEP_1)
	v_add_co_ci_u32_e64 v2, null, s18, 0, s19
	v_add_co_u32 v3, s19, s3, v3
	v_add_co_ci_u32_e64 v4, null, s18, 0, s19
	v_add_co_u32 v5, s19, s3, v17
	s_delay_alu instid0(VALU_DEP_1) | instskip(SKIP_1) | instid1(VALU_DEP_1)
	v_add_co_ci_u32_e64 v6, null, s18, 0, s19
	v_add_co_u32 v7, s19, s3, v16
	v_add_co_ci_u32_e64 v8, null, s18, 0, s19
	v_add_co_u32 v9, s19, s3, v14
	v_lshlrev_b32_e32 v15, 3, v0
	v_add_co_u32 v11, s3, s3, v13
	v_add_co_ci_u32_e64 v10, null, s18, 0, s19
	v_add_co_ci_u32_e64 v12, null, s18, 0, s3
	ds_store_2addr_stride64_b64 v15, v[1:2], v[3:4] offset1:2
	ds_store_2addr_stride64_b64 v15, v[5:6], v[7:8] offset0:4 offset1:6
	ds_store_2addr_stride64_b64 v15, v[9:10], v[11:12] offset0:8 offset1:10
	s_waitcnt lgkmcnt(0)
	s_barrier
.LBB804_4:
	v_mul_u32_u24_e32 v1, 6, v0
	s_waitcnt lgkmcnt(0)
	buffer_gl0_inv
	s_lshl_b64 s[18:19], s[10:11], 1
	s_delay_alu instid0(SALU_CYCLE_1)
	s_add_u32 s3, s12, s18
	v_lshlrev_b32_e32 v15, 3, v1
	s_addc_u32 s11, s13, s19
	s_lshl_b64 s[8:9], s[8:9], 1
	ds_load_b128 v[9:12], v15
	ds_load_b128 v[5:8], v15 offset:16
	ds_load_b128 v[1:4], v15 offset:32
	s_add_u32 s12, s3, s8
	s_addc_u32 s13, s11, s9
	s_and_b32 vcc_lo, exec_lo, s16
	s_mov_b32 s3, -1
	s_waitcnt lgkmcnt(0)
	s_barrier
	buffer_gl0_inv
	s_cbranch_vccz .LBB804_6
; %bb.5:
	v_lshlrev_b32_e32 v18, 1, v0
	s_mov_b32 s3, 0
	s_clause 0x5
	global_load_u16 v19, v18, s[12:13]
	global_load_u16 v20, v18, s[12:13] offset:256
	global_load_u16 v21, v18, s[12:13] offset:512
	;; [unrolled: 1-line block ×5, first 2 shown]
	s_waitcnt vmcnt(5)
	v_and_b32_e32 v19, 0x7fff, v19
	s_waitcnt vmcnt(4)
	v_and_b32_e32 v20, 0x7fff, v20
	;; [unrolled: 2-line block ×5, first 2 shown]
	v_cmp_ne_u16_e32 vcc_lo, 0, v19
	s_waitcnt vmcnt(0)
	v_and_b32_e32 v18, 0x7fff, v18
	v_cndmask_b32_e64 v19, 0, 1, vcc_lo
	v_cmp_ne_u16_e32 vcc_lo, 0, v20
	v_cndmask_b32_e64 v20, 0, 1, vcc_lo
	v_cmp_ne_u16_e32 vcc_lo, 0, v21
	;; [unrolled: 2-line block ×5, first 2 shown]
	v_cndmask_b32_e64 v18, 0, 1, vcc_lo
	ds_store_b8 v0, v19
	ds_store_b8 v0, v20 offset:128
	ds_store_b8 v0, v21 offset:256
	;; [unrolled: 1-line block ×5, first 2 shown]
	s_waitcnt lgkmcnt(0)
	s_barrier
.LBB804_6:
	s_load_b64 s[8:9], s[0:1], 0x68
	s_and_not1_b32 vcc_lo, exec_lo, s3
	s_cbranch_vccnz .LBB804_20
; %bb.7:
	s_add_i32 s17, s17, s10
	v_dual_mov_b32 v18, 0 :: v_dual_mov_b32 v19, 0
	s_sub_i32 s2, s2, s17
	s_mov_b32 s3, exec_lo
	s_addk_i32 s2, 0x300
	s_delay_alu instid0(SALU_CYCLE_1)
	v_cmpx_gt_u32_e64 s2, v0
	s_cbranch_execz .LBB804_9
; %bb.8:
	v_lshlrev_b32_e32 v19, 1, v0
	global_load_u16 v19, v19, s[12:13]
	s_waitcnt vmcnt(0)
	v_and_b32_e32 v19, 0x7fff, v19
	s_delay_alu instid0(VALU_DEP_1)
	v_cmp_ne_u16_e32 vcc_lo, 0, v19
	v_cndmask_b32_e64 v19, 0, 1, vcc_lo
.LBB804_9:
	s_or_b32 exec_lo, exec_lo, s3
	v_or_b32_e32 v20, 0x80, v0
	s_mov_b32 s3, exec_lo
	s_delay_alu instid0(VALU_DEP_1)
	v_cmpx_gt_u32_e64 s2, v20
	s_cbranch_execz .LBB804_11
; %bb.10:
	v_lshlrev_b32_e32 v18, 1, v0
	global_load_u16 v18, v18, s[12:13] offset:256
	s_waitcnt vmcnt(0)
	v_and_b32_e32 v18, 0x7fff, v18
	s_delay_alu instid0(VALU_DEP_1)
	v_cmp_ne_u16_e32 vcc_lo, 0, v18
	v_cndmask_b32_e64 v18, 0, 1, vcc_lo
.LBB804_11:
	s_or_b32 exec_lo, exec_lo, s3
	v_cmp_gt_u32_e32 vcc_lo, s2, v17
	v_dual_mov_b32 v17, 0 :: v_dual_mov_b32 v20, 0
	s_and_saveexec_b32 s3, vcc_lo
	s_cbranch_execz .LBB804_13
; %bb.12:
	v_lshlrev_b32_e32 v20, 1, v0
	global_load_u16 v20, v20, s[12:13] offset:512
	s_waitcnt vmcnt(0)
	v_and_b32_e32 v20, 0x7fff, v20
	s_delay_alu instid0(VALU_DEP_1)
	v_cmp_ne_u16_e32 vcc_lo, 0, v20
	v_cndmask_b32_e64 v20, 0, 1, vcc_lo
.LBB804_13:
	s_or_b32 exec_lo, exec_lo, s3
	s_delay_alu instid0(SALU_CYCLE_1)
	s_mov_b32 s3, exec_lo
	v_cmpx_gt_u32_e64 s2, v16
	s_cbranch_execz .LBB804_15
; %bb.14:
	v_lshlrev_b32_e32 v16, 1, v0
	global_load_u16 v16, v16, s[12:13] offset:768
	s_waitcnt vmcnt(0)
	v_and_b32_e32 v16, 0x7fff, v16
	s_delay_alu instid0(VALU_DEP_1)
	v_cmp_ne_u16_e32 vcc_lo, 0, v16
	v_cndmask_b32_e64 v17, 0, 1, vcc_lo
.LBB804_15:
	s_or_b32 exec_lo, exec_lo, s3
	v_cmp_gt_u32_e32 vcc_lo, s2, v14
	v_mov_b32_e32 v14, 0
	v_mov_b32_e32 v16, 0
	s_and_saveexec_b32 s3, vcc_lo
	s_cbranch_execz .LBB804_17
; %bb.16:
	v_lshlrev_b32_e32 v16, 1, v0
	global_load_u16 v16, v16, s[12:13] offset:1024
	s_waitcnt vmcnt(0)
	v_and_b32_e32 v16, 0x7fff, v16
	s_delay_alu instid0(VALU_DEP_1)
	v_cmp_ne_u16_e32 vcc_lo, 0, v16
	v_cndmask_b32_e64 v16, 0, 1, vcc_lo
.LBB804_17:
	s_or_b32 exec_lo, exec_lo, s3
	v_cmp_gt_u32_e32 vcc_lo, s2, v13
	s_and_saveexec_b32 s2, vcc_lo
	s_cbranch_execz .LBB804_19
; %bb.18:
	v_lshlrev_b32_e32 v13, 1, v0
	global_load_u16 v13, v13, s[12:13] offset:1280
	s_waitcnt vmcnt(0)
	v_and_b32_e32 v13, 0x7fff, v13
	s_delay_alu instid0(VALU_DEP_1)
	v_cmp_ne_u16_e32 vcc_lo, 0, v13
	v_cndmask_b32_e64 v14, 0, 1, vcc_lo
.LBB804_19:
	s_or_b32 exec_lo, exec_lo, s2
	ds_store_b8 v0, v19
	ds_store_b8 v0, v18 offset:128
	ds_store_b8 v0, v20 offset:256
	;; [unrolled: 1-line block ×5, first 2 shown]
	s_waitcnt lgkmcnt(0)
	s_barrier
.LBB804_20:
	v_mad_i32_i24 v43, 0xffffffd6, v0, v15
	s_waitcnt lgkmcnt(0)
	buffer_gl0_inv
	v_mbcnt_lo_u32_b32 v42, -1, 0
	s_cmp_lg_u32 s15, 0
	s_mov_b32 s3, -1
	ds_load_u16 v36, v43
	ds_load_u16 v33, v43 offset:2
	ds_load_u16 v31, v43 offset:4
	v_mov_b32_e32 v14, 0
	v_and_b32_e32 v44, 15, v42
	s_waitcnt lgkmcnt(0)
	s_barrier
	buffer_gl0_inv
	v_and_b32_e32 v41, 0xff, v36
	v_lshrrev_b16 v34, 8, v36
	v_lshrrev_b16 v35, 8, v33
	v_and_b32_e32 v39, 0xff, v33
	v_lshrrev_b16 v32, 8, v31
	v_and_b32_e32 v37, 0xff, v31
	v_and_b32_e32 v40, 0xffff, v34
	;; [unrolled: 1-line block ×3, first 2 shown]
	s_delay_alu instid0(VALU_DEP_4) | instskip(NEXT) | instid1(VALU_DEP_3)
	v_and_b32_e32 v16, 0xffff, v32
	v_add_co_u32 v13, s2, v40, v41
	s_delay_alu instid0(VALU_DEP_1) | instskip(SKIP_1) | instid1(VALU_DEP_3)
	v_add_co_ci_u32_e64 v15, null, 0, 0, s2
	v_cmp_ne_u32_e64 s2, 0, v44
	v_add_co_u32 v13, vcc_lo, v13, v39
	s_delay_alu instid0(VALU_DEP_3) | instskip(NEXT) | instid1(VALU_DEP_2)
	v_add_co_ci_u32_e32 v15, vcc_lo, 0, v15, vcc_lo
	v_add_co_u32 v13, vcc_lo, v13, v38
	s_delay_alu instid0(VALU_DEP_2) | instskip(NEXT) | instid1(VALU_DEP_2)
	v_add_co_ci_u32_e32 v15, vcc_lo, 0, v15, vcc_lo
	v_add_co_u32 v13, vcc_lo, v13, v37
	s_delay_alu instid0(VALU_DEP_2) | instskip(NEXT) | instid1(VALU_DEP_2)
	v_add_co_ci_u32_e32 v15, vcc_lo, 0, v15, vcc_lo
	v_add_co_u32 v21, vcc_lo, v13, v16
	s_delay_alu instid0(VALU_DEP_2)
	v_add_co_ci_u32_e32 v22, vcc_lo, 0, v15, vcc_lo
	s_cbranch_scc0 .LBB804_84
; %bb.21:
	s_delay_alu instid0(VALU_DEP_2)
	v_mov_b32_e32 v15, v21
	v_mov_b32_dpp v13, v21 row_shr:1 row_mask:0xf bank_mask:0xf
	v_mov_b32_dpp v18, v14 row_shr:1 row_mask:0xf bank_mask:0xf
	v_dual_mov_b32 v17, v21 :: v_dual_mov_b32 v16, v22
	s_and_saveexec_b32 s3, s2
; %bb.22:
	s_delay_alu instid0(VALU_DEP_3) | instskip(SKIP_1) | instid1(VALU_DEP_2)
	v_add_co_u32 v17, vcc_lo, v21, v13
	v_add_co_ci_u32_e32 v14, vcc_lo, 0, v22, vcc_lo
	v_add_co_u32 v13, vcc_lo, 0, v17
	s_delay_alu instid0(VALU_DEP_2) | instskip(NEXT) | instid1(VALU_DEP_1)
	v_add_co_ci_u32_e32 v14, vcc_lo, v18, v14, vcc_lo
	v_dual_mov_b32 v16, v14 :: v_dual_mov_b32 v15, v13
; %bb.23:
	s_or_b32 exec_lo, exec_lo, s3
	v_mov_b32_dpp v13, v17 row_shr:2 row_mask:0xf bank_mask:0xf
	v_mov_b32_dpp v18, v14 row_shr:2 row_mask:0xf bank_mask:0xf
	s_mov_b32 s3, exec_lo
	v_cmpx_lt_u32_e32 1, v44
; %bb.24:
	s_delay_alu instid0(VALU_DEP_3) | instskip(SKIP_1) | instid1(VALU_DEP_2)
	v_add_co_u32 v17, vcc_lo, v15, v13
	v_add_co_ci_u32_e32 v14, vcc_lo, 0, v16, vcc_lo
	v_add_co_u32 v13, vcc_lo, 0, v17
	s_delay_alu instid0(VALU_DEP_2) | instskip(NEXT) | instid1(VALU_DEP_1)
	v_add_co_ci_u32_e32 v14, vcc_lo, v18, v14, vcc_lo
	v_dual_mov_b32 v16, v14 :: v_dual_mov_b32 v15, v13
; %bb.25:
	s_or_b32 exec_lo, exec_lo, s3
	v_mov_b32_dpp v13, v17 row_shr:4 row_mask:0xf bank_mask:0xf
	v_mov_b32_dpp v18, v14 row_shr:4 row_mask:0xf bank_mask:0xf
	s_mov_b32 s3, exec_lo
	v_cmpx_lt_u32_e32 3, v44
	;; [unrolled: 14-line block ×3, first 2 shown]
; %bb.28:
	s_delay_alu instid0(VALU_DEP_3) | instskip(SKIP_1) | instid1(VALU_DEP_2)
	v_add_co_u32 v17, vcc_lo, v15, v18
	v_add_co_ci_u32_e32 v14, vcc_lo, 0, v16, vcc_lo
	v_add_co_u32 v15, vcc_lo, 0, v17
	s_delay_alu instid0(VALU_DEP_2) | instskip(NEXT) | instid1(VALU_DEP_1)
	v_add_co_ci_u32_e32 v16, vcc_lo, v13, v14, vcc_lo
	v_mov_b32_e32 v14, v16
; %bb.29:
	s_or_b32 exec_lo, exec_lo, s3
	ds_swizzle_b32 v13, v17 offset:swizzle(BROADCAST,32,15)
	ds_swizzle_b32 v18, v14 offset:swizzle(BROADCAST,32,15)
	v_and_b32_e32 v19, 16, v42
	s_mov_b32 s3, exec_lo
	s_delay_alu instid0(VALU_DEP_1)
	v_cmpx_ne_u32_e32 0, v19
	s_cbranch_execz .LBB804_31
; %bb.30:
	s_waitcnt lgkmcnt(1)
	v_add_co_u32 v17, vcc_lo, v15, v13
	v_add_co_ci_u32_e32 v14, vcc_lo, 0, v16, vcc_lo
	s_delay_alu instid0(VALU_DEP_2) | instskip(SKIP_1) | instid1(VALU_DEP_2)
	v_add_co_u32 v13, vcc_lo, 0, v17
	s_waitcnt lgkmcnt(0)
	v_add_co_ci_u32_e32 v14, vcc_lo, v18, v14, vcc_lo
	s_delay_alu instid0(VALU_DEP_1)
	v_dual_mov_b32 v16, v14 :: v_dual_mov_b32 v15, v13
.LBB804_31:
	s_or_b32 exec_lo, exec_lo, s3
	s_waitcnt lgkmcnt(0)
	v_or_b32_e32 v18, 31, v0
	v_lshrrev_b32_e32 v13, 5, v0
	s_mov_b32 s3, exec_lo
	s_delay_alu instid0(VALU_DEP_2)
	v_cmpx_eq_u32_e64 v18, v0
	s_cbranch_execz .LBB804_33
; %bb.32:
	s_delay_alu instid0(VALU_DEP_2)
	v_lshlrev_b32_e32 v18, 3, v13
	ds_store_b64 v18, v[15:16]
.LBB804_33:
	s_or_b32 exec_lo, exec_lo, s3
	s_delay_alu instid0(SALU_CYCLE_1)
	s_mov_b32 s3, exec_lo
	s_waitcnt lgkmcnt(0)
	s_barrier
	buffer_gl0_inv
	v_cmpx_gt_u32_e32 4, v0
	s_cbranch_execz .LBB804_39
; %bb.34:
	v_lshlrev_b32_e32 v18, 3, v0
	s_mov_b32 s10, exec_lo
	ds_load_b64 v[15:16], v18
	s_waitcnt lgkmcnt(0)
	v_dual_mov_b32 v20, v15 :: v_dual_and_b32 v19, 3, v42
	v_mov_b32_dpp v24, v15 row_shr:1 row_mask:0xf bank_mask:0xf
	v_mov_b32_dpp v23, v16 row_shr:1 row_mask:0xf bank_mask:0xf
	s_delay_alu instid0(VALU_DEP_3)
	v_cmpx_ne_u32_e32 0, v19
; %bb.35:
	s_delay_alu instid0(VALU_DEP_3) | instskip(SKIP_1) | instid1(VALU_DEP_2)
	v_add_co_u32 v20, vcc_lo, v15, v24
	v_add_co_ci_u32_e32 v16, vcc_lo, 0, v16, vcc_lo
	v_add_co_u32 v15, vcc_lo, 0, v20
	s_delay_alu instid0(VALU_DEP_2)
	v_add_co_ci_u32_e32 v16, vcc_lo, v23, v16, vcc_lo
; %bb.36:
	s_or_b32 exec_lo, exec_lo, s10
	v_mov_b32_dpp v23, v20 row_shr:2 row_mask:0xf bank_mask:0xf
	s_delay_alu instid0(VALU_DEP_2)
	v_mov_b32_dpp v20, v16 row_shr:2 row_mask:0xf bank_mask:0xf
	s_mov_b32 s10, exec_lo
	v_cmpx_lt_u32_e32 1, v19
; %bb.37:
	s_delay_alu instid0(VALU_DEP_3) | instskip(SKIP_1) | instid1(VALU_DEP_2)
	v_add_co_u32 v15, vcc_lo, v15, v23
	v_add_co_ci_u32_e32 v16, vcc_lo, 0, v16, vcc_lo
	v_add_co_u32 v15, vcc_lo, v15, 0
	s_delay_alu instid0(VALU_DEP_2)
	v_add_co_ci_u32_e32 v16, vcc_lo, v16, v20, vcc_lo
; %bb.38:
	s_or_b32 exec_lo, exec_lo, s10
	ds_store_b64 v18, v[15:16]
.LBB804_39:
	s_or_b32 exec_lo, exec_lo, s3
	v_cmp_gt_u32_e32 vcc_lo, 32, v0
	s_mov_b32 s10, exec_lo
	s_waitcnt lgkmcnt(0)
	s_barrier
	buffer_gl0_inv
                                        ; implicit-def: $vgpr23_vgpr24
	v_cmpx_lt_u32_e32 31, v0
	s_cbranch_execz .LBB804_41
; %bb.40:
	v_lshl_add_u32 v13, v13, 3, -8
	ds_load_b64 v[23:24], v13
	s_waitcnt lgkmcnt(0)
	v_add_co_u32 v17, s3, v17, v23
	s_delay_alu instid0(VALU_DEP_1)
	v_add_co_ci_u32_e64 v14, s3, v14, v24, s3
.LBB804_41:
	s_or_b32 exec_lo, exec_lo, s10
	v_add_nc_u32_e32 v13, -1, v42
	s_delay_alu instid0(VALU_DEP_1) | instskip(NEXT) | instid1(VALU_DEP_1)
	v_cmp_gt_i32_e64 s3, 0, v13
	v_cndmask_b32_e64 v13, v13, v42, s3
	v_cmp_eq_u32_e64 s3, 0, v42
	s_delay_alu instid0(VALU_DEP_2)
	v_lshlrev_b32_e32 v13, 2, v13
	ds_bpermute_b32 v29, v13, v17
	ds_bpermute_b32 v30, v13, v14
	s_and_saveexec_b32 s10, vcc_lo
	s_cbranch_execz .LBB804_79
; %bb.42:
	v_mov_b32_e32 v16, 0
	ds_load_b64 v[13:14], v16 offset:24
	s_and_saveexec_b32 s11, s3
	s_cbranch_execz .LBB804_44
; %bb.43:
	s_add_i32 s12, s15, 32
	s_mov_b32 s13, 0
	s_delay_alu instid0(SALU_CYCLE_1) | instskip(NEXT) | instid1(SALU_CYCLE_1)
	s_lshl_b64 s[12:13], s[12:13], 4
	s_add_u32 s12, s8, s12
	s_addc_u32 s13, s9, s13
	s_delay_alu instid0(SALU_CYCLE_1)
	v_dual_mov_b32 v15, 1 :: v_dual_mov_b32 v18, s13
	v_mov_b32_e32 v17, s12
	s_waitcnt lgkmcnt(0)
	;;#ASMSTART
	global_store_dwordx4 v[17:18], v[13:16] off	
s_waitcnt vmcnt(0)
	;;#ASMEND
.LBB804_44:
	s_or_b32 exec_lo, exec_lo, s11
	v_xad_u32 v25, v42, -1, s15
	s_mov_b32 s12, 0
	s_mov_b32 s11, exec_lo
	s_delay_alu instid0(VALU_DEP_1) | instskip(NEXT) | instid1(VALU_DEP_1)
	v_add_nc_u32_e32 v15, 32, v25
	v_lshlrev_b64 v[15:16], 4, v[15:16]
	s_delay_alu instid0(VALU_DEP_1) | instskip(NEXT) | instid1(VALU_DEP_2)
	v_add_co_u32 v15, vcc_lo, s8, v15
	v_add_co_ci_u32_e32 v16, vcc_lo, s9, v16, vcc_lo
	;;#ASMSTART
	global_load_dwordx4 v[17:20], v[15:16] off glc	
s_waitcnt vmcnt(0)
	;;#ASMEND
	v_and_b32_e32 v20, 0xff, v18
	v_and_b32_e32 v26, 0xff00, v18
	v_or3_b32 v17, v17, 0, 0
	v_and_b32_e32 v27, 0xff000000, v18
	v_and_b32_e32 v18, 0xff0000, v18
	s_delay_alu instid0(VALU_DEP_4) | instskip(SKIP_2) | instid1(VALU_DEP_3)
	v_or3_b32 v20, 0, v20, v26
	v_and_b32_e32 v26, 0xff, v19
	v_or3_b32 v17, v17, 0, 0
	v_or3_b32 v18, v20, v18, v27
	s_delay_alu instid0(VALU_DEP_3)
	v_cmpx_eq_u16_e32 0, v26
	s_cbranch_execz .LBB804_47
.LBB804_45:                             ; =>This Inner Loop Header: Depth=1
	;;#ASMSTART
	global_load_dwordx4 v[17:20], v[15:16] off glc	
s_waitcnt vmcnt(0)
	;;#ASMEND
	v_and_b32_e32 v20, 0xff, v19
	s_delay_alu instid0(VALU_DEP_1) | instskip(SKIP_1) | instid1(SALU_CYCLE_1)
	v_cmp_ne_u16_e32 vcc_lo, 0, v20
	s_or_b32 s12, vcc_lo, s12
	s_and_not1_b32 exec_lo, exec_lo, s12
	s_cbranch_execnz .LBB804_45
; %bb.46:
	s_or_b32 exec_lo, exec_lo, s12
.LBB804_47:
	s_delay_alu instid0(SALU_CYCLE_1)
	s_or_b32 exec_lo, exec_lo, s11
	v_cmp_ne_u32_e32 vcc_lo, 31, v42
	v_and_b32_e32 v16, 0xff, v19
	v_lshlrev_b32_e64 v46, v42, -1
	s_mov_b32 s11, exec_lo
	v_add_co_ci_u32_e32 v15, vcc_lo, 0, v42, vcc_lo
	s_delay_alu instid0(VALU_DEP_3) | instskip(NEXT) | instid1(VALU_DEP_2)
	v_cmp_eq_u16_e32 vcc_lo, 2, v16
	v_dual_mov_b32 v16, v17 :: v_dual_lshlrev_b32 v45, 2, v15
	v_and_or_b32 v15, vcc_lo, v46, 0x80000000
	ds_bpermute_b32 v26, v45, v17
	ds_bpermute_b32 v20, v45, v18
	v_ctz_i32_b32_e32 v15, v15
	s_delay_alu instid0(VALU_DEP_1)
	v_cmpx_lt_u32_e64 v42, v15
	s_cbranch_execz .LBB804_49
; %bb.48:
	s_waitcnt lgkmcnt(1)
	v_add_co_u32 v16, vcc_lo, v17, v26
	v_add_co_ci_u32_e32 v18, vcc_lo, 0, v18, vcc_lo
	s_delay_alu instid0(VALU_DEP_2) | instskip(SKIP_1) | instid1(VALU_DEP_2)
	v_add_co_u32 v17, vcc_lo, 0, v16
	s_waitcnt lgkmcnt(0)
	v_add_co_ci_u32_e32 v18, vcc_lo, v20, v18, vcc_lo
.LBB804_49:
	s_or_b32 exec_lo, exec_lo, s11
	v_cmp_gt_u32_e32 vcc_lo, 30, v42
	v_add_nc_u32_e32 v48, 2, v42
	s_mov_b32 s11, exec_lo
	s_waitcnt lgkmcnt(0)
	v_cndmask_b32_e64 v20, 0, 1, vcc_lo
	s_delay_alu instid0(VALU_DEP_1) | instskip(NEXT) | instid1(VALU_DEP_1)
	v_lshlrev_b32_e32 v20, 1, v20
	v_add_lshl_u32 v47, v20, v42, 2
	ds_bpermute_b32 v26, v47, v16
	ds_bpermute_b32 v20, v47, v18
	v_cmpx_le_u32_e64 v48, v15
	s_cbranch_execz .LBB804_51
; %bb.50:
	s_waitcnt lgkmcnt(1)
	v_add_co_u32 v16, vcc_lo, v17, v26
	v_add_co_ci_u32_e32 v18, vcc_lo, 0, v18, vcc_lo
	s_delay_alu instid0(VALU_DEP_2) | instskip(SKIP_1) | instid1(VALU_DEP_2)
	v_add_co_u32 v17, vcc_lo, 0, v16
	s_waitcnt lgkmcnt(0)
	v_add_co_ci_u32_e32 v18, vcc_lo, v20, v18, vcc_lo
.LBB804_51:
	s_or_b32 exec_lo, exec_lo, s11
	v_cmp_gt_u32_e32 vcc_lo, 28, v42
	v_add_nc_u32_e32 v50, 4, v42
	s_mov_b32 s11, exec_lo
	s_waitcnt lgkmcnt(0)
	v_cndmask_b32_e64 v20, 0, 1, vcc_lo
	s_delay_alu instid0(VALU_DEP_1) | instskip(NEXT) | instid1(VALU_DEP_1)
	v_lshlrev_b32_e32 v20, 2, v20
	v_add_lshl_u32 v49, v20, v42, 2
	ds_bpermute_b32 v26, v49, v16
	ds_bpermute_b32 v20, v49, v18
	v_cmpx_le_u32_e64 v50, v15
	;; [unrolled: 22-line block ×4, first 2 shown]
	s_cbranch_execz .LBB804_57
; %bb.56:
	s_waitcnt lgkmcnt(1)
	v_add_co_u32 v15, vcc_lo, v17, v20
	v_add_co_ci_u32_e32 v18, vcc_lo, 0, v18, vcc_lo
	s_delay_alu instid0(VALU_DEP_2) | instskip(SKIP_1) | instid1(VALU_DEP_2)
	v_add_co_u32 v17, vcc_lo, v15, 0
	s_waitcnt lgkmcnt(0)
	v_add_co_ci_u32_e32 v18, vcc_lo, v18, v16, vcc_lo
.LBB804_57:
	s_or_b32 exec_lo, exec_lo, s11
	v_mov_b32_e32 v26, 0
	s_branch .LBB804_59
.LBB804_58:                             ;   in Loop: Header=BB804_59 Depth=1
	s_or_b32 exec_lo, exec_lo, s11
	v_add_co_u32 v17, vcc_lo, v17, v15
	v_subrev_nc_u32_e32 v25, 32, v25
	v_add_co_ci_u32_e32 v18, vcc_lo, v18, v16, vcc_lo
.LBB804_59:                             ; =>This Loop Header: Depth=1
                                        ;     Child Loop BB804_62 Depth 2
	v_and_b32_e32 v15, 0xff, v19
	s_delay_alu instid0(VALU_DEP_1) | instskip(SKIP_2) | instid1(VALU_DEP_1)
	v_cmp_ne_u16_e32 vcc_lo, 2, v15
	v_cndmask_b32_e64 v15, 0, 1, vcc_lo
	;;#ASMSTART
	;;#ASMEND
	v_cmp_ne_u32_e32 vcc_lo, 0, v15
	s_waitcnt lgkmcnt(0)
	v_dual_mov_b32 v15, v17 :: v_dual_mov_b32 v16, v18
	s_cmp_lg_u32 vcc_lo, exec_lo
	s_cbranch_scc1 .LBB804_74
; %bb.60:                               ;   in Loop: Header=BB804_59 Depth=1
	v_lshlrev_b64 v[17:18], 4, v[25:26]
	s_mov_b32 s11, exec_lo
	s_delay_alu instid0(VALU_DEP_1) | instskip(NEXT) | instid1(VALU_DEP_2)
	v_add_co_u32 v27, vcc_lo, s8, v17
	v_add_co_ci_u32_e32 v28, vcc_lo, s9, v18, vcc_lo
	;;#ASMSTART
	global_load_dwordx4 v[17:20], v[27:28] off glc	
s_waitcnt vmcnt(0)
	;;#ASMEND
	v_and_b32_e32 v20, 0xff, v18
	v_and_b32_e32 v55, 0xff00, v18
	v_or3_b32 v17, v17, 0, 0
	v_and_b32_e32 v56, 0xff000000, v18
	v_and_b32_e32 v18, 0xff0000, v18
	s_delay_alu instid0(VALU_DEP_4) | instskip(SKIP_2) | instid1(VALU_DEP_3)
	v_or3_b32 v20, 0, v20, v55
	v_and_b32_e32 v55, 0xff, v19
	v_or3_b32 v17, v17, 0, 0
	v_or3_b32 v18, v20, v18, v56
	s_delay_alu instid0(VALU_DEP_3)
	v_cmpx_eq_u16_e32 0, v55
	s_cbranch_execz .LBB804_64
; %bb.61:                               ;   in Loop: Header=BB804_59 Depth=1
	s_mov_b32 s12, 0
.LBB804_62:                             ;   Parent Loop BB804_59 Depth=1
                                        ; =>  This Inner Loop Header: Depth=2
	;;#ASMSTART
	global_load_dwordx4 v[17:20], v[27:28] off glc	
s_waitcnt vmcnt(0)
	;;#ASMEND
	v_and_b32_e32 v20, 0xff, v19
	s_delay_alu instid0(VALU_DEP_1) | instskip(SKIP_1) | instid1(SALU_CYCLE_1)
	v_cmp_ne_u16_e32 vcc_lo, 0, v20
	s_or_b32 s12, vcc_lo, s12
	s_and_not1_b32 exec_lo, exec_lo, s12
	s_cbranch_execnz .LBB804_62
; %bb.63:                               ;   in Loop: Header=BB804_59 Depth=1
	s_or_b32 exec_lo, exec_lo, s12
.LBB804_64:                             ;   in Loop: Header=BB804_59 Depth=1
	s_delay_alu instid0(SALU_CYCLE_1)
	s_or_b32 exec_lo, exec_lo, s11
	v_dual_mov_b32 v27, v17 :: v_dual_and_b32 v20, 0xff, v19
	ds_bpermute_b32 v55, v45, v17
	ds_bpermute_b32 v28, v45, v18
	s_mov_b32 s11, exec_lo
	v_cmp_eq_u16_e32 vcc_lo, 2, v20
	v_and_or_b32 v20, vcc_lo, v46, 0x80000000
	s_delay_alu instid0(VALU_DEP_1) | instskip(NEXT) | instid1(VALU_DEP_1)
	v_ctz_i32_b32_e32 v20, v20
	v_cmpx_lt_u32_e64 v42, v20
	s_cbranch_execz .LBB804_66
; %bb.65:                               ;   in Loop: Header=BB804_59 Depth=1
	s_waitcnt lgkmcnt(1)
	v_add_co_u32 v27, vcc_lo, v17, v55
	v_add_co_ci_u32_e32 v18, vcc_lo, 0, v18, vcc_lo
	s_delay_alu instid0(VALU_DEP_2) | instskip(SKIP_1) | instid1(VALU_DEP_2)
	v_add_co_u32 v17, vcc_lo, 0, v27
	s_waitcnt lgkmcnt(0)
	v_add_co_ci_u32_e32 v18, vcc_lo, v28, v18, vcc_lo
.LBB804_66:                             ;   in Loop: Header=BB804_59 Depth=1
	s_or_b32 exec_lo, exec_lo, s11
	s_waitcnt lgkmcnt(1)
	ds_bpermute_b32 v55, v47, v27
	s_waitcnt lgkmcnt(1)
	ds_bpermute_b32 v28, v47, v18
	s_mov_b32 s11, exec_lo
	v_cmpx_le_u32_e64 v48, v20
	s_cbranch_execz .LBB804_68
; %bb.67:                               ;   in Loop: Header=BB804_59 Depth=1
	s_waitcnt lgkmcnt(1)
	v_add_co_u32 v27, vcc_lo, v17, v55
	v_add_co_ci_u32_e32 v18, vcc_lo, 0, v18, vcc_lo
	s_delay_alu instid0(VALU_DEP_2) | instskip(SKIP_1) | instid1(VALU_DEP_2)
	v_add_co_u32 v17, vcc_lo, 0, v27
	s_waitcnt lgkmcnt(0)
	v_add_co_ci_u32_e32 v18, vcc_lo, v28, v18, vcc_lo
.LBB804_68:                             ;   in Loop: Header=BB804_59 Depth=1
	s_or_b32 exec_lo, exec_lo, s11
	s_waitcnt lgkmcnt(1)
	ds_bpermute_b32 v55, v49, v27
	s_waitcnt lgkmcnt(1)
	ds_bpermute_b32 v28, v49, v18
	s_mov_b32 s11, exec_lo
	v_cmpx_le_u32_e64 v50, v20
	;; [unrolled: 17-line block ×3, first 2 shown]
	s_cbranch_execz .LBB804_72
; %bb.71:                               ;   in Loop: Header=BB804_59 Depth=1
	s_waitcnt lgkmcnt(1)
	v_add_co_u32 v27, vcc_lo, v17, v55
	v_add_co_ci_u32_e32 v18, vcc_lo, 0, v18, vcc_lo
	s_delay_alu instid0(VALU_DEP_2) | instskip(SKIP_1) | instid1(VALU_DEP_2)
	v_add_co_u32 v17, vcc_lo, 0, v27
	s_waitcnt lgkmcnt(0)
	v_add_co_ci_u32_e32 v18, vcc_lo, v28, v18, vcc_lo
.LBB804_72:                             ;   in Loop: Header=BB804_59 Depth=1
	s_or_b32 exec_lo, exec_lo, s11
	s_waitcnt lgkmcnt(0)
	ds_bpermute_b32 v28, v53, v27
	ds_bpermute_b32 v27, v53, v18
	s_mov_b32 s11, exec_lo
	v_cmpx_le_u32_e64 v54, v20
	s_cbranch_execz .LBB804_58
; %bb.73:                               ;   in Loop: Header=BB804_59 Depth=1
	s_waitcnt lgkmcnt(1)
	v_add_co_u32 v17, vcc_lo, v17, v28
	v_add_co_ci_u32_e32 v18, vcc_lo, 0, v18, vcc_lo
	s_delay_alu instid0(VALU_DEP_2) | instskip(SKIP_1) | instid1(VALU_DEP_2)
	v_add_co_u32 v17, vcc_lo, v17, 0
	s_waitcnt lgkmcnt(0)
	v_add_co_ci_u32_e32 v18, vcc_lo, v18, v27, vcc_lo
	s_branch .LBB804_58
.LBB804_74:                             ;   in Loop: Header=BB804_59 Depth=1
                                        ; implicit-def: $vgpr17_vgpr18
	s_cbranch_execz .LBB804_59
; %bb.75:
	s_and_saveexec_b32 s11, s3
	s_cbranch_execz .LBB804_77
; %bb.76:
	s_add_i32 s12, s15, 32
	s_mov_b32 s13, 0
	v_add_co_u32 v17, vcc_lo, v15, v13
	s_lshl_b64 s[12:13], s[12:13], 4
	v_dual_mov_b32 v19, 2 :: v_dual_mov_b32 v20, 0
	s_add_u32 s12, s8, s12
	s_addc_u32 s13, s9, s13
	v_add_co_ci_u32_e32 v18, vcc_lo, v16, v14, vcc_lo
	v_dual_mov_b32 v26, s13 :: v_dual_mov_b32 v25, s12
	;;#ASMSTART
	global_store_dwordx4 v[25:26], v[17:20] off	
s_waitcnt vmcnt(0)
	;;#ASMEND
	ds_store_b128 v20, v[13:16] offset:6144
.LBB804_77:
	s_or_b32 exec_lo, exec_lo, s11
	v_cmp_eq_u32_e32 vcc_lo, 0, v0
	s_and_b32 exec_lo, exec_lo, vcc_lo
	s_cbranch_execz .LBB804_79
; %bb.78:
	v_mov_b32_e32 v13, 0
	ds_store_b64 v13, v[15:16] offset:24
.LBB804_79:
	s_or_b32 exec_lo, exec_lo, s10
	s_waitcnt lgkmcnt(1)
	v_cndmask_b32_e64 v16, v29, v23, s3
	v_cmp_ne_u32_e32 vcc_lo, 0, v0
	v_mov_b32_e32 v15, 0
	s_waitcnt lgkmcnt(0)
	s_barrier
	buffer_gl0_inv
	v_cndmask_b32_e32 v16, 0, v16, vcc_lo
	ds_load_b64 v[13:14], v15 offset:24
	v_cndmask_b32_e64 v17, v30, v24, s3
	s_waitcnt lgkmcnt(0)
	s_barrier
	buffer_gl0_inv
	v_cndmask_b32_e32 v17, 0, v17, vcc_lo
	v_add_co_u32 v29, vcc_lo, v13, v16
	s_delay_alu instid0(VALU_DEP_2) | instskip(SKIP_3) | instid1(VALU_DEP_2)
	v_add_co_ci_u32_e32 v30, vcc_lo, v14, v17, vcc_lo
	ds_load_b128 v[13:16], v15 offset:6144
	v_add_co_u32 v27, vcc_lo, v29, v41
	v_add_co_ci_u32_e32 v28, vcc_lo, 0, v30, vcc_lo
	v_add_co_u32 v25, vcc_lo, v27, v40
	s_delay_alu instid0(VALU_DEP_2) | instskip(NEXT) | instid1(VALU_DEP_2)
	v_add_co_ci_u32_e32 v26, vcc_lo, 0, v28, vcc_lo
	v_add_co_u32 v23, vcc_lo, v25, v39
	s_delay_alu instid0(VALU_DEP_2) | instskip(NEXT) | instid1(VALU_DEP_2)
	;; [unrolled: 3-line block ×3, first 2 shown]
	v_add_co_ci_u32_e32 v20, vcc_lo, 0, v24, vcc_lo
	v_add_co_u32 v17, vcc_lo, v19, v37
	s_delay_alu instid0(VALU_DEP_2)
	v_add_co_ci_u32_e32 v18, vcc_lo, 0, v20, vcc_lo
	s_load_b64 s[10:11], s[0:1], 0x30
.LBB804_80:
	s_waitcnt lgkmcnt(0)
	v_cmp_gt_u64_e32 vcc_lo, 0x81, v[13:14]
	s_mov_b32 s0, -1
	s_cbranch_vccnz .LBB804_108
.LBB804_81:
	s_and_b32 vcc_lo, exec_lo, s0
	s_cbranch_vccnz .LBB804_127
.LBB804_82:
	v_cmp_eq_u32_e32 vcc_lo, 0, v0
	s_and_b32 s0, vcc_lo, s14
	s_delay_alu instid0(SALU_CYCLE_1)
	s_and_saveexec_b32 s1, s0
	s_cbranch_execnz .LBB804_143
.LBB804_83:
	s_nop 0
	s_sendmsg sendmsg(MSG_DEALLOC_VGPRS)
	s_endpgm
.LBB804_84:
                                        ; kill: def $vgpr13_vgpr14 killed $sgpr0_sgpr1 killed $exec
                                        ; implicit-def: $vgpr17_vgpr18
                                        ; implicit-def: $vgpr19_vgpr20
                                        ; implicit-def: $vgpr23_vgpr24
                                        ; implicit-def: $vgpr25_vgpr26
                                        ; implicit-def: $vgpr27_vgpr28
                                        ; implicit-def: $vgpr29_vgpr30
                                        ; implicit-def: $vgpr15_vgpr16
	s_load_b64 s[10:11], s[0:1], 0x30
	s_and_b32 vcc_lo, exec_lo, s3
	s_cbranch_vccz .LBB804_80
; %bb.85:
	s_waitcnt lgkmcnt(0)
	v_dual_mov_b32 v14, 0 :: v_dual_mov_b32 v15, v21
	v_mov_b32_dpp v16, v21 row_shr:1 row_mask:0xf bank_mask:0xf
	s_delay_alu instid0(VALU_DEP_2)
	v_mov_b32_dpp v13, v14 row_shr:1 row_mask:0xf bank_mask:0xf
	s_and_saveexec_b32 s0, s2
; %bb.86:
	s_delay_alu instid0(VALU_DEP_2) | instskip(SKIP_1) | instid1(VALU_DEP_2)
	v_add_co_u32 v15, vcc_lo, v21, v16
	v_add_co_ci_u32_e32 v14, vcc_lo, 0, v22, vcc_lo
	v_add_co_u32 v21, vcc_lo, 0, v15
	s_delay_alu instid0(VALU_DEP_2) | instskip(NEXT) | instid1(VALU_DEP_1)
	v_add_co_ci_u32_e32 v22, vcc_lo, v13, v14, vcc_lo
	v_mov_b32_e32 v14, v22
; %bb.87:
	s_or_b32 exec_lo, exec_lo, s0
	v_mov_b32_dpp v13, v15 row_shr:2 row_mask:0xf bank_mask:0xf
	s_delay_alu instid0(VALU_DEP_2)
	v_mov_b32_dpp v16, v14 row_shr:2 row_mask:0xf bank_mask:0xf
	s_mov_b32 s0, exec_lo
	v_cmpx_lt_u32_e32 1, v44
; %bb.88:
	s_delay_alu instid0(VALU_DEP_3) | instskip(SKIP_1) | instid1(VALU_DEP_2)
	v_add_co_u32 v15, vcc_lo, v21, v13
	v_add_co_ci_u32_e32 v14, vcc_lo, 0, v22, vcc_lo
	v_add_co_u32 v13, vcc_lo, 0, v15
	s_delay_alu instid0(VALU_DEP_2) | instskip(NEXT) | instid1(VALU_DEP_1)
	v_add_co_ci_u32_e32 v14, vcc_lo, v16, v14, vcc_lo
	v_dual_mov_b32 v22, v14 :: v_dual_mov_b32 v21, v13
; %bb.89:
	s_or_b32 exec_lo, exec_lo, s0
	v_mov_b32_dpp v13, v15 row_shr:4 row_mask:0xf bank_mask:0xf
	v_mov_b32_dpp v16, v14 row_shr:4 row_mask:0xf bank_mask:0xf
	s_mov_b32 s0, exec_lo
	v_cmpx_lt_u32_e32 3, v44
; %bb.90:
	s_delay_alu instid0(VALU_DEP_3) | instskip(SKIP_1) | instid1(VALU_DEP_2)
	v_add_co_u32 v15, vcc_lo, v21, v13
	v_add_co_ci_u32_e32 v14, vcc_lo, 0, v22, vcc_lo
	v_add_co_u32 v13, vcc_lo, 0, v15
	s_delay_alu instid0(VALU_DEP_2) | instskip(NEXT) | instid1(VALU_DEP_1)
	v_add_co_ci_u32_e32 v14, vcc_lo, v16, v14, vcc_lo
	v_dual_mov_b32 v22, v14 :: v_dual_mov_b32 v21, v13
; %bb.91:
	s_or_b32 exec_lo, exec_lo, s0
	v_mov_b32_dpp v16, v15 row_shr:8 row_mask:0xf bank_mask:0xf
	v_mov_b32_dpp v13, v14 row_shr:8 row_mask:0xf bank_mask:0xf
	s_mov_b32 s0, exec_lo
	v_cmpx_lt_u32_e32 7, v44
; %bb.92:
	s_delay_alu instid0(VALU_DEP_3) | instskip(SKIP_1) | instid1(VALU_DEP_2)
	v_add_co_u32 v15, vcc_lo, v21, v16
	v_add_co_ci_u32_e32 v14, vcc_lo, 0, v22, vcc_lo
	v_add_co_u32 v21, vcc_lo, 0, v15
	s_delay_alu instid0(VALU_DEP_2) | instskip(NEXT) | instid1(VALU_DEP_1)
	v_add_co_ci_u32_e32 v22, vcc_lo, v13, v14, vcc_lo
	v_mov_b32_e32 v14, v22
; %bb.93:
	s_or_b32 exec_lo, exec_lo, s0
	ds_swizzle_b32 v15, v15 offset:swizzle(BROADCAST,32,15)
	ds_swizzle_b32 v13, v14 offset:swizzle(BROADCAST,32,15)
	v_and_b32_e32 v14, 16, v42
	s_mov_b32 s0, exec_lo
	s_delay_alu instid0(VALU_DEP_1)
	v_cmpx_ne_u32_e32 0, v14
	s_cbranch_execz .LBB804_95
; %bb.94:
	s_waitcnt lgkmcnt(1)
	v_add_co_u32 v14, vcc_lo, v21, v15
	v_add_co_ci_u32_e32 v15, vcc_lo, 0, v22, vcc_lo
	s_delay_alu instid0(VALU_DEP_2) | instskip(SKIP_1) | instid1(VALU_DEP_2)
	v_add_co_u32 v21, vcc_lo, v14, 0
	s_waitcnt lgkmcnt(0)
	v_add_co_ci_u32_e32 v22, vcc_lo, v15, v13, vcc_lo
.LBB804_95:
	s_or_b32 exec_lo, exec_lo, s0
	s_waitcnt lgkmcnt(0)
	v_or_b32_e32 v13, 31, v0
	v_lshrrev_b32_e32 v15, 5, v0
	s_mov_b32 s0, exec_lo
	s_delay_alu instid0(VALU_DEP_2)
	v_cmpx_eq_u32_e64 v13, v0
	s_cbranch_execz .LBB804_97
; %bb.96:
	s_delay_alu instid0(VALU_DEP_2)
	v_lshlrev_b32_e32 v13, 3, v15
	ds_store_b64 v13, v[21:22]
.LBB804_97:
	s_or_b32 exec_lo, exec_lo, s0
	s_delay_alu instid0(SALU_CYCLE_1)
	s_mov_b32 s0, exec_lo
	s_waitcnt lgkmcnt(0)
	s_barrier
	buffer_gl0_inv
	v_cmpx_gt_u32_e32 4, v0
	s_cbranch_execz .LBB804_103
; %bb.98:
	v_lshlrev_b32_e32 v13, 1, v0
	s_mov_b32 s1, exec_lo
	s_delay_alu instid0(VALU_DEP_1)
	v_add_nc_u32_e32 v16, v43, v13
	ds_load_b64 v[13:14], v16
	s_waitcnt lgkmcnt(0)
	v_dual_mov_b32 v18, v13 :: v_dual_and_b32 v17, 3, v42
	v_mov_b32_dpp v20, v13 row_shr:1 row_mask:0xf bank_mask:0xf
	v_mov_b32_dpp v19, v14 row_shr:1 row_mask:0xf bank_mask:0xf
	s_delay_alu instid0(VALU_DEP_3)
	v_cmpx_ne_u32_e32 0, v17
; %bb.99:
	s_delay_alu instid0(VALU_DEP_3) | instskip(SKIP_1) | instid1(VALU_DEP_2)
	v_add_co_u32 v18, vcc_lo, v13, v20
	v_add_co_ci_u32_e32 v14, vcc_lo, 0, v14, vcc_lo
	v_add_co_u32 v13, vcc_lo, 0, v18
	s_delay_alu instid0(VALU_DEP_2)
	v_add_co_ci_u32_e32 v14, vcc_lo, v19, v14, vcc_lo
; %bb.100:
	s_or_b32 exec_lo, exec_lo, s1
	v_mov_b32_dpp v19, v18 row_shr:2 row_mask:0xf bank_mask:0xf
	s_delay_alu instid0(VALU_DEP_2)
	v_mov_b32_dpp v18, v14 row_shr:2 row_mask:0xf bank_mask:0xf
	s_mov_b32 s1, exec_lo
	v_cmpx_lt_u32_e32 1, v17
; %bb.101:
	s_delay_alu instid0(VALU_DEP_3) | instskip(SKIP_1) | instid1(VALU_DEP_2)
	v_add_co_u32 v13, vcc_lo, v13, v19
	v_add_co_ci_u32_e32 v14, vcc_lo, 0, v14, vcc_lo
	v_add_co_u32 v13, vcc_lo, v13, 0
	s_delay_alu instid0(VALU_DEP_2)
	v_add_co_ci_u32_e32 v14, vcc_lo, v14, v18, vcc_lo
; %bb.102:
	s_or_b32 exec_lo, exec_lo, s1
	ds_store_b64 v16, v[13:14]
.LBB804_103:
	s_or_b32 exec_lo, exec_lo, s0
	v_mov_b32_e32 v17, 0
	v_mov_b32_e32 v18, 0
	s_mov_b32 s0, exec_lo
	s_waitcnt lgkmcnt(0)
	s_barrier
	buffer_gl0_inv
	v_cmpx_lt_u32_e32 31, v0
	s_cbranch_execz .LBB804_105
; %bb.104:
	v_lshl_add_u32 v13, v15, 3, -8
	ds_load_b64 v[17:18], v13
.LBB804_105:
	s_or_b32 exec_lo, exec_lo, s0
	v_dual_mov_b32 v16, 0 :: v_dual_add_nc_u32 v13, -1, v42
	s_delay_alu instid0(VALU_DEP_1) | instskip(SKIP_4) | instid1(VALU_DEP_3)
	v_cmp_gt_i32_e32 vcc_lo, 0, v13
	v_cndmask_b32_e32 v13, v13, v42, vcc_lo
	s_waitcnt lgkmcnt(0)
	v_add_co_u32 v14, vcc_lo, v17, v21
	v_add_co_ci_u32_e32 v15, vcc_lo, v18, v22, vcc_lo
	v_lshlrev_b32_e32 v13, 2, v13
	v_cmp_eq_u32_e32 vcc_lo, 0, v0
	ds_bpermute_b32 v19, v13, v14
	ds_bpermute_b32 v20, v13, v15
	ds_load_b64 v[13:14], v16 offset:24
	s_and_saveexec_b32 s0, vcc_lo
	s_cbranch_execz .LBB804_107
; %bb.106:
	s_add_u32 s2, s8, 0x200
	s_addc_u32 s3, s9, 0
	s_delay_alu instid0(SALU_CYCLE_1)
	v_dual_mov_b32 v15, 2 :: v_dual_mov_b32 v22, s3
	v_mov_b32_e32 v21, s2
	s_waitcnt lgkmcnt(0)
	;;#ASMSTART
	global_store_dwordx4 v[21:22], v[13:16] off	
s_waitcnt vmcnt(0)
	;;#ASMEND
.LBB804_107:
	s_or_b32 exec_lo, exec_lo, s0
	v_cmp_eq_u32_e64 s0, 0, v42
	s_waitcnt lgkmcnt(0)
	s_barrier
	buffer_gl0_inv
	v_cndmask_b32_e64 v15, v19, v17, s0
	v_cndmask_b32_e64 v16, v20, v18, s0
	s_delay_alu instid0(VALU_DEP_2) | instskip(NEXT) | instid1(VALU_DEP_2)
	v_cndmask_b32_e64 v29, v15, 0, vcc_lo
	v_cndmask_b32_e64 v30, v16, 0, vcc_lo
	v_mov_b32_e32 v15, 0
	v_mov_b32_e32 v16, 0
	s_delay_alu instid0(VALU_DEP_4) | instskip(NEXT) | instid1(VALU_DEP_4)
	v_add_co_u32 v27, vcc_lo, v29, v41
	v_add_co_ci_u32_e32 v28, vcc_lo, 0, v30, vcc_lo
	s_delay_alu instid0(VALU_DEP_2) | instskip(NEXT) | instid1(VALU_DEP_2)
	v_add_co_u32 v25, vcc_lo, v27, v40
	v_add_co_ci_u32_e32 v26, vcc_lo, 0, v28, vcc_lo
	s_delay_alu instid0(VALU_DEP_2) | instskip(NEXT) | instid1(VALU_DEP_2)
	;; [unrolled: 3-line block ×4, first 2 shown]
	v_add_co_u32 v17, vcc_lo, v19, v37
	v_add_co_ci_u32_e32 v18, vcc_lo, 0, v20, vcc_lo
	v_cmp_gt_u64_e32 vcc_lo, 0x81, v[13:14]
	s_mov_b32 s0, -1
	s_cbranch_vccz .LBB804_81
.LBB804_108:
	v_add_co_u32 v21, vcc_lo, v15, v13
	v_add_co_ci_u32_e32 v22, vcc_lo, v16, v14, vcc_lo
	s_delay_alu instid0(VALU_DEP_1) | instskip(SKIP_1) | instid1(SALU_CYCLE_1)
	v_cmp_lt_u64_e32 vcc_lo, v[29:30], v[21:22]
	s_or_b32 s1, s16, vcc_lo
	s_and_saveexec_b32 s0, s1
	s_cbranch_execz .LBB804_111
; %bb.109:
	v_and_b32_e32 v37, 1, v36
	s_delay_alu instid0(VALU_DEP_1)
	v_cmp_eq_u32_e32 vcc_lo, 1, v37
	s_and_b32 exec_lo, exec_lo, vcc_lo
	s_cbranch_execz .LBB804_111
; %bb.110:
	v_lshlrev_b64 v[37:38], 3, v[29:30]
	s_lshl_b64 s[2:3], s[6:7], 3
	s_delay_alu instid0(SALU_CYCLE_1) | instskip(SKIP_1) | instid1(VALU_DEP_1)
	s_add_u32 s1, s10, s2
	s_addc_u32 s2, s11, s3
	v_add_co_u32 v37, vcc_lo, s1, v37
	s_delay_alu instid0(VALU_DEP_2)
	v_add_co_ci_u32_e32 v38, vcc_lo, s2, v38, vcc_lo
	global_store_b64 v[37:38], v[9:10], off
.LBB804_111:
	s_or_b32 exec_lo, exec_lo, s0
	v_cmp_lt_u64_e32 vcc_lo, v[27:28], v[21:22]
	s_or_b32 s1, s16, vcc_lo
	s_delay_alu instid0(SALU_CYCLE_1)
	s_and_saveexec_b32 s0, s1
	s_cbranch_execz .LBB804_114
; %bb.112:
	v_and_b32_e32 v30, 1, v34
	s_delay_alu instid0(VALU_DEP_1)
	v_cmp_eq_u32_e32 vcc_lo, 1, v30
	s_and_b32 exec_lo, exec_lo, vcc_lo
	s_cbranch_execz .LBB804_114
; %bb.113:
	v_lshlrev_b64 v[37:38], 3, v[27:28]
	s_lshl_b64 s[2:3], s[6:7], 3
	s_delay_alu instid0(SALU_CYCLE_1) | instskip(SKIP_1) | instid1(VALU_DEP_1)
	s_add_u32 s1, s10, s2
	s_addc_u32 s2, s11, s3
	v_add_co_u32 v37, vcc_lo, s1, v37
	s_delay_alu instid0(VALU_DEP_2)
	v_add_co_ci_u32_e32 v38, vcc_lo, s2, v38, vcc_lo
	global_store_b64 v[37:38], v[11:12], off
.LBB804_114:
	s_or_b32 exec_lo, exec_lo, s0
	v_cmp_lt_u64_e32 vcc_lo, v[25:26], v[21:22]
	s_or_b32 s1, s16, vcc_lo
	s_delay_alu instid0(SALU_CYCLE_1)
	;; [unrolled: 23-line block ×5, first 2 shown]
	s_and_saveexec_b32 s0, s1
	s_cbranch_execz .LBB804_126
; %bb.124:
	v_and_b32_e32 v20, 1, v32
	s_delay_alu instid0(VALU_DEP_1)
	v_cmp_eq_u32_e32 vcc_lo, 1, v20
	s_and_b32 exec_lo, exec_lo, vcc_lo
	s_cbranch_execz .LBB804_126
; %bb.125:
	v_lshlrev_b64 v[20:21], 3, v[17:18]
	s_lshl_b64 s[2:3], s[6:7], 3
	s_delay_alu instid0(SALU_CYCLE_1) | instskip(SKIP_1) | instid1(VALU_DEP_1)
	s_add_u32 s1, s10, s2
	s_addc_u32 s2, s11, s3
	v_add_co_u32 v20, vcc_lo, s1, v20
	s_delay_alu instid0(VALU_DEP_2)
	v_add_co_ci_u32_e32 v21, vcc_lo, s2, v21, vcc_lo
	global_store_b64 v[20:21], v[3:4], off
.LBB804_126:
	s_or_b32 exec_lo, exec_lo, s0
	s_branch .LBB804_82
.LBB804_127:
	v_and_b32_e32 v18, 1, v36
	s_mov_b32 s0, exec_lo
	s_delay_alu instid0(VALU_DEP_1)
	v_cmpx_eq_u32_e32 1, v18
	s_cbranch_execz .LBB804_129
; %bb.128:
	v_sub_nc_u32_e32 v18, v29, v15
	s_delay_alu instid0(VALU_DEP_1)
	v_lshlrev_b32_e32 v18, 3, v18
	ds_store_b64 v18, v[9:10]
.LBB804_129:
	s_or_b32 exec_lo, exec_lo, s0
	v_and_b32_e32 v9, 1, v34
	s_mov_b32 s0, exec_lo
	s_delay_alu instid0(VALU_DEP_1)
	v_cmpx_eq_u32_e32 1, v9
	s_cbranch_execz .LBB804_131
; %bb.130:
	v_sub_nc_u32_e32 v9, v27, v15
	s_delay_alu instid0(VALU_DEP_1)
	v_lshlrev_b32_e32 v9, 3, v9
	ds_store_b64 v9, v[11:12]
.LBB804_131:
	s_or_b32 exec_lo, exec_lo, s0
	;; [unrolled: 12-line block ×6, first 2 shown]
	v_mov_b32_e32 v3, 0
	s_mov_b32 s1, exec_lo
	s_waitcnt lgkmcnt(0)
	s_waitcnt_vscnt null, 0x0
	s_barrier
	buffer_gl0_inv
	v_mov_b32_e32 v1, v3
	s_delay_alu instid0(VALU_DEP_1)
	v_cmpx_gt_u64_e64 v[13:14], v[0:1]
	s_cbranch_execz .LBB804_142
; %bb.140:
	v_lshlrev_b64 v[4:5], 3, v[15:16]
	s_lshl_b64 s[2:3], s[6:7], 3
	v_or_b32_e32 v2, 0x80, v0
	s_delay_alu instid0(VALU_DEP_2) | instskip(NEXT) | instid1(VALU_DEP_3)
	v_add_co_u32 v4, vcc_lo, s10, v4
	v_add_co_ci_u32_e32 v5, vcc_lo, s11, v5, vcc_lo
	s_delay_alu instid0(VALU_DEP_2) | instskip(NEXT) | instid1(VALU_DEP_2)
	v_add_co_u32 v6, vcc_lo, v4, s2
	v_add_co_ci_u32_e32 v7, vcc_lo, s3, v5, vcc_lo
	v_dual_mov_b32 v5, v1 :: v_dual_mov_b32 v4, v0
	s_mov_b32 s2, 0
	.p2align	6
.LBB804_141:                            ; =>This Inner Loop Header: Depth=1
	s_delay_alu instid0(VALU_DEP_1) | instskip(NEXT) | instid1(VALU_DEP_2)
	v_lshlrev_b32_e32 v1, 3, v4
	v_lshlrev_b64 v[10:11], 3, v[4:5]
	v_dual_mov_b32 v5, v3 :: v_dual_mov_b32 v4, v2
	v_cmp_le_u64_e32 vcc_lo, v[13:14], v[2:3]
	v_add_nc_u32_e32 v2, 0x80, v2
	ds_load_b64 v[8:9], v1
	v_add_co_u32 v10, s0, v6, v10
	s_delay_alu instid0(VALU_DEP_1)
	v_add_co_ci_u32_e64 v11, s0, v7, v11, s0
	s_or_b32 s2, vcc_lo, s2
	s_waitcnt lgkmcnt(0)
	global_store_b64 v[10:11], v[8:9], off
	s_and_not1_b32 exec_lo, exec_lo, s2
	s_cbranch_execnz .LBB804_141
.LBB804_142:
	s_or_b32 exec_lo, exec_lo, s1
	v_cmp_eq_u32_e32 vcc_lo, 0, v0
	s_and_b32 s0, vcc_lo, s14
	s_delay_alu instid0(SALU_CYCLE_1)
	s_and_saveexec_b32 s1, s0
	s_cbranch_execz .LBB804_83
.LBB804_143:
	v_add_co_u32 v0, vcc_lo, v15, v13
	v_add_co_ci_u32_e32 v1, vcc_lo, v16, v14, vcc_lo
	v_mov_b32_e32 v2, 0
	s_delay_alu instid0(VALU_DEP_3) | instskip(NEXT) | instid1(VALU_DEP_3)
	v_add_co_u32 v0, vcc_lo, v0, s6
	v_add_co_ci_u32_e32 v1, vcc_lo, s7, v1, vcc_lo
	global_store_b64 v2, v[0:1], s[4:5]
	s_nop 0
	s_sendmsg sendmsg(MSG_DEALLOC_VGPRS)
	s_endpgm
	.section	.rodata,"a",@progbits
	.p2align	6, 0x0
	.amdhsa_kernel _ZN7rocprim17ROCPRIM_400000_NS6detail17trampoline_kernelINS0_14default_configENS1_25partition_config_selectorILNS1_17partition_subalgoE5ElNS0_10empty_typeEbEEZZNS1_14partition_implILS5_5ELb0ES3_mN6hipcub16HIPCUB_304000_NS21CountingInputIteratorIllEEPS6_NSA_22TransformInputIteratorIbN2at6native12_GLOBAL__N_19NonZeroOpIN3c108BFloat16EEEPKSK_lEENS0_5tupleIJPlS6_EEENSP_IJSD_SD_EEES6_PiJS6_EEE10hipError_tPvRmT3_T4_T5_T6_T7_T9_mT8_P12ihipStream_tbDpT10_ENKUlT_T0_E_clISt17integral_constantIbLb0EES1D_EEDaS18_S19_EUlS18_E_NS1_11comp_targetILNS1_3genE9ELNS1_11target_archE1100ELNS1_3gpuE3ELNS1_3repE0EEENS1_30default_config_static_selectorELNS0_4arch9wavefront6targetE0EEEvT1_
		.amdhsa_group_segment_fixed_size 6160
		.amdhsa_private_segment_fixed_size 0
		.amdhsa_kernarg_size 120
		.amdhsa_user_sgpr_count 15
		.amdhsa_user_sgpr_dispatch_ptr 0
		.amdhsa_user_sgpr_queue_ptr 0
		.amdhsa_user_sgpr_kernarg_segment_ptr 1
		.amdhsa_user_sgpr_dispatch_id 0
		.amdhsa_user_sgpr_private_segment_size 0
		.amdhsa_wavefront_size32 1
		.amdhsa_uses_dynamic_stack 0
		.amdhsa_enable_private_segment 0
		.amdhsa_system_sgpr_workgroup_id_x 1
		.amdhsa_system_sgpr_workgroup_id_y 0
		.amdhsa_system_sgpr_workgroup_id_z 0
		.amdhsa_system_sgpr_workgroup_info 0
		.amdhsa_system_vgpr_workitem_id 0
		.amdhsa_next_free_vgpr 57
		.amdhsa_next_free_sgpr 21
		.amdhsa_reserve_vcc 1
		.amdhsa_float_round_mode_32 0
		.amdhsa_float_round_mode_16_64 0
		.amdhsa_float_denorm_mode_32 3
		.amdhsa_float_denorm_mode_16_64 3
		.amdhsa_dx10_clamp 1
		.amdhsa_ieee_mode 1
		.amdhsa_fp16_overflow 0
		.amdhsa_workgroup_processor_mode 1
		.amdhsa_memory_ordered 1
		.amdhsa_forward_progress 0
		.amdhsa_shared_vgpr_count 0
		.amdhsa_exception_fp_ieee_invalid_op 0
		.amdhsa_exception_fp_denorm_src 0
		.amdhsa_exception_fp_ieee_div_zero 0
		.amdhsa_exception_fp_ieee_overflow 0
		.amdhsa_exception_fp_ieee_underflow 0
		.amdhsa_exception_fp_ieee_inexact 0
		.amdhsa_exception_int_div_zero 0
	.end_amdhsa_kernel
	.section	.text._ZN7rocprim17ROCPRIM_400000_NS6detail17trampoline_kernelINS0_14default_configENS1_25partition_config_selectorILNS1_17partition_subalgoE5ElNS0_10empty_typeEbEEZZNS1_14partition_implILS5_5ELb0ES3_mN6hipcub16HIPCUB_304000_NS21CountingInputIteratorIllEEPS6_NSA_22TransformInputIteratorIbN2at6native12_GLOBAL__N_19NonZeroOpIN3c108BFloat16EEEPKSK_lEENS0_5tupleIJPlS6_EEENSP_IJSD_SD_EEES6_PiJS6_EEE10hipError_tPvRmT3_T4_T5_T6_T7_T9_mT8_P12ihipStream_tbDpT10_ENKUlT_T0_E_clISt17integral_constantIbLb0EES1D_EEDaS18_S19_EUlS18_E_NS1_11comp_targetILNS1_3genE9ELNS1_11target_archE1100ELNS1_3gpuE3ELNS1_3repE0EEENS1_30default_config_static_selectorELNS0_4arch9wavefront6targetE0EEEvT1_,"axG",@progbits,_ZN7rocprim17ROCPRIM_400000_NS6detail17trampoline_kernelINS0_14default_configENS1_25partition_config_selectorILNS1_17partition_subalgoE5ElNS0_10empty_typeEbEEZZNS1_14partition_implILS5_5ELb0ES3_mN6hipcub16HIPCUB_304000_NS21CountingInputIteratorIllEEPS6_NSA_22TransformInputIteratorIbN2at6native12_GLOBAL__N_19NonZeroOpIN3c108BFloat16EEEPKSK_lEENS0_5tupleIJPlS6_EEENSP_IJSD_SD_EEES6_PiJS6_EEE10hipError_tPvRmT3_T4_T5_T6_T7_T9_mT8_P12ihipStream_tbDpT10_ENKUlT_T0_E_clISt17integral_constantIbLb0EES1D_EEDaS18_S19_EUlS18_E_NS1_11comp_targetILNS1_3genE9ELNS1_11target_archE1100ELNS1_3gpuE3ELNS1_3repE0EEENS1_30default_config_static_selectorELNS0_4arch9wavefront6targetE0EEEvT1_,comdat
.Lfunc_end804:
	.size	_ZN7rocprim17ROCPRIM_400000_NS6detail17trampoline_kernelINS0_14default_configENS1_25partition_config_selectorILNS1_17partition_subalgoE5ElNS0_10empty_typeEbEEZZNS1_14partition_implILS5_5ELb0ES3_mN6hipcub16HIPCUB_304000_NS21CountingInputIteratorIllEEPS6_NSA_22TransformInputIteratorIbN2at6native12_GLOBAL__N_19NonZeroOpIN3c108BFloat16EEEPKSK_lEENS0_5tupleIJPlS6_EEENSP_IJSD_SD_EEES6_PiJS6_EEE10hipError_tPvRmT3_T4_T5_T6_T7_T9_mT8_P12ihipStream_tbDpT10_ENKUlT_T0_E_clISt17integral_constantIbLb0EES1D_EEDaS18_S19_EUlS18_E_NS1_11comp_targetILNS1_3genE9ELNS1_11target_archE1100ELNS1_3gpuE3ELNS1_3repE0EEENS1_30default_config_static_selectorELNS0_4arch9wavefront6targetE0EEEvT1_, .Lfunc_end804-_ZN7rocprim17ROCPRIM_400000_NS6detail17trampoline_kernelINS0_14default_configENS1_25partition_config_selectorILNS1_17partition_subalgoE5ElNS0_10empty_typeEbEEZZNS1_14partition_implILS5_5ELb0ES3_mN6hipcub16HIPCUB_304000_NS21CountingInputIteratorIllEEPS6_NSA_22TransformInputIteratorIbN2at6native12_GLOBAL__N_19NonZeroOpIN3c108BFloat16EEEPKSK_lEENS0_5tupleIJPlS6_EEENSP_IJSD_SD_EEES6_PiJS6_EEE10hipError_tPvRmT3_T4_T5_T6_T7_T9_mT8_P12ihipStream_tbDpT10_ENKUlT_T0_E_clISt17integral_constantIbLb0EES1D_EEDaS18_S19_EUlS18_E_NS1_11comp_targetILNS1_3genE9ELNS1_11target_archE1100ELNS1_3gpuE3ELNS1_3repE0EEENS1_30default_config_static_selectorELNS0_4arch9wavefront6targetE0EEEvT1_
                                        ; -- End function
	.section	.AMDGPU.csdata,"",@progbits
; Kernel info:
; codeLenInByte = 6496
; NumSgprs: 23
; NumVgprs: 57
; ScratchSize: 0
; MemoryBound: 0
; FloatMode: 240
; IeeeMode: 1
; LDSByteSize: 6160 bytes/workgroup (compile time only)
; SGPRBlocks: 2
; VGPRBlocks: 7
; NumSGPRsForWavesPerEU: 23
; NumVGPRsForWavesPerEU: 57
; Occupancy: 16
; WaveLimiterHint : 1
; COMPUTE_PGM_RSRC2:SCRATCH_EN: 0
; COMPUTE_PGM_RSRC2:USER_SGPR: 15
; COMPUTE_PGM_RSRC2:TRAP_HANDLER: 0
; COMPUTE_PGM_RSRC2:TGID_X_EN: 1
; COMPUTE_PGM_RSRC2:TGID_Y_EN: 0
; COMPUTE_PGM_RSRC2:TGID_Z_EN: 0
; COMPUTE_PGM_RSRC2:TIDIG_COMP_CNT: 0
	.section	.text._ZN7rocprim17ROCPRIM_400000_NS6detail17trampoline_kernelINS0_14default_configENS1_25partition_config_selectorILNS1_17partition_subalgoE5ElNS0_10empty_typeEbEEZZNS1_14partition_implILS5_5ELb0ES3_mN6hipcub16HIPCUB_304000_NS21CountingInputIteratorIllEEPS6_NSA_22TransformInputIteratorIbN2at6native12_GLOBAL__N_19NonZeroOpIN3c108BFloat16EEEPKSK_lEENS0_5tupleIJPlS6_EEENSP_IJSD_SD_EEES6_PiJS6_EEE10hipError_tPvRmT3_T4_T5_T6_T7_T9_mT8_P12ihipStream_tbDpT10_ENKUlT_T0_E_clISt17integral_constantIbLb0EES1D_EEDaS18_S19_EUlS18_E_NS1_11comp_targetILNS1_3genE8ELNS1_11target_archE1030ELNS1_3gpuE2ELNS1_3repE0EEENS1_30default_config_static_selectorELNS0_4arch9wavefront6targetE0EEEvT1_,"axG",@progbits,_ZN7rocprim17ROCPRIM_400000_NS6detail17trampoline_kernelINS0_14default_configENS1_25partition_config_selectorILNS1_17partition_subalgoE5ElNS0_10empty_typeEbEEZZNS1_14partition_implILS5_5ELb0ES3_mN6hipcub16HIPCUB_304000_NS21CountingInputIteratorIllEEPS6_NSA_22TransformInputIteratorIbN2at6native12_GLOBAL__N_19NonZeroOpIN3c108BFloat16EEEPKSK_lEENS0_5tupleIJPlS6_EEENSP_IJSD_SD_EEES6_PiJS6_EEE10hipError_tPvRmT3_T4_T5_T6_T7_T9_mT8_P12ihipStream_tbDpT10_ENKUlT_T0_E_clISt17integral_constantIbLb0EES1D_EEDaS18_S19_EUlS18_E_NS1_11comp_targetILNS1_3genE8ELNS1_11target_archE1030ELNS1_3gpuE2ELNS1_3repE0EEENS1_30default_config_static_selectorELNS0_4arch9wavefront6targetE0EEEvT1_,comdat
	.globl	_ZN7rocprim17ROCPRIM_400000_NS6detail17trampoline_kernelINS0_14default_configENS1_25partition_config_selectorILNS1_17partition_subalgoE5ElNS0_10empty_typeEbEEZZNS1_14partition_implILS5_5ELb0ES3_mN6hipcub16HIPCUB_304000_NS21CountingInputIteratorIllEEPS6_NSA_22TransformInputIteratorIbN2at6native12_GLOBAL__N_19NonZeroOpIN3c108BFloat16EEEPKSK_lEENS0_5tupleIJPlS6_EEENSP_IJSD_SD_EEES6_PiJS6_EEE10hipError_tPvRmT3_T4_T5_T6_T7_T9_mT8_P12ihipStream_tbDpT10_ENKUlT_T0_E_clISt17integral_constantIbLb0EES1D_EEDaS18_S19_EUlS18_E_NS1_11comp_targetILNS1_3genE8ELNS1_11target_archE1030ELNS1_3gpuE2ELNS1_3repE0EEENS1_30default_config_static_selectorELNS0_4arch9wavefront6targetE0EEEvT1_ ; -- Begin function _ZN7rocprim17ROCPRIM_400000_NS6detail17trampoline_kernelINS0_14default_configENS1_25partition_config_selectorILNS1_17partition_subalgoE5ElNS0_10empty_typeEbEEZZNS1_14partition_implILS5_5ELb0ES3_mN6hipcub16HIPCUB_304000_NS21CountingInputIteratorIllEEPS6_NSA_22TransformInputIteratorIbN2at6native12_GLOBAL__N_19NonZeroOpIN3c108BFloat16EEEPKSK_lEENS0_5tupleIJPlS6_EEENSP_IJSD_SD_EEES6_PiJS6_EEE10hipError_tPvRmT3_T4_T5_T6_T7_T9_mT8_P12ihipStream_tbDpT10_ENKUlT_T0_E_clISt17integral_constantIbLb0EES1D_EEDaS18_S19_EUlS18_E_NS1_11comp_targetILNS1_3genE8ELNS1_11target_archE1030ELNS1_3gpuE2ELNS1_3repE0EEENS1_30default_config_static_selectorELNS0_4arch9wavefront6targetE0EEEvT1_
	.p2align	8
	.type	_ZN7rocprim17ROCPRIM_400000_NS6detail17trampoline_kernelINS0_14default_configENS1_25partition_config_selectorILNS1_17partition_subalgoE5ElNS0_10empty_typeEbEEZZNS1_14partition_implILS5_5ELb0ES3_mN6hipcub16HIPCUB_304000_NS21CountingInputIteratorIllEEPS6_NSA_22TransformInputIteratorIbN2at6native12_GLOBAL__N_19NonZeroOpIN3c108BFloat16EEEPKSK_lEENS0_5tupleIJPlS6_EEENSP_IJSD_SD_EEES6_PiJS6_EEE10hipError_tPvRmT3_T4_T5_T6_T7_T9_mT8_P12ihipStream_tbDpT10_ENKUlT_T0_E_clISt17integral_constantIbLb0EES1D_EEDaS18_S19_EUlS18_E_NS1_11comp_targetILNS1_3genE8ELNS1_11target_archE1030ELNS1_3gpuE2ELNS1_3repE0EEENS1_30default_config_static_selectorELNS0_4arch9wavefront6targetE0EEEvT1_,@function
_ZN7rocprim17ROCPRIM_400000_NS6detail17trampoline_kernelINS0_14default_configENS1_25partition_config_selectorILNS1_17partition_subalgoE5ElNS0_10empty_typeEbEEZZNS1_14partition_implILS5_5ELb0ES3_mN6hipcub16HIPCUB_304000_NS21CountingInputIteratorIllEEPS6_NSA_22TransformInputIteratorIbN2at6native12_GLOBAL__N_19NonZeroOpIN3c108BFloat16EEEPKSK_lEENS0_5tupleIJPlS6_EEENSP_IJSD_SD_EEES6_PiJS6_EEE10hipError_tPvRmT3_T4_T5_T6_T7_T9_mT8_P12ihipStream_tbDpT10_ENKUlT_T0_E_clISt17integral_constantIbLb0EES1D_EEDaS18_S19_EUlS18_E_NS1_11comp_targetILNS1_3genE8ELNS1_11target_archE1030ELNS1_3gpuE2ELNS1_3repE0EEENS1_30default_config_static_selectorELNS0_4arch9wavefront6targetE0EEEvT1_: ; @_ZN7rocprim17ROCPRIM_400000_NS6detail17trampoline_kernelINS0_14default_configENS1_25partition_config_selectorILNS1_17partition_subalgoE5ElNS0_10empty_typeEbEEZZNS1_14partition_implILS5_5ELb0ES3_mN6hipcub16HIPCUB_304000_NS21CountingInputIteratorIllEEPS6_NSA_22TransformInputIteratorIbN2at6native12_GLOBAL__N_19NonZeroOpIN3c108BFloat16EEEPKSK_lEENS0_5tupleIJPlS6_EEENSP_IJSD_SD_EEES6_PiJS6_EEE10hipError_tPvRmT3_T4_T5_T6_T7_T9_mT8_P12ihipStream_tbDpT10_ENKUlT_T0_E_clISt17integral_constantIbLb0EES1D_EEDaS18_S19_EUlS18_E_NS1_11comp_targetILNS1_3genE8ELNS1_11target_archE1030ELNS1_3gpuE2ELNS1_3repE0EEENS1_30default_config_static_selectorELNS0_4arch9wavefront6targetE0EEEvT1_
; %bb.0:
	.section	.rodata,"a",@progbits
	.p2align	6, 0x0
	.amdhsa_kernel _ZN7rocprim17ROCPRIM_400000_NS6detail17trampoline_kernelINS0_14default_configENS1_25partition_config_selectorILNS1_17partition_subalgoE5ElNS0_10empty_typeEbEEZZNS1_14partition_implILS5_5ELb0ES3_mN6hipcub16HIPCUB_304000_NS21CountingInputIteratorIllEEPS6_NSA_22TransformInputIteratorIbN2at6native12_GLOBAL__N_19NonZeroOpIN3c108BFloat16EEEPKSK_lEENS0_5tupleIJPlS6_EEENSP_IJSD_SD_EEES6_PiJS6_EEE10hipError_tPvRmT3_T4_T5_T6_T7_T9_mT8_P12ihipStream_tbDpT10_ENKUlT_T0_E_clISt17integral_constantIbLb0EES1D_EEDaS18_S19_EUlS18_E_NS1_11comp_targetILNS1_3genE8ELNS1_11target_archE1030ELNS1_3gpuE2ELNS1_3repE0EEENS1_30default_config_static_selectorELNS0_4arch9wavefront6targetE0EEEvT1_
		.amdhsa_group_segment_fixed_size 0
		.amdhsa_private_segment_fixed_size 0
		.amdhsa_kernarg_size 120
		.amdhsa_user_sgpr_count 15
		.amdhsa_user_sgpr_dispatch_ptr 0
		.amdhsa_user_sgpr_queue_ptr 0
		.amdhsa_user_sgpr_kernarg_segment_ptr 1
		.amdhsa_user_sgpr_dispatch_id 0
		.amdhsa_user_sgpr_private_segment_size 0
		.amdhsa_wavefront_size32 1
		.amdhsa_uses_dynamic_stack 0
		.amdhsa_enable_private_segment 0
		.amdhsa_system_sgpr_workgroup_id_x 1
		.amdhsa_system_sgpr_workgroup_id_y 0
		.amdhsa_system_sgpr_workgroup_id_z 0
		.amdhsa_system_sgpr_workgroup_info 0
		.amdhsa_system_vgpr_workitem_id 0
		.amdhsa_next_free_vgpr 1
		.amdhsa_next_free_sgpr 1
		.amdhsa_reserve_vcc 0
		.amdhsa_float_round_mode_32 0
		.amdhsa_float_round_mode_16_64 0
		.amdhsa_float_denorm_mode_32 3
		.amdhsa_float_denorm_mode_16_64 3
		.amdhsa_dx10_clamp 1
		.amdhsa_ieee_mode 1
		.amdhsa_fp16_overflow 0
		.amdhsa_workgroup_processor_mode 1
		.amdhsa_memory_ordered 1
		.amdhsa_forward_progress 0
		.amdhsa_shared_vgpr_count 0
		.amdhsa_exception_fp_ieee_invalid_op 0
		.amdhsa_exception_fp_denorm_src 0
		.amdhsa_exception_fp_ieee_div_zero 0
		.amdhsa_exception_fp_ieee_overflow 0
		.amdhsa_exception_fp_ieee_underflow 0
		.amdhsa_exception_fp_ieee_inexact 0
		.amdhsa_exception_int_div_zero 0
	.end_amdhsa_kernel
	.section	.text._ZN7rocprim17ROCPRIM_400000_NS6detail17trampoline_kernelINS0_14default_configENS1_25partition_config_selectorILNS1_17partition_subalgoE5ElNS0_10empty_typeEbEEZZNS1_14partition_implILS5_5ELb0ES3_mN6hipcub16HIPCUB_304000_NS21CountingInputIteratorIllEEPS6_NSA_22TransformInputIteratorIbN2at6native12_GLOBAL__N_19NonZeroOpIN3c108BFloat16EEEPKSK_lEENS0_5tupleIJPlS6_EEENSP_IJSD_SD_EEES6_PiJS6_EEE10hipError_tPvRmT3_T4_T5_T6_T7_T9_mT8_P12ihipStream_tbDpT10_ENKUlT_T0_E_clISt17integral_constantIbLb0EES1D_EEDaS18_S19_EUlS18_E_NS1_11comp_targetILNS1_3genE8ELNS1_11target_archE1030ELNS1_3gpuE2ELNS1_3repE0EEENS1_30default_config_static_selectorELNS0_4arch9wavefront6targetE0EEEvT1_,"axG",@progbits,_ZN7rocprim17ROCPRIM_400000_NS6detail17trampoline_kernelINS0_14default_configENS1_25partition_config_selectorILNS1_17partition_subalgoE5ElNS0_10empty_typeEbEEZZNS1_14partition_implILS5_5ELb0ES3_mN6hipcub16HIPCUB_304000_NS21CountingInputIteratorIllEEPS6_NSA_22TransformInputIteratorIbN2at6native12_GLOBAL__N_19NonZeroOpIN3c108BFloat16EEEPKSK_lEENS0_5tupleIJPlS6_EEENSP_IJSD_SD_EEES6_PiJS6_EEE10hipError_tPvRmT3_T4_T5_T6_T7_T9_mT8_P12ihipStream_tbDpT10_ENKUlT_T0_E_clISt17integral_constantIbLb0EES1D_EEDaS18_S19_EUlS18_E_NS1_11comp_targetILNS1_3genE8ELNS1_11target_archE1030ELNS1_3gpuE2ELNS1_3repE0EEENS1_30default_config_static_selectorELNS0_4arch9wavefront6targetE0EEEvT1_,comdat
.Lfunc_end805:
	.size	_ZN7rocprim17ROCPRIM_400000_NS6detail17trampoline_kernelINS0_14default_configENS1_25partition_config_selectorILNS1_17partition_subalgoE5ElNS0_10empty_typeEbEEZZNS1_14partition_implILS5_5ELb0ES3_mN6hipcub16HIPCUB_304000_NS21CountingInputIteratorIllEEPS6_NSA_22TransformInputIteratorIbN2at6native12_GLOBAL__N_19NonZeroOpIN3c108BFloat16EEEPKSK_lEENS0_5tupleIJPlS6_EEENSP_IJSD_SD_EEES6_PiJS6_EEE10hipError_tPvRmT3_T4_T5_T6_T7_T9_mT8_P12ihipStream_tbDpT10_ENKUlT_T0_E_clISt17integral_constantIbLb0EES1D_EEDaS18_S19_EUlS18_E_NS1_11comp_targetILNS1_3genE8ELNS1_11target_archE1030ELNS1_3gpuE2ELNS1_3repE0EEENS1_30default_config_static_selectorELNS0_4arch9wavefront6targetE0EEEvT1_, .Lfunc_end805-_ZN7rocprim17ROCPRIM_400000_NS6detail17trampoline_kernelINS0_14default_configENS1_25partition_config_selectorILNS1_17partition_subalgoE5ElNS0_10empty_typeEbEEZZNS1_14partition_implILS5_5ELb0ES3_mN6hipcub16HIPCUB_304000_NS21CountingInputIteratorIllEEPS6_NSA_22TransformInputIteratorIbN2at6native12_GLOBAL__N_19NonZeroOpIN3c108BFloat16EEEPKSK_lEENS0_5tupleIJPlS6_EEENSP_IJSD_SD_EEES6_PiJS6_EEE10hipError_tPvRmT3_T4_T5_T6_T7_T9_mT8_P12ihipStream_tbDpT10_ENKUlT_T0_E_clISt17integral_constantIbLb0EES1D_EEDaS18_S19_EUlS18_E_NS1_11comp_targetILNS1_3genE8ELNS1_11target_archE1030ELNS1_3gpuE2ELNS1_3repE0EEENS1_30default_config_static_selectorELNS0_4arch9wavefront6targetE0EEEvT1_
                                        ; -- End function
	.section	.AMDGPU.csdata,"",@progbits
; Kernel info:
; codeLenInByte = 0
; NumSgprs: 0
; NumVgprs: 0
; ScratchSize: 0
; MemoryBound: 0
; FloatMode: 240
; IeeeMode: 1
; LDSByteSize: 0 bytes/workgroup (compile time only)
; SGPRBlocks: 0
; VGPRBlocks: 0
; NumSGPRsForWavesPerEU: 1
; NumVGPRsForWavesPerEU: 1
; Occupancy: 16
; WaveLimiterHint : 0
; COMPUTE_PGM_RSRC2:SCRATCH_EN: 0
; COMPUTE_PGM_RSRC2:USER_SGPR: 15
; COMPUTE_PGM_RSRC2:TRAP_HANDLER: 0
; COMPUTE_PGM_RSRC2:TGID_X_EN: 1
; COMPUTE_PGM_RSRC2:TGID_Y_EN: 0
; COMPUTE_PGM_RSRC2:TGID_Z_EN: 0
; COMPUTE_PGM_RSRC2:TIDIG_COMP_CNT: 0
	.section	.text._ZN7rocprim17ROCPRIM_400000_NS6detail17trampoline_kernelINS0_14default_configENS1_25partition_config_selectorILNS1_17partition_subalgoE5ElNS0_10empty_typeEbEEZZNS1_14partition_implILS5_5ELb0ES3_mN6hipcub16HIPCUB_304000_NS21CountingInputIteratorIllEEPS6_NSA_22TransformInputIteratorIbN2at6native12_GLOBAL__N_19NonZeroOpIN3c108BFloat16EEEPKSK_lEENS0_5tupleIJPlS6_EEENSP_IJSD_SD_EEES6_PiJS6_EEE10hipError_tPvRmT3_T4_T5_T6_T7_T9_mT8_P12ihipStream_tbDpT10_ENKUlT_T0_E_clISt17integral_constantIbLb1EES1D_EEDaS18_S19_EUlS18_E_NS1_11comp_targetILNS1_3genE0ELNS1_11target_archE4294967295ELNS1_3gpuE0ELNS1_3repE0EEENS1_30default_config_static_selectorELNS0_4arch9wavefront6targetE0EEEvT1_,"axG",@progbits,_ZN7rocprim17ROCPRIM_400000_NS6detail17trampoline_kernelINS0_14default_configENS1_25partition_config_selectorILNS1_17partition_subalgoE5ElNS0_10empty_typeEbEEZZNS1_14partition_implILS5_5ELb0ES3_mN6hipcub16HIPCUB_304000_NS21CountingInputIteratorIllEEPS6_NSA_22TransformInputIteratorIbN2at6native12_GLOBAL__N_19NonZeroOpIN3c108BFloat16EEEPKSK_lEENS0_5tupleIJPlS6_EEENSP_IJSD_SD_EEES6_PiJS6_EEE10hipError_tPvRmT3_T4_T5_T6_T7_T9_mT8_P12ihipStream_tbDpT10_ENKUlT_T0_E_clISt17integral_constantIbLb1EES1D_EEDaS18_S19_EUlS18_E_NS1_11comp_targetILNS1_3genE0ELNS1_11target_archE4294967295ELNS1_3gpuE0ELNS1_3repE0EEENS1_30default_config_static_selectorELNS0_4arch9wavefront6targetE0EEEvT1_,comdat
	.globl	_ZN7rocprim17ROCPRIM_400000_NS6detail17trampoline_kernelINS0_14default_configENS1_25partition_config_selectorILNS1_17partition_subalgoE5ElNS0_10empty_typeEbEEZZNS1_14partition_implILS5_5ELb0ES3_mN6hipcub16HIPCUB_304000_NS21CountingInputIteratorIllEEPS6_NSA_22TransformInputIteratorIbN2at6native12_GLOBAL__N_19NonZeroOpIN3c108BFloat16EEEPKSK_lEENS0_5tupleIJPlS6_EEENSP_IJSD_SD_EEES6_PiJS6_EEE10hipError_tPvRmT3_T4_T5_T6_T7_T9_mT8_P12ihipStream_tbDpT10_ENKUlT_T0_E_clISt17integral_constantIbLb1EES1D_EEDaS18_S19_EUlS18_E_NS1_11comp_targetILNS1_3genE0ELNS1_11target_archE4294967295ELNS1_3gpuE0ELNS1_3repE0EEENS1_30default_config_static_selectorELNS0_4arch9wavefront6targetE0EEEvT1_ ; -- Begin function _ZN7rocprim17ROCPRIM_400000_NS6detail17trampoline_kernelINS0_14default_configENS1_25partition_config_selectorILNS1_17partition_subalgoE5ElNS0_10empty_typeEbEEZZNS1_14partition_implILS5_5ELb0ES3_mN6hipcub16HIPCUB_304000_NS21CountingInputIteratorIllEEPS6_NSA_22TransformInputIteratorIbN2at6native12_GLOBAL__N_19NonZeroOpIN3c108BFloat16EEEPKSK_lEENS0_5tupleIJPlS6_EEENSP_IJSD_SD_EEES6_PiJS6_EEE10hipError_tPvRmT3_T4_T5_T6_T7_T9_mT8_P12ihipStream_tbDpT10_ENKUlT_T0_E_clISt17integral_constantIbLb1EES1D_EEDaS18_S19_EUlS18_E_NS1_11comp_targetILNS1_3genE0ELNS1_11target_archE4294967295ELNS1_3gpuE0ELNS1_3repE0EEENS1_30default_config_static_selectorELNS0_4arch9wavefront6targetE0EEEvT1_
	.p2align	8
	.type	_ZN7rocprim17ROCPRIM_400000_NS6detail17trampoline_kernelINS0_14default_configENS1_25partition_config_selectorILNS1_17partition_subalgoE5ElNS0_10empty_typeEbEEZZNS1_14partition_implILS5_5ELb0ES3_mN6hipcub16HIPCUB_304000_NS21CountingInputIteratorIllEEPS6_NSA_22TransformInputIteratorIbN2at6native12_GLOBAL__N_19NonZeroOpIN3c108BFloat16EEEPKSK_lEENS0_5tupleIJPlS6_EEENSP_IJSD_SD_EEES6_PiJS6_EEE10hipError_tPvRmT3_T4_T5_T6_T7_T9_mT8_P12ihipStream_tbDpT10_ENKUlT_T0_E_clISt17integral_constantIbLb1EES1D_EEDaS18_S19_EUlS18_E_NS1_11comp_targetILNS1_3genE0ELNS1_11target_archE4294967295ELNS1_3gpuE0ELNS1_3repE0EEENS1_30default_config_static_selectorELNS0_4arch9wavefront6targetE0EEEvT1_,@function
_ZN7rocprim17ROCPRIM_400000_NS6detail17trampoline_kernelINS0_14default_configENS1_25partition_config_selectorILNS1_17partition_subalgoE5ElNS0_10empty_typeEbEEZZNS1_14partition_implILS5_5ELb0ES3_mN6hipcub16HIPCUB_304000_NS21CountingInputIteratorIllEEPS6_NSA_22TransformInputIteratorIbN2at6native12_GLOBAL__N_19NonZeroOpIN3c108BFloat16EEEPKSK_lEENS0_5tupleIJPlS6_EEENSP_IJSD_SD_EEES6_PiJS6_EEE10hipError_tPvRmT3_T4_T5_T6_T7_T9_mT8_P12ihipStream_tbDpT10_ENKUlT_T0_E_clISt17integral_constantIbLb1EES1D_EEDaS18_S19_EUlS18_E_NS1_11comp_targetILNS1_3genE0ELNS1_11target_archE4294967295ELNS1_3gpuE0ELNS1_3repE0EEENS1_30default_config_static_selectorELNS0_4arch9wavefront6targetE0EEEvT1_: ; @_ZN7rocprim17ROCPRIM_400000_NS6detail17trampoline_kernelINS0_14default_configENS1_25partition_config_selectorILNS1_17partition_subalgoE5ElNS0_10empty_typeEbEEZZNS1_14partition_implILS5_5ELb0ES3_mN6hipcub16HIPCUB_304000_NS21CountingInputIteratorIllEEPS6_NSA_22TransformInputIteratorIbN2at6native12_GLOBAL__N_19NonZeroOpIN3c108BFloat16EEEPKSK_lEENS0_5tupleIJPlS6_EEENSP_IJSD_SD_EEES6_PiJS6_EEE10hipError_tPvRmT3_T4_T5_T6_T7_T9_mT8_P12ihipStream_tbDpT10_ENKUlT_T0_E_clISt17integral_constantIbLb1EES1D_EEDaS18_S19_EUlS18_E_NS1_11comp_targetILNS1_3genE0ELNS1_11target_archE4294967295ELNS1_3gpuE0ELNS1_3repE0EEENS1_30default_config_static_selectorELNS0_4arch9wavefront6targetE0EEEvT1_
; %bb.0:
	.section	.rodata,"a",@progbits
	.p2align	6, 0x0
	.amdhsa_kernel _ZN7rocprim17ROCPRIM_400000_NS6detail17trampoline_kernelINS0_14default_configENS1_25partition_config_selectorILNS1_17partition_subalgoE5ElNS0_10empty_typeEbEEZZNS1_14partition_implILS5_5ELb0ES3_mN6hipcub16HIPCUB_304000_NS21CountingInputIteratorIllEEPS6_NSA_22TransformInputIteratorIbN2at6native12_GLOBAL__N_19NonZeroOpIN3c108BFloat16EEEPKSK_lEENS0_5tupleIJPlS6_EEENSP_IJSD_SD_EEES6_PiJS6_EEE10hipError_tPvRmT3_T4_T5_T6_T7_T9_mT8_P12ihipStream_tbDpT10_ENKUlT_T0_E_clISt17integral_constantIbLb1EES1D_EEDaS18_S19_EUlS18_E_NS1_11comp_targetILNS1_3genE0ELNS1_11target_archE4294967295ELNS1_3gpuE0ELNS1_3repE0EEENS1_30default_config_static_selectorELNS0_4arch9wavefront6targetE0EEEvT1_
		.amdhsa_group_segment_fixed_size 0
		.amdhsa_private_segment_fixed_size 0
		.amdhsa_kernarg_size 136
		.amdhsa_user_sgpr_count 15
		.amdhsa_user_sgpr_dispatch_ptr 0
		.amdhsa_user_sgpr_queue_ptr 0
		.amdhsa_user_sgpr_kernarg_segment_ptr 1
		.amdhsa_user_sgpr_dispatch_id 0
		.amdhsa_user_sgpr_private_segment_size 0
		.amdhsa_wavefront_size32 1
		.amdhsa_uses_dynamic_stack 0
		.amdhsa_enable_private_segment 0
		.amdhsa_system_sgpr_workgroup_id_x 1
		.amdhsa_system_sgpr_workgroup_id_y 0
		.amdhsa_system_sgpr_workgroup_id_z 0
		.amdhsa_system_sgpr_workgroup_info 0
		.amdhsa_system_vgpr_workitem_id 0
		.amdhsa_next_free_vgpr 1
		.amdhsa_next_free_sgpr 1
		.amdhsa_reserve_vcc 0
		.amdhsa_float_round_mode_32 0
		.amdhsa_float_round_mode_16_64 0
		.amdhsa_float_denorm_mode_32 3
		.amdhsa_float_denorm_mode_16_64 3
		.amdhsa_dx10_clamp 1
		.amdhsa_ieee_mode 1
		.amdhsa_fp16_overflow 0
		.amdhsa_workgroup_processor_mode 1
		.amdhsa_memory_ordered 1
		.amdhsa_forward_progress 0
		.amdhsa_shared_vgpr_count 0
		.amdhsa_exception_fp_ieee_invalid_op 0
		.amdhsa_exception_fp_denorm_src 0
		.amdhsa_exception_fp_ieee_div_zero 0
		.amdhsa_exception_fp_ieee_overflow 0
		.amdhsa_exception_fp_ieee_underflow 0
		.amdhsa_exception_fp_ieee_inexact 0
		.amdhsa_exception_int_div_zero 0
	.end_amdhsa_kernel
	.section	.text._ZN7rocprim17ROCPRIM_400000_NS6detail17trampoline_kernelINS0_14default_configENS1_25partition_config_selectorILNS1_17partition_subalgoE5ElNS0_10empty_typeEbEEZZNS1_14partition_implILS5_5ELb0ES3_mN6hipcub16HIPCUB_304000_NS21CountingInputIteratorIllEEPS6_NSA_22TransformInputIteratorIbN2at6native12_GLOBAL__N_19NonZeroOpIN3c108BFloat16EEEPKSK_lEENS0_5tupleIJPlS6_EEENSP_IJSD_SD_EEES6_PiJS6_EEE10hipError_tPvRmT3_T4_T5_T6_T7_T9_mT8_P12ihipStream_tbDpT10_ENKUlT_T0_E_clISt17integral_constantIbLb1EES1D_EEDaS18_S19_EUlS18_E_NS1_11comp_targetILNS1_3genE0ELNS1_11target_archE4294967295ELNS1_3gpuE0ELNS1_3repE0EEENS1_30default_config_static_selectorELNS0_4arch9wavefront6targetE0EEEvT1_,"axG",@progbits,_ZN7rocprim17ROCPRIM_400000_NS6detail17trampoline_kernelINS0_14default_configENS1_25partition_config_selectorILNS1_17partition_subalgoE5ElNS0_10empty_typeEbEEZZNS1_14partition_implILS5_5ELb0ES3_mN6hipcub16HIPCUB_304000_NS21CountingInputIteratorIllEEPS6_NSA_22TransformInputIteratorIbN2at6native12_GLOBAL__N_19NonZeroOpIN3c108BFloat16EEEPKSK_lEENS0_5tupleIJPlS6_EEENSP_IJSD_SD_EEES6_PiJS6_EEE10hipError_tPvRmT3_T4_T5_T6_T7_T9_mT8_P12ihipStream_tbDpT10_ENKUlT_T0_E_clISt17integral_constantIbLb1EES1D_EEDaS18_S19_EUlS18_E_NS1_11comp_targetILNS1_3genE0ELNS1_11target_archE4294967295ELNS1_3gpuE0ELNS1_3repE0EEENS1_30default_config_static_selectorELNS0_4arch9wavefront6targetE0EEEvT1_,comdat
.Lfunc_end806:
	.size	_ZN7rocprim17ROCPRIM_400000_NS6detail17trampoline_kernelINS0_14default_configENS1_25partition_config_selectorILNS1_17partition_subalgoE5ElNS0_10empty_typeEbEEZZNS1_14partition_implILS5_5ELb0ES3_mN6hipcub16HIPCUB_304000_NS21CountingInputIteratorIllEEPS6_NSA_22TransformInputIteratorIbN2at6native12_GLOBAL__N_19NonZeroOpIN3c108BFloat16EEEPKSK_lEENS0_5tupleIJPlS6_EEENSP_IJSD_SD_EEES6_PiJS6_EEE10hipError_tPvRmT3_T4_T5_T6_T7_T9_mT8_P12ihipStream_tbDpT10_ENKUlT_T0_E_clISt17integral_constantIbLb1EES1D_EEDaS18_S19_EUlS18_E_NS1_11comp_targetILNS1_3genE0ELNS1_11target_archE4294967295ELNS1_3gpuE0ELNS1_3repE0EEENS1_30default_config_static_selectorELNS0_4arch9wavefront6targetE0EEEvT1_, .Lfunc_end806-_ZN7rocprim17ROCPRIM_400000_NS6detail17trampoline_kernelINS0_14default_configENS1_25partition_config_selectorILNS1_17partition_subalgoE5ElNS0_10empty_typeEbEEZZNS1_14partition_implILS5_5ELb0ES3_mN6hipcub16HIPCUB_304000_NS21CountingInputIteratorIllEEPS6_NSA_22TransformInputIteratorIbN2at6native12_GLOBAL__N_19NonZeroOpIN3c108BFloat16EEEPKSK_lEENS0_5tupleIJPlS6_EEENSP_IJSD_SD_EEES6_PiJS6_EEE10hipError_tPvRmT3_T4_T5_T6_T7_T9_mT8_P12ihipStream_tbDpT10_ENKUlT_T0_E_clISt17integral_constantIbLb1EES1D_EEDaS18_S19_EUlS18_E_NS1_11comp_targetILNS1_3genE0ELNS1_11target_archE4294967295ELNS1_3gpuE0ELNS1_3repE0EEENS1_30default_config_static_selectorELNS0_4arch9wavefront6targetE0EEEvT1_
                                        ; -- End function
	.section	.AMDGPU.csdata,"",@progbits
; Kernel info:
; codeLenInByte = 0
; NumSgprs: 0
; NumVgprs: 0
; ScratchSize: 0
; MemoryBound: 0
; FloatMode: 240
; IeeeMode: 1
; LDSByteSize: 0 bytes/workgroup (compile time only)
; SGPRBlocks: 0
; VGPRBlocks: 0
; NumSGPRsForWavesPerEU: 1
; NumVGPRsForWavesPerEU: 1
; Occupancy: 16
; WaveLimiterHint : 0
; COMPUTE_PGM_RSRC2:SCRATCH_EN: 0
; COMPUTE_PGM_RSRC2:USER_SGPR: 15
; COMPUTE_PGM_RSRC2:TRAP_HANDLER: 0
; COMPUTE_PGM_RSRC2:TGID_X_EN: 1
; COMPUTE_PGM_RSRC2:TGID_Y_EN: 0
; COMPUTE_PGM_RSRC2:TGID_Z_EN: 0
; COMPUTE_PGM_RSRC2:TIDIG_COMP_CNT: 0
	.section	.text._ZN7rocprim17ROCPRIM_400000_NS6detail17trampoline_kernelINS0_14default_configENS1_25partition_config_selectorILNS1_17partition_subalgoE5ElNS0_10empty_typeEbEEZZNS1_14partition_implILS5_5ELb0ES3_mN6hipcub16HIPCUB_304000_NS21CountingInputIteratorIllEEPS6_NSA_22TransformInputIteratorIbN2at6native12_GLOBAL__N_19NonZeroOpIN3c108BFloat16EEEPKSK_lEENS0_5tupleIJPlS6_EEENSP_IJSD_SD_EEES6_PiJS6_EEE10hipError_tPvRmT3_T4_T5_T6_T7_T9_mT8_P12ihipStream_tbDpT10_ENKUlT_T0_E_clISt17integral_constantIbLb1EES1D_EEDaS18_S19_EUlS18_E_NS1_11comp_targetILNS1_3genE5ELNS1_11target_archE942ELNS1_3gpuE9ELNS1_3repE0EEENS1_30default_config_static_selectorELNS0_4arch9wavefront6targetE0EEEvT1_,"axG",@progbits,_ZN7rocprim17ROCPRIM_400000_NS6detail17trampoline_kernelINS0_14default_configENS1_25partition_config_selectorILNS1_17partition_subalgoE5ElNS0_10empty_typeEbEEZZNS1_14partition_implILS5_5ELb0ES3_mN6hipcub16HIPCUB_304000_NS21CountingInputIteratorIllEEPS6_NSA_22TransformInputIteratorIbN2at6native12_GLOBAL__N_19NonZeroOpIN3c108BFloat16EEEPKSK_lEENS0_5tupleIJPlS6_EEENSP_IJSD_SD_EEES6_PiJS6_EEE10hipError_tPvRmT3_T4_T5_T6_T7_T9_mT8_P12ihipStream_tbDpT10_ENKUlT_T0_E_clISt17integral_constantIbLb1EES1D_EEDaS18_S19_EUlS18_E_NS1_11comp_targetILNS1_3genE5ELNS1_11target_archE942ELNS1_3gpuE9ELNS1_3repE0EEENS1_30default_config_static_selectorELNS0_4arch9wavefront6targetE0EEEvT1_,comdat
	.globl	_ZN7rocprim17ROCPRIM_400000_NS6detail17trampoline_kernelINS0_14default_configENS1_25partition_config_selectorILNS1_17partition_subalgoE5ElNS0_10empty_typeEbEEZZNS1_14partition_implILS5_5ELb0ES3_mN6hipcub16HIPCUB_304000_NS21CountingInputIteratorIllEEPS6_NSA_22TransformInputIteratorIbN2at6native12_GLOBAL__N_19NonZeroOpIN3c108BFloat16EEEPKSK_lEENS0_5tupleIJPlS6_EEENSP_IJSD_SD_EEES6_PiJS6_EEE10hipError_tPvRmT3_T4_T5_T6_T7_T9_mT8_P12ihipStream_tbDpT10_ENKUlT_T0_E_clISt17integral_constantIbLb1EES1D_EEDaS18_S19_EUlS18_E_NS1_11comp_targetILNS1_3genE5ELNS1_11target_archE942ELNS1_3gpuE9ELNS1_3repE0EEENS1_30default_config_static_selectorELNS0_4arch9wavefront6targetE0EEEvT1_ ; -- Begin function _ZN7rocprim17ROCPRIM_400000_NS6detail17trampoline_kernelINS0_14default_configENS1_25partition_config_selectorILNS1_17partition_subalgoE5ElNS0_10empty_typeEbEEZZNS1_14partition_implILS5_5ELb0ES3_mN6hipcub16HIPCUB_304000_NS21CountingInputIteratorIllEEPS6_NSA_22TransformInputIteratorIbN2at6native12_GLOBAL__N_19NonZeroOpIN3c108BFloat16EEEPKSK_lEENS0_5tupleIJPlS6_EEENSP_IJSD_SD_EEES6_PiJS6_EEE10hipError_tPvRmT3_T4_T5_T6_T7_T9_mT8_P12ihipStream_tbDpT10_ENKUlT_T0_E_clISt17integral_constantIbLb1EES1D_EEDaS18_S19_EUlS18_E_NS1_11comp_targetILNS1_3genE5ELNS1_11target_archE942ELNS1_3gpuE9ELNS1_3repE0EEENS1_30default_config_static_selectorELNS0_4arch9wavefront6targetE0EEEvT1_
	.p2align	8
	.type	_ZN7rocprim17ROCPRIM_400000_NS6detail17trampoline_kernelINS0_14default_configENS1_25partition_config_selectorILNS1_17partition_subalgoE5ElNS0_10empty_typeEbEEZZNS1_14partition_implILS5_5ELb0ES3_mN6hipcub16HIPCUB_304000_NS21CountingInputIteratorIllEEPS6_NSA_22TransformInputIteratorIbN2at6native12_GLOBAL__N_19NonZeroOpIN3c108BFloat16EEEPKSK_lEENS0_5tupleIJPlS6_EEENSP_IJSD_SD_EEES6_PiJS6_EEE10hipError_tPvRmT3_T4_T5_T6_T7_T9_mT8_P12ihipStream_tbDpT10_ENKUlT_T0_E_clISt17integral_constantIbLb1EES1D_EEDaS18_S19_EUlS18_E_NS1_11comp_targetILNS1_3genE5ELNS1_11target_archE942ELNS1_3gpuE9ELNS1_3repE0EEENS1_30default_config_static_selectorELNS0_4arch9wavefront6targetE0EEEvT1_,@function
_ZN7rocprim17ROCPRIM_400000_NS6detail17trampoline_kernelINS0_14default_configENS1_25partition_config_selectorILNS1_17partition_subalgoE5ElNS0_10empty_typeEbEEZZNS1_14partition_implILS5_5ELb0ES3_mN6hipcub16HIPCUB_304000_NS21CountingInputIteratorIllEEPS6_NSA_22TransformInputIteratorIbN2at6native12_GLOBAL__N_19NonZeroOpIN3c108BFloat16EEEPKSK_lEENS0_5tupleIJPlS6_EEENSP_IJSD_SD_EEES6_PiJS6_EEE10hipError_tPvRmT3_T4_T5_T6_T7_T9_mT8_P12ihipStream_tbDpT10_ENKUlT_T0_E_clISt17integral_constantIbLb1EES1D_EEDaS18_S19_EUlS18_E_NS1_11comp_targetILNS1_3genE5ELNS1_11target_archE942ELNS1_3gpuE9ELNS1_3repE0EEENS1_30default_config_static_selectorELNS0_4arch9wavefront6targetE0EEEvT1_: ; @_ZN7rocprim17ROCPRIM_400000_NS6detail17trampoline_kernelINS0_14default_configENS1_25partition_config_selectorILNS1_17partition_subalgoE5ElNS0_10empty_typeEbEEZZNS1_14partition_implILS5_5ELb0ES3_mN6hipcub16HIPCUB_304000_NS21CountingInputIteratorIllEEPS6_NSA_22TransformInputIteratorIbN2at6native12_GLOBAL__N_19NonZeroOpIN3c108BFloat16EEEPKSK_lEENS0_5tupleIJPlS6_EEENSP_IJSD_SD_EEES6_PiJS6_EEE10hipError_tPvRmT3_T4_T5_T6_T7_T9_mT8_P12ihipStream_tbDpT10_ENKUlT_T0_E_clISt17integral_constantIbLb1EES1D_EEDaS18_S19_EUlS18_E_NS1_11comp_targetILNS1_3genE5ELNS1_11target_archE942ELNS1_3gpuE9ELNS1_3repE0EEENS1_30default_config_static_selectorELNS0_4arch9wavefront6targetE0EEEvT1_
; %bb.0:
	.section	.rodata,"a",@progbits
	.p2align	6, 0x0
	.amdhsa_kernel _ZN7rocprim17ROCPRIM_400000_NS6detail17trampoline_kernelINS0_14default_configENS1_25partition_config_selectorILNS1_17partition_subalgoE5ElNS0_10empty_typeEbEEZZNS1_14partition_implILS5_5ELb0ES3_mN6hipcub16HIPCUB_304000_NS21CountingInputIteratorIllEEPS6_NSA_22TransformInputIteratorIbN2at6native12_GLOBAL__N_19NonZeroOpIN3c108BFloat16EEEPKSK_lEENS0_5tupleIJPlS6_EEENSP_IJSD_SD_EEES6_PiJS6_EEE10hipError_tPvRmT3_T4_T5_T6_T7_T9_mT8_P12ihipStream_tbDpT10_ENKUlT_T0_E_clISt17integral_constantIbLb1EES1D_EEDaS18_S19_EUlS18_E_NS1_11comp_targetILNS1_3genE5ELNS1_11target_archE942ELNS1_3gpuE9ELNS1_3repE0EEENS1_30default_config_static_selectorELNS0_4arch9wavefront6targetE0EEEvT1_
		.amdhsa_group_segment_fixed_size 0
		.amdhsa_private_segment_fixed_size 0
		.amdhsa_kernarg_size 136
		.amdhsa_user_sgpr_count 15
		.amdhsa_user_sgpr_dispatch_ptr 0
		.amdhsa_user_sgpr_queue_ptr 0
		.amdhsa_user_sgpr_kernarg_segment_ptr 1
		.amdhsa_user_sgpr_dispatch_id 0
		.amdhsa_user_sgpr_private_segment_size 0
		.amdhsa_wavefront_size32 1
		.amdhsa_uses_dynamic_stack 0
		.amdhsa_enable_private_segment 0
		.amdhsa_system_sgpr_workgroup_id_x 1
		.amdhsa_system_sgpr_workgroup_id_y 0
		.amdhsa_system_sgpr_workgroup_id_z 0
		.amdhsa_system_sgpr_workgroup_info 0
		.amdhsa_system_vgpr_workitem_id 0
		.amdhsa_next_free_vgpr 1
		.amdhsa_next_free_sgpr 1
		.amdhsa_reserve_vcc 0
		.amdhsa_float_round_mode_32 0
		.amdhsa_float_round_mode_16_64 0
		.amdhsa_float_denorm_mode_32 3
		.amdhsa_float_denorm_mode_16_64 3
		.amdhsa_dx10_clamp 1
		.amdhsa_ieee_mode 1
		.amdhsa_fp16_overflow 0
		.amdhsa_workgroup_processor_mode 1
		.amdhsa_memory_ordered 1
		.amdhsa_forward_progress 0
		.amdhsa_shared_vgpr_count 0
		.amdhsa_exception_fp_ieee_invalid_op 0
		.amdhsa_exception_fp_denorm_src 0
		.amdhsa_exception_fp_ieee_div_zero 0
		.amdhsa_exception_fp_ieee_overflow 0
		.amdhsa_exception_fp_ieee_underflow 0
		.amdhsa_exception_fp_ieee_inexact 0
		.amdhsa_exception_int_div_zero 0
	.end_amdhsa_kernel
	.section	.text._ZN7rocprim17ROCPRIM_400000_NS6detail17trampoline_kernelINS0_14default_configENS1_25partition_config_selectorILNS1_17partition_subalgoE5ElNS0_10empty_typeEbEEZZNS1_14partition_implILS5_5ELb0ES3_mN6hipcub16HIPCUB_304000_NS21CountingInputIteratorIllEEPS6_NSA_22TransformInputIteratorIbN2at6native12_GLOBAL__N_19NonZeroOpIN3c108BFloat16EEEPKSK_lEENS0_5tupleIJPlS6_EEENSP_IJSD_SD_EEES6_PiJS6_EEE10hipError_tPvRmT3_T4_T5_T6_T7_T9_mT8_P12ihipStream_tbDpT10_ENKUlT_T0_E_clISt17integral_constantIbLb1EES1D_EEDaS18_S19_EUlS18_E_NS1_11comp_targetILNS1_3genE5ELNS1_11target_archE942ELNS1_3gpuE9ELNS1_3repE0EEENS1_30default_config_static_selectorELNS0_4arch9wavefront6targetE0EEEvT1_,"axG",@progbits,_ZN7rocprim17ROCPRIM_400000_NS6detail17trampoline_kernelINS0_14default_configENS1_25partition_config_selectorILNS1_17partition_subalgoE5ElNS0_10empty_typeEbEEZZNS1_14partition_implILS5_5ELb0ES3_mN6hipcub16HIPCUB_304000_NS21CountingInputIteratorIllEEPS6_NSA_22TransformInputIteratorIbN2at6native12_GLOBAL__N_19NonZeroOpIN3c108BFloat16EEEPKSK_lEENS0_5tupleIJPlS6_EEENSP_IJSD_SD_EEES6_PiJS6_EEE10hipError_tPvRmT3_T4_T5_T6_T7_T9_mT8_P12ihipStream_tbDpT10_ENKUlT_T0_E_clISt17integral_constantIbLb1EES1D_EEDaS18_S19_EUlS18_E_NS1_11comp_targetILNS1_3genE5ELNS1_11target_archE942ELNS1_3gpuE9ELNS1_3repE0EEENS1_30default_config_static_selectorELNS0_4arch9wavefront6targetE0EEEvT1_,comdat
.Lfunc_end807:
	.size	_ZN7rocprim17ROCPRIM_400000_NS6detail17trampoline_kernelINS0_14default_configENS1_25partition_config_selectorILNS1_17partition_subalgoE5ElNS0_10empty_typeEbEEZZNS1_14partition_implILS5_5ELb0ES3_mN6hipcub16HIPCUB_304000_NS21CountingInputIteratorIllEEPS6_NSA_22TransformInputIteratorIbN2at6native12_GLOBAL__N_19NonZeroOpIN3c108BFloat16EEEPKSK_lEENS0_5tupleIJPlS6_EEENSP_IJSD_SD_EEES6_PiJS6_EEE10hipError_tPvRmT3_T4_T5_T6_T7_T9_mT8_P12ihipStream_tbDpT10_ENKUlT_T0_E_clISt17integral_constantIbLb1EES1D_EEDaS18_S19_EUlS18_E_NS1_11comp_targetILNS1_3genE5ELNS1_11target_archE942ELNS1_3gpuE9ELNS1_3repE0EEENS1_30default_config_static_selectorELNS0_4arch9wavefront6targetE0EEEvT1_, .Lfunc_end807-_ZN7rocprim17ROCPRIM_400000_NS6detail17trampoline_kernelINS0_14default_configENS1_25partition_config_selectorILNS1_17partition_subalgoE5ElNS0_10empty_typeEbEEZZNS1_14partition_implILS5_5ELb0ES3_mN6hipcub16HIPCUB_304000_NS21CountingInputIteratorIllEEPS6_NSA_22TransformInputIteratorIbN2at6native12_GLOBAL__N_19NonZeroOpIN3c108BFloat16EEEPKSK_lEENS0_5tupleIJPlS6_EEENSP_IJSD_SD_EEES6_PiJS6_EEE10hipError_tPvRmT3_T4_T5_T6_T7_T9_mT8_P12ihipStream_tbDpT10_ENKUlT_T0_E_clISt17integral_constantIbLb1EES1D_EEDaS18_S19_EUlS18_E_NS1_11comp_targetILNS1_3genE5ELNS1_11target_archE942ELNS1_3gpuE9ELNS1_3repE0EEENS1_30default_config_static_selectorELNS0_4arch9wavefront6targetE0EEEvT1_
                                        ; -- End function
	.section	.AMDGPU.csdata,"",@progbits
; Kernel info:
; codeLenInByte = 0
; NumSgprs: 0
; NumVgprs: 0
; ScratchSize: 0
; MemoryBound: 0
; FloatMode: 240
; IeeeMode: 1
; LDSByteSize: 0 bytes/workgroup (compile time only)
; SGPRBlocks: 0
; VGPRBlocks: 0
; NumSGPRsForWavesPerEU: 1
; NumVGPRsForWavesPerEU: 1
; Occupancy: 16
; WaveLimiterHint : 0
; COMPUTE_PGM_RSRC2:SCRATCH_EN: 0
; COMPUTE_PGM_RSRC2:USER_SGPR: 15
; COMPUTE_PGM_RSRC2:TRAP_HANDLER: 0
; COMPUTE_PGM_RSRC2:TGID_X_EN: 1
; COMPUTE_PGM_RSRC2:TGID_Y_EN: 0
; COMPUTE_PGM_RSRC2:TGID_Z_EN: 0
; COMPUTE_PGM_RSRC2:TIDIG_COMP_CNT: 0
	.section	.text._ZN7rocprim17ROCPRIM_400000_NS6detail17trampoline_kernelINS0_14default_configENS1_25partition_config_selectorILNS1_17partition_subalgoE5ElNS0_10empty_typeEbEEZZNS1_14partition_implILS5_5ELb0ES3_mN6hipcub16HIPCUB_304000_NS21CountingInputIteratorIllEEPS6_NSA_22TransformInputIteratorIbN2at6native12_GLOBAL__N_19NonZeroOpIN3c108BFloat16EEEPKSK_lEENS0_5tupleIJPlS6_EEENSP_IJSD_SD_EEES6_PiJS6_EEE10hipError_tPvRmT3_T4_T5_T6_T7_T9_mT8_P12ihipStream_tbDpT10_ENKUlT_T0_E_clISt17integral_constantIbLb1EES1D_EEDaS18_S19_EUlS18_E_NS1_11comp_targetILNS1_3genE4ELNS1_11target_archE910ELNS1_3gpuE8ELNS1_3repE0EEENS1_30default_config_static_selectorELNS0_4arch9wavefront6targetE0EEEvT1_,"axG",@progbits,_ZN7rocprim17ROCPRIM_400000_NS6detail17trampoline_kernelINS0_14default_configENS1_25partition_config_selectorILNS1_17partition_subalgoE5ElNS0_10empty_typeEbEEZZNS1_14partition_implILS5_5ELb0ES3_mN6hipcub16HIPCUB_304000_NS21CountingInputIteratorIllEEPS6_NSA_22TransformInputIteratorIbN2at6native12_GLOBAL__N_19NonZeroOpIN3c108BFloat16EEEPKSK_lEENS0_5tupleIJPlS6_EEENSP_IJSD_SD_EEES6_PiJS6_EEE10hipError_tPvRmT3_T4_T5_T6_T7_T9_mT8_P12ihipStream_tbDpT10_ENKUlT_T0_E_clISt17integral_constantIbLb1EES1D_EEDaS18_S19_EUlS18_E_NS1_11comp_targetILNS1_3genE4ELNS1_11target_archE910ELNS1_3gpuE8ELNS1_3repE0EEENS1_30default_config_static_selectorELNS0_4arch9wavefront6targetE0EEEvT1_,comdat
	.globl	_ZN7rocprim17ROCPRIM_400000_NS6detail17trampoline_kernelINS0_14default_configENS1_25partition_config_selectorILNS1_17partition_subalgoE5ElNS0_10empty_typeEbEEZZNS1_14partition_implILS5_5ELb0ES3_mN6hipcub16HIPCUB_304000_NS21CountingInputIteratorIllEEPS6_NSA_22TransformInputIteratorIbN2at6native12_GLOBAL__N_19NonZeroOpIN3c108BFloat16EEEPKSK_lEENS0_5tupleIJPlS6_EEENSP_IJSD_SD_EEES6_PiJS6_EEE10hipError_tPvRmT3_T4_T5_T6_T7_T9_mT8_P12ihipStream_tbDpT10_ENKUlT_T0_E_clISt17integral_constantIbLb1EES1D_EEDaS18_S19_EUlS18_E_NS1_11comp_targetILNS1_3genE4ELNS1_11target_archE910ELNS1_3gpuE8ELNS1_3repE0EEENS1_30default_config_static_selectorELNS0_4arch9wavefront6targetE0EEEvT1_ ; -- Begin function _ZN7rocprim17ROCPRIM_400000_NS6detail17trampoline_kernelINS0_14default_configENS1_25partition_config_selectorILNS1_17partition_subalgoE5ElNS0_10empty_typeEbEEZZNS1_14partition_implILS5_5ELb0ES3_mN6hipcub16HIPCUB_304000_NS21CountingInputIteratorIllEEPS6_NSA_22TransformInputIteratorIbN2at6native12_GLOBAL__N_19NonZeroOpIN3c108BFloat16EEEPKSK_lEENS0_5tupleIJPlS6_EEENSP_IJSD_SD_EEES6_PiJS6_EEE10hipError_tPvRmT3_T4_T5_T6_T7_T9_mT8_P12ihipStream_tbDpT10_ENKUlT_T0_E_clISt17integral_constantIbLb1EES1D_EEDaS18_S19_EUlS18_E_NS1_11comp_targetILNS1_3genE4ELNS1_11target_archE910ELNS1_3gpuE8ELNS1_3repE0EEENS1_30default_config_static_selectorELNS0_4arch9wavefront6targetE0EEEvT1_
	.p2align	8
	.type	_ZN7rocprim17ROCPRIM_400000_NS6detail17trampoline_kernelINS0_14default_configENS1_25partition_config_selectorILNS1_17partition_subalgoE5ElNS0_10empty_typeEbEEZZNS1_14partition_implILS5_5ELb0ES3_mN6hipcub16HIPCUB_304000_NS21CountingInputIteratorIllEEPS6_NSA_22TransformInputIteratorIbN2at6native12_GLOBAL__N_19NonZeroOpIN3c108BFloat16EEEPKSK_lEENS0_5tupleIJPlS6_EEENSP_IJSD_SD_EEES6_PiJS6_EEE10hipError_tPvRmT3_T4_T5_T6_T7_T9_mT8_P12ihipStream_tbDpT10_ENKUlT_T0_E_clISt17integral_constantIbLb1EES1D_EEDaS18_S19_EUlS18_E_NS1_11comp_targetILNS1_3genE4ELNS1_11target_archE910ELNS1_3gpuE8ELNS1_3repE0EEENS1_30default_config_static_selectorELNS0_4arch9wavefront6targetE0EEEvT1_,@function
_ZN7rocprim17ROCPRIM_400000_NS6detail17trampoline_kernelINS0_14default_configENS1_25partition_config_selectorILNS1_17partition_subalgoE5ElNS0_10empty_typeEbEEZZNS1_14partition_implILS5_5ELb0ES3_mN6hipcub16HIPCUB_304000_NS21CountingInputIteratorIllEEPS6_NSA_22TransformInputIteratorIbN2at6native12_GLOBAL__N_19NonZeroOpIN3c108BFloat16EEEPKSK_lEENS0_5tupleIJPlS6_EEENSP_IJSD_SD_EEES6_PiJS6_EEE10hipError_tPvRmT3_T4_T5_T6_T7_T9_mT8_P12ihipStream_tbDpT10_ENKUlT_T0_E_clISt17integral_constantIbLb1EES1D_EEDaS18_S19_EUlS18_E_NS1_11comp_targetILNS1_3genE4ELNS1_11target_archE910ELNS1_3gpuE8ELNS1_3repE0EEENS1_30default_config_static_selectorELNS0_4arch9wavefront6targetE0EEEvT1_: ; @_ZN7rocprim17ROCPRIM_400000_NS6detail17trampoline_kernelINS0_14default_configENS1_25partition_config_selectorILNS1_17partition_subalgoE5ElNS0_10empty_typeEbEEZZNS1_14partition_implILS5_5ELb0ES3_mN6hipcub16HIPCUB_304000_NS21CountingInputIteratorIllEEPS6_NSA_22TransformInputIteratorIbN2at6native12_GLOBAL__N_19NonZeroOpIN3c108BFloat16EEEPKSK_lEENS0_5tupleIJPlS6_EEENSP_IJSD_SD_EEES6_PiJS6_EEE10hipError_tPvRmT3_T4_T5_T6_T7_T9_mT8_P12ihipStream_tbDpT10_ENKUlT_T0_E_clISt17integral_constantIbLb1EES1D_EEDaS18_S19_EUlS18_E_NS1_11comp_targetILNS1_3genE4ELNS1_11target_archE910ELNS1_3gpuE8ELNS1_3repE0EEENS1_30default_config_static_selectorELNS0_4arch9wavefront6targetE0EEEvT1_
; %bb.0:
	.section	.rodata,"a",@progbits
	.p2align	6, 0x0
	.amdhsa_kernel _ZN7rocprim17ROCPRIM_400000_NS6detail17trampoline_kernelINS0_14default_configENS1_25partition_config_selectorILNS1_17partition_subalgoE5ElNS0_10empty_typeEbEEZZNS1_14partition_implILS5_5ELb0ES3_mN6hipcub16HIPCUB_304000_NS21CountingInputIteratorIllEEPS6_NSA_22TransformInputIteratorIbN2at6native12_GLOBAL__N_19NonZeroOpIN3c108BFloat16EEEPKSK_lEENS0_5tupleIJPlS6_EEENSP_IJSD_SD_EEES6_PiJS6_EEE10hipError_tPvRmT3_T4_T5_T6_T7_T9_mT8_P12ihipStream_tbDpT10_ENKUlT_T0_E_clISt17integral_constantIbLb1EES1D_EEDaS18_S19_EUlS18_E_NS1_11comp_targetILNS1_3genE4ELNS1_11target_archE910ELNS1_3gpuE8ELNS1_3repE0EEENS1_30default_config_static_selectorELNS0_4arch9wavefront6targetE0EEEvT1_
		.amdhsa_group_segment_fixed_size 0
		.amdhsa_private_segment_fixed_size 0
		.amdhsa_kernarg_size 136
		.amdhsa_user_sgpr_count 15
		.amdhsa_user_sgpr_dispatch_ptr 0
		.amdhsa_user_sgpr_queue_ptr 0
		.amdhsa_user_sgpr_kernarg_segment_ptr 1
		.amdhsa_user_sgpr_dispatch_id 0
		.amdhsa_user_sgpr_private_segment_size 0
		.amdhsa_wavefront_size32 1
		.amdhsa_uses_dynamic_stack 0
		.amdhsa_enable_private_segment 0
		.amdhsa_system_sgpr_workgroup_id_x 1
		.amdhsa_system_sgpr_workgroup_id_y 0
		.amdhsa_system_sgpr_workgroup_id_z 0
		.amdhsa_system_sgpr_workgroup_info 0
		.amdhsa_system_vgpr_workitem_id 0
		.amdhsa_next_free_vgpr 1
		.amdhsa_next_free_sgpr 1
		.amdhsa_reserve_vcc 0
		.amdhsa_float_round_mode_32 0
		.amdhsa_float_round_mode_16_64 0
		.amdhsa_float_denorm_mode_32 3
		.amdhsa_float_denorm_mode_16_64 3
		.amdhsa_dx10_clamp 1
		.amdhsa_ieee_mode 1
		.amdhsa_fp16_overflow 0
		.amdhsa_workgroup_processor_mode 1
		.amdhsa_memory_ordered 1
		.amdhsa_forward_progress 0
		.amdhsa_shared_vgpr_count 0
		.amdhsa_exception_fp_ieee_invalid_op 0
		.amdhsa_exception_fp_denorm_src 0
		.amdhsa_exception_fp_ieee_div_zero 0
		.amdhsa_exception_fp_ieee_overflow 0
		.amdhsa_exception_fp_ieee_underflow 0
		.amdhsa_exception_fp_ieee_inexact 0
		.amdhsa_exception_int_div_zero 0
	.end_amdhsa_kernel
	.section	.text._ZN7rocprim17ROCPRIM_400000_NS6detail17trampoline_kernelINS0_14default_configENS1_25partition_config_selectorILNS1_17partition_subalgoE5ElNS0_10empty_typeEbEEZZNS1_14partition_implILS5_5ELb0ES3_mN6hipcub16HIPCUB_304000_NS21CountingInputIteratorIllEEPS6_NSA_22TransformInputIteratorIbN2at6native12_GLOBAL__N_19NonZeroOpIN3c108BFloat16EEEPKSK_lEENS0_5tupleIJPlS6_EEENSP_IJSD_SD_EEES6_PiJS6_EEE10hipError_tPvRmT3_T4_T5_T6_T7_T9_mT8_P12ihipStream_tbDpT10_ENKUlT_T0_E_clISt17integral_constantIbLb1EES1D_EEDaS18_S19_EUlS18_E_NS1_11comp_targetILNS1_3genE4ELNS1_11target_archE910ELNS1_3gpuE8ELNS1_3repE0EEENS1_30default_config_static_selectorELNS0_4arch9wavefront6targetE0EEEvT1_,"axG",@progbits,_ZN7rocprim17ROCPRIM_400000_NS6detail17trampoline_kernelINS0_14default_configENS1_25partition_config_selectorILNS1_17partition_subalgoE5ElNS0_10empty_typeEbEEZZNS1_14partition_implILS5_5ELb0ES3_mN6hipcub16HIPCUB_304000_NS21CountingInputIteratorIllEEPS6_NSA_22TransformInputIteratorIbN2at6native12_GLOBAL__N_19NonZeroOpIN3c108BFloat16EEEPKSK_lEENS0_5tupleIJPlS6_EEENSP_IJSD_SD_EEES6_PiJS6_EEE10hipError_tPvRmT3_T4_T5_T6_T7_T9_mT8_P12ihipStream_tbDpT10_ENKUlT_T0_E_clISt17integral_constantIbLb1EES1D_EEDaS18_S19_EUlS18_E_NS1_11comp_targetILNS1_3genE4ELNS1_11target_archE910ELNS1_3gpuE8ELNS1_3repE0EEENS1_30default_config_static_selectorELNS0_4arch9wavefront6targetE0EEEvT1_,comdat
.Lfunc_end808:
	.size	_ZN7rocprim17ROCPRIM_400000_NS6detail17trampoline_kernelINS0_14default_configENS1_25partition_config_selectorILNS1_17partition_subalgoE5ElNS0_10empty_typeEbEEZZNS1_14partition_implILS5_5ELb0ES3_mN6hipcub16HIPCUB_304000_NS21CountingInputIteratorIllEEPS6_NSA_22TransformInputIteratorIbN2at6native12_GLOBAL__N_19NonZeroOpIN3c108BFloat16EEEPKSK_lEENS0_5tupleIJPlS6_EEENSP_IJSD_SD_EEES6_PiJS6_EEE10hipError_tPvRmT3_T4_T5_T6_T7_T9_mT8_P12ihipStream_tbDpT10_ENKUlT_T0_E_clISt17integral_constantIbLb1EES1D_EEDaS18_S19_EUlS18_E_NS1_11comp_targetILNS1_3genE4ELNS1_11target_archE910ELNS1_3gpuE8ELNS1_3repE0EEENS1_30default_config_static_selectorELNS0_4arch9wavefront6targetE0EEEvT1_, .Lfunc_end808-_ZN7rocprim17ROCPRIM_400000_NS6detail17trampoline_kernelINS0_14default_configENS1_25partition_config_selectorILNS1_17partition_subalgoE5ElNS0_10empty_typeEbEEZZNS1_14partition_implILS5_5ELb0ES3_mN6hipcub16HIPCUB_304000_NS21CountingInputIteratorIllEEPS6_NSA_22TransformInputIteratorIbN2at6native12_GLOBAL__N_19NonZeroOpIN3c108BFloat16EEEPKSK_lEENS0_5tupleIJPlS6_EEENSP_IJSD_SD_EEES6_PiJS6_EEE10hipError_tPvRmT3_T4_T5_T6_T7_T9_mT8_P12ihipStream_tbDpT10_ENKUlT_T0_E_clISt17integral_constantIbLb1EES1D_EEDaS18_S19_EUlS18_E_NS1_11comp_targetILNS1_3genE4ELNS1_11target_archE910ELNS1_3gpuE8ELNS1_3repE0EEENS1_30default_config_static_selectorELNS0_4arch9wavefront6targetE0EEEvT1_
                                        ; -- End function
	.section	.AMDGPU.csdata,"",@progbits
; Kernel info:
; codeLenInByte = 0
; NumSgprs: 0
; NumVgprs: 0
; ScratchSize: 0
; MemoryBound: 0
; FloatMode: 240
; IeeeMode: 1
; LDSByteSize: 0 bytes/workgroup (compile time only)
; SGPRBlocks: 0
; VGPRBlocks: 0
; NumSGPRsForWavesPerEU: 1
; NumVGPRsForWavesPerEU: 1
; Occupancy: 15
; WaveLimiterHint : 0
; COMPUTE_PGM_RSRC2:SCRATCH_EN: 0
; COMPUTE_PGM_RSRC2:USER_SGPR: 15
; COMPUTE_PGM_RSRC2:TRAP_HANDLER: 0
; COMPUTE_PGM_RSRC2:TGID_X_EN: 1
; COMPUTE_PGM_RSRC2:TGID_Y_EN: 0
; COMPUTE_PGM_RSRC2:TGID_Z_EN: 0
; COMPUTE_PGM_RSRC2:TIDIG_COMP_CNT: 0
	.section	.text._ZN7rocprim17ROCPRIM_400000_NS6detail17trampoline_kernelINS0_14default_configENS1_25partition_config_selectorILNS1_17partition_subalgoE5ElNS0_10empty_typeEbEEZZNS1_14partition_implILS5_5ELb0ES3_mN6hipcub16HIPCUB_304000_NS21CountingInputIteratorIllEEPS6_NSA_22TransformInputIteratorIbN2at6native12_GLOBAL__N_19NonZeroOpIN3c108BFloat16EEEPKSK_lEENS0_5tupleIJPlS6_EEENSP_IJSD_SD_EEES6_PiJS6_EEE10hipError_tPvRmT3_T4_T5_T6_T7_T9_mT8_P12ihipStream_tbDpT10_ENKUlT_T0_E_clISt17integral_constantIbLb1EES1D_EEDaS18_S19_EUlS18_E_NS1_11comp_targetILNS1_3genE3ELNS1_11target_archE908ELNS1_3gpuE7ELNS1_3repE0EEENS1_30default_config_static_selectorELNS0_4arch9wavefront6targetE0EEEvT1_,"axG",@progbits,_ZN7rocprim17ROCPRIM_400000_NS6detail17trampoline_kernelINS0_14default_configENS1_25partition_config_selectorILNS1_17partition_subalgoE5ElNS0_10empty_typeEbEEZZNS1_14partition_implILS5_5ELb0ES3_mN6hipcub16HIPCUB_304000_NS21CountingInputIteratorIllEEPS6_NSA_22TransformInputIteratorIbN2at6native12_GLOBAL__N_19NonZeroOpIN3c108BFloat16EEEPKSK_lEENS0_5tupleIJPlS6_EEENSP_IJSD_SD_EEES6_PiJS6_EEE10hipError_tPvRmT3_T4_T5_T6_T7_T9_mT8_P12ihipStream_tbDpT10_ENKUlT_T0_E_clISt17integral_constantIbLb1EES1D_EEDaS18_S19_EUlS18_E_NS1_11comp_targetILNS1_3genE3ELNS1_11target_archE908ELNS1_3gpuE7ELNS1_3repE0EEENS1_30default_config_static_selectorELNS0_4arch9wavefront6targetE0EEEvT1_,comdat
	.globl	_ZN7rocprim17ROCPRIM_400000_NS6detail17trampoline_kernelINS0_14default_configENS1_25partition_config_selectorILNS1_17partition_subalgoE5ElNS0_10empty_typeEbEEZZNS1_14partition_implILS5_5ELb0ES3_mN6hipcub16HIPCUB_304000_NS21CountingInputIteratorIllEEPS6_NSA_22TransformInputIteratorIbN2at6native12_GLOBAL__N_19NonZeroOpIN3c108BFloat16EEEPKSK_lEENS0_5tupleIJPlS6_EEENSP_IJSD_SD_EEES6_PiJS6_EEE10hipError_tPvRmT3_T4_T5_T6_T7_T9_mT8_P12ihipStream_tbDpT10_ENKUlT_T0_E_clISt17integral_constantIbLb1EES1D_EEDaS18_S19_EUlS18_E_NS1_11comp_targetILNS1_3genE3ELNS1_11target_archE908ELNS1_3gpuE7ELNS1_3repE0EEENS1_30default_config_static_selectorELNS0_4arch9wavefront6targetE0EEEvT1_ ; -- Begin function _ZN7rocprim17ROCPRIM_400000_NS6detail17trampoline_kernelINS0_14default_configENS1_25partition_config_selectorILNS1_17partition_subalgoE5ElNS0_10empty_typeEbEEZZNS1_14partition_implILS5_5ELb0ES3_mN6hipcub16HIPCUB_304000_NS21CountingInputIteratorIllEEPS6_NSA_22TransformInputIteratorIbN2at6native12_GLOBAL__N_19NonZeroOpIN3c108BFloat16EEEPKSK_lEENS0_5tupleIJPlS6_EEENSP_IJSD_SD_EEES6_PiJS6_EEE10hipError_tPvRmT3_T4_T5_T6_T7_T9_mT8_P12ihipStream_tbDpT10_ENKUlT_T0_E_clISt17integral_constantIbLb1EES1D_EEDaS18_S19_EUlS18_E_NS1_11comp_targetILNS1_3genE3ELNS1_11target_archE908ELNS1_3gpuE7ELNS1_3repE0EEENS1_30default_config_static_selectorELNS0_4arch9wavefront6targetE0EEEvT1_
	.p2align	8
	.type	_ZN7rocprim17ROCPRIM_400000_NS6detail17trampoline_kernelINS0_14default_configENS1_25partition_config_selectorILNS1_17partition_subalgoE5ElNS0_10empty_typeEbEEZZNS1_14partition_implILS5_5ELb0ES3_mN6hipcub16HIPCUB_304000_NS21CountingInputIteratorIllEEPS6_NSA_22TransformInputIteratorIbN2at6native12_GLOBAL__N_19NonZeroOpIN3c108BFloat16EEEPKSK_lEENS0_5tupleIJPlS6_EEENSP_IJSD_SD_EEES6_PiJS6_EEE10hipError_tPvRmT3_T4_T5_T6_T7_T9_mT8_P12ihipStream_tbDpT10_ENKUlT_T0_E_clISt17integral_constantIbLb1EES1D_EEDaS18_S19_EUlS18_E_NS1_11comp_targetILNS1_3genE3ELNS1_11target_archE908ELNS1_3gpuE7ELNS1_3repE0EEENS1_30default_config_static_selectorELNS0_4arch9wavefront6targetE0EEEvT1_,@function
_ZN7rocprim17ROCPRIM_400000_NS6detail17trampoline_kernelINS0_14default_configENS1_25partition_config_selectorILNS1_17partition_subalgoE5ElNS0_10empty_typeEbEEZZNS1_14partition_implILS5_5ELb0ES3_mN6hipcub16HIPCUB_304000_NS21CountingInputIteratorIllEEPS6_NSA_22TransformInputIteratorIbN2at6native12_GLOBAL__N_19NonZeroOpIN3c108BFloat16EEEPKSK_lEENS0_5tupleIJPlS6_EEENSP_IJSD_SD_EEES6_PiJS6_EEE10hipError_tPvRmT3_T4_T5_T6_T7_T9_mT8_P12ihipStream_tbDpT10_ENKUlT_T0_E_clISt17integral_constantIbLb1EES1D_EEDaS18_S19_EUlS18_E_NS1_11comp_targetILNS1_3genE3ELNS1_11target_archE908ELNS1_3gpuE7ELNS1_3repE0EEENS1_30default_config_static_selectorELNS0_4arch9wavefront6targetE0EEEvT1_: ; @_ZN7rocprim17ROCPRIM_400000_NS6detail17trampoline_kernelINS0_14default_configENS1_25partition_config_selectorILNS1_17partition_subalgoE5ElNS0_10empty_typeEbEEZZNS1_14partition_implILS5_5ELb0ES3_mN6hipcub16HIPCUB_304000_NS21CountingInputIteratorIllEEPS6_NSA_22TransformInputIteratorIbN2at6native12_GLOBAL__N_19NonZeroOpIN3c108BFloat16EEEPKSK_lEENS0_5tupleIJPlS6_EEENSP_IJSD_SD_EEES6_PiJS6_EEE10hipError_tPvRmT3_T4_T5_T6_T7_T9_mT8_P12ihipStream_tbDpT10_ENKUlT_T0_E_clISt17integral_constantIbLb1EES1D_EEDaS18_S19_EUlS18_E_NS1_11comp_targetILNS1_3genE3ELNS1_11target_archE908ELNS1_3gpuE7ELNS1_3repE0EEENS1_30default_config_static_selectorELNS0_4arch9wavefront6targetE0EEEvT1_
; %bb.0:
	.section	.rodata,"a",@progbits
	.p2align	6, 0x0
	.amdhsa_kernel _ZN7rocprim17ROCPRIM_400000_NS6detail17trampoline_kernelINS0_14default_configENS1_25partition_config_selectorILNS1_17partition_subalgoE5ElNS0_10empty_typeEbEEZZNS1_14partition_implILS5_5ELb0ES3_mN6hipcub16HIPCUB_304000_NS21CountingInputIteratorIllEEPS6_NSA_22TransformInputIteratorIbN2at6native12_GLOBAL__N_19NonZeroOpIN3c108BFloat16EEEPKSK_lEENS0_5tupleIJPlS6_EEENSP_IJSD_SD_EEES6_PiJS6_EEE10hipError_tPvRmT3_T4_T5_T6_T7_T9_mT8_P12ihipStream_tbDpT10_ENKUlT_T0_E_clISt17integral_constantIbLb1EES1D_EEDaS18_S19_EUlS18_E_NS1_11comp_targetILNS1_3genE3ELNS1_11target_archE908ELNS1_3gpuE7ELNS1_3repE0EEENS1_30default_config_static_selectorELNS0_4arch9wavefront6targetE0EEEvT1_
		.amdhsa_group_segment_fixed_size 0
		.amdhsa_private_segment_fixed_size 0
		.amdhsa_kernarg_size 136
		.amdhsa_user_sgpr_count 15
		.amdhsa_user_sgpr_dispatch_ptr 0
		.amdhsa_user_sgpr_queue_ptr 0
		.amdhsa_user_sgpr_kernarg_segment_ptr 1
		.amdhsa_user_sgpr_dispatch_id 0
		.amdhsa_user_sgpr_private_segment_size 0
		.amdhsa_wavefront_size32 1
		.amdhsa_uses_dynamic_stack 0
		.amdhsa_enable_private_segment 0
		.amdhsa_system_sgpr_workgroup_id_x 1
		.amdhsa_system_sgpr_workgroup_id_y 0
		.amdhsa_system_sgpr_workgroup_id_z 0
		.amdhsa_system_sgpr_workgroup_info 0
		.amdhsa_system_vgpr_workitem_id 0
		.amdhsa_next_free_vgpr 1
		.amdhsa_next_free_sgpr 1
		.amdhsa_reserve_vcc 0
		.amdhsa_float_round_mode_32 0
		.amdhsa_float_round_mode_16_64 0
		.amdhsa_float_denorm_mode_32 3
		.amdhsa_float_denorm_mode_16_64 3
		.amdhsa_dx10_clamp 1
		.amdhsa_ieee_mode 1
		.amdhsa_fp16_overflow 0
		.amdhsa_workgroup_processor_mode 1
		.amdhsa_memory_ordered 1
		.amdhsa_forward_progress 0
		.amdhsa_shared_vgpr_count 0
		.amdhsa_exception_fp_ieee_invalid_op 0
		.amdhsa_exception_fp_denorm_src 0
		.amdhsa_exception_fp_ieee_div_zero 0
		.amdhsa_exception_fp_ieee_overflow 0
		.amdhsa_exception_fp_ieee_underflow 0
		.amdhsa_exception_fp_ieee_inexact 0
		.amdhsa_exception_int_div_zero 0
	.end_amdhsa_kernel
	.section	.text._ZN7rocprim17ROCPRIM_400000_NS6detail17trampoline_kernelINS0_14default_configENS1_25partition_config_selectorILNS1_17partition_subalgoE5ElNS0_10empty_typeEbEEZZNS1_14partition_implILS5_5ELb0ES3_mN6hipcub16HIPCUB_304000_NS21CountingInputIteratorIllEEPS6_NSA_22TransformInputIteratorIbN2at6native12_GLOBAL__N_19NonZeroOpIN3c108BFloat16EEEPKSK_lEENS0_5tupleIJPlS6_EEENSP_IJSD_SD_EEES6_PiJS6_EEE10hipError_tPvRmT3_T4_T5_T6_T7_T9_mT8_P12ihipStream_tbDpT10_ENKUlT_T0_E_clISt17integral_constantIbLb1EES1D_EEDaS18_S19_EUlS18_E_NS1_11comp_targetILNS1_3genE3ELNS1_11target_archE908ELNS1_3gpuE7ELNS1_3repE0EEENS1_30default_config_static_selectorELNS0_4arch9wavefront6targetE0EEEvT1_,"axG",@progbits,_ZN7rocprim17ROCPRIM_400000_NS6detail17trampoline_kernelINS0_14default_configENS1_25partition_config_selectorILNS1_17partition_subalgoE5ElNS0_10empty_typeEbEEZZNS1_14partition_implILS5_5ELb0ES3_mN6hipcub16HIPCUB_304000_NS21CountingInputIteratorIllEEPS6_NSA_22TransformInputIteratorIbN2at6native12_GLOBAL__N_19NonZeroOpIN3c108BFloat16EEEPKSK_lEENS0_5tupleIJPlS6_EEENSP_IJSD_SD_EEES6_PiJS6_EEE10hipError_tPvRmT3_T4_T5_T6_T7_T9_mT8_P12ihipStream_tbDpT10_ENKUlT_T0_E_clISt17integral_constantIbLb1EES1D_EEDaS18_S19_EUlS18_E_NS1_11comp_targetILNS1_3genE3ELNS1_11target_archE908ELNS1_3gpuE7ELNS1_3repE0EEENS1_30default_config_static_selectorELNS0_4arch9wavefront6targetE0EEEvT1_,comdat
.Lfunc_end809:
	.size	_ZN7rocprim17ROCPRIM_400000_NS6detail17trampoline_kernelINS0_14default_configENS1_25partition_config_selectorILNS1_17partition_subalgoE5ElNS0_10empty_typeEbEEZZNS1_14partition_implILS5_5ELb0ES3_mN6hipcub16HIPCUB_304000_NS21CountingInputIteratorIllEEPS6_NSA_22TransformInputIteratorIbN2at6native12_GLOBAL__N_19NonZeroOpIN3c108BFloat16EEEPKSK_lEENS0_5tupleIJPlS6_EEENSP_IJSD_SD_EEES6_PiJS6_EEE10hipError_tPvRmT3_T4_T5_T6_T7_T9_mT8_P12ihipStream_tbDpT10_ENKUlT_T0_E_clISt17integral_constantIbLb1EES1D_EEDaS18_S19_EUlS18_E_NS1_11comp_targetILNS1_3genE3ELNS1_11target_archE908ELNS1_3gpuE7ELNS1_3repE0EEENS1_30default_config_static_selectorELNS0_4arch9wavefront6targetE0EEEvT1_, .Lfunc_end809-_ZN7rocprim17ROCPRIM_400000_NS6detail17trampoline_kernelINS0_14default_configENS1_25partition_config_selectorILNS1_17partition_subalgoE5ElNS0_10empty_typeEbEEZZNS1_14partition_implILS5_5ELb0ES3_mN6hipcub16HIPCUB_304000_NS21CountingInputIteratorIllEEPS6_NSA_22TransformInputIteratorIbN2at6native12_GLOBAL__N_19NonZeroOpIN3c108BFloat16EEEPKSK_lEENS0_5tupleIJPlS6_EEENSP_IJSD_SD_EEES6_PiJS6_EEE10hipError_tPvRmT3_T4_T5_T6_T7_T9_mT8_P12ihipStream_tbDpT10_ENKUlT_T0_E_clISt17integral_constantIbLb1EES1D_EEDaS18_S19_EUlS18_E_NS1_11comp_targetILNS1_3genE3ELNS1_11target_archE908ELNS1_3gpuE7ELNS1_3repE0EEENS1_30default_config_static_selectorELNS0_4arch9wavefront6targetE0EEEvT1_
                                        ; -- End function
	.section	.AMDGPU.csdata,"",@progbits
; Kernel info:
; codeLenInByte = 0
; NumSgprs: 0
; NumVgprs: 0
; ScratchSize: 0
; MemoryBound: 0
; FloatMode: 240
; IeeeMode: 1
; LDSByteSize: 0 bytes/workgroup (compile time only)
; SGPRBlocks: 0
; VGPRBlocks: 0
; NumSGPRsForWavesPerEU: 1
; NumVGPRsForWavesPerEU: 1
; Occupancy: 16
; WaveLimiterHint : 0
; COMPUTE_PGM_RSRC2:SCRATCH_EN: 0
; COMPUTE_PGM_RSRC2:USER_SGPR: 15
; COMPUTE_PGM_RSRC2:TRAP_HANDLER: 0
; COMPUTE_PGM_RSRC2:TGID_X_EN: 1
; COMPUTE_PGM_RSRC2:TGID_Y_EN: 0
; COMPUTE_PGM_RSRC2:TGID_Z_EN: 0
; COMPUTE_PGM_RSRC2:TIDIG_COMP_CNT: 0
	.section	.text._ZN7rocprim17ROCPRIM_400000_NS6detail17trampoline_kernelINS0_14default_configENS1_25partition_config_selectorILNS1_17partition_subalgoE5ElNS0_10empty_typeEbEEZZNS1_14partition_implILS5_5ELb0ES3_mN6hipcub16HIPCUB_304000_NS21CountingInputIteratorIllEEPS6_NSA_22TransformInputIteratorIbN2at6native12_GLOBAL__N_19NonZeroOpIN3c108BFloat16EEEPKSK_lEENS0_5tupleIJPlS6_EEENSP_IJSD_SD_EEES6_PiJS6_EEE10hipError_tPvRmT3_T4_T5_T6_T7_T9_mT8_P12ihipStream_tbDpT10_ENKUlT_T0_E_clISt17integral_constantIbLb1EES1D_EEDaS18_S19_EUlS18_E_NS1_11comp_targetILNS1_3genE2ELNS1_11target_archE906ELNS1_3gpuE6ELNS1_3repE0EEENS1_30default_config_static_selectorELNS0_4arch9wavefront6targetE0EEEvT1_,"axG",@progbits,_ZN7rocprim17ROCPRIM_400000_NS6detail17trampoline_kernelINS0_14default_configENS1_25partition_config_selectorILNS1_17partition_subalgoE5ElNS0_10empty_typeEbEEZZNS1_14partition_implILS5_5ELb0ES3_mN6hipcub16HIPCUB_304000_NS21CountingInputIteratorIllEEPS6_NSA_22TransformInputIteratorIbN2at6native12_GLOBAL__N_19NonZeroOpIN3c108BFloat16EEEPKSK_lEENS0_5tupleIJPlS6_EEENSP_IJSD_SD_EEES6_PiJS6_EEE10hipError_tPvRmT3_T4_T5_T6_T7_T9_mT8_P12ihipStream_tbDpT10_ENKUlT_T0_E_clISt17integral_constantIbLb1EES1D_EEDaS18_S19_EUlS18_E_NS1_11comp_targetILNS1_3genE2ELNS1_11target_archE906ELNS1_3gpuE6ELNS1_3repE0EEENS1_30default_config_static_selectorELNS0_4arch9wavefront6targetE0EEEvT1_,comdat
	.globl	_ZN7rocprim17ROCPRIM_400000_NS6detail17trampoline_kernelINS0_14default_configENS1_25partition_config_selectorILNS1_17partition_subalgoE5ElNS0_10empty_typeEbEEZZNS1_14partition_implILS5_5ELb0ES3_mN6hipcub16HIPCUB_304000_NS21CountingInputIteratorIllEEPS6_NSA_22TransformInputIteratorIbN2at6native12_GLOBAL__N_19NonZeroOpIN3c108BFloat16EEEPKSK_lEENS0_5tupleIJPlS6_EEENSP_IJSD_SD_EEES6_PiJS6_EEE10hipError_tPvRmT3_T4_T5_T6_T7_T9_mT8_P12ihipStream_tbDpT10_ENKUlT_T0_E_clISt17integral_constantIbLb1EES1D_EEDaS18_S19_EUlS18_E_NS1_11comp_targetILNS1_3genE2ELNS1_11target_archE906ELNS1_3gpuE6ELNS1_3repE0EEENS1_30default_config_static_selectorELNS0_4arch9wavefront6targetE0EEEvT1_ ; -- Begin function _ZN7rocprim17ROCPRIM_400000_NS6detail17trampoline_kernelINS0_14default_configENS1_25partition_config_selectorILNS1_17partition_subalgoE5ElNS0_10empty_typeEbEEZZNS1_14partition_implILS5_5ELb0ES3_mN6hipcub16HIPCUB_304000_NS21CountingInputIteratorIllEEPS6_NSA_22TransformInputIteratorIbN2at6native12_GLOBAL__N_19NonZeroOpIN3c108BFloat16EEEPKSK_lEENS0_5tupleIJPlS6_EEENSP_IJSD_SD_EEES6_PiJS6_EEE10hipError_tPvRmT3_T4_T5_T6_T7_T9_mT8_P12ihipStream_tbDpT10_ENKUlT_T0_E_clISt17integral_constantIbLb1EES1D_EEDaS18_S19_EUlS18_E_NS1_11comp_targetILNS1_3genE2ELNS1_11target_archE906ELNS1_3gpuE6ELNS1_3repE0EEENS1_30default_config_static_selectorELNS0_4arch9wavefront6targetE0EEEvT1_
	.p2align	8
	.type	_ZN7rocprim17ROCPRIM_400000_NS6detail17trampoline_kernelINS0_14default_configENS1_25partition_config_selectorILNS1_17partition_subalgoE5ElNS0_10empty_typeEbEEZZNS1_14partition_implILS5_5ELb0ES3_mN6hipcub16HIPCUB_304000_NS21CountingInputIteratorIllEEPS6_NSA_22TransformInputIteratorIbN2at6native12_GLOBAL__N_19NonZeroOpIN3c108BFloat16EEEPKSK_lEENS0_5tupleIJPlS6_EEENSP_IJSD_SD_EEES6_PiJS6_EEE10hipError_tPvRmT3_T4_T5_T6_T7_T9_mT8_P12ihipStream_tbDpT10_ENKUlT_T0_E_clISt17integral_constantIbLb1EES1D_EEDaS18_S19_EUlS18_E_NS1_11comp_targetILNS1_3genE2ELNS1_11target_archE906ELNS1_3gpuE6ELNS1_3repE0EEENS1_30default_config_static_selectorELNS0_4arch9wavefront6targetE0EEEvT1_,@function
_ZN7rocprim17ROCPRIM_400000_NS6detail17trampoline_kernelINS0_14default_configENS1_25partition_config_selectorILNS1_17partition_subalgoE5ElNS0_10empty_typeEbEEZZNS1_14partition_implILS5_5ELb0ES3_mN6hipcub16HIPCUB_304000_NS21CountingInputIteratorIllEEPS6_NSA_22TransformInputIteratorIbN2at6native12_GLOBAL__N_19NonZeroOpIN3c108BFloat16EEEPKSK_lEENS0_5tupleIJPlS6_EEENSP_IJSD_SD_EEES6_PiJS6_EEE10hipError_tPvRmT3_T4_T5_T6_T7_T9_mT8_P12ihipStream_tbDpT10_ENKUlT_T0_E_clISt17integral_constantIbLb1EES1D_EEDaS18_S19_EUlS18_E_NS1_11comp_targetILNS1_3genE2ELNS1_11target_archE906ELNS1_3gpuE6ELNS1_3repE0EEENS1_30default_config_static_selectorELNS0_4arch9wavefront6targetE0EEEvT1_: ; @_ZN7rocprim17ROCPRIM_400000_NS6detail17trampoline_kernelINS0_14default_configENS1_25partition_config_selectorILNS1_17partition_subalgoE5ElNS0_10empty_typeEbEEZZNS1_14partition_implILS5_5ELb0ES3_mN6hipcub16HIPCUB_304000_NS21CountingInputIteratorIllEEPS6_NSA_22TransformInputIteratorIbN2at6native12_GLOBAL__N_19NonZeroOpIN3c108BFloat16EEEPKSK_lEENS0_5tupleIJPlS6_EEENSP_IJSD_SD_EEES6_PiJS6_EEE10hipError_tPvRmT3_T4_T5_T6_T7_T9_mT8_P12ihipStream_tbDpT10_ENKUlT_T0_E_clISt17integral_constantIbLb1EES1D_EEDaS18_S19_EUlS18_E_NS1_11comp_targetILNS1_3genE2ELNS1_11target_archE906ELNS1_3gpuE6ELNS1_3repE0EEENS1_30default_config_static_selectorELNS0_4arch9wavefront6targetE0EEEvT1_
; %bb.0:
	.section	.rodata,"a",@progbits
	.p2align	6, 0x0
	.amdhsa_kernel _ZN7rocprim17ROCPRIM_400000_NS6detail17trampoline_kernelINS0_14default_configENS1_25partition_config_selectorILNS1_17partition_subalgoE5ElNS0_10empty_typeEbEEZZNS1_14partition_implILS5_5ELb0ES3_mN6hipcub16HIPCUB_304000_NS21CountingInputIteratorIllEEPS6_NSA_22TransformInputIteratorIbN2at6native12_GLOBAL__N_19NonZeroOpIN3c108BFloat16EEEPKSK_lEENS0_5tupleIJPlS6_EEENSP_IJSD_SD_EEES6_PiJS6_EEE10hipError_tPvRmT3_T4_T5_T6_T7_T9_mT8_P12ihipStream_tbDpT10_ENKUlT_T0_E_clISt17integral_constantIbLb1EES1D_EEDaS18_S19_EUlS18_E_NS1_11comp_targetILNS1_3genE2ELNS1_11target_archE906ELNS1_3gpuE6ELNS1_3repE0EEENS1_30default_config_static_selectorELNS0_4arch9wavefront6targetE0EEEvT1_
		.amdhsa_group_segment_fixed_size 0
		.amdhsa_private_segment_fixed_size 0
		.amdhsa_kernarg_size 136
		.amdhsa_user_sgpr_count 15
		.amdhsa_user_sgpr_dispatch_ptr 0
		.amdhsa_user_sgpr_queue_ptr 0
		.amdhsa_user_sgpr_kernarg_segment_ptr 1
		.amdhsa_user_sgpr_dispatch_id 0
		.amdhsa_user_sgpr_private_segment_size 0
		.amdhsa_wavefront_size32 1
		.amdhsa_uses_dynamic_stack 0
		.amdhsa_enable_private_segment 0
		.amdhsa_system_sgpr_workgroup_id_x 1
		.amdhsa_system_sgpr_workgroup_id_y 0
		.amdhsa_system_sgpr_workgroup_id_z 0
		.amdhsa_system_sgpr_workgroup_info 0
		.amdhsa_system_vgpr_workitem_id 0
		.amdhsa_next_free_vgpr 1
		.amdhsa_next_free_sgpr 1
		.amdhsa_reserve_vcc 0
		.amdhsa_float_round_mode_32 0
		.amdhsa_float_round_mode_16_64 0
		.amdhsa_float_denorm_mode_32 3
		.amdhsa_float_denorm_mode_16_64 3
		.amdhsa_dx10_clamp 1
		.amdhsa_ieee_mode 1
		.amdhsa_fp16_overflow 0
		.amdhsa_workgroup_processor_mode 1
		.amdhsa_memory_ordered 1
		.amdhsa_forward_progress 0
		.amdhsa_shared_vgpr_count 0
		.amdhsa_exception_fp_ieee_invalid_op 0
		.amdhsa_exception_fp_denorm_src 0
		.amdhsa_exception_fp_ieee_div_zero 0
		.amdhsa_exception_fp_ieee_overflow 0
		.amdhsa_exception_fp_ieee_underflow 0
		.amdhsa_exception_fp_ieee_inexact 0
		.amdhsa_exception_int_div_zero 0
	.end_amdhsa_kernel
	.section	.text._ZN7rocprim17ROCPRIM_400000_NS6detail17trampoline_kernelINS0_14default_configENS1_25partition_config_selectorILNS1_17partition_subalgoE5ElNS0_10empty_typeEbEEZZNS1_14partition_implILS5_5ELb0ES3_mN6hipcub16HIPCUB_304000_NS21CountingInputIteratorIllEEPS6_NSA_22TransformInputIteratorIbN2at6native12_GLOBAL__N_19NonZeroOpIN3c108BFloat16EEEPKSK_lEENS0_5tupleIJPlS6_EEENSP_IJSD_SD_EEES6_PiJS6_EEE10hipError_tPvRmT3_T4_T5_T6_T7_T9_mT8_P12ihipStream_tbDpT10_ENKUlT_T0_E_clISt17integral_constantIbLb1EES1D_EEDaS18_S19_EUlS18_E_NS1_11comp_targetILNS1_3genE2ELNS1_11target_archE906ELNS1_3gpuE6ELNS1_3repE0EEENS1_30default_config_static_selectorELNS0_4arch9wavefront6targetE0EEEvT1_,"axG",@progbits,_ZN7rocprim17ROCPRIM_400000_NS6detail17trampoline_kernelINS0_14default_configENS1_25partition_config_selectorILNS1_17partition_subalgoE5ElNS0_10empty_typeEbEEZZNS1_14partition_implILS5_5ELb0ES3_mN6hipcub16HIPCUB_304000_NS21CountingInputIteratorIllEEPS6_NSA_22TransformInputIteratorIbN2at6native12_GLOBAL__N_19NonZeroOpIN3c108BFloat16EEEPKSK_lEENS0_5tupleIJPlS6_EEENSP_IJSD_SD_EEES6_PiJS6_EEE10hipError_tPvRmT3_T4_T5_T6_T7_T9_mT8_P12ihipStream_tbDpT10_ENKUlT_T0_E_clISt17integral_constantIbLb1EES1D_EEDaS18_S19_EUlS18_E_NS1_11comp_targetILNS1_3genE2ELNS1_11target_archE906ELNS1_3gpuE6ELNS1_3repE0EEENS1_30default_config_static_selectorELNS0_4arch9wavefront6targetE0EEEvT1_,comdat
.Lfunc_end810:
	.size	_ZN7rocprim17ROCPRIM_400000_NS6detail17trampoline_kernelINS0_14default_configENS1_25partition_config_selectorILNS1_17partition_subalgoE5ElNS0_10empty_typeEbEEZZNS1_14partition_implILS5_5ELb0ES3_mN6hipcub16HIPCUB_304000_NS21CountingInputIteratorIllEEPS6_NSA_22TransformInputIteratorIbN2at6native12_GLOBAL__N_19NonZeroOpIN3c108BFloat16EEEPKSK_lEENS0_5tupleIJPlS6_EEENSP_IJSD_SD_EEES6_PiJS6_EEE10hipError_tPvRmT3_T4_T5_T6_T7_T9_mT8_P12ihipStream_tbDpT10_ENKUlT_T0_E_clISt17integral_constantIbLb1EES1D_EEDaS18_S19_EUlS18_E_NS1_11comp_targetILNS1_3genE2ELNS1_11target_archE906ELNS1_3gpuE6ELNS1_3repE0EEENS1_30default_config_static_selectorELNS0_4arch9wavefront6targetE0EEEvT1_, .Lfunc_end810-_ZN7rocprim17ROCPRIM_400000_NS6detail17trampoline_kernelINS0_14default_configENS1_25partition_config_selectorILNS1_17partition_subalgoE5ElNS0_10empty_typeEbEEZZNS1_14partition_implILS5_5ELb0ES3_mN6hipcub16HIPCUB_304000_NS21CountingInputIteratorIllEEPS6_NSA_22TransformInputIteratorIbN2at6native12_GLOBAL__N_19NonZeroOpIN3c108BFloat16EEEPKSK_lEENS0_5tupleIJPlS6_EEENSP_IJSD_SD_EEES6_PiJS6_EEE10hipError_tPvRmT3_T4_T5_T6_T7_T9_mT8_P12ihipStream_tbDpT10_ENKUlT_T0_E_clISt17integral_constantIbLb1EES1D_EEDaS18_S19_EUlS18_E_NS1_11comp_targetILNS1_3genE2ELNS1_11target_archE906ELNS1_3gpuE6ELNS1_3repE0EEENS1_30default_config_static_selectorELNS0_4arch9wavefront6targetE0EEEvT1_
                                        ; -- End function
	.section	.AMDGPU.csdata,"",@progbits
; Kernel info:
; codeLenInByte = 0
; NumSgprs: 0
; NumVgprs: 0
; ScratchSize: 0
; MemoryBound: 0
; FloatMode: 240
; IeeeMode: 1
; LDSByteSize: 0 bytes/workgroup (compile time only)
; SGPRBlocks: 0
; VGPRBlocks: 0
; NumSGPRsForWavesPerEU: 1
; NumVGPRsForWavesPerEU: 1
; Occupancy: 16
; WaveLimiterHint : 0
; COMPUTE_PGM_RSRC2:SCRATCH_EN: 0
; COMPUTE_PGM_RSRC2:USER_SGPR: 15
; COMPUTE_PGM_RSRC2:TRAP_HANDLER: 0
; COMPUTE_PGM_RSRC2:TGID_X_EN: 1
; COMPUTE_PGM_RSRC2:TGID_Y_EN: 0
; COMPUTE_PGM_RSRC2:TGID_Z_EN: 0
; COMPUTE_PGM_RSRC2:TIDIG_COMP_CNT: 0
	.section	.text._ZN7rocprim17ROCPRIM_400000_NS6detail17trampoline_kernelINS0_14default_configENS1_25partition_config_selectorILNS1_17partition_subalgoE5ElNS0_10empty_typeEbEEZZNS1_14partition_implILS5_5ELb0ES3_mN6hipcub16HIPCUB_304000_NS21CountingInputIteratorIllEEPS6_NSA_22TransformInputIteratorIbN2at6native12_GLOBAL__N_19NonZeroOpIN3c108BFloat16EEEPKSK_lEENS0_5tupleIJPlS6_EEENSP_IJSD_SD_EEES6_PiJS6_EEE10hipError_tPvRmT3_T4_T5_T6_T7_T9_mT8_P12ihipStream_tbDpT10_ENKUlT_T0_E_clISt17integral_constantIbLb1EES1D_EEDaS18_S19_EUlS18_E_NS1_11comp_targetILNS1_3genE10ELNS1_11target_archE1200ELNS1_3gpuE4ELNS1_3repE0EEENS1_30default_config_static_selectorELNS0_4arch9wavefront6targetE0EEEvT1_,"axG",@progbits,_ZN7rocprim17ROCPRIM_400000_NS6detail17trampoline_kernelINS0_14default_configENS1_25partition_config_selectorILNS1_17partition_subalgoE5ElNS0_10empty_typeEbEEZZNS1_14partition_implILS5_5ELb0ES3_mN6hipcub16HIPCUB_304000_NS21CountingInputIteratorIllEEPS6_NSA_22TransformInputIteratorIbN2at6native12_GLOBAL__N_19NonZeroOpIN3c108BFloat16EEEPKSK_lEENS0_5tupleIJPlS6_EEENSP_IJSD_SD_EEES6_PiJS6_EEE10hipError_tPvRmT3_T4_T5_T6_T7_T9_mT8_P12ihipStream_tbDpT10_ENKUlT_T0_E_clISt17integral_constantIbLb1EES1D_EEDaS18_S19_EUlS18_E_NS1_11comp_targetILNS1_3genE10ELNS1_11target_archE1200ELNS1_3gpuE4ELNS1_3repE0EEENS1_30default_config_static_selectorELNS0_4arch9wavefront6targetE0EEEvT1_,comdat
	.globl	_ZN7rocprim17ROCPRIM_400000_NS6detail17trampoline_kernelINS0_14default_configENS1_25partition_config_selectorILNS1_17partition_subalgoE5ElNS0_10empty_typeEbEEZZNS1_14partition_implILS5_5ELb0ES3_mN6hipcub16HIPCUB_304000_NS21CountingInputIteratorIllEEPS6_NSA_22TransformInputIteratorIbN2at6native12_GLOBAL__N_19NonZeroOpIN3c108BFloat16EEEPKSK_lEENS0_5tupleIJPlS6_EEENSP_IJSD_SD_EEES6_PiJS6_EEE10hipError_tPvRmT3_T4_T5_T6_T7_T9_mT8_P12ihipStream_tbDpT10_ENKUlT_T0_E_clISt17integral_constantIbLb1EES1D_EEDaS18_S19_EUlS18_E_NS1_11comp_targetILNS1_3genE10ELNS1_11target_archE1200ELNS1_3gpuE4ELNS1_3repE0EEENS1_30default_config_static_selectorELNS0_4arch9wavefront6targetE0EEEvT1_ ; -- Begin function _ZN7rocprim17ROCPRIM_400000_NS6detail17trampoline_kernelINS0_14default_configENS1_25partition_config_selectorILNS1_17partition_subalgoE5ElNS0_10empty_typeEbEEZZNS1_14partition_implILS5_5ELb0ES3_mN6hipcub16HIPCUB_304000_NS21CountingInputIteratorIllEEPS6_NSA_22TransformInputIteratorIbN2at6native12_GLOBAL__N_19NonZeroOpIN3c108BFloat16EEEPKSK_lEENS0_5tupleIJPlS6_EEENSP_IJSD_SD_EEES6_PiJS6_EEE10hipError_tPvRmT3_T4_T5_T6_T7_T9_mT8_P12ihipStream_tbDpT10_ENKUlT_T0_E_clISt17integral_constantIbLb1EES1D_EEDaS18_S19_EUlS18_E_NS1_11comp_targetILNS1_3genE10ELNS1_11target_archE1200ELNS1_3gpuE4ELNS1_3repE0EEENS1_30default_config_static_selectorELNS0_4arch9wavefront6targetE0EEEvT1_
	.p2align	8
	.type	_ZN7rocprim17ROCPRIM_400000_NS6detail17trampoline_kernelINS0_14default_configENS1_25partition_config_selectorILNS1_17partition_subalgoE5ElNS0_10empty_typeEbEEZZNS1_14partition_implILS5_5ELb0ES3_mN6hipcub16HIPCUB_304000_NS21CountingInputIteratorIllEEPS6_NSA_22TransformInputIteratorIbN2at6native12_GLOBAL__N_19NonZeroOpIN3c108BFloat16EEEPKSK_lEENS0_5tupleIJPlS6_EEENSP_IJSD_SD_EEES6_PiJS6_EEE10hipError_tPvRmT3_T4_T5_T6_T7_T9_mT8_P12ihipStream_tbDpT10_ENKUlT_T0_E_clISt17integral_constantIbLb1EES1D_EEDaS18_S19_EUlS18_E_NS1_11comp_targetILNS1_3genE10ELNS1_11target_archE1200ELNS1_3gpuE4ELNS1_3repE0EEENS1_30default_config_static_selectorELNS0_4arch9wavefront6targetE0EEEvT1_,@function
_ZN7rocprim17ROCPRIM_400000_NS6detail17trampoline_kernelINS0_14default_configENS1_25partition_config_selectorILNS1_17partition_subalgoE5ElNS0_10empty_typeEbEEZZNS1_14partition_implILS5_5ELb0ES3_mN6hipcub16HIPCUB_304000_NS21CountingInputIteratorIllEEPS6_NSA_22TransformInputIteratorIbN2at6native12_GLOBAL__N_19NonZeroOpIN3c108BFloat16EEEPKSK_lEENS0_5tupleIJPlS6_EEENSP_IJSD_SD_EEES6_PiJS6_EEE10hipError_tPvRmT3_T4_T5_T6_T7_T9_mT8_P12ihipStream_tbDpT10_ENKUlT_T0_E_clISt17integral_constantIbLb1EES1D_EEDaS18_S19_EUlS18_E_NS1_11comp_targetILNS1_3genE10ELNS1_11target_archE1200ELNS1_3gpuE4ELNS1_3repE0EEENS1_30default_config_static_selectorELNS0_4arch9wavefront6targetE0EEEvT1_: ; @_ZN7rocprim17ROCPRIM_400000_NS6detail17trampoline_kernelINS0_14default_configENS1_25partition_config_selectorILNS1_17partition_subalgoE5ElNS0_10empty_typeEbEEZZNS1_14partition_implILS5_5ELb0ES3_mN6hipcub16HIPCUB_304000_NS21CountingInputIteratorIllEEPS6_NSA_22TransformInputIteratorIbN2at6native12_GLOBAL__N_19NonZeroOpIN3c108BFloat16EEEPKSK_lEENS0_5tupleIJPlS6_EEENSP_IJSD_SD_EEES6_PiJS6_EEE10hipError_tPvRmT3_T4_T5_T6_T7_T9_mT8_P12ihipStream_tbDpT10_ENKUlT_T0_E_clISt17integral_constantIbLb1EES1D_EEDaS18_S19_EUlS18_E_NS1_11comp_targetILNS1_3genE10ELNS1_11target_archE1200ELNS1_3gpuE4ELNS1_3repE0EEENS1_30default_config_static_selectorELNS0_4arch9wavefront6targetE0EEEvT1_
; %bb.0:
	.section	.rodata,"a",@progbits
	.p2align	6, 0x0
	.amdhsa_kernel _ZN7rocprim17ROCPRIM_400000_NS6detail17trampoline_kernelINS0_14default_configENS1_25partition_config_selectorILNS1_17partition_subalgoE5ElNS0_10empty_typeEbEEZZNS1_14partition_implILS5_5ELb0ES3_mN6hipcub16HIPCUB_304000_NS21CountingInputIteratorIllEEPS6_NSA_22TransformInputIteratorIbN2at6native12_GLOBAL__N_19NonZeroOpIN3c108BFloat16EEEPKSK_lEENS0_5tupleIJPlS6_EEENSP_IJSD_SD_EEES6_PiJS6_EEE10hipError_tPvRmT3_T4_T5_T6_T7_T9_mT8_P12ihipStream_tbDpT10_ENKUlT_T0_E_clISt17integral_constantIbLb1EES1D_EEDaS18_S19_EUlS18_E_NS1_11comp_targetILNS1_3genE10ELNS1_11target_archE1200ELNS1_3gpuE4ELNS1_3repE0EEENS1_30default_config_static_selectorELNS0_4arch9wavefront6targetE0EEEvT1_
		.amdhsa_group_segment_fixed_size 0
		.amdhsa_private_segment_fixed_size 0
		.amdhsa_kernarg_size 136
		.amdhsa_user_sgpr_count 15
		.amdhsa_user_sgpr_dispatch_ptr 0
		.amdhsa_user_sgpr_queue_ptr 0
		.amdhsa_user_sgpr_kernarg_segment_ptr 1
		.amdhsa_user_sgpr_dispatch_id 0
		.amdhsa_user_sgpr_private_segment_size 0
		.amdhsa_wavefront_size32 1
		.amdhsa_uses_dynamic_stack 0
		.amdhsa_enable_private_segment 0
		.amdhsa_system_sgpr_workgroup_id_x 1
		.amdhsa_system_sgpr_workgroup_id_y 0
		.amdhsa_system_sgpr_workgroup_id_z 0
		.amdhsa_system_sgpr_workgroup_info 0
		.amdhsa_system_vgpr_workitem_id 0
		.amdhsa_next_free_vgpr 1
		.amdhsa_next_free_sgpr 1
		.amdhsa_reserve_vcc 0
		.amdhsa_float_round_mode_32 0
		.amdhsa_float_round_mode_16_64 0
		.amdhsa_float_denorm_mode_32 3
		.amdhsa_float_denorm_mode_16_64 3
		.amdhsa_dx10_clamp 1
		.amdhsa_ieee_mode 1
		.amdhsa_fp16_overflow 0
		.amdhsa_workgroup_processor_mode 1
		.amdhsa_memory_ordered 1
		.amdhsa_forward_progress 0
		.amdhsa_shared_vgpr_count 0
		.amdhsa_exception_fp_ieee_invalid_op 0
		.amdhsa_exception_fp_denorm_src 0
		.amdhsa_exception_fp_ieee_div_zero 0
		.amdhsa_exception_fp_ieee_overflow 0
		.amdhsa_exception_fp_ieee_underflow 0
		.amdhsa_exception_fp_ieee_inexact 0
		.amdhsa_exception_int_div_zero 0
	.end_amdhsa_kernel
	.section	.text._ZN7rocprim17ROCPRIM_400000_NS6detail17trampoline_kernelINS0_14default_configENS1_25partition_config_selectorILNS1_17partition_subalgoE5ElNS0_10empty_typeEbEEZZNS1_14partition_implILS5_5ELb0ES3_mN6hipcub16HIPCUB_304000_NS21CountingInputIteratorIllEEPS6_NSA_22TransformInputIteratorIbN2at6native12_GLOBAL__N_19NonZeroOpIN3c108BFloat16EEEPKSK_lEENS0_5tupleIJPlS6_EEENSP_IJSD_SD_EEES6_PiJS6_EEE10hipError_tPvRmT3_T4_T5_T6_T7_T9_mT8_P12ihipStream_tbDpT10_ENKUlT_T0_E_clISt17integral_constantIbLb1EES1D_EEDaS18_S19_EUlS18_E_NS1_11comp_targetILNS1_3genE10ELNS1_11target_archE1200ELNS1_3gpuE4ELNS1_3repE0EEENS1_30default_config_static_selectorELNS0_4arch9wavefront6targetE0EEEvT1_,"axG",@progbits,_ZN7rocprim17ROCPRIM_400000_NS6detail17trampoline_kernelINS0_14default_configENS1_25partition_config_selectorILNS1_17partition_subalgoE5ElNS0_10empty_typeEbEEZZNS1_14partition_implILS5_5ELb0ES3_mN6hipcub16HIPCUB_304000_NS21CountingInputIteratorIllEEPS6_NSA_22TransformInputIteratorIbN2at6native12_GLOBAL__N_19NonZeroOpIN3c108BFloat16EEEPKSK_lEENS0_5tupleIJPlS6_EEENSP_IJSD_SD_EEES6_PiJS6_EEE10hipError_tPvRmT3_T4_T5_T6_T7_T9_mT8_P12ihipStream_tbDpT10_ENKUlT_T0_E_clISt17integral_constantIbLb1EES1D_EEDaS18_S19_EUlS18_E_NS1_11comp_targetILNS1_3genE10ELNS1_11target_archE1200ELNS1_3gpuE4ELNS1_3repE0EEENS1_30default_config_static_selectorELNS0_4arch9wavefront6targetE0EEEvT1_,comdat
.Lfunc_end811:
	.size	_ZN7rocprim17ROCPRIM_400000_NS6detail17trampoline_kernelINS0_14default_configENS1_25partition_config_selectorILNS1_17partition_subalgoE5ElNS0_10empty_typeEbEEZZNS1_14partition_implILS5_5ELb0ES3_mN6hipcub16HIPCUB_304000_NS21CountingInputIteratorIllEEPS6_NSA_22TransformInputIteratorIbN2at6native12_GLOBAL__N_19NonZeroOpIN3c108BFloat16EEEPKSK_lEENS0_5tupleIJPlS6_EEENSP_IJSD_SD_EEES6_PiJS6_EEE10hipError_tPvRmT3_T4_T5_T6_T7_T9_mT8_P12ihipStream_tbDpT10_ENKUlT_T0_E_clISt17integral_constantIbLb1EES1D_EEDaS18_S19_EUlS18_E_NS1_11comp_targetILNS1_3genE10ELNS1_11target_archE1200ELNS1_3gpuE4ELNS1_3repE0EEENS1_30default_config_static_selectorELNS0_4arch9wavefront6targetE0EEEvT1_, .Lfunc_end811-_ZN7rocprim17ROCPRIM_400000_NS6detail17trampoline_kernelINS0_14default_configENS1_25partition_config_selectorILNS1_17partition_subalgoE5ElNS0_10empty_typeEbEEZZNS1_14partition_implILS5_5ELb0ES3_mN6hipcub16HIPCUB_304000_NS21CountingInputIteratorIllEEPS6_NSA_22TransformInputIteratorIbN2at6native12_GLOBAL__N_19NonZeroOpIN3c108BFloat16EEEPKSK_lEENS0_5tupleIJPlS6_EEENSP_IJSD_SD_EEES6_PiJS6_EEE10hipError_tPvRmT3_T4_T5_T6_T7_T9_mT8_P12ihipStream_tbDpT10_ENKUlT_T0_E_clISt17integral_constantIbLb1EES1D_EEDaS18_S19_EUlS18_E_NS1_11comp_targetILNS1_3genE10ELNS1_11target_archE1200ELNS1_3gpuE4ELNS1_3repE0EEENS1_30default_config_static_selectorELNS0_4arch9wavefront6targetE0EEEvT1_
                                        ; -- End function
	.section	.AMDGPU.csdata,"",@progbits
; Kernel info:
; codeLenInByte = 0
; NumSgprs: 0
; NumVgprs: 0
; ScratchSize: 0
; MemoryBound: 0
; FloatMode: 240
; IeeeMode: 1
; LDSByteSize: 0 bytes/workgroup (compile time only)
; SGPRBlocks: 0
; VGPRBlocks: 0
; NumSGPRsForWavesPerEU: 1
; NumVGPRsForWavesPerEU: 1
; Occupancy: 16
; WaveLimiterHint : 0
; COMPUTE_PGM_RSRC2:SCRATCH_EN: 0
; COMPUTE_PGM_RSRC2:USER_SGPR: 15
; COMPUTE_PGM_RSRC2:TRAP_HANDLER: 0
; COMPUTE_PGM_RSRC2:TGID_X_EN: 1
; COMPUTE_PGM_RSRC2:TGID_Y_EN: 0
; COMPUTE_PGM_RSRC2:TGID_Z_EN: 0
; COMPUTE_PGM_RSRC2:TIDIG_COMP_CNT: 0
	.section	.text._ZN7rocprim17ROCPRIM_400000_NS6detail17trampoline_kernelINS0_14default_configENS1_25partition_config_selectorILNS1_17partition_subalgoE5ElNS0_10empty_typeEbEEZZNS1_14partition_implILS5_5ELb0ES3_mN6hipcub16HIPCUB_304000_NS21CountingInputIteratorIllEEPS6_NSA_22TransformInputIteratorIbN2at6native12_GLOBAL__N_19NonZeroOpIN3c108BFloat16EEEPKSK_lEENS0_5tupleIJPlS6_EEENSP_IJSD_SD_EEES6_PiJS6_EEE10hipError_tPvRmT3_T4_T5_T6_T7_T9_mT8_P12ihipStream_tbDpT10_ENKUlT_T0_E_clISt17integral_constantIbLb1EES1D_EEDaS18_S19_EUlS18_E_NS1_11comp_targetILNS1_3genE9ELNS1_11target_archE1100ELNS1_3gpuE3ELNS1_3repE0EEENS1_30default_config_static_selectorELNS0_4arch9wavefront6targetE0EEEvT1_,"axG",@progbits,_ZN7rocprim17ROCPRIM_400000_NS6detail17trampoline_kernelINS0_14default_configENS1_25partition_config_selectorILNS1_17partition_subalgoE5ElNS0_10empty_typeEbEEZZNS1_14partition_implILS5_5ELb0ES3_mN6hipcub16HIPCUB_304000_NS21CountingInputIteratorIllEEPS6_NSA_22TransformInputIteratorIbN2at6native12_GLOBAL__N_19NonZeroOpIN3c108BFloat16EEEPKSK_lEENS0_5tupleIJPlS6_EEENSP_IJSD_SD_EEES6_PiJS6_EEE10hipError_tPvRmT3_T4_T5_T6_T7_T9_mT8_P12ihipStream_tbDpT10_ENKUlT_T0_E_clISt17integral_constantIbLb1EES1D_EEDaS18_S19_EUlS18_E_NS1_11comp_targetILNS1_3genE9ELNS1_11target_archE1100ELNS1_3gpuE3ELNS1_3repE0EEENS1_30default_config_static_selectorELNS0_4arch9wavefront6targetE0EEEvT1_,comdat
	.globl	_ZN7rocprim17ROCPRIM_400000_NS6detail17trampoline_kernelINS0_14default_configENS1_25partition_config_selectorILNS1_17partition_subalgoE5ElNS0_10empty_typeEbEEZZNS1_14partition_implILS5_5ELb0ES3_mN6hipcub16HIPCUB_304000_NS21CountingInputIteratorIllEEPS6_NSA_22TransformInputIteratorIbN2at6native12_GLOBAL__N_19NonZeroOpIN3c108BFloat16EEEPKSK_lEENS0_5tupleIJPlS6_EEENSP_IJSD_SD_EEES6_PiJS6_EEE10hipError_tPvRmT3_T4_T5_T6_T7_T9_mT8_P12ihipStream_tbDpT10_ENKUlT_T0_E_clISt17integral_constantIbLb1EES1D_EEDaS18_S19_EUlS18_E_NS1_11comp_targetILNS1_3genE9ELNS1_11target_archE1100ELNS1_3gpuE3ELNS1_3repE0EEENS1_30default_config_static_selectorELNS0_4arch9wavefront6targetE0EEEvT1_ ; -- Begin function _ZN7rocprim17ROCPRIM_400000_NS6detail17trampoline_kernelINS0_14default_configENS1_25partition_config_selectorILNS1_17partition_subalgoE5ElNS0_10empty_typeEbEEZZNS1_14partition_implILS5_5ELb0ES3_mN6hipcub16HIPCUB_304000_NS21CountingInputIteratorIllEEPS6_NSA_22TransformInputIteratorIbN2at6native12_GLOBAL__N_19NonZeroOpIN3c108BFloat16EEEPKSK_lEENS0_5tupleIJPlS6_EEENSP_IJSD_SD_EEES6_PiJS6_EEE10hipError_tPvRmT3_T4_T5_T6_T7_T9_mT8_P12ihipStream_tbDpT10_ENKUlT_T0_E_clISt17integral_constantIbLb1EES1D_EEDaS18_S19_EUlS18_E_NS1_11comp_targetILNS1_3genE9ELNS1_11target_archE1100ELNS1_3gpuE3ELNS1_3repE0EEENS1_30default_config_static_selectorELNS0_4arch9wavefront6targetE0EEEvT1_
	.p2align	8
	.type	_ZN7rocprim17ROCPRIM_400000_NS6detail17trampoline_kernelINS0_14default_configENS1_25partition_config_selectorILNS1_17partition_subalgoE5ElNS0_10empty_typeEbEEZZNS1_14partition_implILS5_5ELb0ES3_mN6hipcub16HIPCUB_304000_NS21CountingInputIteratorIllEEPS6_NSA_22TransformInputIteratorIbN2at6native12_GLOBAL__N_19NonZeroOpIN3c108BFloat16EEEPKSK_lEENS0_5tupleIJPlS6_EEENSP_IJSD_SD_EEES6_PiJS6_EEE10hipError_tPvRmT3_T4_T5_T6_T7_T9_mT8_P12ihipStream_tbDpT10_ENKUlT_T0_E_clISt17integral_constantIbLb1EES1D_EEDaS18_S19_EUlS18_E_NS1_11comp_targetILNS1_3genE9ELNS1_11target_archE1100ELNS1_3gpuE3ELNS1_3repE0EEENS1_30default_config_static_selectorELNS0_4arch9wavefront6targetE0EEEvT1_,@function
_ZN7rocprim17ROCPRIM_400000_NS6detail17trampoline_kernelINS0_14default_configENS1_25partition_config_selectorILNS1_17partition_subalgoE5ElNS0_10empty_typeEbEEZZNS1_14partition_implILS5_5ELb0ES3_mN6hipcub16HIPCUB_304000_NS21CountingInputIteratorIllEEPS6_NSA_22TransformInputIteratorIbN2at6native12_GLOBAL__N_19NonZeroOpIN3c108BFloat16EEEPKSK_lEENS0_5tupleIJPlS6_EEENSP_IJSD_SD_EEES6_PiJS6_EEE10hipError_tPvRmT3_T4_T5_T6_T7_T9_mT8_P12ihipStream_tbDpT10_ENKUlT_T0_E_clISt17integral_constantIbLb1EES1D_EEDaS18_S19_EUlS18_E_NS1_11comp_targetILNS1_3genE9ELNS1_11target_archE1100ELNS1_3gpuE3ELNS1_3repE0EEENS1_30default_config_static_selectorELNS0_4arch9wavefront6targetE0EEEvT1_: ; @_ZN7rocprim17ROCPRIM_400000_NS6detail17trampoline_kernelINS0_14default_configENS1_25partition_config_selectorILNS1_17partition_subalgoE5ElNS0_10empty_typeEbEEZZNS1_14partition_implILS5_5ELb0ES3_mN6hipcub16HIPCUB_304000_NS21CountingInputIteratorIllEEPS6_NSA_22TransformInputIteratorIbN2at6native12_GLOBAL__N_19NonZeroOpIN3c108BFloat16EEEPKSK_lEENS0_5tupleIJPlS6_EEENSP_IJSD_SD_EEES6_PiJS6_EEE10hipError_tPvRmT3_T4_T5_T6_T7_T9_mT8_P12ihipStream_tbDpT10_ENKUlT_T0_E_clISt17integral_constantIbLb1EES1D_EEDaS18_S19_EUlS18_E_NS1_11comp_targetILNS1_3genE9ELNS1_11target_archE1100ELNS1_3gpuE3ELNS1_3repE0EEENS1_30default_config_static_selectorELNS0_4arch9wavefront6targetE0EEEvT1_
; %bb.0:
	s_clause 0x4
	s_load_b64 s[18:19], s[0:1], 0x20
	s_load_b64 s[12:13], s[0:1], 0x30
	s_load_b64 s[16:17], s[0:1], 0x58
	s_load_b128 s[4:7], s[0:1], 0x48
	s_load_b64 s[14:15], s[0:1], 0x68
	v_cmp_eq_u32_e64 s2, 0, v0
	s_delay_alu instid0(VALU_DEP_1)
	s_and_saveexec_b32 s3, s2
	s_cbranch_execz .LBB812_4
; %bb.1:
	s_mov_b32 s9, exec_lo
	s_mov_b32 s8, exec_lo
	v_mbcnt_lo_u32_b32 v1, s9, 0
                                        ; implicit-def: $vgpr2
	s_delay_alu instid0(VALU_DEP_1)
	v_cmpx_eq_u32_e32 0, v1
	s_cbranch_execz .LBB812_3
; %bb.2:
	s_load_b64 s[10:11], s[0:1], 0x78
	s_bcnt1_i32_b32 s9, s9
	s_delay_alu instid0(SALU_CYCLE_1)
	v_dual_mov_b32 v2, 0 :: v_dual_mov_b32 v3, s9
	s_waitcnt lgkmcnt(0)
	global_atomic_add_u32 v2, v2, v3, s[10:11] glc
.LBB812_3:
	s_or_b32 exec_lo, exec_lo, s8
	s_waitcnt vmcnt(0)
	v_readfirstlane_b32 s8, v2
	s_delay_alu instid0(VALU_DEP_1)
	v_dual_mov_b32 v2, 0 :: v_dual_add_nc_u32 v1, s8, v1
	ds_store_b32 v2, v1
.LBB812_4:
	s_or_b32 exec_lo, exec_lo, s3
	v_mov_b32_e32 v1, 0
	s_clause 0x1
	s_load_b128 s[8:11], s[0:1], 0x8
	s_load_b32 s0, s[0:1], 0x70
	s_waitcnt lgkmcnt(0)
	s_barrier
	buffer_gl0_inv
	ds_load_b32 v3, v1
	s_waitcnt lgkmcnt(0)
	s_barrier
	buffer_gl0_inv
	global_load_b64 v[1:2], v1, s[6:7]
	s_add_u32 s21, s10, s8
	s_mul_i32 s20, s0, 0x300
	s_addc_u32 s22, s11, s9
	s_add_i32 s3, s0, -1
	s_add_u32 s0, s10, s20
	v_readfirstlane_b32 s9, v3
	s_addc_u32 s1, s11, 0
	s_delay_alu instid0(SALU_CYCLE_1) | instskip(SKIP_1) | instid1(VALU_DEP_2)
	v_cmp_ge_u64_e64 s0, s[0:1], s[16:17]
	s_mov_b32 s17, -1
	s_cmp_eq_u32 s9, s3
	s_cselect_b32 s3, -1, 0
	s_delay_alu instid0(VALU_DEP_1) | instid1(SALU_CYCLE_1)
	s_and_b32 s1, s0, s3
	s_mul_i32 s0, s9, 0x300
	s_xor_b32 s8, s1, -1
	s_mov_b32 s1, 0
	s_and_b32 vcc_lo, exec_lo, s8
	s_waitcnt vmcnt(0)
	v_readfirstlane_b32 s6, v1
	v_readfirstlane_b32 s7, v2
	s_cbranch_vccz .LBB812_6
; %bb.5:
	s_add_u32 s17, s0, s21
	s_addc_u32 s23, 0, s22
	v_add_co_u32 v1, s17, s17, v0
	s_delay_alu instid0(VALU_DEP_1) | instskip(SKIP_1) | instid1(VALU_DEP_3)
	v_add_co_ci_u32_e64 v2, null, s23, 0, s17
	v_lshlrev_b32_e32 v13, 3, v0
	v_add_co_u32 v3, vcc_lo, 0x80, v1
	s_delay_alu instid0(VALU_DEP_3)
	v_add_co_ci_u32_e32 v4, vcc_lo, 0, v2, vcc_lo
	v_add_co_u32 v5, vcc_lo, 0x100, v1
	v_add_co_ci_u32_e32 v6, vcc_lo, 0, v2, vcc_lo
	v_add_co_u32 v7, vcc_lo, 0x180, v1
	;; [unrolled: 2-line block ×4, first 2 shown]
	v_add_co_ci_u32_e32 v12, vcc_lo, 0, v2, vcc_lo
	ds_store_2addr_stride64_b64 v13, v[1:2], v[3:4] offset1:2
	ds_store_2addr_stride64_b64 v13, v[5:6], v[7:8] offset0:4 offset1:6
	ds_store_2addr_stride64_b64 v13, v[9:10], v[11:12] offset0:8 offset1:10
	s_waitcnt lgkmcnt(0)
	s_mov_b32 s17, s1
	s_barrier
.LBB812_6:
	v_or_b32_e32 v17, 0x100, v0
	v_or_b32_e32 v16, 0x180, v0
	;; [unrolled: 1-line block ×4, first 2 shown]
	s_and_not1_b32 vcc_lo, exec_lo, s17
	s_cbranch_vccnz .LBB812_8
; %bb.7:
	v_or_b32_e32 v3, 0x80, v0
	s_add_u32 s17, s21, s0
	s_addc_u32 s21, s22, 0
	v_add_co_u32 v1, s22, s17, v0
	s_delay_alu instid0(VALU_DEP_1) | instskip(SKIP_1) | instid1(VALU_DEP_1)
	v_add_co_ci_u32_e64 v2, null, s21, 0, s22
	v_add_co_u32 v3, s22, s17, v3
	v_add_co_ci_u32_e64 v4, null, s21, 0, s22
	v_add_co_u32 v5, s22, s17, v17
	s_delay_alu instid0(VALU_DEP_1) | instskip(SKIP_1) | instid1(VALU_DEP_1)
	v_add_co_ci_u32_e64 v6, null, s21, 0, s22
	v_add_co_u32 v7, s22, s17, v16
	v_add_co_ci_u32_e64 v8, null, s21, 0, s22
	v_add_co_u32 v9, s22, s17, v14
	v_lshlrev_b32_e32 v15, 3, v0
	v_add_co_u32 v11, s17, s17, v13
	v_add_co_ci_u32_e64 v10, null, s21, 0, s22
	v_add_co_ci_u32_e64 v12, null, s21, 0, s17
	ds_store_2addr_stride64_b64 v15, v[1:2], v[3:4] offset1:2
	ds_store_2addr_stride64_b64 v15, v[5:6], v[7:8] offset0:4 offset1:6
	ds_store_2addr_stride64_b64 v15, v[9:10], v[11:12] offset0:8 offset1:10
	s_waitcnt lgkmcnt(0)
	s_barrier
.LBB812_8:
	v_mul_u32_u24_e32 v1, 6, v0
	buffer_gl0_inv
	s_lshl_b64 s[22:23], s[10:11], 1
	s_delay_alu instid0(SALU_CYCLE_1)
	s_add_u32 s11, s18, s22
	v_lshlrev_b32_e32 v15, 3, v1
	s_addc_u32 s17, s19, s23
	s_lshl_b64 s[0:1], s[0:1], 1
	ds_load_b128 v[9:12], v15
	ds_load_b128 v[5:8], v15 offset:16
	ds_load_b128 v[1:4], v15 offset:32
	s_add_u32 s0, s11, s0
	s_addc_u32 s1, s17, s1
	s_and_b32 vcc_lo, exec_lo, s8
	s_mov_b32 s11, -1
	s_waitcnt lgkmcnt(0)
	s_barrier
	buffer_gl0_inv
	s_cbranch_vccz .LBB812_10
; %bb.9:
	v_lshlrev_b32_e32 v18, 1, v0
	s_mov_b32 s11, 0
	s_clause 0x5
	global_load_u16 v19, v18, s[0:1]
	global_load_u16 v20, v18, s[0:1] offset:256
	global_load_u16 v21, v18, s[0:1] offset:512
	;; [unrolled: 1-line block ×5, first 2 shown]
	s_waitcnt vmcnt(5)
	v_and_b32_e32 v19, 0x7fff, v19
	s_waitcnt vmcnt(4)
	v_and_b32_e32 v20, 0x7fff, v20
	;; [unrolled: 2-line block ×5, first 2 shown]
	v_cmp_ne_u16_e32 vcc_lo, 0, v19
	s_waitcnt vmcnt(0)
	v_and_b32_e32 v18, 0x7fff, v18
	v_cndmask_b32_e64 v19, 0, 1, vcc_lo
	v_cmp_ne_u16_e32 vcc_lo, 0, v20
	v_cndmask_b32_e64 v20, 0, 1, vcc_lo
	v_cmp_ne_u16_e32 vcc_lo, 0, v21
	;; [unrolled: 2-line block ×5, first 2 shown]
	v_cndmask_b32_e64 v18, 0, 1, vcc_lo
	ds_store_b8 v0, v19
	ds_store_b8 v0, v20 offset:128
	ds_store_b8 v0, v21 offset:256
	;; [unrolled: 1-line block ×5, first 2 shown]
	s_waitcnt lgkmcnt(0)
	s_barrier
.LBB812_10:
	s_and_not1_b32 vcc_lo, exec_lo, s11
	s_cbranch_vccnz .LBB812_24
; %bb.11:
	s_add_i32 s20, s20, s10
	v_dual_mov_b32 v18, 0 :: v_dual_mov_b32 v19, 0
	s_sub_i32 s10, s16, s20
	s_mov_b32 s11, exec_lo
	s_addk_i32 s10, 0x300
	s_delay_alu instid0(SALU_CYCLE_1)
	v_cmpx_gt_u32_e64 s10, v0
	s_cbranch_execz .LBB812_13
; %bb.12:
	v_lshlrev_b32_e32 v19, 1, v0
	global_load_u16 v19, v19, s[0:1]
	s_waitcnt vmcnt(0)
	v_and_b32_e32 v19, 0x7fff, v19
	s_delay_alu instid0(VALU_DEP_1)
	v_cmp_ne_u16_e32 vcc_lo, 0, v19
	v_cndmask_b32_e64 v19, 0, 1, vcc_lo
.LBB812_13:
	s_or_b32 exec_lo, exec_lo, s11
	v_or_b32_e32 v20, 0x80, v0
	s_mov_b32 s11, exec_lo
	s_delay_alu instid0(VALU_DEP_1)
	v_cmpx_gt_u32_e64 s10, v20
	s_cbranch_execz .LBB812_15
; %bb.14:
	v_lshlrev_b32_e32 v18, 1, v0
	global_load_u16 v18, v18, s[0:1] offset:256
	s_waitcnt vmcnt(0)
	v_and_b32_e32 v18, 0x7fff, v18
	s_delay_alu instid0(VALU_DEP_1)
	v_cmp_ne_u16_e32 vcc_lo, 0, v18
	v_cndmask_b32_e64 v18, 0, 1, vcc_lo
.LBB812_15:
	s_or_b32 exec_lo, exec_lo, s11
	v_cmp_gt_u32_e32 vcc_lo, s10, v17
	v_dual_mov_b32 v17, 0 :: v_dual_mov_b32 v20, 0
	s_and_saveexec_b32 s11, vcc_lo
	s_cbranch_execz .LBB812_17
; %bb.16:
	v_lshlrev_b32_e32 v20, 1, v0
	global_load_u16 v20, v20, s[0:1] offset:512
	s_waitcnt vmcnt(0)
	v_and_b32_e32 v20, 0x7fff, v20
	s_delay_alu instid0(VALU_DEP_1)
	v_cmp_ne_u16_e32 vcc_lo, 0, v20
	v_cndmask_b32_e64 v20, 0, 1, vcc_lo
.LBB812_17:
	s_or_b32 exec_lo, exec_lo, s11
	s_delay_alu instid0(SALU_CYCLE_1)
	s_mov_b32 s11, exec_lo
	v_cmpx_gt_u32_e64 s10, v16
	s_cbranch_execz .LBB812_19
; %bb.18:
	v_lshlrev_b32_e32 v16, 1, v0
	global_load_u16 v16, v16, s[0:1] offset:768
	s_waitcnt vmcnt(0)
	v_and_b32_e32 v16, 0x7fff, v16
	s_delay_alu instid0(VALU_DEP_1)
	v_cmp_ne_u16_e32 vcc_lo, 0, v16
	v_cndmask_b32_e64 v17, 0, 1, vcc_lo
.LBB812_19:
	s_or_b32 exec_lo, exec_lo, s11
	v_cmp_gt_u32_e32 vcc_lo, s10, v14
	v_mov_b32_e32 v14, 0
	v_mov_b32_e32 v16, 0
	s_and_saveexec_b32 s11, vcc_lo
	s_cbranch_execz .LBB812_21
; %bb.20:
	v_lshlrev_b32_e32 v16, 1, v0
	global_load_u16 v16, v16, s[0:1] offset:1024
	s_waitcnt vmcnt(0)
	v_and_b32_e32 v16, 0x7fff, v16
	s_delay_alu instid0(VALU_DEP_1)
	v_cmp_ne_u16_e32 vcc_lo, 0, v16
	v_cndmask_b32_e64 v16, 0, 1, vcc_lo
.LBB812_21:
	s_or_b32 exec_lo, exec_lo, s11
	v_cmp_gt_u32_e32 vcc_lo, s10, v13
	s_and_saveexec_b32 s10, vcc_lo
	s_cbranch_execz .LBB812_23
; %bb.22:
	v_lshlrev_b32_e32 v13, 1, v0
	global_load_u16 v13, v13, s[0:1] offset:1280
	s_waitcnt vmcnt(0)
	v_and_b32_e32 v13, 0x7fff, v13
	s_delay_alu instid0(VALU_DEP_1)
	v_cmp_ne_u16_e32 vcc_lo, 0, v13
	v_cndmask_b32_e64 v14, 0, 1, vcc_lo
.LBB812_23:
	s_or_b32 exec_lo, exec_lo, s10
	ds_store_b8 v0, v19
	ds_store_b8 v0, v18 offset:128
	ds_store_b8 v0, v20 offset:256
	;; [unrolled: 1-line block ×5, first 2 shown]
	s_waitcnt lgkmcnt(0)
	s_barrier
.LBB812_24:
	v_mad_i32_i24 v43, 0xffffffd6, v0, v15
	buffer_gl0_inv
	v_mbcnt_lo_u32_b32 v42, -1, 0
	s_cmp_lg_u32 s9, 0
	s_mov_b32 s1, -1
	ds_load_u16 v36, v43
	ds_load_u16 v33, v43 offset:2
	ds_load_u16 v31, v43 offset:4
	v_mov_b32_e32 v14, 0
	v_and_b32_e32 v44, 15, v42
	s_waitcnt lgkmcnt(0)
	s_barrier
	buffer_gl0_inv
	v_and_b32_e32 v41, 0xff, v36
	v_lshrrev_b16 v34, 8, v36
	v_lshrrev_b16 v35, 8, v33
	v_and_b32_e32 v39, 0xff, v33
	v_lshrrev_b16 v32, 8, v31
	v_and_b32_e32 v37, 0xff, v31
	v_and_b32_e32 v40, 0xffff, v34
	;; [unrolled: 1-line block ×3, first 2 shown]
	s_delay_alu instid0(VALU_DEP_4) | instskip(NEXT) | instid1(VALU_DEP_3)
	v_and_b32_e32 v16, 0xffff, v32
	v_add_co_u32 v13, s0, v40, v41
	s_delay_alu instid0(VALU_DEP_1) | instskip(SKIP_1) | instid1(VALU_DEP_3)
	v_add_co_ci_u32_e64 v15, null, 0, 0, s0
	v_cmp_ne_u32_e64 s0, 0, v44
	v_add_co_u32 v13, vcc_lo, v13, v39
	s_delay_alu instid0(VALU_DEP_3) | instskip(NEXT) | instid1(VALU_DEP_2)
	v_add_co_ci_u32_e32 v15, vcc_lo, 0, v15, vcc_lo
	v_add_co_u32 v13, vcc_lo, v13, v38
	s_delay_alu instid0(VALU_DEP_2) | instskip(NEXT) | instid1(VALU_DEP_2)
	v_add_co_ci_u32_e32 v15, vcc_lo, 0, v15, vcc_lo
	v_add_co_u32 v13, vcc_lo, v13, v37
	s_delay_alu instid0(VALU_DEP_2) | instskip(NEXT) | instid1(VALU_DEP_2)
	v_add_co_ci_u32_e32 v15, vcc_lo, 0, v15, vcc_lo
	v_add_co_u32 v21, vcc_lo, v13, v16
	s_delay_alu instid0(VALU_DEP_2)
	v_add_co_ci_u32_e32 v22, vcc_lo, 0, v15, vcc_lo
	s_cbranch_scc0 .LBB812_93
; %bb.25:
	s_delay_alu instid0(VALU_DEP_2)
	v_mov_b32_e32 v15, v21
	v_mov_b32_dpp v13, v21 row_shr:1 row_mask:0xf bank_mask:0xf
	v_mov_b32_dpp v18, v14 row_shr:1 row_mask:0xf bank_mask:0xf
	v_dual_mov_b32 v17, v21 :: v_dual_mov_b32 v16, v22
	s_and_saveexec_b32 s1, s0
; %bb.26:
	s_delay_alu instid0(VALU_DEP_3) | instskip(SKIP_1) | instid1(VALU_DEP_2)
	v_add_co_u32 v17, vcc_lo, v21, v13
	v_add_co_ci_u32_e32 v14, vcc_lo, 0, v22, vcc_lo
	v_add_co_u32 v13, vcc_lo, 0, v17
	s_delay_alu instid0(VALU_DEP_2) | instskip(NEXT) | instid1(VALU_DEP_1)
	v_add_co_ci_u32_e32 v14, vcc_lo, v18, v14, vcc_lo
	v_dual_mov_b32 v16, v14 :: v_dual_mov_b32 v15, v13
; %bb.27:
	s_or_b32 exec_lo, exec_lo, s1
	v_mov_b32_dpp v13, v17 row_shr:2 row_mask:0xf bank_mask:0xf
	v_mov_b32_dpp v18, v14 row_shr:2 row_mask:0xf bank_mask:0xf
	s_mov_b32 s1, exec_lo
	v_cmpx_lt_u32_e32 1, v44
; %bb.28:
	s_delay_alu instid0(VALU_DEP_3) | instskip(SKIP_1) | instid1(VALU_DEP_2)
	v_add_co_u32 v17, vcc_lo, v15, v13
	v_add_co_ci_u32_e32 v14, vcc_lo, 0, v16, vcc_lo
	v_add_co_u32 v13, vcc_lo, 0, v17
	s_delay_alu instid0(VALU_DEP_2) | instskip(NEXT) | instid1(VALU_DEP_1)
	v_add_co_ci_u32_e32 v14, vcc_lo, v18, v14, vcc_lo
	v_dual_mov_b32 v16, v14 :: v_dual_mov_b32 v15, v13
; %bb.29:
	s_or_b32 exec_lo, exec_lo, s1
	v_mov_b32_dpp v13, v17 row_shr:4 row_mask:0xf bank_mask:0xf
	v_mov_b32_dpp v18, v14 row_shr:4 row_mask:0xf bank_mask:0xf
	s_mov_b32 s1, exec_lo
	v_cmpx_lt_u32_e32 3, v44
	;; [unrolled: 14-line block ×3, first 2 shown]
; %bb.32:
	s_delay_alu instid0(VALU_DEP_3) | instskip(SKIP_1) | instid1(VALU_DEP_2)
	v_add_co_u32 v17, vcc_lo, v15, v18
	v_add_co_ci_u32_e32 v14, vcc_lo, 0, v16, vcc_lo
	v_add_co_u32 v15, vcc_lo, 0, v17
	s_delay_alu instid0(VALU_DEP_2) | instskip(NEXT) | instid1(VALU_DEP_1)
	v_add_co_ci_u32_e32 v16, vcc_lo, v13, v14, vcc_lo
	v_mov_b32_e32 v14, v16
; %bb.33:
	s_or_b32 exec_lo, exec_lo, s1
	ds_swizzle_b32 v13, v17 offset:swizzle(BROADCAST,32,15)
	ds_swizzle_b32 v18, v14 offset:swizzle(BROADCAST,32,15)
	v_and_b32_e32 v19, 16, v42
	s_mov_b32 s1, exec_lo
	s_delay_alu instid0(VALU_DEP_1)
	v_cmpx_ne_u32_e32 0, v19
	s_cbranch_execz .LBB812_35
; %bb.34:
	s_waitcnt lgkmcnt(1)
	v_add_co_u32 v17, vcc_lo, v15, v13
	v_add_co_ci_u32_e32 v14, vcc_lo, 0, v16, vcc_lo
	s_delay_alu instid0(VALU_DEP_2) | instskip(SKIP_1) | instid1(VALU_DEP_2)
	v_add_co_u32 v13, vcc_lo, 0, v17
	s_waitcnt lgkmcnt(0)
	v_add_co_ci_u32_e32 v14, vcc_lo, v18, v14, vcc_lo
	s_delay_alu instid0(VALU_DEP_1)
	v_dual_mov_b32 v16, v14 :: v_dual_mov_b32 v15, v13
.LBB812_35:
	s_or_b32 exec_lo, exec_lo, s1
	s_waitcnt lgkmcnt(0)
	v_or_b32_e32 v18, 31, v0
	v_lshrrev_b32_e32 v13, 5, v0
	s_mov_b32 s1, exec_lo
	s_delay_alu instid0(VALU_DEP_2)
	v_cmpx_eq_u32_e64 v18, v0
	s_cbranch_execz .LBB812_37
; %bb.36:
	s_delay_alu instid0(VALU_DEP_2)
	v_lshlrev_b32_e32 v18, 3, v13
	ds_store_b64 v18, v[15:16]
.LBB812_37:
	s_or_b32 exec_lo, exec_lo, s1
	s_delay_alu instid0(SALU_CYCLE_1)
	s_mov_b32 s1, exec_lo
	s_waitcnt lgkmcnt(0)
	s_barrier
	buffer_gl0_inv
	v_cmpx_gt_u32_e32 4, v0
	s_cbranch_execz .LBB812_43
; %bb.38:
	v_lshlrev_b32_e32 v18, 3, v0
	s_mov_b32 s10, exec_lo
	ds_load_b64 v[15:16], v18
	s_waitcnt lgkmcnt(0)
	v_dual_mov_b32 v20, v15 :: v_dual_and_b32 v19, 3, v42
	v_mov_b32_dpp v24, v15 row_shr:1 row_mask:0xf bank_mask:0xf
	v_mov_b32_dpp v23, v16 row_shr:1 row_mask:0xf bank_mask:0xf
	s_delay_alu instid0(VALU_DEP_3)
	v_cmpx_ne_u32_e32 0, v19
; %bb.39:
	s_delay_alu instid0(VALU_DEP_3) | instskip(SKIP_1) | instid1(VALU_DEP_2)
	v_add_co_u32 v20, vcc_lo, v15, v24
	v_add_co_ci_u32_e32 v16, vcc_lo, 0, v16, vcc_lo
	v_add_co_u32 v15, vcc_lo, 0, v20
	s_delay_alu instid0(VALU_DEP_2)
	v_add_co_ci_u32_e32 v16, vcc_lo, v23, v16, vcc_lo
; %bb.40:
	s_or_b32 exec_lo, exec_lo, s10
	v_mov_b32_dpp v23, v20 row_shr:2 row_mask:0xf bank_mask:0xf
	s_delay_alu instid0(VALU_DEP_2)
	v_mov_b32_dpp v20, v16 row_shr:2 row_mask:0xf bank_mask:0xf
	s_mov_b32 s10, exec_lo
	v_cmpx_lt_u32_e32 1, v19
; %bb.41:
	s_delay_alu instid0(VALU_DEP_3) | instskip(SKIP_1) | instid1(VALU_DEP_2)
	v_add_co_u32 v15, vcc_lo, v15, v23
	v_add_co_ci_u32_e32 v16, vcc_lo, 0, v16, vcc_lo
	v_add_co_u32 v15, vcc_lo, v15, 0
	s_delay_alu instid0(VALU_DEP_2)
	v_add_co_ci_u32_e32 v16, vcc_lo, v16, v20, vcc_lo
; %bb.42:
	s_or_b32 exec_lo, exec_lo, s10
	ds_store_b64 v18, v[15:16]
.LBB812_43:
	s_or_b32 exec_lo, exec_lo, s1
	v_cmp_gt_u32_e32 vcc_lo, 32, v0
	s_mov_b32 s10, exec_lo
	s_waitcnt lgkmcnt(0)
	s_barrier
	buffer_gl0_inv
                                        ; implicit-def: $vgpr23_vgpr24
	v_cmpx_lt_u32_e32 31, v0
	s_cbranch_execz .LBB812_45
; %bb.44:
	v_lshl_add_u32 v13, v13, 3, -8
	ds_load_b64 v[23:24], v13
	s_waitcnt lgkmcnt(0)
	v_add_co_u32 v17, s1, v17, v23
	s_delay_alu instid0(VALU_DEP_1)
	v_add_co_ci_u32_e64 v14, s1, v14, v24, s1
.LBB812_45:
	s_or_b32 exec_lo, exec_lo, s10
	v_add_nc_u32_e32 v13, -1, v42
	s_delay_alu instid0(VALU_DEP_1) | instskip(NEXT) | instid1(VALU_DEP_1)
	v_cmp_gt_i32_e64 s1, 0, v13
	v_cndmask_b32_e64 v13, v13, v42, s1
	v_cmp_eq_u32_e64 s1, 0, v42
	s_delay_alu instid0(VALU_DEP_2)
	v_lshlrev_b32_e32 v13, 2, v13
	ds_bpermute_b32 v29, v13, v17
	ds_bpermute_b32 v30, v13, v14
	s_and_saveexec_b32 s10, vcc_lo
	s_cbranch_execz .LBB812_88
; %bb.46:
	v_mov_b32_e32 v16, 0
	ds_load_b64 v[13:14], v16 offset:24
	s_and_saveexec_b32 s11, s1
	s_cbranch_execz .LBB812_48
; %bb.47:
	s_add_i32 s16, s9, 32
	s_mov_b32 s17, 0
	s_delay_alu instid0(SALU_CYCLE_1) | instskip(NEXT) | instid1(SALU_CYCLE_1)
	s_lshl_b64 s[16:17], s[16:17], 4
	s_add_u32 s16, s14, s16
	s_addc_u32 s17, s15, s17
	s_delay_alu instid0(SALU_CYCLE_1)
	v_dual_mov_b32 v15, 1 :: v_dual_mov_b32 v18, s17
	v_mov_b32_e32 v17, s16
	s_waitcnt lgkmcnt(0)
	;;#ASMSTART
	global_store_dwordx4 v[17:18], v[13:16] off	
s_waitcnt vmcnt(0)
	;;#ASMEND
.LBB812_48:
	s_or_b32 exec_lo, exec_lo, s11
	v_xad_u32 v25, v42, -1, s9
	s_mov_b32 s16, 0
	s_mov_b32 s11, exec_lo
	s_delay_alu instid0(VALU_DEP_1) | instskip(NEXT) | instid1(VALU_DEP_1)
	v_add_nc_u32_e32 v15, 32, v25
	v_lshlrev_b64 v[15:16], 4, v[15:16]
	s_delay_alu instid0(VALU_DEP_1) | instskip(NEXT) | instid1(VALU_DEP_2)
	v_add_co_u32 v15, vcc_lo, s14, v15
	v_add_co_ci_u32_e32 v16, vcc_lo, s15, v16, vcc_lo
	;;#ASMSTART
	global_load_dwordx4 v[17:20], v[15:16] off glc	
s_waitcnt vmcnt(0)
	;;#ASMEND
	v_and_b32_e32 v20, 0xff, v18
	v_and_b32_e32 v26, 0xff00, v18
	v_or3_b32 v17, v17, 0, 0
	v_and_b32_e32 v27, 0xff000000, v18
	v_and_b32_e32 v18, 0xff0000, v18
	s_delay_alu instid0(VALU_DEP_4) | instskip(SKIP_2) | instid1(VALU_DEP_3)
	v_or3_b32 v20, 0, v20, v26
	v_and_b32_e32 v26, 0xff, v19
	v_or3_b32 v17, v17, 0, 0
	v_or3_b32 v18, v20, v18, v27
	s_delay_alu instid0(VALU_DEP_3)
	v_cmpx_eq_u16_e32 0, v26
	s_cbranch_execz .LBB812_54
; %bb.49:
	s_mov_b32 s17, 1
	.p2align	6
.LBB812_50:                             ; =>This Loop Header: Depth=1
                                        ;     Child Loop BB812_51 Depth 2
	s_delay_alu instid0(SALU_CYCLE_1)
	s_max_u32 s18, s17, 1
.LBB812_51:                             ;   Parent Loop BB812_50 Depth=1
                                        ; =>  This Inner Loop Header: Depth=2
	s_delay_alu instid0(SALU_CYCLE_1)
	s_add_i32 s18, s18, -1
	s_sleep 1
	s_cmp_eq_u32 s18, 0
	s_cbranch_scc0 .LBB812_51
; %bb.52:                               ;   in Loop: Header=BB812_50 Depth=1
	;;#ASMSTART
	global_load_dwordx4 v[17:20], v[15:16] off glc	
s_waitcnt vmcnt(0)
	;;#ASMEND
	v_and_b32_e32 v20, 0xff, v19
	s_cmp_lt_u32 s17, 32
	s_cselect_b32 s18, -1, 0
	s_delay_alu instid0(SALU_CYCLE_1) | instskip(NEXT) | instid1(VALU_DEP_1)
	s_cmp_lg_u32 s18, 0
	v_cmp_ne_u16_e32 vcc_lo, 0, v20
	s_addc_u32 s17, s17, 0
	s_or_b32 s16, vcc_lo, s16
	s_delay_alu instid0(SALU_CYCLE_1)
	s_and_not1_b32 exec_lo, exec_lo, s16
	s_cbranch_execnz .LBB812_50
; %bb.53:
	s_or_b32 exec_lo, exec_lo, s16
.LBB812_54:
	s_delay_alu instid0(SALU_CYCLE_1)
	s_or_b32 exec_lo, exec_lo, s11
	v_cmp_ne_u32_e32 vcc_lo, 31, v42
	v_and_b32_e32 v16, 0xff, v19
	v_lshlrev_b32_e64 v46, v42, -1
	s_mov_b32 s11, exec_lo
	v_add_co_ci_u32_e32 v15, vcc_lo, 0, v42, vcc_lo
	s_delay_alu instid0(VALU_DEP_3) | instskip(NEXT) | instid1(VALU_DEP_2)
	v_cmp_eq_u16_e32 vcc_lo, 2, v16
	v_dual_mov_b32 v16, v17 :: v_dual_lshlrev_b32 v45, 2, v15
	v_and_or_b32 v15, vcc_lo, v46, 0x80000000
	ds_bpermute_b32 v26, v45, v17
	ds_bpermute_b32 v20, v45, v18
	v_ctz_i32_b32_e32 v15, v15
	s_delay_alu instid0(VALU_DEP_1)
	v_cmpx_lt_u32_e64 v42, v15
	s_cbranch_execz .LBB812_56
; %bb.55:
	s_waitcnt lgkmcnt(1)
	v_add_co_u32 v16, vcc_lo, v17, v26
	v_add_co_ci_u32_e32 v18, vcc_lo, 0, v18, vcc_lo
	s_delay_alu instid0(VALU_DEP_2) | instskip(SKIP_1) | instid1(VALU_DEP_2)
	v_add_co_u32 v17, vcc_lo, 0, v16
	s_waitcnt lgkmcnt(0)
	v_add_co_ci_u32_e32 v18, vcc_lo, v20, v18, vcc_lo
.LBB812_56:
	s_or_b32 exec_lo, exec_lo, s11
	v_cmp_gt_u32_e32 vcc_lo, 30, v42
	v_add_nc_u32_e32 v48, 2, v42
	s_mov_b32 s11, exec_lo
	s_waitcnt lgkmcnt(0)
	v_cndmask_b32_e64 v20, 0, 1, vcc_lo
	s_delay_alu instid0(VALU_DEP_1) | instskip(NEXT) | instid1(VALU_DEP_1)
	v_lshlrev_b32_e32 v20, 1, v20
	v_add_lshl_u32 v47, v20, v42, 2
	ds_bpermute_b32 v26, v47, v16
	ds_bpermute_b32 v20, v47, v18
	v_cmpx_le_u32_e64 v48, v15
	s_cbranch_execz .LBB812_58
; %bb.57:
	s_waitcnt lgkmcnt(1)
	v_add_co_u32 v16, vcc_lo, v17, v26
	v_add_co_ci_u32_e32 v18, vcc_lo, 0, v18, vcc_lo
	s_delay_alu instid0(VALU_DEP_2) | instskip(SKIP_1) | instid1(VALU_DEP_2)
	v_add_co_u32 v17, vcc_lo, 0, v16
	s_waitcnt lgkmcnt(0)
	v_add_co_ci_u32_e32 v18, vcc_lo, v20, v18, vcc_lo
.LBB812_58:
	s_or_b32 exec_lo, exec_lo, s11
	v_cmp_gt_u32_e32 vcc_lo, 28, v42
	v_add_nc_u32_e32 v50, 4, v42
	s_mov_b32 s11, exec_lo
	s_waitcnt lgkmcnt(0)
	v_cndmask_b32_e64 v20, 0, 1, vcc_lo
	s_delay_alu instid0(VALU_DEP_1) | instskip(NEXT) | instid1(VALU_DEP_1)
	v_lshlrev_b32_e32 v20, 2, v20
	v_add_lshl_u32 v49, v20, v42, 2
	ds_bpermute_b32 v26, v49, v16
	ds_bpermute_b32 v20, v49, v18
	v_cmpx_le_u32_e64 v50, v15
	s_cbranch_execz .LBB812_60
; %bb.59:
	s_waitcnt lgkmcnt(1)
	v_add_co_u32 v16, vcc_lo, v17, v26
	v_add_co_ci_u32_e32 v18, vcc_lo, 0, v18, vcc_lo
	s_delay_alu instid0(VALU_DEP_2) | instskip(SKIP_1) | instid1(VALU_DEP_2)
	v_add_co_u32 v17, vcc_lo, 0, v16
	s_waitcnt lgkmcnt(0)
	v_add_co_ci_u32_e32 v18, vcc_lo, v20, v18, vcc_lo
.LBB812_60:
	s_or_b32 exec_lo, exec_lo, s11
	v_cmp_gt_u32_e32 vcc_lo, 24, v42
	v_add_nc_u32_e32 v52, 8, v42
	s_mov_b32 s11, exec_lo
	s_waitcnt lgkmcnt(0)
	v_cndmask_b32_e64 v20, 0, 1, vcc_lo
	s_delay_alu instid0(VALU_DEP_1) | instskip(NEXT) | instid1(VALU_DEP_1)
	v_lshlrev_b32_e32 v20, 3, v20
	v_add_lshl_u32 v51, v20, v42, 2
	ds_bpermute_b32 v26, v51, v16
	ds_bpermute_b32 v20, v51, v18
	v_cmpx_le_u32_e64 v52, v15
	s_cbranch_execz .LBB812_62
; %bb.61:
	s_waitcnt lgkmcnt(1)
	v_add_co_u32 v16, vcc_lo, v17, v26
	v_add_co_ci_u32_e32 v18, vcc_lo, 0, v18, vcc_lo
	s_delay_alu instid0(VALU_DEP_2) | instskip(SKIP_1) | instid1(VALU_DEP_2)
	v_add_co_u32 v17, vcc_lo, 0, v16
	s_waitcnt lgkmcnt(0)
	v_add_co_ci_u32_e32 v18, vcc_lo, v20, v18, vcc_lo
.LBB812_62:
	s_or_b32 exec_lo, exec_lo, s11
	v_cmp_gt_u32_e32 vcc_lo, 16, v42
	v_add_nc_u32_e32 v54, 16, v42
	s_mov_b32 s11, exec_lo
	s_waitcnt lgkmcnt(0)
	v_cndmask_b32_e64 v20, 0, 1, vcc_lo
	s_delay_alu instid0(VALU_DEP_1) | instskip(NEXT) | instid1(VALU_DEP_1)
	v_lshlrev_b32_e32 v20, 4, v20
	v_add_lshl_u32 v53, v20, v42, 2
	ds_bpermute_b32 v20, v53, v16
	ds_bpermute_b32 v16, v53, v18
	v_cmpx_le_u32_e64 v54, v15
	s_cbranch_execz .LBB812_64
; %bb.63:
	s_waitcnt lgkmcnt(1)
	v_add_co_u32 v15, vcc_lo, v17, v20
	v_add_co_ci_u32_e32 v18, vcc_lo, 0, v18, vcc_lo
	s_delay_alu instid0(VALU_DEP_2) | instskip(SKIP_1) | instid1(VALU_DEP_2)
	v_add_co_u32 v17, vcc_lo, v15, 0
	s_waitcnt lgkmcnt(0)
	v_add_co_ci_u32_e32 v18, vcc_lo, v18, v16, vcc_lo
.LBB812_64:
	s_or_b32 exec_lo, exec_lo, s11
	v_mov_b32_e32 v26, 0
	s_branch .LBB812_66
.LBB812_65:                             ;   in Loop: Header=BB812_66 Depth=1
	s_or_b32 exec_lo, exec_lo, s11
	v_add_co_u32 v17, vcc_lo, v17, v15
	v_subrev_nc_u32_e32 v25, 32, v25
	v_add_co_ci_u32_e32 v18, vcc_lo, v18, v16, vcc_lo
.LBB812_66:                             ; =>This Loop Header: Depth=1
                                        ;     Child Loop BB812_69 Depth 2
                                        ;       Child Loop BB812_70 Depth 3
	v_and_b32_e32 v15, 0xff, v19
	s_delay_alu instid0(VALU_DEP_1) | instskip(SKIP_2) | instid1(VALU_DEP_1)
	v_cmp_ne_u16_e32 vcc_lo, 2, v15
	v_cndmask_b32_e64 v15, 0, 1, vcc_lo
	;;#ASMSTART
	;;#ASMEND
	v_cmp_ne_u32_e32 vcc_lo, 0, v15
	s_waitcnt lgkmcnt(0)
	v_dual_mov_b32 v15, v17 :: v_dual_mov_b32 v16, v18
	s_cmp_lg_u32 vcc_lo, exec_lo
	s_cbranch_scc1 .LBB812_83
; %bb.67:                               ;   in Loop: Header=BB812_66 Depth=1
	v_lshlrev_b64 v[17:18], 4, v[25:26]
	s_mov_b32 s11, exec_lo
	s_delay_alu instid0(VALU_DEP_1) | instskip(NEXT) | instid1(VALU_DEP_2)
	v_add_co_u32 v27, vcc_lo, s14, v17
	v_add_co_ci_u32_e32 v28, vcc_lo, s15, v18, vcc_lo
	;;#ASMSTART
	global_load_dwordx4 v[17:20], v[27:28] off glc	
s_waitcnt vmcnt(0)
	;;#ASMEND
	v_and_b32_e32 v20, 0xff, v18
	v_and_b32_e32 v55, 0xff00, v18
	v_or3_b32 v17, v17, 0, 0
	v_and_b32_e32 v56, 0xff000000, v18
	v_and_b32_e32 v18, 0xff0000, v18
	s_delay_alu instid0(VALU_DEP_4) | instskip(SKIP_2) | instid1(VALU_DEP_3)
	v_or3_b32 v20, 0, v20, v55
	v_and_b32_e32 v55, 0xff, v19
	v_or3_b32 v17, v17, 0, 0
	v_or3_b32 v18, v20, v18, v56
	s_delay_alu instid0(VALU_DEP_3)
	v_cmpx_eq_u16_e32 0, v55
	s_cbranch_execz .LBB812_73
; %bb.68:                               ;   in Loop: Header=BB812_66 Depth=1
	s_mov_b32 s17, 1
	s_mov_b32 s16, 0
	.p2align	6
.LBB812_69:                             ;   Parent Loop BB812_66 Depth=1
                                        ; =>  This Loop Header: Depth=2
                                        ;       Child Loop BB812_70 Depth 3
	s_max_u32 s18, s17, 1
.LBB812_70:                             ;   Parent Loop BB812_66 Depth=1
                                        ;     Parent Loop BB812_69 Depth=2
                                        ; =>    This Inner Loop Header: Depth=3
	s_delay_alu instid0(SALU_CYCLE_1)
	s_add_i32 s18, s18, -1
	s_sleep 1
	s_cmp_eq_u32 s18, 0
	s_cbranch_scc0 .LBB812_70
; %bb.71:                               ;   in Loop: Header=BB812_69 Depth=2
	;;#ASMSTART
	global_load_dwordx4 v[17:20], v[27:28] off glc	
s_waitcnt vmcnt(0)
	;;#ASMEND
	v_and_b32_e32 v20, 0xff, v19
	s_cmp_lt_u32 s17, 32
	s_cselect_b32 s18, -1, 0
	s_delay_alu instid0(SALU_CYCLE_1) | instskip(NEXT) | instid1(VALU_DEP_1)
	s_cmp_lg_u32 s18, 0
	v_cmp_ne_u16_e32 vcc_lo, 0, v20
	s_addc_u32 s17, s17, 0
	s_or_b32 s16, vcc_lo, s16
	s_delay_alu instid0(SALU_CYCLE_1)
	s_and_not1_b32 exec_lo, exec_lo, s16
	s_cbranch_execnz .LBB812_69
; %bb.72:                               ;   in Loop: Header=BB812_66 Depth=1
	s_or_b32 exec_lo, exec_lo, s16
.LBB812_73:                             ;   in Loop: Header=BB812_66 Depth=1
	s_delay_alu instid0(SALU_CYCLE_1)
	s_or_b32 exec_lo, exec_lo, s11
	v_dual_mov_b32 v27, v17 :: v_dual_and_b32 v20, 0xff, v19
	ds_bpermute_b32 v55, v45, v17
	ds_bpermute_b32 v28, v45, v18
	s_mov_b32 s11, exec_lo
	v_cmp_eq_u16_e32 vcc_lo, 2, v20
	v_and_or_b32 v20, vcc_lo, v46, 0x80000000
	s_delay_alu instid0(VALU_DEP_1) | instskip(NEXT) | instid1(VALU_DEP_1)
	v_ctz_i32_b32_e32 v20, v20
	v_cmpx_lt_u32_e64 v42, v20
	s_cbranch_execz .LBB812_75
; %bb.74:                               ;   in Loop: Header=BB812_66 Depth=1
	s_waitcnt lgkmcnt(1)
	v_add_co_u32 v27, vcc_lo, v17, v55
	v_add_co_ci_u32_e32 v18, vcc_lo, 0, v18, vcc_lo
	s_delay_alu instid0(VALU_DEP_2) | instskip(SKIP_1) | instid1(VALU_DEP_2)
	v_add_co_u32 v17, vcc_lo, 0, v27
	s_waitcnt lgkmcnt(0)
	v_add_co_ci_u32_e32 v18, vcc_lo, v28, v18, vcc_lo
.LBB812_75:                             ;   in Loop: Header=BB812_66 Depth=1
	s_or_b32 exec_lo, exec_lo, s11
	s_waitcnt lgkmcnt(1)
	ds_bpermute_b32 v55, v47, v27
	s_waitcnt lgkmcnt(1)
	ds_bpermute_b32 v28, v47, v18
	s_mov_b32 s11, exec_lo
	v_cmpx_le_u32_e64 v48, v20
	s_cbranch_execz .LBB812_77
; %bb.76:                               ;   in Loop: Header=BB812_66 Depth=1
	s_waitcnt lgkmcnt(1)
	v_add_co_u32 v27, vcc_lo, v17, v55
	v_add_co_ci_u32_e32 v18, vcc_lo, 0, v18, vcc_lo
	s_delay_alu instid0(VALU_DEP_2) | instskip(SKIP_1) | instid1(VALU_DEP_2)
	v_add_co_u32 v17, vcc_lo, 0, v27
	s_waitcnt lgkmcnt(0)
	v_add_co_ci_u32_e32 v18, vcc_lo, v28, v18, vcc_lo
.LBB812_77:                             ;   in Loop: Header=BB812_66 Depth=1
	s_or_b32 exec_lo, exec_lo, s11
	s_waitcnt lgkmcnt(1)
	ds_bpermute_b32 v55, v49, v27
	s_waitcnt lgkmcnt(1)
	ds_bpermute_b32 v28, v49, v18
	s_mov_b32 s11, exec_lo
	v_cmpx_le_u32_e64 v50, v20
	;; [unrolled: 17-line block ×3, first 2 shown]
	s_cbranch_execz .LBB812_81
; %bb.80:                               ;   in Loop: Header=BB812_66 Depth=1
	s_waitcnt lgkmcnt(1)
	v_add_co_u32 v27, vcc_lo, v17, v55
	v_add_co_ci_u32_e32 v18, vcc_lo, 0, v18, vcc_lo
	s_delay_alu instid0(VALU_DEP_2) | instskip(SKIP_1) | instid1(VALU_DEP_2)
	v_add_co_u32 v17, vcc_lo, 0, v27
	s_waitcnt lgkmcnt(0)
	v_add_co_ci_u32_e32 v18, vcc_lo, v28, v18, vcc_lo
.LBB812_81:                             ;   in Loop: Header=BB812_66 Depth=1
	s_or_b32 exec_lo, exec_lo, s11
	s_waitcnt lgkmcnt(0)
	ds_bpermute_b32 v28, v53, v27
	ds_bpermute_b32 v27, v53, v18
	s_mov_b32 s11, exec_lo
	v_cmpx_le_u32_e64 v54, v20
	s_cbranch_execz .LBB812_65
; %bb.82:                               ;   in Loop: Header=BB812_66 Depth=1
	s_waitcnt lgkmcnt(1)
	v_add_co_u32 v17, vcc_lo, v17, v28
	v_add_co_ci_u32_e32 v18, vcc_lo, 0, v18, vcc_lo
	s_delay_alu instid0(VALU_DEP_2) | instskip(SKIP_1) | instid1(VALU_DEP_2)
	v_add_co_u32 v17, vcc_lo, v17, 0
	s_waitcnt lgkmcnt(0)
	v_add_co_ci_u32_e32 v18, vcc_lo, v18, v27, vcc_lo
	s_branch .LBB812_65
.LBB812_83:                             ;   in Loop: Header=BB812_66 Depth=1
                                        ; implicit-def: $vgpr17_vgpr18
	s_cbranch_execz .LBB812_66
; %bb.84:
	s_and_saveexec_b32 s11, s1
	s_cbranch_execz .LBB812_86
; %bb.85:
	s_add_i32 s16, s9, 32
	s_mov_b32 s17, 0
	v_add_co_u32 v17, vcc_lo, v15, v13
	s_lshl_b64 s[16:17], s[16:17], 4
	v_dual_mov_b32 v19, 2 :: v_dual_mov_b32 v20, 0
	s_add_u32 s16, s14, s16
	s_addc_u32 s17, s15, s17
	v_add_co_ci_u32_e32 v18, vcc_lo, v16, v14, vcc_lo
	v_dual_mov_b32 v26, s17 :: v_dual_mov_b32 v25, s16
	;;#ASMSTART
	global_store_dwordx4 v[25:26], v[17:20] off	
s_waitcnt vmcnt(0)
	;;#ASMEND
	ds_store_b128 v20, v[13:16] offset:6144
.LBB812_86:
	s_or_b32 exec_lo, exec_lo, s11
	s_delay_alu instid0(SALU_CYCLE_1)
	s_and_b32 exec_lo, exec_lo, s2
	s_cbranch_execz .LBB812_88
; %bb.87:
	v_mov_b32_e32 v13, 0
	ds_store_b64 v13, v[15:16] offset:24
.LBB812_88:
	s_or_b32 exec_lo, exec_lo, s10
	v_mov_b32_e32 v15, 0
	s_waitcnt lgkmcnt(0)
	s_barrier
	buffer_gl0_inv
	v_cndmask_b32_e64 v16, v29, v23, s1
	ds_load_b64 v[13:14], v15 offset:24
	v_cndmask_b32_e64 v17, v30, v24, s1
	s_waitcnt lgkmcnt(0)
	s_barrier
	v_cndmask_b32_e64 v16, v16, 0, s2
	buffer_gl0_inv
	v_cndmask_b32_e64 v17, v17, 0, s2
	v_add_co_u32 v29, vcc_lo, v13, v16
	s_delay_alu instid0(VALU_DEP_2) | instskip(SKIP_3) | instid1(VALU_DEP_2)
	v_add_co_ci_u32_e32 v30, vcc_lo, v14, v17, vcc_lo
	ds_load_b128 v[13:16], v15 offset:6144
	v_add_co_u32 v27, vcc_lo, v29, v41
	v_add_co_ci_u32_e32 v28, vcc_lo, 0, v30, vcc_lo
	v_add_co_u32 v25, vcc_lo, v27, v40
	s_delay_alu instid0(VALU_DEP_2) | instskip(NEXT) | instid1(VALU_DEP_2)
	v_add_co_ci_u32_e32 v26, vcc_lo, 0, v28, vcc_lo
	v_add_co_u32 v23, vcc_lo, v25, v39
	s_delay_alu instid0(VALU_DEP_2) | instskip(NEXT) | instid1(VALU_DEP_2)
	;; [unrolled: 3-line block ×3, first 2 shown]
	v_add_co_ci_u32_e32 v20, vcc_lo, 0, v24, vcc_lo
	v_add_co_u32 v17, vcc_lo, v19, v37
	s_delay_alu instid0(VALU_DEP_2)
	v_add_co_ci_u32_e32 v18, vcc_lo, 0, v20, vcc_lo
.LBB812_89:
	s_waitcnt lgkmcnt(0)
	v_cmp_gt_u64_e32 vcc_lo, 0x81, v[13:14]
	s_mov_b32 s0, -1
	s_cbranch_vccnz .LBB812_117
.LBB812_90:
	s_and_b32 vcc_lo, exec_lo, s0
	s_cbranch_vccnz .LBB812_136
.LBB812_91:
	s_and_b32 s0, s2, s3
	s_delay_alu instid0(SALU_CYCLE_1)
	s_and_saveexec_b32 s1, s0
	s_cbranch_execnz .LBB812_152
.LBB812_92:
	s_nop 0
	s_sendmsg sendmsg(MSG_DEALLOC_VGPRS)
	s_endpgm
.LBB812_93:
                                        ; kill: def $vgpr13_vgpr14 killed $sgpr0_sgpr1 killed $exec
                                        ; implicit-def: $vgpr17_vgpr18
                                        ; implicit-def: $vgpr19_vgpr20
                                        ; implicit-def: $vgpr23_vgpr24
                                        ; implicit-def: $vgpr25_vgpr26
                                        ; implicit-def: $vgpr27_vgpr28
                                        ; implicit-def: $vgpr29_vgpr30
                                        ; implicit-def: $vgpr15_vgpr16
	s_and_b32 vcc_lo, exec_lo, s1
	s_cbranch_vccz .LBB812_89
; %bb.94:
	s_waitcnt lgkmcnt(0)
	v_dual_mov_b32 v14, 0 :: v_dual_mov_b32 v15, v21
	v_mov_b32_dpp v16, v21 row_shr:1 row_mask:0xf bank_mask:0xf
	s_delay_alu instid0(VALU_DEP_2)
	v_mov_b32_dpp v13, v14 row_shr:1 row_mask:0xf bank_mask:0xf
	s_and_saveexec_b32 s1, s0
; %bb.95:
	s_delay_alu instid0(VALU_DEP_2) | instskip(SKIP_1) | instid1(VALU_DEP_2)
	v_add_co_u32 v15, vcc_lo, v21, v16
	v_add_co_ci_u32_e32 v14, vcc_lo, 0, v22, vcc_lo
	v_add_co_u32 v21, vcc_lo, 0, v15
	s_delay_alu instid0(VALU_DEP_2) | instskip(NEXT) | instid1(VALU_DEP_1)
	v_add_co_ci_u32_e32 v22, vcc_lo, v13, v14, vcc_lo
	v_mov_b32_e32 v14, v22
; %bb.96:
	s_or_b32 exec_lo, exec_lo, s1
	v_mov_b32_dpp v13, v15 row_shr:2 row_mask:0xf bank_mask:0xf
	s_delay_alu instid0(VALU_DEP_2)
	v_mov_b32_dpp v16, v14 row_shr:2 row_mask:0xf bank_mask:0xf
	s_mov_b32 s0, exec_lo
	v_cmpx_lt_u32_e32 1, v44
; %bb.97:
	s_delay_alu instid0(VALU_DEP_3) | instskip(SKIP_1) | instid1(VALU_DEP_2)
	v_add_co_u32 v15, vcc_lo, v21, v13
	v_add_co_ci_u32_e32 v14, vcc_lo, 0, v22, vcc_lo
	v_add_co_u32 v13, vcc_lo, 0, v15
	s_delay_alu instid0(VALU_DEP_2) | instskip(NEXT) | instid1(VALU_DEP_1)
	v_add_co_ci_u32_e32 v14, vcc_lo, v16, v14, vcc_lo
	v_dual_mov_b32 v22, v14 :: v_dual_mov_b32 v21, v13
; %bb.98:
	s_or_b32 exec_lo, exec_lo, s0
	v_mov_b32_dpp v13, v15 row_shr:4 row_mask:0xf bank_mask:0xf
	v_mov_b32_dpp v16, v14 row_shr:4 row_mask:0xf bank_mask:0xf
	s_mov_b32 s0, exec_lo
	v_cmpx_lt_u32_e32 3, v44
; %bb.99:
	s_delay_alu instid0(VALU_DEP_3) | instskip(SKIP_1) | instid1(VALU_DEP_2)
	v_add_co_u32 v15, vcc_lo, v21, v13
	v_add_co_ci_u32_e32 v14, vcc_lo, 0, v22, vcc_lo
	v_add_co_u32 v13, vcc_lo, 0, v15
	s_delay_alu instid0(VALU_DEP_2) | instskip(NEXT) | instid1(VALU_DEP_1)
	v_add_co_ci_u32_e32 v14, vcc_lo, v16, v14, vcc_lo
	v_dual_mov_b32 v22, v14 :: v_dual_mov_b32 v21, v13
; %bb.100:
	s_or_b32 exec_lo, exec_lo, s0
	v_mov_b32_dpp v16, v15 row_shr:8 row_mask:0xf bank_mask:0xf
	v_mov_b32_dpp v13, v14 row_shr:8 row_mask:0xf bank_mask:0xf
	s_mov_b32 s0, exec_lo
	v_cmpx_lt_u32_e32 7, v44
; %bb.101:
	s_delay_alu instid0(VALU_DEP_3) | instskip(SKIP_1) | instid1(VALU_DEP_2)
	v_add_co_u32 v15, vcc_lo, v21, v16
	v_add_co_ci_u32_e32 v14, vcc_lo, 0, v22, vcc_lo
	v_add_co_u32 v21, vcc_lo, 0, v15
	s_delay_alu instid0(VALU_DEP_2) | instskip(NEXT) | instid1(VALU_DEP_1)
	v_add_co_ci_u32_e32 v22, vcc_lo, v13, v14, vcc_lo
	v_mov_b32_e32 v14, v22
; %bb.102:
	s_or_b32 exec_lo, exec_lo, s0
	ds_swizzle_b32 v15, v15 offset:swizzle(BROADCAST,32,15)
	ds_swizzle_b32 v13, v14 offset:swizzle(BROADCAST,32,15)
	v_and_b32_e32 v14, 16, v42
	s_mov_b32 s0, exec_lo
	s_delay_alu instid0(VALU_DEP_1)
	v_cmpx_ne_u32_e32 0, v14
	s_cbranch_execz .LBB812_104
; %bb.103:
	s_waitcnt lgkmcnt(1)
	v_add_co_u32 v14, vcc_lo, v21, v15
	v_add_co_ci_u32_e32 v15, vcc_lo, 0, v22, vcc_lo
	s_delay_alu instid0(VALU_DEP_2) | instskip(SKIP_1) | instid1(VALU_DEP_2)
	v_add_co_u32 v21, vcc_lo, v14, 0
	s_waitcnt lgkmcnt(0)
	v_add_co_ci_u32_e32 v22, vcc_lo, v15, v13, vcc_lo
.LBB812_104:
	s_or_b32 exec_lo, exec_lo, s0
	s_waitcnt lgkmcnt(0)
	v_or_b32_e32 v13, 31, v0
	v_lshrrev_b32_e32 v15, 5, v0
	s_mov_b32 s0, exec_lo
	s_delay_alu instid0(VALU_DEP_2)
	v_cmpx_eq_u32_e64 v13, v0
	s_cbranch_execz .LBB812_106
; %bb.105:
	s_delay_alu instid0(VALU_DEP_2)
	v_lshlrev_b32_e32 v13, 3, v15
	ds_store_b64 v13, v[21:22]
.LBB812_106:
	s_or_b32 exec_lo, exec_lo, s0
	s_delay_alu instid0(SALU_CYCLE_1)
	s_mov_b32 s0, exec_lo
	s_waitcnt lgkmcnt(0)
	s_barrier
	buffer_gl0_inv
	v_cmpx_gt_u32_e32 4, v0
	s_cbranch_execz .LBB812_112
; %bb.107:
	v_lshlrev_b32_e32 v13, 1, v0
	s_mov_b32 s1, exec_lo
	s_delay_alu instid0(VALU_DEP_1)
	v_add_nc_u32_e32 v16, v43, v13
	ds_load_b64 v[13:14], v16
	s_waitcnt lgkmcnt(0)
	v_dual_mov_b32 v18, v13 :: v_dual_and_b32 v17, 3, v42
	v_mov_b32_dpp v20, v13 row_shr:1 row_mask:0xf bank_mask:0xf
	v_mov_b32_dpp v19, v14 row_shr:1 row_mask:0xf bank_mask:0xf
	s_delay_alu instid0(VALU_DEP_3)
	v_cmpx_ne_u32_e32 0, v17
; %bb.108:
	s_delay_alu instid0(VALU_DEP_3) | instskip(SKIP_1) | instid1(VALU_DEP_2)
	v_add_co_u32 v18, vcc_lo, v13, v20
	v_add_co_ci_u32_e32 v14, vcc_lo, 0, v14, vcc_lo
	v_add_co_u32 v13, vcc_lo, 0, v18
	s_delay_alu instid0(VALU_DEP_2)
	v_add_co_ci_u32_e32 v14, vcc_lo, v19, v14, vcc_lo
; %bb.109:
	s_or_b32 exec_lo, exec_lo, s1
	v_mov_b32_dpp v19, v18 row_shr:2 row_mask:0xf bank_mask:0xf
	s_delay_alu instid0(VALU_DEP_2)
	v_mov_b32_dpp v18, v14 row_shr:2 row_mask:0xf bank_mask:0xf
	s_mov_b32 s1, exec_lo
	v_cmpx_lt_u32_e32 1, v17
; %bb.110:
	s_delay_alu instid0(VALU_DEP_3) | instskip(SKIP_1) | instid1(VALU_DEP_2)
	v_add_co_u32 v13, vcc_lo, v13, v19
	v_add_co_ci_u32_e32 v14, vcc_lo, 0, v14, vcc_lo
	v_add_co_u32 v13, vcc_lo, v13, 0
	s_delay_alu instid0(VALU_DEP_2)
	v_add_co_ci_u32_e32 v14, vcc_lo, v14, v18, vcc_lo
; %bb.111:
	s_or_b32 exec_lo, exec_lo, s1
	ds_store_b64 v16, v[13:14]
.LBB812_112:
	s_or_b32 exec_lo, exec_lo, s0
	v_mov_b32_e32 v17, 0
	v_mov_b32_e32 v18, 0
	s_mov_b32 s0, exec_lo
	s_waitcnt lgkmcnt(0)
	s_barrier
	buffer_gl0_inv
	v_cmpx_lt_u32_e32 31, v0
	s_cbranch_execz .LBB812_114
; %bb.113:
	v_lshl_add_u32 v13, v15, 3, -8
	ds_load_b64 v[17:18], v13
.LBB812_114:
	s_or_b32 exec_lo, exec_lo, s0
	v_dual_mov_b32 v16, 0 :: v_dual_add_nc_u32 v13, -1, v42
	s_delay_alu instid0(VALU_DEP_1) | instskip(SKIP_4) | instid1(VALU_DEP_3)
	v_cmp_gt_i32_e32 vcc_lo, 0, v13
	v_cndmask_b32_e32 v13, v13, v42, vcc_lo
	s_waitcnt lgkmcnt(0)
	v_add_co_u32 v14, vcc_lo, v17, v21
	v_add_co_ci_u32_e32 v15, vcc_lo, v18, v22, vcc_lo
	v_lshlrev_b32_e32 v13, 2, v13
	ds_bpermute_b32 v19, v13, v14
	ds_bpermute_b32 v20, v13, v15
	ds_load_b64 v[13:14], v16 offset:24
	s_and_saveexec_b32 s0, s2
	s_cbranch_execz .LBB812_116
; %bb.115:
	s_add_u32 s10, s14, 0x200
	s_addc_u32 s11, s15, 0
	s_delay_alu instid0(SALU_CYCLE_1)
	v_dual_mov_b32 v15, 2 :: v_dual_mov_b32 v22, s11
	v_mov_b32_e32 v21, s10
	s_waitcnt lgkmcnt(0)
	;;#ASMSTART
	global_store_dwordx4 v[21:22], v[13:16] off	
s_waitcnt vmcnt(0)
	;;#ASMEND
.LBB812_116:
	s_or_b32 exec_lo, exec_lo, s0
	v_cmp_eq_u32_e32 vcc_lo, 0, v42
	s_waitcnt lgkmcnt(0)
	s_barrier
	buffer_gl0_inv
	v_dual_cndmask_b32 v15, v19, v17 :: v_dual_cndmask_b32 v16, v20, v18
	s_delay_alu instid0(VALU_DEP_1) | instskip(NEXT) | instid1(VALU_DEP_2)
	v_cndmask_b32_e64 v29, v15, 0, s2
	v_cndmask_b32_e64 v30, v16, 0, s2
	v_mov_b32_e32 v15, 0
	v_mov_b32_e32 v16, 0
	s_delay_alu instid0(VALU_DEP_4) | instskip(NEXT) | instid1(VALU_DEP_4)
	v_add_co_u32 v27, vcc_lo, v29, v41
	v_add_co_ci_u32_e32 v28, vcc_lo, 0, v30, vcc_lo
	s_delay_alu instid0(VALU_DEP_2) | instskip(NEXT) | instid1(VALU_DEP_2)
	v_add_co_u32 v25, vcc_lo, v27, v40
	v_add_co_ci_u32_e32 v26, vcc_lo, 0, v28, vcc_lo
	s_delay_alu instid0(VALU_DEP_2) | instskip(NEXT) | instid1(VALU_DEP_2)
	;; [unrolled: 3-line block ×4, first 2 shown]
	v_add_co_u32 v17, vcc_lo, v19, v37
	v_add_co_ci_u32_e32 v18, vcc_lo, 0, v20, vcc_lo
	v_cmp_gt_u64_e32 vcc_lo, 0x81, v[13:14]
	s_mov_b32 s0, -1
	s_cbranch_vccz .LBB812_90
.LBB812_117:
	v_add_co_u32 v21, vcc_lo, v15, v13
	v_add_co_ci_u32_e32 v22, vcc_lo, v16, v14, vcc_lo
	s_delay_alu instid0(VALU_DEP_1) | instskip(SKIP_1) | instid1(SALU_CYCLE_1)
	v_cmp_lt_u64_e32 vcc_lo, v[29:30], v[21:22]
	s_or_b32 s1, s8, vcc_lo
	s_and_saveexec_b32 s0, s1
	s_cbranch_execz .LBB812_120
; %bb.118:
	v_and_b32_e32 v37, 1, v36
	s_delay_alu instid0(VALU_DEP_1)
	v_cmp_eq_u32_e32 vcc_lo, 1, v37
	s_and_b32 exec_lo, exec_lo, vcc_lo
	s_cbranch_execz .LBB812_120
; %bb.119:
	v_lshlrev_b64 v[37:38], 3, v[29:30]
	s_lshl_b64 s[10:11], s[6:7], 3
	s_delay_alu instid0(SALU_CYCLE_1) | instskip(SKIP_1) | instid1(VALU_DEP_1)
	s_add_u32 s1, s12, s10
	s_addc_u32 s9, s13, s11
	v_add_co_u32 v37, vcc_lo, s1, v37
	s_delay_alu instid0(VALU_DEP_2)
	v_add_co_ci_u32_e32 v38, vcc_lo, s9, v38, vcc_lo
	global_store_b64 v[37:38], v[9:10], off
.LBB812_120:
	s_or_b32 exec_lo, exec_lo, s0
	v_cmp_lt_u64_e32 vcc_lo, v[27:28], v[21:22]
	s_or_b32 s1, s8, vcc_lo
	s_delay_alu instid0(SALU_CYCLE_1)
	s_and_saveexec_b32 s0, s1
	s_cbranch_execz .LBB812_123
; %bb.121:
	v_and_b32_e32 v30, 1, v34
	s_delay_alu instid0(VALU_DEP_1)
	v_cmp_eq_u32_e32 vcc_lo, 1, v30
	s_and_b32 exec_lo, exec_lo, vcc_lo
	s_cbranch_execz .LBB812_123
; %bb.122:
	v_lshlrev_b64 v[37:38], 3, v[27:28]
	s_lshl_b64 s[10:11], s[6:7], 3
	s_delay_alu instid0(SALU_CYCLE_1) | instskip(SKIP_1) | instid1(VALU_DEP_1)
	s_add_u32 s1, s12, s10
	s_addc_u32 s9, s13, s11
	v_add_co_u32 v37, vcc_lo, s1, v37
	s_delay_alu instid0(VALU_DEP_2)
	v_add_co_ci_u32_e32 v38, vcc_lo, s9, v38, vcc_lo
	global_store_b64 v[37:38], v[11:12], off
.LBB812_123:
	s_or_b32 exec_lo, exec_lo, s0
	v_cmp_lt_u64_e32 vcc_lo, v[25:26], v[21:22]
	s_or_b32 s1, s8, vcc_lo
	s_delay_alu instid0(SALU_CYCLE_1)
	s_and_saveexec_b32 s0, s1
	s_cbranch_execz .LBB812_126
; %bb.124:
	v_and_b32_e32 v28, 1, v33
	s_delay_alu instid0(VALU_DEP_1)
	v_cmp_eq_u32_e32 vcc_lo, 1, v28
	s_and_b32 exec_lo, exec_lo, vcc_lo
	s_cbranch_execz .LBB812_126
; %bb.125:
	v_lshlrev_b64 v[37:38], 3, v[25:26]
	s_lshl_b64 s[10:11], s[6:7], 3
	s_delay_alu instid0(SALU_CYCLE_1) | instskip(SKIP_1) | instid1(VALU_DEP_1)
	s_add_u32 s1, s12, s10
	s_addc_u32 s9, s13, s11
	v_add_co_u32 v37, vcc_lo, s1, v37
	s_delay_alu instid0(VALU_DEP_2)
	v_add_co_ci_u32_e32 v38, vcc_lo, s9, v38, vcc_lo
	global_store_b64 v[37:38], v[5:6], off
.LBB812_126:
	s_or_b32 exec_lo, exec_lo, s0
	v_cmp_lt_u64_e32 vcc_lo, v[23:24], v[21:22]
	s_or_b32 s1, s8, vcc_lo
	s_delay_alu instid0(SALU_CYCLE_1)
	s_and_saveexec_b32 s0, s1
	s_cbranch_execz .LBB812_129
; %bb.127:
	v_and_b32_e32 v26, 1, v35
	s_delay_alu instid0(VALU_DEP_1)
	v_cmp_eq_u32_e32 vcc_lo, 1, v26
	s_and_b32 exec_lo, exec_lo, vcc_lo
	s_cbranch_execz .LBB812_129
; %bb.128:
	v_lshlrev_b64 v[37:38], 3, v[23:24]
	s_lshl_b64 s[10:11], s[6:7], 3
	s_delay_alu instid0(SALU_CYCLE_1) | instskip(SKIP_1) | instid1(VALU_DEP_1)
	s_add_u32 s1, s12, s10
	s_addc_u32 s9, s13, s11
	v_add_co_u32 v37, vcc_lo, s1, v37
	s_delay_alu instid0(VALU_DEP_2)
	v_add_co_ci_u32_e32 v38, vcc_lo, s9, v38, vcc_lo
	global_store_b64 v[37:38], v[7:8], off
.LBB812_129:
	s_or_b32 exec_lo, exec_lo, s0
	v_cmp_lt_u64_e32 vcc_lo, v[19:20], v[21:22]
	s_or_b32 s1, s8, vcc_lo
	s_delay_alu instid0(SALU_CYCLE_1)
	s_and_saveexec_b32 s0, s1
	s_cbranch_execz .LBB812_132
; %bb.130:
	v_and_b32_e32 v24, 1, v31
	s_delay_alu instid0(VALU_DEP_1)
	v_cmp_eq_u32_e32 vcc_lo, 1, v24
	s_and_b32 exec_lo, exec_lo, vcc_lo
	s_cbranch_execz .LBB812_132
; %bb.131:
	v_lshlrev_b64 v[37:38], 3, v[19:20]
	s_lshl_b64 s[10:11], s[6:7], 3
	s_delay_alu instid0(SALU_CYCLE_1) | instskip(SKIP_1) | instid1(VALU_DEP_1)
	s_add_u32 s1, s12, s10
	s_addc_u32 s9, s13, s11
	v_add_co_u32 v37, vcc_lo, s1, v37
	s_delay_alu instid0(VALU_DEP_2)
	v_add_co_ci_u32_e32 v38, vcc_lo, s9, v38, vcc_lo
	global_store_b64 v[37:38], v[1:2], off
.LBB812_132:
	s_or_b32 exec_lo, exec_lo, s0
	v_cmp_lt_u64_e32 vcc_lo, v[17:18], v[21:22]
	s_or_b32 s1, s8, vcc_lo
	s_delay_alu instid0(SALU_CYCLE_1)
	s_and_saveexec_b32 s0, s1
	s_cbranch_execz .LBB812_135
; %bb.133:
	v_and_b32_e32 v20, 1, v32
	s_delay_alu instid0(VALU_DEP_1)
	v_cmp_eq_u32_e32 vcc_lo, 1, v20
	s_and_b32 exec_lo, exec_lo, vcc_lo
	s_cbranch_execz .LBB812_135
; %bb.134:
	v_lshlrev_b64 v[20:21], 3, v[17:18]
	s_lshl_b64 s[8:9], s[6:7], 3
	s_delay_alu instid0(SALU_CYCLE_1) | instskip(SKIP_1) | instid1(VALU_DEP_1)
	s_add_u32 s1, s12, s8
	s_addc_u32 s8, s13, s9
	v_add_co_u32 v20, vcc_lo, s1, v20
	s_delay_alu instid0(VALU_DEP_2)
	v_add_co_ci_u32_e32 v21, vcc_lo, s8, v21, vcc_lo
	global_store_b64 v[20:21], v[3:4], off
.LBB812_135:
	s_or_b32 exec_lo, exec_lo, s0
	s_branch .LBB812_91
.LBB812_136:
	v_and_b32_e32 v18, 1, v36
	s_mov_b32 s0, exec_lo
	s_delay_alu instid0(VALU_DEP_1)
	v_cmpx_eq_u32_e32 1, v18
	s_cbranch_execz .LBB812_138
; %bb.137:
	v_sub_nc_u32_e32 v18, v29, v15
	s_delay_alu instid0(VALU_DEP_1)
	v_lshlrev_b32_e32 v18, 3, v18
	ds_store_b64 v18, v[9:10]
.LBB812_138:
	s_or_b32 exec_lo, exec_lo, s0
	v_and_b32_e32 v9, 1, v34
	s_mov_b32 s0, exec_lo
	s_delay_alu instid0(VALU_DEP_1)
	v_cmpx_eq_u32_e32 1, v9
	s_cbranch_execz .LBB812_140
; %bb.139:
	v_sub_nc_u32_e32 v9, v27, v15
	s_delay_alu instid0(VALU_DEP_1)
	v_lshlrev_b32_e32 v9, 3, v9
	ds_store_b64 v9, v[11:12]
.LBB812_140:
	s_or_b32 exec_lo, exec_lo, s0
	;; [unrolled: 12-line block ×6, first 2 shown]
	v_mov_b32_e32 v1, 0
	s_mov_b32 s1, exec_lo
	s_waitcnt lgkmcnt(0)
	s_waitcnt_vscnt null, 0x0
	s_barrier
	buffer_gl0_inv
	v_cmpx_gt_u64_e64 v[13:14], v[0:1]
	s_cbranch_execz .LBB812_151
; %bb.149:
	v_lshlrev_b64 v[4:5], 3, v[15:16]
	s_lshl_b64 s[8:9], s[6:7], 3
	v_dual_mov_b32 v3, v1 :: v_dual_mov_b32 v2, v0
	v_or_b32_e32 v0, 0x80, v0
	s_delay_alu instid0(VALU_DEP_3) | instskip(NEXT) | instid1(VALU_DEP_4)
	v_add_co_u32 v4, vcc_lo, s12, v4
	v_add_co_ci_u32_e32 v5, vcc_lo, s13, v5, vcc_lo
	s_delay_alu instid0(VALU_DEP_2) | instskip(NEXT) | instid1(VALU_DEP_2)
	v_add_co_u32 v4, vcc_lo, v4, s8
	v_add_co_ci_u32_e32 v5, vcc_lo, s9, v5, vcc_lo
	s_mov_b32 s8, 0
	.p2align	6
.LBB812_150:                            ; =>This Inner Loop Header: Depth=1
	v_lshlrev_b32_e32 v6, 3, v2
	v_lshlrev_b64 v[8:9], 3, v[2:3]
	v_mov_b32_e32 v3, v1
	v_cmp_le_u64_e32 vcc_lo, v[13:14], v[0:1]
	v_mov_b32_e32 v2, v0
	ds_load_b64 v[6:7], v6
	v_add_nc_u32_e32 v0, 0x80, v0
	v_add_co_u32 v8, s0, v4, v8
	s_delay_alu instid0(VALU_DEP_1)
	v_add_co_ci_u32_e64 v9, s0, v5, v9, s0
	s_or_b32 s8, vcc_lo, s8
	s_waitcnt lgkmcnt(0)
	global_store_b64 v[8:9], v[6:7], off
	s_and_not1_b32 exec_lo, exec_lo, s8
	s_cbranch_execnz .LBB812_150
.LBB812_151:
	s_or_b32 exec_lo, exec_lo, s1
	s_and_b32 s0, s2, s3
	s_delay_alu instid0(SALU_CYCLE_1)
	s_and_saveexec_b32 s1, s0
	s_cbranch_execz .LBB812_92
.LBB812_152:
	v_add_co_u32 v0, vcc_lo, v15, v13
	v_add_co_ci_u32_e32 v1, vcc_lo, v16, v14, vcc_lo
	v_mov_b32_e32 v2, 0
	s_delay_alu instid0(VALU_DEP_3) | instskip(NEXT) | instid1(VALU_DEP_3)
	v_add_co_u32 v0, vcc_lo, v0, s6
	v_add_co_ci_u32_e32 v1, vcc_lo, s7, v1, vcc_lo
	global_store_b64 v2, v[0:1], s[4:5]
	s_nop 0
	s_sendmsg sendmsg(MSG_DEALLOC_VGPRS)
	s_endpgm
	.section	.rodata,"a",@progbits
	.p2align	6, 0x0
	.amdhsa_kernel _ZN7rocprim17ROCPRIM_400000_NS6detail17trampoline_kernelINS0_14default_configENS1_25partition_config_selectorILNS1_17partition_subalgoE5ElNS0_10empty_typeEbEEZZNS1_14partition_implILS5_5ELb0ES3_mN6hipcub16HIPCUB_304000_NS21CountingInputIteratorIllEEPS6_NSA_22TransformInputIteratorIbN2at6native12_GLOBAL__N_19NonZeroOpIN3c108BFloat16EEEPKSK_lEENS0_5tupleIJPlS6_EEENSP_IJSD_SD_EEES6_PiJS6_EEE10hipError_tPvRmT3_T4_T5_T6_T7_T9_mT8_P12ihipStream_tbDpT10_ENKUlT_T0_E_clISt17integral_constantIbLb1EES1D_EEDaS18_S19_EUlS18_E_NS1_11comp_targetILNS1_3genE9ELNS1_11target_archE1100ELNS1_3gpuE3ELNS1_3repE0EEENS1_30default_config_static_selectorELNS0_4arch9wavefront6targetE0EEEvT1_
		.amdhsa_group_segment_fixed_size 6160
		.amdhsa_private_segment_fixed_size 0
		.amdhsa_kernarg_size 136
		.amdhsa_user_sgpr_count 15
		.amdhsa_user_sgpr_dispatch_ptr 0
		.amdhsa_user_sgpr_queue_ptr 0
		.amdhsa_user_sgpr_kernarg_segment_ptr 1
		.amdhsa_user_sgpr_dispatch_id 0
		.amdhsa_user_sgpr_private_segment_size 0
		.amdhsa_wavefront_size32 1
		.amdhsa_uses_dynamic_stack 0
		.amdhsa_enable_private_segment 0
		.amdhsa_system_sgpr_workgroup_id_x 1
		.amdhsa_system_sgpr_workgroup_id_y 0
		.amdhsa_system_sgpr_workgroup_id_z 0
		.amdhsa_system_sgpr_workgroup_info 0
		.amdhsa_system_vgpr_workitem_id 0
		.amdhsa_next_free_vgpr 57
		.amdhsa_next_free_sgpr 24
		.amdhsa_reserve_vcc 1
		.amdhsa_float_round_mode_32 0
		.amdhsa_float_round_mode_16_64 0
		.amdhsa_float_denorm_mode_32 3
		.amdhsa_float_denorm_mode_16_64 3
		.amdhsa_dx10_clamp 1
		.amdhsa_ieee_mode 1
		.amdhsa_fp16_overflow 0
		.amdhsa_workgroup_processor_mode 1
		.amdhsa_memory_ordered 1
		.amdhsa_forward_progress 0
		.amdhsa_shared_vgpr_count 0
		.amdhsa_exception_fp_ieee_invalid_op 0
		.amdhsa_exception_fp_denorm_src 0
		.amdhsa_exception_fp_ieee_div_zero 0
		.amdhsa_exception_fp_ieee_overflow 0
		.amdhsa_exception_fp_ieee_underflow 0
		.amdhsa_exception_fp_ieee_inexact 0
		.amdhsa_exception_int_div_zero 0
	.end_amdhsa_kernel
	.section	.text._ZN7rocprim17ROCPRIM_400000_NS6detail17trampoline_kernelINS0_14default_configENS1_25partition_config_selectorILNS1_17partition_subalgoE5ElNS0_10empty_typeEbEEZZNS1_14partition_implILS5_5ELb0ES3_mN6hipcub16HIPCUB_304000_NS21CountingInputIteratorIllEEPS6_NSA_22TransformInputIteratorIbN2at6native12_GLOBAL__N_19NonZeroOpIN3c108BFloat16EEEPKSK_lEENS0_5tupleIJPlS6_EEENSP_IJSD_SD_EEES6_PiJS6_EEE10hipError_tPvRmT3_T4_T5_T6_T7_T9_mT8_P12ihipStream_tbDpT10_ENKUlT_T0_E_clISt17integral_constantIbLb1EES1D_EEDaS18_S19_EUlS18_E_NS1_11comp_targetILNS1_3genE9ELNS1_11target_archE1100ELNS1_3gpuE3ELNS1_3repE0EEENS1_30default_config_static_selectorELNS0_4arch9wavefront6targetE0EEEvT1_,"axG",@progbits,_ZN7rocprim17ROCPRIM_400000_NS6detail17trampoline_kernelINS0_14default_configENS1_25partition_config_selectorILNS1_17partition_subalgoE5ElNS0_10empty_typeEbEEZZNS1_14partition_implILS5_5ELb0ES3_mN6hipcub16HIPCUB_304000_NS21CountingInputIteratorIllEEPS6_NSA_22TransformInputIteratorIbN2at6native12_GLOBAL__N_19NonZeroOpIN3c108BFloat16EEEPKSK_lEENS0_5tupleIJPlS6_EEENSP_IJSD_SD_EEES6_PiJS6_EEE10hipError_tPvRmT3_T4_T5_T6_T7_T9_mT8_P12ihipStream_tbDpT10_ENKUlT_T0_E_clISt17integral_constantIbLb1EES1D_EEDaS18_S19_EUlS18_E_NS1_11comp_targetILNS1_3genE9ELNS1_11target_archE1100ELNS1_3gpuE3ELNS1_3repE0EEENS1_30default_config_static_selectorELNS0_4arch9wavefront6targetE0EEEvT1_,comdat
.Lfunc_end812:
	.size	_ZN7rocprim17ROCPRIM_400000_NS6detail17trampoline_kernelINS0_14default_configENS1_25partition_config_selectorILNS1_17partition_subalgoE5ElNS0_10empty_typeEbEEZZNS1_14partition_implILS5_5ELb0ES3_mN6hipcub16HIPCUB_304000_NS21CountingInputIteratorIllEEPS6_NSA_22TransformInputIteratorIbN2at6native12_GLOBAL__N_19NonZeroOpIN3c108BFloat16EEEPKSK_lEENS0_5tupleIJPlS6_EEENSP_IJSD_SD_EEES6_PiJS6_EEE10hipError_tPvRmT3_T4_T5_T6_T7_T9_mT8_P12ihipStream_tbDpT10_ENKUlT_T0_E_clISt17integral_constantIbLb1EES1D_EEDaS18_S19_EUlS18_E_NS1_11comp_targetILNS1_3genE9ELNS1_11target_archE1100ELNS1_3gpuE3ELNS1_3repE0EEENS1_30default_config_static_selectorELNS0_4arch9wavefront6targetE0EEEvT1_, .Lfunc_end812-_ZN7rocprim17ROCPRIM_400000_NS6detail17trampoline_kernelINS0_14default_configENS1_25partition_config_selectorILNS1_17partition_subalgoE5ElNS0_10empty_typeEbEEZZNS1_14partition_implILS5_5ELb0ES3_mN6hipcub16HIPCUB_304000_NS21CountingInputIteratorIllEEPS6_NSA_22TransformInputIteratorIbN2at6native12_GLOBAL__N_19NonZeroOpIN3c108BFloat16EEEPKSK_lEENS0_5tupleIJPlS6_EEENSP_IJSD_SD_EEES6_PiJS6_EEE10hipError_tPvRmT3_T4_T5_T6_T7_T9_mT8_P12ihipStream_tbDpT10_ENKUlT_T0_E_clISt17integral_constantIbLb1EES1D_EEDaS18_S19_EUlS18_E_NS1_11comp_targetILNS1_3genE9ELNS1_11target_archE1100ELNS1_3gpuE3ELNS1_3repE0EEENS1_30default_config_static_selectorELNS0_4arch9wavefront6targetE0EEEvT1_
                                        ; -- End function
	.section	.AMDGPU.csdata,"",@progbits
; Kernel info:
; codeLenInByte = 6728
; NumSgprs: 26
; NumVgprs: 57
; ScratchSize: 0
; MemoryBound: 0
; FloatMode: 240
; IeeeMode: 1
; LDSByteSize: 6160 bytes/workgroup (compile time only)
; SGPRBlocks: 3
; VGPRBlocks: 7
; NumSGPRsForWavesPerEU: 26
; NumVGPRsForWavesPerEU: 57
; Occupancy: 16
; WaveLimiterHint : 1
; COMPUTE_PGM_RSRC2:SCRATCH_EN: 0
; COMPUTE_PGM_RSRC2:USER_SGPR: 15
; COMPUTE_PGM_RSRC2:TRAP_HANDLER: 0
; COMPUTE_PGM_RSRC2:TGID_X_EN: 1
; COMPUTE_PGM_RSRC2:TGID_Y_EN: 0
; COMPUTE_PGM_RSRC2:TGID_Z_EN: 0
; COMPUTE_PGM_RSRC2:TIDIG_COMP_CNT: 0
	.section	.text._ZN7rocprim17ROCPRIM_400000_NS6detail17trampoline_kernelINS0_14default_configENS1_25partition_config_selectorILNS1_17partition_subalgoE5ElNS0_10empty_typeEbEEZZNS1_14partition_implILS5_5ELb0ES3_mN6hipcub16HIPCUB_304000_NS21CountingInputIteratorIllEEPS6_NSA_22TransformInputIteratorIbN2at6native12_GLOBAL__N_19NonZeroOpIN3c108BFloat16EEEPKSK_lEENS0_5tupleIJPlS6_EEENSP_IJSD_SD_EEES6_PiJS6_EEE10hipError_tPvRmT3_T4_T5_T6_T7_T9_mT8_P12ihipStream_tbDpT10_ENKUlT_T0_E_clISt17integral_constantIbLb1EES1D_EEDaS18_S19_EUlS18_E_NS1_11comp_targetILNS1_3genE8ELNS1_11target_archE1030ELNS1_3gpuE2ELNS1_3repE0EEENS1_30default_config_static_selectorELNS0_4arch9wavefront6targetE0EEEvT1_,"axG",@progbits,_ZN7rocprim17ROCPRIM_400000_NS6detail17trampoline_kernelINS0_14default_configENS1_25partition_config_selectorILNS1_17partition_subalgoE5ElNS0_10empty_typeEbEEZZNS1_14partition_implILS5_5ELb0ES3_mN6hipcub16HIPCUB_304000_NS21CountingInputIteratorIllEEPS6_NSA_22TransformInputIteratorIbN2at6native12_GLOBAL__N_19NonZeroOpIN3c108BFloat16EEEPKSK_lEENS0_5tupleIJPlS6_EEENSP_IJSD_SD_EEES6_PiJS6_EEE10hipError_tPvRmT3_T4_T5_T6_T7_T9_mT8_P12ihipStream_tbDpT10_ENKUlT_T0_E_clISt17integral_constantIbLb1EES1D_EEDaS18_S19_EUlS18_E_NS1_11comp_targetILNS1_3genE8ELNS1_11target_archE1030ELNS1_3gpuE2ELNS1_3repE0EEENS1_30default_config_static_selectorELNS0_4arch9wavefront6targetE0EEEvT1_,comdat
	.globl	_ZN7rocprim17ROCPRIM_400000_NS6detail17trampoline_kernelINS0_14default_configENS1_25partition_config_selectorILNS1_17partition_subalgoE5ElNS0_10empty_typeEbEEZZNS1_14partition_implILS5_5ELb0ES3_mN6hipcub16HIPCUB_304000_NS21CountingInputIteratorIllEEPS6_NSA_22TransformInputIteratorIbN2at6native12_GLOBAL__N_19NonZeroOpIN3c108BFloat16EEEPKSK_lEENS0_5tupleIJPlS6_EEENSP_IJSD_SD_EEES6_PiJS6_EEE10hipError_tPvRmT3_T4_T5_T6_T7_T9_mT8_P12ihipStream_tbDpT10_ENKUlT_T0_E_clISt17integral_constantIbLb1EES1D_EEDaS18_S19_EUlS18_E_NS1_11comp_targetILNS1_3genE8ELNS1_11target_archE1030ELNS1_3gpuE2ELNS1_3repE0EEENS1_30default_config_static_selectorELNS0_4arch9wavefront6targetE0EEEvT1_ ; -- Begin function _ZN7rocprim17ROCPRIM_400000_NS6detail17trampoline_kernelINS0_14default_configENS1_25partition_config_selectorILNS1_17partition_subalgoE5ElNS0_10empty_typeEbEEZZNS1_14partition_implILS5_5ELb0ES3_mN6hipcub16HIPCUB_304000_NS21CountingInputIteratorIllEEPS6_NSA_22TransformInputIteratorIbN2at6native12_GLOBAL__N_19NonZeroOpIN3c108BFloat16EEEPKSK_lEENS0_5tupleIJPlS6_EEENSP_IJSD_SD_EEES6_PiJS6_EEE10hipError_tPvRmT3_T4_T5_T6_T7_T9_mT8_P12ihipStream_tbDpT10_ENKUlT_T0_E_clISt17integral_constantIbLb1EES1D_EEDaS18_S19_EUlS18_E_NS1_11comp_targetILNS1_3genE8ELNS1_11target_archE1030ELNS1_3gpuE2ELNS1_3repE0EEENS1_30default_config_static_selectorELNS0_4arch9wavefront6targetE0EEEvT1_
	.p2align	8
	.type	_ZN7rocprim17ROCPRIM_400000_NS6detail17trampoline_kernelINS0_14default_configENS1_25partition_config_selectorILNS1_17partition_subalgoE5ElNS0_10empty_typeEbEEZZNS1_14partition_implILS5_5ELb0ES3_mN6hipcub16HIPCUB_304000_NS21CountingInputIteratorIllEEPS6_NSA_22TransformInputIteratorIbN2at6native12_GLOBAL__N_19NonZeroOpIN3c108BFloat16EEEPKSK_lEENS0_5tupleIJPlS6_EEENSP_IJSD_SD_EEES6_PiJS6_EEE10hipError_tPvRmT3_T4_T5_T6_T7_T9_mT8_P12ihipStream_tbDpT10_ENKUlT_T0_E_clISt17integral_constantIbLb1EES1D_EEDaS18_S19_EUlS18_E_NS1_11comp_targetILNS1_3genE8ELNS1_11target_archE1030ELNS1_3gpuE2ELNS1_3repE0EEENS1_30default_config_static_selectorELNS0_4arch9wavefront6targetE0EEEvT1_,@function
_ZN7rocprim17ROCPRIM_400000_NS6detail17trampoline_kernelINS0_14default_configENS1_25partition_config_selectorILNS1_17partition_subalgoE5ElNS0_10empty_typeEbEEZZNS1_14partition_implILS5_5ELb0ES3_mN6hipcub16HIPCUB_304000_NS21CountingInputIteratorIllEEPS6_NSA_22TransformInputIteratorIbN2at6native12_GLOBAL__N_19NonZeroOpIN3c108BFloat16EEEPKSK_lEENS0_5tupleIJPlS6_EEENSP_IJSD_SD_EEES6_PiJS6_EEE10hipError_tPvRmT3_T4_T5_T6_T7_T9_mT8_P12ihipStream_tbDpT10_ENKUlT_T0_E_clISt17integral_constantIbLb1EES1D_EEDaS18_S19_EUlS18_E_NS1_11comp_targetILNS1_3genE8ELNS1_11target_archE1030ELNS1_3gpuE2ELNS1_3repE0EEENS1_30default_config_static_selectorELNS0_4arch9wavefront6targetE0EEEvT1_: ; @_ZN7rocprim17ROCPRIM_400000_NS6detail17trampoline_kernelINS0_14default_configENS1_25partition_config_selectorILNS1_17partition_subalgoE5ElNS0_10empty_typeEbEEZZNS1_14partition_implILS5_5ELb0ES3_mN6hipcub16HIPCUB_304000_NS21CountingInputIteratorIllEEPS6_NSA_22TransformInputIteratorIbN2at6native12_GLOBAL__N_19NonZeroOpIN3c108BFloat16EEEPKSK_lEENS0_5tupleIJPlS6_EEENSP_IJSD_SD_EEES6_PiJS6_EEE10hipError_tPvRmT3_T4_T5_T6_T7_T9_mT8_P12ihipStream_tbDpT10_ENKUlT_T0_E_clISt17integral_constantIbLb1EES1D_EEDaS18_S19_EUlS18_E_NS1_11comp_targetILNS1_3genE8ELNS1_11target_archE1030ELNS1_3gpuE2ELNS1_3repE0EEENS1_30default_config_static_selectorELNS0_4arch9wavefront6targetE0EEEvT1_
; %bb.0:
	.section	.rodata,"a",@progbits
	.p2align	6, 0x0
	.amdhsa_kernel _ZN7rocprim17ROCPRIM_400000_NS6detail17trampoline_kernelINS0_14default_configENS1_25partition_config_selectorILNS1_17partition_subalgoE5ElNS0_10empty_typeEbEEZZNS1_14partition_implILS5_5ELb0ES3_mN6hipcub16HIPCUB_304000_NS21CountingInputIteratorIllEEPS6_NSA_22TransformInputIteratorIbN2at6native12_GLOBAL__N_19NonZeroOpIN3c108BFloat16EEEPKSK_lEENS0_5tupleIJPlS6_EEENSP_IJSD_SD_EEES6_PiJS6_EEE10hipError_tPvRmT3_T4_T5_T6_T7_T9_mT8_P12ihipStream_tbDpT10_ENKUlT_T0_E_clISt17integral_constantIbLb1EES1D_EEDaS18_S19_EUlS18_E_NS1_11comp_targetILNS1_3genE8ELNS1_11target_archE1030ELNS1_3gpuE2ELNS1_3repE0EEENS1_30default_config_static_selectorELNS0_4arch9wavefront6targetE0EEEvT1_
		.amdhsa_group_segment_fixed_size 0
		.amdhsa_private_segment_fixed_size 0
		.amdhsa_kernarg_size 136
		.amdhsa_user_sgpr_count 15
		.amdhsa_user_sgpr_dispatch_ptr 0
		.amdhsa_user_sgpr_queue_ptr 0
		.amdhsa_user_sgpr_kernarg_segment_ptr 1
		.amdhsa_user_sgpr_dispatch_id 0
		.amdhsa_user_sgpr_private_segment_size 0
		.amdhsa_wavefront_size32 1
		.amdhsa_uses_dynamic_stack 0
		.amdhsa_enable_private_segment 0
		.amdhsa_system_sgpr_workgroup_id_x 1
		.amdhsa_system_sgpr_workgroup_id_y 0
		.amdhsa_system_sgpr_workgroup_id_z 0
		.amdhsa_system_sgpr_workgroup_info 0
		.amdhsa_system_vgpr_workitem_id 0
		.amdhsa_next_free_vgpr 1
		.amdhsa_next_free_sgpr 1
		.amdhsa_reserve_vcc 0
		.amdhsa_float_round_mode_32 0
		.amdhsa_float_round_mode_16_64 0
		.amdhsa_float_denorm_mode_32 3
		.amdhsa_float_denorm_mode_16_64 3
		.amdhsa_dx10_clamp 1
		.amdhsa_ieee_mode 1
		.amdhsa_fp16_overflow 0
		.amdhsa_workgroup_processor_mode 1
		.amdhsa_memory_ordered 1
		.amdhsa_forward_progress 0
		.amdhsa_shared_vgpr_count 0
		.amdhsa_exception_fp_ieee_invalid_op 0
		.amdhsa_exception_fp_denorm_src 0
		.amdhsa_exception_fp_ieee_div_zero 0
		.amdhsa_exception_fp_ieee_overflow 0
		.amdhsa_exception_fp_ieee_underflow 0
		.amdhsa_exception_fp_ieee_inexact 0
		.amdhsa_exception_int_div_zero 0
	.end_amdhsa_kernel
	.section	.text._ZN7rocprim17ROCPRIM_400000_NS6detail17trampoline_kernelINS0_14default_configENS1_25partition_config_selectorILNS1_17partition_subalgoE5ElNS0_10empty_typeEbEEZZNS1_14partition_implILS5_5ELb0ES3_mN6hipcub16HIPCUB_304000_NS21CountingInputIteratorIllEEPS6_NSA_22TransformInputIteratorIbN2at6native12_GLOBAL__N_19NonZeroOpIN3c108BFloat16EEEPKSK_lEENS0_5tupleIJPlS6_EEENSP_IJSD_SD_EEES6_PiJS6_EEE10hipError_tPvRmT3_T4_T5_T6_T7_T9_mT8_P12ihipStream_tbDpT10_ENKUlT_T0_E_clISt17integral_constantIbLb1EES1D_EEDaS18_S19_EUlS18_E_NS1_11comp_targetILNS1_3genE8ELNS1_11target_archE1030ELNS1_3gpuE2ELNS1_3repE0EEENS1_30default_config_static_selectorELNS0_4arch9wavefront6targetE0EEEvT1_,"axG",@progbits,_ZN7rocprim17ROCPRIM_400000_NS6detail17trampoline_kernelINS0_14default_configENS1_25partition_config_selectorILNS1_17partition_subalgoE5ElNS0_10empty_typeEbEEZZNS1_14partition_implILS5_5ELb0ES3_mN6hipcub16HIPCUB_304000_NS21CountingInputIteratorIllEEPS6_NSA_22TransformInputIteratorIbN2at6native12_GLOBAL__N_19NonZeroOpIN3c108BFloat16EEEPKSK_lEENS0_5tupleIJPlS6_EEENSP_IJSD_SD_EEES6_PiJS6_EEE10hipError_tPvRmT3_T4_T5_T6_T7_T9_mT8_P12ihipStream_tbDpT10_ENKUlT_T0_E_clISt17integral_constantIbLb1EES1D_EEDaS18_S19_EUlS18_E_NS1_11comp_targetILNS1_3genE8ELNS1_11target_archE1030ELNS1_3gpuE2ELNS1_3repE0EEENS1_30default_config_static_selectorELNS0_4arch9wavefront6targetE0EEEvT1_,comdat
.Lfunc_end813:
	.size	_ZN7rocprim17ROCPRIM_400000_NS6detail17trampoline_kernelINS0_14default_configENS1_25partition_config_selectorILNS1_17partition_subalgoE5ElNS0_10empty_typeEbEEZZNS1_14partition_implILS5_5ELb0ES3_mN6hipcub16HIPCUB_304000_NS21CountingInputIteratorIllEEPS6_NSA_22TransformInputIteratorIbN2at6native12_GLOBAL__N_19NonZeroOpIN3c108BFloat16EEEPKSK_lEENS0_5tupleIJPlS6_EEENSP_IJSD_SD_EEES6_PiJS6_EEE10hipError_tPvRmT3_T4_T5_T6_T7_T9_mT8_P12ihipStream_tbDpT10_ENKUlT_T0_E_clISt17integral_constantIbLb1EES1D_EEDaS18_S19_EUlS18_E_NS1_11comp_targetILNS1_3genE8ELNS1_11target_archE1030ELNS1_3gpuE2ELNS1_3repE0EEENS1_30default_config_static_selectorELNS0_4arch9wavefront6targetE0EEEvT1_, .Lfunc_end813-_ZN7rocprim17ROCPRIM_400000_NS6detail17trampoline_kernelINS0_14default_configENS1_25partition_config_selectorILNS1_17partition_subalgoE5ElNS0_10empty_typeEbEEZZNS1_14partition_implILS5_5ELb0ES3_mN6hipcub16HIPCUB_304000_NS21CountingInputIteratorIllEEPS6_NSA_22TransformInputIteratorIbN2at6native12_GLOBAL__N_19NonZeroOpIN3c108BFloat16EEEPKSK_lEENS0_5tupleIJPlS6_EEENSP_IJSD_SD_EEES6_PiJS6_EEE10hipError_tPvRmT3_T4_T5_T6_T7_T9_mT8_P12ihipStream_tbDpT10_ENKUlT_T0_E_clISt17integral_constantIbLb1EES1D_EEDaS18_S19_EUlS18_E_NS1_11comp_targetILNS1_3genE8ELNS1_11target_archE1030ELNS1_3gpuE2ELNS1_3repE0EEENS1_30default_config_static_selectorELNS0_4arch9wavefront6targetE0EEEvT1_
                                        ; -- End function
	.section	.AMDGPU.csdata,"",@progbits
; Kernel info:
; codeLenInByte = 0
; NumSgprs: 0
; NumVgprs: 0
; ScratchSize: 0
; MemoryBound: 0
; FloatMode: 240
; IeeeMode: 1
; LDSByteSize: 0 bytes/workgroup (compile time only)
; SGPRBlocks: 0
; VGPRBlocks: 0
; NumSGPRsForWavesPerEU: 1
; NumVGPRsForWavesPerEU: 1
; Occupancy: 16
; WaveLimiterHint : 0
; COMPUTE_PGM_RSRC2:SCRATCH_EN: 0
; COMPUTE_PGM_RSRC2:USER_SGPR: 15
; COMPUTE_PGM_RSRC2:TRAP_HANDLER: 0
; COMPUTE_PGM_RSRC2:TGID_X_EN: 1
; COMPUTE_PGM_RSRC2:TGID_Y_EN: 0
; COMPUTE_PGM_RSRC2:TGID_Z_EN: 0
; COMPUTE_PGM_RSRC2:TIDIG_COMP_CNT: 0
	.section	.text._ZN7rocprim17ROCPRIM_400000_NS6detail17trampoline_kernelINS0_14default_configENS1_25partition_config_selectorILNS1_17partition_subalgoE5ElNS0_10empty_typeEbEEZZNS1_14partition_implILS5_5ELb0ES3_mN6hipcub16HIPCUB_304000_NS21CountingInputIteratorIllEEPS6_NSA_22TransformInputIteratorIbN2at6native12_GLOBAL__N_19NonZeroOpIN3c108BFloat16EEEPKSK_lEENS0_5tupleIJPlS6_EEENSP_IJSD_SD_EEES6_PiJS6_EEE10hipError_tPvRmT3_T4_T5_T6_T7_T9_mT8_P12ihipStream_tbDpT10_ENKUlT_T0_E_clISt17integral_constantIbLb1EES1C_IbLb0EEEEDaS18_S19_EUlS18_E_NS1_11comp_targetILNS1_3genE0ELNS1_11target_archE4294967295ELNS1_3gpuE0ELNS1_3repE0EEENS1_30default_config_static_selectorELNS0_4arch9wavefront6targetE0EEEvT1_,"axG",@progbits,_ZN7rocprim17ROCPRIM_400000_NS6detail17trampoline_kernelINS0_14default_configENS1_25partition_config_selectorILNS1_17partition_subalgoE5ElNS0_10empty_typeEbEEZZNS1_14partition_implILS5_5ELb0ES3_mN6hipcub16HIPCUB_304000_NS21CountingInputIteratorIllEEPS6_NSA_22TransformInputIteratorIbN2at6native12_GLOBAL__N_19NonZeroOpIN3c108BFloat16EEEPKSK_lEENS0_5tupleIJPlS6_EEENSP_IJSD_SD_EEES6_PiJS6_EEE10hipError_tPvRmT3_T4_T5_T6_T7_T9_mT8_P12ihipStream_tbDpT10_ENKUlT_T0_E_clISt17integral_constantIbLb1EES1C_IbLb0EEEEDaS18_S19_EUlS18_E_NS1_11comp_targetILNS1_3genE0ELNS1_11target_archE4294967295ELNS1_3gpuE0ELNS1_3repE0EEENS1_30default_config_static_selectorELNS0_4arch9wavefront6targetE0EEEvT1_,comdat
	.globl	_ZN7rocprim17ROCPRIM_400000_NS6detail17trampoline_kernelINS0_14default_configENS1_25partition_config_selectorILNS1_17partition_subalgoE5ElNS0_10empty_typeEbEEZZNS1_14partition_implILS5_5ELb0ES3_mN6hipcub16HIPCUB_304000_NS21CountingInputIteratorIllEEPS6_NSA_22TransformInputIteratorIbN2at6native12_GLOBAL__N_19NonZeroOpIN3c108BFloat16EEEPKSK_lEENS0_5tupleIJPlS6_EEENSP_IJSD_SD_EEES6_PiJS6_EEE10hipError_tPvRmT3_T4_T5_T6_T7_T9_mT8_P12ihipStream_tbDpT10_ENKUlT_T0_E_clISt17integral_constantIbLb1EES1C_IbLb0EEEEDaS18_S19_EUlS18_E_NS1_11comp_targetILNS1_3genE0ELNS1_11target_archE4294967295ELNS1_3gpuE0ELNS1_3repE0EEENS1_30default_config_static_selectorELNS0_4arch9wavefront6targetE0EEEvT1_ ; -- Begin function _ZN7rocprim17ROCPRIM_400000_NS6detail17trampoline_kernelINS0_14default_configENS1_25partition_config_selectorILNS1_17partition_subalgoE5ElNS0_10empty_typeEbEEZZNS1_14partition_implILS5_5ELb0ES3_mN6hipcub16HIPCUB_304000_NS21CountingInputIteratorIllEEPS6_NSA_22TransformInputIteratorIbN2at6native12_GLOBAL__N_19NonZeroOpIN3c108BFloat16EEEPKSK_lEENS0_5tupleIJPlS6_EEENSP_IJSD_SD_EEES6_PiJS6_EEE10hipError_tPvRmT3_T4_T5_T6_T7_T9_mT8_P12ihipStream_tbDpT10_ENKUlT_T0_E_clISt17integral_constantIbLb1EES1C_IbLb0EEEEDaS18_S19_EUlS18_E_NS1_11comp_targetILNS1_3genE0ELNS1_11target_archE4294967295ELNS1_3gpuE0ELNS1_3repE0EEENS1_30default_config_static_selectorELNS0_4arch9wavefront6targetE0EEEvT1_
	.p2align	8
	.type	_ZN7rocprim17ROCPRIM_400000_NS6detail17trampoline_kernelINS0_14default_configENS1_25partition_config_selectorILNS1_17partition_subalgoE5ElNS0_10empty_typeEbEEZZNS1_14partition_implILS5_5ELb0ES3_mN6hipcub16HIPCUB_304000_NS21CountingInputIteratorIllEEPS6_NSA_22TransformInputIteratorIbN2at6native12_GLOBAL__N_19NonZeroOpIN3c108BFloat16EEEPKSK_lEENS0_5tupleIJPlS6_EEENSP_IJSD_SD_EEES6_PiJS6_EEE10hipError_tPvRmT3_T4_T5_T6_T7_T9_mT8_P12ihipStream_tbDpT10_ENKUlT_T0_E_clISt17integral_constantIbLb1EES1C_IbLb0EEEEDaS18_S19_EUlS18_E_NS1_11comp_targetILNS1_3genE0ELNS1_11target_archE4294967295ELNS1_3gpuE0ELNS1_3repE0EEENS1_30default_config_static_selectorELNS0_4arch9wavefront6targetE0EEEvT1_,@function
_ZN7rocprim17ROCPRIM_400000_NS6detail17trampoline_kernelINS0_14default_configENS1_25partition_config_selectorILNS1_17partition_subalgoE5ElNS0_10empty_typeEbEEZZNS1_14partition_implILS5_5ELb0ES3_mN6hipcub16HIPCUB_304000_NS21CountingInputIteratorIllEEPS6_NSA_22TransformInputIteratorIbN2at6native12_GLOBAL__N_19NonZeroOpIN3c108BFloat16EEEPKSK_lEENS0_5tupleIJPlS6_EEENSP_IJSD_SD_EEES6_PiJS6_EEE10hipError_tPvRmT3_T4_T5_T6_T7_T9_mT8_P12ihipStream_tbDpT10_ENKUlT_T0_E_clISt17integral_constantIbLb1EES1C_IbLb0EEEEDaS18_S19_EUlS18_E_NS1_11comp_targetILNS1_3genE0ELNS1_11target_archE4294967295ELNS1_3gpuE0ELNS1_3repE0EEENS1_30default_config_static_selectorELNS0_4arch9wavefront6targetE0EEEvT1_: ; @_ZN7rocprim17ROCPRIM_400000_NS6detail17trampoline_kernelINS0_14default_configENS1_25partition_config_selectorILNS1_17partition_subalgoE5ElNS0_10empty_typeEbEEZZNS1_14partition_implILS5_5ELb0ES3_mN6hipcub16HIPCUB_304000_NS21CountingInputIteratorIllEEPS6_NSA_22TransformInputIteratorIbN2at6native12_GLOBAL__N_19NonZeroOpIN3c108BFloat16EEEPKSK_lEENS0_5tupleIJPlS6_EEENSP_IJSD_SD_EEES6_PiJS6_EEE10hipError_tPvRmT3_T4_T5_T6_T7_T9_mT8_P12ihipStream_tbDpT10_ENKUlT_T0_E_clISt17integral_constantIbLb1EES1C_IbLb0EEEEDaS18_S19_EUlS18_E_NS1_11comp_targetILNS1_3genE0ELNS1_11target_archE4294967295ELNS1_3gpuE0ELNS1_3repE0EEENS1_30default_config_static_selectorELNS0_4arch9wavefront6targetE0EEEvT1_
; %bb.0:
	.section	.rodata,"a",@progbits
	.p2align	6, 0x0
	.amdhsa_kernel _ZN7rocprim17ROCPRIM_400000_NS6detail17trampoline_kernelINS0_14default_configENS1_25partition_config_selectorILNS1_17partition_subalgoE5ElNS0_10empty_typeEbEEZZNS1_14partition_implILS5_5ELb0ES3_mN6hipcub16HIPCUB_304000_NS21CountingInputIteratorIllEEPS6_NSA_22TransformInputIteratorIbN2at6native12_GLOBAL__N_19NonZeroOpIN3c108BFloat16EEEPKSK_lEENS0_5tupleIJPlS6_EEENSP_IJSD_SD_EEES6_PiJS6_EEE10hipError_tPvRmT3_T4_T5_T6_T7_T9_mT8_P12ihipStream_tbDpT10_ENKUlT_T0_E_clISt17integral_constantIbLb1EES1C_IbLb0EEEEDaS18_S19_EUlS18_E_NS1_11comp_targetILNS1_3genE0ELNS1_11target_archE4294967295ELNS1_3gpuE0ELNS1_3repE0EEENS1_30default_config_static_selectorELNS0_4arch9wavefront6targetE0EEEvT1_
		.amdhsa_group_segment_fixed_size 0
		.amdhsa_private_segment_fixed_size 0
		.amdhsa_kernarg_size 120
		.amdhsa_user_sgpr_count 15
		.amdhsa_user_sgpr_dispatch_ptr 0
		.amdhsa_user_sgpr_queue_ptr 0
		.amdhsa_user_sgpr_kernarg_segment_ptr 1
		.amdhsa_user_sgpr_dispatch_id 0
		.amdhsa_user_sgpr_private_segment_size 0
		.amdhsa_wavefront_size32 1
		.amdhsa_uses_dynamic_stack 0
		.amdhsa_enable_private_segment 0
		.amdhsa_system_sgpr_workgroup_id_x 1
		.amdhsa_system_sgpr_workgroup_id_y 0
		.amdhsa_system_sgpr_workgroup_id_z 0
		.amdhsa_system_sgpr_workgroup_info 0
		.amdhsa_system_vgpr_workitem_id 0
		.amdhsa_next_free_vgpr 1
		.amdhsa_next_free_sgpr 1
		.amdhsa_reserve_vcc 0
		.amdhsa_float_round_mode_32 0
		.amdhsa_float_round_mode_16_64 0
		.amdhsa_float_denorm_mode_32 3
		.amdhsa_float_denorm_mode_16_64 3
		.amdhsa_dx10_clamp 1
		.amdhsa_ieee_mode 1
		.amdhsa_fp16_overflow 0
		.amdhsa_workgroup_processor_mode 1
		.amdhsa_memory_ordered 1
		.amdhsa_forward_progress 0
		.amdhsa_shared_vgpr_count 0
		.amdhsa_exception_fp_ieee_invalid_op 0
		.amdhsa_exception_fp_denorm_src 0
		.amdhsa_exception_fp_ieee_div_zero 0
		.amdhsa_exception_fp_ieee_overflow 0
		.amdhsa_exception_fp_ieee_underflow 0
		.amdhsa_exception_fp_ieee_inexact 0
		.amdhsa_exception_int_div_zero 0
	.end_amdhsa_kernel
	.section	.text._ZN7rocprim17ROCPRIM_400000_NS6detail17trampoline_kernelINS0_14default_configENS1_25partition_config_selectorILNS1_17partition_subalgoE5ElNS0_10empty_typeEbEEZZNS1_14partition_implILS5_5ELb0ES3_mN6hipcub16HIPCUB_304000_NS21CountingInputIteratorIllEEPS6_NSA_22TransformInputIteratorIbN2at6native12_GLOBAL__N_19NonZeroOpIN3c108BFloat16EEEPKSK_lEENS0_5tupleIJPlS6_EEENSP_IJSD_SD_EEES6_PiJS6_EEE10hipError_tPvRmT3_T4_T5_T6_T7_T9_mT8_P12ihipStream_tbDpT10_ENKUlT_T0_E_clISt17integral_constantIbLb1EES1C_IbLb0EEEEDaS18_S19_EUlS18_E_NS1_11comp_targetILNS1_3genE0ELNS1_11target_archE4294967295ELNS1_3gpuE0ELNS1_3repE0EEENS1_30default_config_static_selectorELNS0_4arch9wavefront6targetE0EEEvT1_,"axG",@progbits,_ZN7rocprim17ROCPRIM_400000_NS6detail17trampoline_kernelINS0_14default_configENS1_25partition_config_selectorILNS1_17partition_subalgoE5ElNS0_10empty_typeEbEEZZNS1_14partition_implILS5_5ELb0ES3_mN6hipcub16HIPCUB_304000_NS21CountingInputIteratorIllEEPS6_NSA_22TransformInputIteratorIbN2at6native12_GLOBAL__N_19NonZeroOpIN3c108BFloat16EEEPKSK_lEENS0_5tupleIJPlS6_EEENSP_IJSD_SD_EEES6_PiJS6_EEE10hipError_tPvRmT3_T4_T5_T6_T7_T9_mT8_P12ihipStream_tbDpT10_ENKUlT_T0_E_clISt17integral_constantIbLb1EES1C_IbLb0EEEEDaS18_S19_EUlS18_E_NS1_11comp_targetILNS1_3genE0ELNS1_11target_archE4294967295ELNS1_3gpuE0ELNS1_3repE0EEENS1_30default_config_static_selectorELNS0_4arch9wavefront6targetE0EEEvT1_,comdat
.Lfunc_end814:
	.size	_ZN7rocprim17ROCPRIM_400000_NS6detail17trampoline_kernelINS0_14default_configENS1_25partition_config_selectorILNS1_17partition_subalgoE5ElNS0_10empty_typeEbEEZZNS1_14partition_implILS5_5ELb0ES3_mN6hipcub16HIPCUB_304000_NS21CountingInputIteratorIllEEPS6_NSA_22TransformInputIteratorIbN2at6native12_GLOBAL__N_19NonZeroOpIN3c108BFloat16EEEPKSK_lEENS0_5tupleIJPlS6_EEENSP_IJSD_SD_EEES6_PiJS6_EEE10hipError_tPvRmT3_T4_T5_T6_T7_T9_mT8_P12ihipStream_tbDpT10_ENKUlT_T0_E_clISt17integral_constantIbLb1EES1C_IbLb0EEEEDaS18_S19_EUlS18_E_NS1_11comp_targetILNS1_3genE0ELNS1_11target_archE4294967295ELNS1_3gpuE0ELNS1_3repE0EEENS1_30default_config_static_selectorELNS0_4arch9wavefront6targetE0EEEvT1_, .Lfunc_end814-_ZN7rocprim17ROCPRIM_400000_NS6detail17trampoline_kernelINS0_14default_configENS1_25partition_config_selectorILNS1_17partition_subalgoE5ElNS0_10empty_typeEbEEZZNS1_14partition_implILS5_5ELb0ES3_mN6hipcub16HIPCUB_304000_NS21CountingInputIteratorIllEEPS6_NSA_22TransformInputIteratorIbN2at6native12_GLOBAL__N_19NonZeroOpIN3c108BFloat16EEEPKSK_lEENS0_5tupleIJPlS6_EEENSP_IJSD_SD_EEES6_PiJS6_EEE10hipError_tPvRmT3_T4_T5_T6_T7_T9_mT8_P12ihipStream_tbDpT10_ENKUlT_T0_E_clISt17integral_constantIbLb1EES1C_IbLb0EEEEDaS18_S19_EUlS18_E_NS1_11comp_targetILNS1_3genE0ELNS1_11target_archE4294967295ELNS1_3gpuE0ELNS1_3repE0EEENS1_30default_config_static_selectorELNS0_4arch9wavefront6targetE0EEEvT1_
                                        ; -- End function
	.section	.AMDGPU.csdata,"",@progbits
; Kernel info:
; codeLenInByte = 0
; NumSgprs: 0
; NumVgprs: 0
; ScratchSize: 0
; MemoryBound: 0
; FloatMode: 240
; IeeeMode: 1
; LDSByteSize: 0 bytes/workgroup (compile time only)
; SGPRBlocks: 0
; VGPRBlocks: 0
; NumSGPRsForWavesPerEU: 1
; NumVGPRsForWavesPerEU: 1
; Occupancy: 16
; WaveLimiterHint : 0
; COMPUTE_PGM_RSRC2:SCRATCH_EN: 0
; COMPUTE_PGM_RSRC2:USER_SGPR: 15
; COMPUTE_PGM_RSRC2:TRAP_HANDLER: 0
; COMPUTE_PGM_RSRC2:TGID_X_EN: 1
; COMPUTE_PGM_RSRC2:TGID_Y_EN: 0
; COMPUTE_PGM_RSRC2:TGID_Z_EN: 0
; COMPUTE_PGM_RSRC2:TIDIG_COMP_CNT: 0
	.section	.text._ZN7rocprim17ROCPRIM_400000_NS6detail17trampoline_kernelINS0_14default_configENS1_25partition_config_selectorILNS1_17partition_subalgoE5ElNS0_10empty_typeEbEEZZNS1_14partition_implILS5_5ELb0ES3_mN6hipcub16HIPCUB_304000_NS21CountingInputIteratorIllEEPS6_NSA_22TransformInputIteratorIbN2at6native12_GLOBAL__N_19NonZeroOpIN3c108BFloat16EEEPKSK_lEENS0_5tupleIJPlS6_EEENSP_IJSD_SD_EEES6_PiJS6_EEE10hipError_tPvRmT3_T4_T5_T6_T7_T9_mT8_P12ihipStream_tbDpT10_ENKUlT_T0_E_clISt17integral_constantIbLb1EES1C_IbLb0EEEEDaS18_S19_EUlS18_E_NS1_11comp_targetILNS1_3genE5ELNS1_11target_archE942ELNS1_3gpuE9ELNS1_3repE0EEENS1_30default_config_static_selectorELNS0_4arch9wavefront6targetE0EEEvT1_,"axG",@progbits,_ZN7rocprim17ROCPRIM_400000_NS6detail17trampoline_kernelINS0_14default_configENS1_25partition_config_selectorILNS1_17partition_subalgoE5ElNS0_10empty_typeEbEEZZNS1_14partition_implILS5_5ELb0ES3_mN6hipcub16HIPCUB_304000_NS21CountingInputIteratorIllEEPS6_NSA_22TransformInputIteratorIbN2at6native12_GLOBAL__N_19NonZeroOpIN3c108BFloat16EEEPKSK_lEENS0_5tupleIJPlS6_EEENSP_IJSD_SD_EEES6_PiJS6_EEE10hipError_tPvRmT3_T4_T5_T6_T7_T9_mT8_P12ihipStream_tbDpT10_ENKUlT_T0_E_clISt17integral_constantIbLb1EES1C_IbLb0EEEEDaS18_S19_EUlS18_E_NS1_11comp_targetILNS1_3genE5ELNS1_11target_archE942ELNS1_3gpuE9ELNS1_3repE0EEENS1_30default_config_static_selectorELNS0_4arch9wavefront6targetE0EEEvT1_,comdat
	.globl	_ZN7rocprim17ROCPRIM_400000_NS6detail17trampoline_kernelINS0_14default_configENS1_25partition_config_selectorILNS1_17partition_subalgoE5ElNS0_10empty_typeEbEEZZNS1_14partition_implILS5_5ELb0ES3_mN6hipcub16HIPCUB_304000_NS21CountingInputIteratorIllEEPS6_NSA_22TransformInputIteratorIbN2at6native12_GLOBAL__N_19NonZeroOpIN3c108BFloat16EEEPKSK_lEENS0_5tupleIJPlS6_EEENSP_IJSD_SD_EEES6_PiJS6_EEE10hipError_tPvRmT3_T4_T5_T6_T7_T9_mT8_P12ihipStream_tbDpT10_ENKUlT_T0_E_clISt17integral_constantIbLb1EES1C_IbLb0EEEEDaS18_S19_EUlS18_E_NS1_11comp_targetILNS1_3genE5ELNS1_11target_archE942ELNS1_3gpuE9ELNS1_3repE0EEENS1_30default_config_static_selectorELNS0_4arch9wavefront6targetE0EEEvT1_ ; -- Begin function _ZN7rocprim17ROCPRIM_400000_NS6detail17trampoline_kernelINS0_14default_configENS1_25partition_config_selectorILNS1_17partition_subalgoE5ElNS0_10empty_typeEbEEZZNS1_14partition_implILS5_5ELb0ES3_mN6hipcub16HIPCUB_304000_NS21CountingInputIteratorIllEEPS6_NSA_22TransformInputIteratorIbN2at6native12_GLOBAL__N_19NonZeroOpIN3c108BFloat16EEEPKSK_lEENS0_5tupleIJPlS6_EEENSP_IJSD_SD_EEES6_PiJS6_EEE10hipError_tPvRmT3_T4_T5_T6_T7_T9_mT8_P12ihipStream_tbDpT10_ENKUlT_T0_E_clISt17integral_constantIbLb1EES1C_IbLb0EEEEDaS18_S19_EUlS18_E_NS1_11comp_targetILNS1_3genE5ELNS1_11target_archE942ELNS1_3gpuE9ELNS1_3repE0EEENS1_30default_config_static_selectorELNS0_4arch9wavefront6targetE0EEEvT1_
	.p2align	8
	.type	_ZN7rocprim17ROCPRIM_400000_NS6detail17trampoline_kernelINS0_14default_configENS1_25partition_config_selectorILNS1_17partition_subalgoE5ElNS0_10empty_typeEbEEZZNS1_14partition_implILS5_5ELb0ES3_mN6hipcub16HIPCUB_304000_NS21CountingInputIteratorIllEEPS6_NSA_22TransformInputIteratorIbN2at6native12_GLOBAL__N_19NonZeroOpIN3c108BFloat16EEEPKSK_lEENS0_5tupleIJPlS6_EEENSP_IJSD_SD_EEES6_PiJS6_EEE10hipError_tPvRmT3_T4_T5_T6_T7_T9_mT8_P12ihipStream_tbDpT10_ENKUlT_T0_E_clISt17integral_constantIbLb1EES1C_IbLb0EEEEDaS18_S19_EUlS18_E_NS1_11comp_targetILNS1_3genE5ELNS1_11target_archE942ELNS1_3gpuE9ELNS1_3repE0EEENS1_30default_config_static_selectorELNS0_4arch9wavefront6targetE0EEEvT1_,@function
_ZN7rocprim17ROCPRIM_400000_NS6detail17trampoline_kernelINS0_14default_configENS1_25partition_config_selectorILNS1_17partition_subalgoE5ElNS0_10empty_typeEbEEZZNS1_14partition_implILS5_5ELb0ES3_mN6hipcub16HIPCUB_304000_NS21CountingInputIteratorIllEEPS6_NSA_22TransformInputIteratorIbN2at6native12_GLOBAL__N_19NonZeroOpIN3c108BFloat16EEEPKSK_lEENS0_5tupleIJPlS6_EEENSP_IJSD_SD_EEES6_PiJS6_EEE10hipError_tPvRmT3_T4_T5_T6_T7_T9_mT8_P12ihipStream_tbDpT10_ENKUlT_T0_E_clISt17integral_constantIbLb1EES1C_IbLb0EEEEDaS18_S19_EUlS18_E_NS1_11comp_targetILNS1_3genE5ELNS1_11target_archE942ELNS1_3gpuE9ELNS1_3repE0EEENS1_30default_config_static_selectorELNS0_4arch9wavefront6targetE0EEEvT1_: ; @_ZN7rocprim17ROCPRIM_400000_NS6detail17trampoline_kernelINS0_14default_configENS1_25partition_config_selectorILNS1_17partition_subalgoE5ElNS0_10empty_typeEbEEZZNS1_14partition_implILS5_5ELb0ES3_mN6hipcub16HIPCUB_304000_NS21CountingInputIteratorIllEEPS6_NSA_22TransformInputIteratorIbN2at6native12_GLOBAL__N_19NonZeroOpIN3c108BFloat16EEEPKSK_lEENS0_5tupleIJPlS6_EEENSP_IJSD_SD_EEES6_PiJS6_EEE10hipError_tPvRmT3_T4_T5_T6_T7_T9_mT8_P12ihipStream_tbDpT10_ENKUlT_T0_E_clISt17integral_constantIbLb1EES1C_IbLb0EEEEDaS18_S19_EUlS18_E_NS1_11comp_targetILNS1_3genE5ELNS1_11target_archE942ELNS1_3gpuE9ELNS1_3repE0EEENS1_30default_config_static_selectorELNS0_4arch9wavefront6targetE0EEEvT1_
; %bb.0:
	.section	.rodata,"a",@progbits
	.p2align	6, 0x0
	.amdhsa_kernel _ZN7rocprim17ROCPRIM_400000_NS6detail17trampoline_kernelINS0_14default_configENS1_25partition_config_selectorILNS1_17partition_subalgoE5ElNS0_10empty_typeEbEEZZNS1_14partition_implILS5_5ELb0ES3_mN6hipcub16HIPCUB_304000_NS21CountingInputIteratorIllEEPS6_NSA_22TransformInputIteratorIbN2at6native12_GLOBAL__N_19NonZeroOpIN3c108BFloat16EEEPKSK_lEENS0_5tupleIJPlS6_EEENSP_IJSD_SD_EEES6_PiJS6_EEE10hipError_tPvRmT3_T4_T5_T6_T7_T9_mT8_P12ihipStream_tbDpT10_ENKUlT_T0_E_clISt17integral_constantIbLb1EES1C_IbLb0EEEEDaS18_S19_EUlS18_E_NS1_11comp_targetILNS1_3genE5ELNS1_11target_archE942ELNS1_3gpuE9ELNS1_3repE0EEENS1_30default_config_static_selectorELNS0_4arch9wavefront6targetE0EEEvT1_
		.amdhsa_group_segment_fixed_size 0
		.amdhsa_private_segment_fixed_size 0
		.amdhsa_kernarg_size 120
		.amdhsa_user_sgpr_count 15
		.amdhsa_user_sgpr_dispatch_ptr 0
		.amdhsa_user_sgpr_queue_ptr 0
		.amdhsa_user_sgpr_kernarg_segment_ptr 1
		.amdhsa_user_sgpr_dispatch_id 0
		.amdhsa_user_sgpr_private_segment_size 0
		.amdhsa_wavefront_size32 1
		.amdhsa_uses_dynamic_stack 0
		.amdhsa_enable_private_segment 0
		.amdhsa_system_sgpr_workgroup_id_x 1
		.amdhsa_system_sgpr_workgroup_id_y 0
		.amdhsa_system_sgpr_workgroup_id_z 0
		.amdhsa_system_sgpr_workgroup_info 0
		.amdhsa_system_vgpr_workitem_id 0
		.amdhsa_next_free_vgpr 1
		.amdhsa_next_free_sgpr 1
		.amdhsa_reserve_vcc 0
		.amdhsa_float_round_mode_32 0
		.amdhsa_float_round_mode_16_64 0
		.amdhsa_float_denorm_mode_32 3
		.amdhsa_float_denorm_mode_16_64 3
		.amdhsa_dx10_clamp 1
		.amdhsa_ieee_mode 1
		.amdhsa_fp16_overflow 0
		.amdhsa_workgroup_processor_mode 1
		.amdhsa_memory_ordered 1
		.amdhsa_forward_progress 0
		.amdhsa_shared_vgpr_count 0
		.amdhsa_exception_fp_ieee_invalid_op 0
		.amdhsa_exception_fp_denorm_src 0
		.amdhsa_exception_fp_ieee_div_zero 0
		.amdhsa_exception_fp_ieee_overflow 0
		.amdhsa_exception_fp_ieee_underflow 0
		.amdhsa_exception_fp_ieee_inexact 0
		.amdhsa_exception_int_div_zero 0
	.end_amdhsa_kernel
	.section	.text._ZN7rocprim17ROCPRIM_400000_NS6detail17trampoline_kernelINS0_14default_configENS1_25partition_config_selectorILNS1_17partition_subalgoE5ElNS0_10empty_typeEbEEZZNS1_14partition_implILS5_5ELb0ES3_mN6hipcub16HIPCUB_304000_NS21CountingInputIteratorIllEEPS6_NSA_22TransformInputIteratorIbN2at6native12_GLOBAL__N_19NonZeroOpIN3c108BFloat16EEEPKSK_lEENS0_5tupleIJPlS6_EEENSP_IJSD_SD_EEES6_PiJS6_EEE10hipError_tPvRmT3_T4_T5_T6_T7_T9_mT8_P12ihipStream_tbDpT10_ENKUlT_T0_E_clISt17integral_constantIbLb1EES1C_IbLb0EEEEDaS18_S19_EUlS18_E_NS1_11comp_targetILNS1_3genE5ELNS1_11target_archE942ELNS1_3gpuE9ELNS1_3repE0EEENS1_30default_config_static_selectorELNS0_4arch9wavefront6targetE0EEEvT1_,"axG",@progbits,_ZN7rocprim17ROCPRIM_400000_NS6detail17trampoline_kernelINS0_14default_configENS1_25partition_config_selectorILNS1_17partition_subalgoE5ElNS0_10empty_typeEbEEZZNS1_14partition_implILS5_5ELb0ES3_mN6hipcub16HIPCUB_304000_NS21CountingInputIteratorIllEEPS6_NSA_22TransformInputIteratorIbN2at6native12_GLOBAL__N_19NonZeroOpIN3c108BFloat16EEEPKSK_lEENS0_5tupleIJPlS6_EEENSP_IJSD_SD_EEES6_PiJS6_EEE10hipError_tPvRmT3_T4_T5_T6_T7_T9_mT8_P12ihipStream_tbDpT10_ENKUlT_T0_E_clISt17integral_constantIbLb1EES1C_IbLb0EEEEDaS18_S19_EUlS18_E_NS1_11comp_targetILNS1_3genE5ELNS1_11target_archE942ELNS1_3gpuE9ELNS1_3repE0EEENS1_30default_config_static_selectorELNS0_4arch9wavefront6targetE0EEEvT1_,comdat
.Lfunc_end815:
	.size	_ZN7rocprim17ROCPRIM_400000_NS6detail17trampoline_kernelINS0_14default_configENS1_25partition_config_selectorILNS1_17partition_subalgoE5ElNS0_10empty_typeEbEEZZNS1_14partition_implILS5_5ELb0ES3_mN6hipcub16HIPCUB_304000_NS21CountingInputIteratorIllEEPS6_NSA_22TransformInputIteratorIbN2at6native12_GLOBAL__N_19NonZeroOpIN3c108BFloat16EEEPKSK_lEENS0_5tupleIJPlS6_EEENSP_IJSD_SD_EEES6_PiJS6_EEE10hipError_tPvRmT3_T4_T5_T6_T7_T9_mT8_P12ihipStream_tbDpT10_ENKUlT_T0_E_clISt17integral_constantIbLb1EES1C_IbLb0EEEEDaS18_S19_EUlS18_E_NS1_11comp_targetILNS1_3genE5ELNS1_11target_archE942ELNS1_3gpuE9ELNS1_3repE0EEENS1_30default_config_static_selectorELNS0_4arch9wavefront6targetE0EEEvT1_, .Lfunc_end815-_ZN7rocprim17ROCPRIM_400000_NS6detail17trampoline_kernelINS0_14default_configENS1_25partition_config_selectorILNS1_17partition_subalgoE5ElNS0_10empty_typeEbEEZZNS1_14partition_implILS5_5ELb0ES3_mN6hipcub16HIPCUB_304000_NS21CountingInputIteratorIllEEPS6_NSA_22TransformInputIteratorIbN2at6native12_GLOBAL__N_19NonZeroOpIN3c108BFloat16EEEPKSK_lEENS0_5tupleIJPlS6_EEENSP_IJSD_SD_EEES6_PiJS6_EEE10hipError_tPvRmT3_T4_T5_T6_T7_T9_mT8_P12ihipStream_tbDpT10_ENKUlT_T0_E_clISt17integral_constantIbLb1EES1C_IbLb0EEEEDaS18_S19_EUlS18_E_NS1_11comp_targetILNS1_3genE5ELNS1_11target_archE942ELNS1_3gpuE9ELNS1_3repE0EEENS1_30default_config_static_selectorELNS0_4arch9wavefront6targetE0EEEvT1_
                                        ; -- End function
	.section	.AMDGPU.csdata,"",@progbits
; Kernel info:
; codeLenInByte = 0
; NumSgprs: 0
; NumVgprs: 0
; ScratchSize: 0
; MemoryBound: 0
; FloatMode: 240
; IeeeMode: 1
; LDSByteSize: 0 bytes/workgroup (compile time only)
; SGPRBlocks: 0
; VGPRBlocks: 0
; NumSGPRsForWavesPerEU: 1
; NumVGPRsForWavesPerEU: 1
; Occupancy: 16
; WaveLimiterHint : 0
; COMPUTE_PGM_RSRC2:SCRATCH_EN: 0
; COMPUTE_PGM_RSRC2:USER_SGPR: 15
; COMPUTE_PGM_RSRC2:TRAP_HANDLER: 0
; COMPUTE_PGM_RSRC2:TGID_X_EN: 1
; COMPUTE_PGM_RSRC2:TGID_Y_EN: 0
; COMPUTE_PGM_RSRC2:TGID_Z_EN: 0
; COMPUTE_PGM_RSRC2:TIDIG_COMP_CNT: 0
	.section	.text._ZN7rocprim17ROCPRIM_400000_NS6detail17trampoline_kernelINS0_14default_configENS1_25partition_config_selectorILNS1_17partition_subalgoE5ElNS0_10empty_typeEbEEZZNS1_14partition_implILS5_5ELb0ES3_mN6hipcub16HIPCUB_304000_NS21CountingInputIteratorIllEEPS6_NSA_22TransformInputIteratorIbN2at6native12_GLOBAL__N_19NonZeroOpIN3c108BFloat16EEEPKSK_lEENS0_5tupleIJPlS6_EEENSP_IJSD_SD_EEES6_PiJS6_EEE10hipError_tPvRmT3_T4_T5_T6_T7_T9_mT8_P12ihipStream_tbDpT10_ENKUlT_T0_E_clISt17integral_constantIbLb1EES1C_IbLb0EEEEDaS18_S19_EUlS18_E_NS1_11comp_targetILNS1_3genE4ELNS1_11target_archE910ELNS1_3gpuE8ELNS1_3repE0EEENS1_30default_config_static_selectorELNS0_4arch9wavefront6targetE0EEEvT1_,"axG",@progbits,_ZN7rocprim17ROCPRIM_400000_NS6detail17trampoline_kernelINS0_14default_configENS1_25partition_config_selectorILNS1_17partition_subalgoE5ElNS0_10empty_typeEbEEZZNS1_14partition_implILS5_5ELb0ES3_mN6hipcub16HIPCUB_304000_NS21CountingInputIteratorIllEEPS6_NSA_22TransformInputIteratorIbN2at6native12_GLOBAL__N_19NonZeroOpIN3c108BFloat16EEEPKSK_lEENS0_5tupleIJPlS6_EEENSP_IJSD_SD_EEES6_PiJS6_EEE10hipError_tPvRmT3_T4_T5_T6_T7_T9_mT8_P12ihipStream_tbDpT10_ENKUlT_T0_E_clISt17integral_constantIbLb1EES1C_IbLb0EEEEDaS18_S19_EUlS18_E_NS1_11comp_targetILNS1_3genE4ELNS1_11target_archE910ELNS1_3gpuE8ELNS1_3repE0EEENS1_30default_config_static_selectorELNS0_4arch9wavefront6targetE0EEEvT1_,comdat
	.globl	_ZN7rocprim17ROCPRIM_400000_NS6detail17trampoline_kernelINS0_14default_configENS1_25partition_config_selectorILNS1_17partition_subalgoE5ElNS0_10empty_typeEbEEZZNS1_14partition_implILS5_5ELb0ES3_mN6hipcub16HIPCUB_304000_NS21CountingInputIteratorIllEEPS6_NSA_22TransformInputIteratorIbN2at6native12_GLOBAL__N_19NonZeroOpIN3c108BFloat16EEEPKSK_lEENS0_5tupleIJPlS6_EEENSP_IJSD_SD_EEES6_PiJS6_EEE10hipError_tPvRmT3_T4_T5_T6_T7_T9_mT8_P12ihipStream_tbDpT10_ENKUlT_T0_E_clISt17integral_constantIbLb1EES1C_IbLb0EEEEDaS18_S19_EUlS18_E_NS1_11comp_targetILNS1_3genE4ELNS1_11target_archE910ELNS1_3gpuE8ELNS1_3repE0EEENS1_30default_config_static_selectorELNS0_4arch9wavefront6targetE0EEEvT1_ ; -- Begin function _ZN7rocprim17ROCPRIM_400000_NS6detail17trampoline_kernelINS0_14default_configENS1_25partition_config_selectorILNS1_17partition_subalgoE5ElNS0_10empty_typeEbEEZZNS1_14partition_implILS5_5ELb0ES3_mN6hipcub16HIPCUB_304000_NS21CountingInputIteratorIllEEPS6_NSA_22TransformInputIteratorIbN2at6native12_GLOBAL__N_19NonZeroOpIN3c108BFloat16EEEPKSK_lEENS0_5tupleIJPlS6_EEENSP_IJSD_SD_EEES6_PiJS6_EEE10hipError_tPvRmT3_T4_T5_T6_T7_T9_mT8_P12ihipStream_tbDpT10_ENKUlT_T0_E_clISt17integral_constantIbLb1EES1C_IbLb0EEEEDaS18_S19_EUlS18_E_NS1_11comp_targetILNS1_3genE4ELNS1_11target_archE910ELNS1_3gpuE8ELNS1_3repE0EEENS1_30default_config_static_selectorELNS0_4arch9wavefront6targetE0EEEvT1_
	.p2align	8
	.type	_ZN7rocprim17ROCPRIM_400000_NS6detail17trampoline_kernelINS0_14default_configENS1_25partition_config_selectorILNS1_17partition_subalgoE5ElNS0_10empty_typeEbEEZZNS1_14partition_implILS5_5ELb0ES3_mN6hipcub16HIPCUB_304000_NS21CountingInputIteratorIllEEPS6_NSA_22TransformInputIteratorIbN2at6native12_GLOBAL__N_19NonZeroOpIN3c108BFloat16EEEPKSK_lEENS0_5tupleIJPlS6_EEENSP_IJSD_SD_EEES6_PiJS6_EEE10hipError_tPvRmT3_T4_T5_T6_T7_T9_mT8_P12ihipStream_tbDpT10_ENKUlT_T0_E_clISt17integral_constantIbLb1EES1C_IbLb0EEEEDaS18_S19_EUlS18_E_NS1_11comp_targetILNS1_3genE4ELNS1_11target_archE910ELNS1_3gpuE8ELNS1_3repE0EEENS1_30default_config_static_selectorELNS0_4arch9wavefront6targetE0EEEvT1_,@function
_ZN7rocprim17ROCPRIM_400000_NS6detail17trampoline_kernelINS0_14default_configENS1_25partition_config_selectorILNS1_17partition_subalgoE5ElNS0_10empty_typeEbEEZZNS1_14partition_implILS5_5ELb0ES3_mN6hipcub16HIPCUB_304000_NS21CountingInputIteratorIllEEPS6_NSA_22TransformInputIteratorIbN2at6native12_GLOBAL__N_19NonZeroOpIN3c108BFloat16EEEPKSK_lEENS0_5tupleIJPlS6_EEENSP_IJSD_SD_EEES6_PiJS6_EEE10hipError_tPvRmT3_T4_T5_T6_T7_T9_mT8_P12ihipStream_tbDpT10_ENKUlT_T0_E_clISt17integral_constantIbLb1EES1C_IbLb0EEEEDaS18_S19_EUlS18_E_NS1_11comp_targetILNS1_3genE4ELNS1_11target_archE910ELNS1_3gpuE8ELNS1_3repE0EEENS1_30default_config_static_selectorELNS0_4arch9wavefront6targetE0EEEvT1_: ; @_ZN7rocprim17ROCPRIM_400000_NS6detail17trampoline_kernelINS0_14default_configENS1_25partition_config_selectorILNS1_17partition_subalgoE5ElNS0_10empty_typeEbEEZZNS1_14partition_implILS5_5ELb0ES3_mN6hipcub16HIPCUB_304000_NS21CountingInputIteratorIllEEPS6_NSA_22TransformInputIteratorIbN2at6native12_GLOBAL__N_19NonZeroOpIN3c108BFloat16EEEPKSK_lEENS0_5tupleIJPlS6_EEENSP_IJSD_SD_EEES6_PiJS6_EEE10hipError_tPvRmT3_T4_T5_T6_T7_T9_mT8_P12ihipStream_tbDpT10_ENKUlT_T0_E_clISt17integral_constantIbLb1EES1C_IbLb0EEEEDaS18_S19_EUlS18_E_NS1_11comp_targetILNS1_3genE4ELNS1_11target_archE910ELNS1_3gpuE8ELNS1_3repE0EEENS1_30default_config_static_selectorELNS0_4arch9wavefront6targetE0EEEvT1_
; %bb.0:
	.section	.rodata,"a",@progbits
	.p2align	6, 0x0
	.amdhsa_kernel _ZN7rocprim17ROCPRIM_400000_NS6detail17trampoline_kernelINS0_14default_configENS1_25partition_config_selectorILNS1_17partition_subalgoE5ElNS0_10empty_typeEbEEZZNS1_14partition_implILS5_5ELb0ES3_mN6hipcub16HIPCUB_304000_NS21CountingInputIteratorIllEEPS6_NSA_22TransformInputIteratorIbN2at6native12_GLOBAL__N_19NonZeroOpIN3c108BFloat16EEEPKSK_lEENS0_5tupleIJPlS6_EEENSP_IJSD_SD_EEES6_PiJS6_EEE10hipError_tPvRmT3_T4_T5_T6_T7_T9_mT8_P12ihipStream_tbDpT10_ENKUlT_T0_E_clISt17integral_constantIbLb1EES1C_IbLb0EEEEDaS18_S19_EUlS18_E_NS1_11comp_targetILNS1_3genE4ELNS1_11target_archE910ELNS1_3gpuE8ELNS1_3repE0EEENS1_30default_config_static_selectorELNS0_4arch9wavefront6targetE0EEEvT1_
		.amdhsa_group_segment_fixed_size 0
		.amdhsa_private_segment_fixed_size 0
		.amdhsa_kernarg_size 120
		.amdhsa_user_sgpr_count 15
		.amdhsa_user_sgpr_dispatch_ptr 0
		.amdhsa_user_sgpr_queue_ptr 0
		.amdhsa_user_sgpr_kernarg_segment_ptr 1
		.amdhsa_user_sgpr_dispatch_id 0
		.amdhsa_user_sgpr_private_segment_size 0
		.amdhsa_wavefront_size32 1
		.amdhsa_uses_dynamic_stack 0
		.amdhsa_enable_private_segment 0
		.amdhsa_system_sgpr_workgroup_id_x 1
		.amdhsa_system_sgpr_workgroup_id_y 0
		.amdhsa_system_sgpr_workgroup_id_z 0
		.amdhsa_system_sgpr_workgroup_info 0
		.amdhsa_system_vgpr_workitem_id 0
		.amdhsa_next_free_vgpr 1
		.amdhsa_next_free_sgpr 1
		.amdhsa_reserve_vcc 0
		.amdhsa_float_round_mode_32 0
		.amdhsa_float_round_mode_16_64 0
		.amdhsa_float_denorm_mode_32 3
		.amdhsa_float_denorm_mode_16_64 3
		.amdhsa_dx10_clamp 1
		.amdhsa_ieee_mode 1
		.amdhsa_fp16_overflow 0
		.amdhsa_workgroup_processor_mode 1
		.amdhsa_memory_ordered 1
		.amdhsa_forward_progress 0
		.amdhsa_shared_vgpr_count 0
		.amdhsa_exception_fp_ieee_invalid_op 0
		.amdhsa_exception_fp_denorm_src 0
		.amdhsa_exception_fp_ieee_div_zero 0
		.amdhsa_exception_fp_ieee_overflow 0
		.amdhsa_exception_fp_ieee_underflow 0
		.amdhsa_exception_fp_ieee_inexact 0
		.amdhsa_exception_int_div_zero 0
	.end_amdhsa_kernel
	.section	.text._ZN7rocprim17ROCPRIM_400000_NS6detail17trampoline_kernelINS0_14default_configENS1_25partition_config_selectorILNS1_17partition_subalgoE5ElNS0_10empty_typeEbEEZZNS1_14partition_implILS5_5ELb0ES3_mN6hipcub16HIPCUB_304000_NS21CountingInputIteratorIllEEPS6_NSA_22TransformInputIteratorIbN2at6native12_GLOBAL__N_19NonZeroOpIN3c108BFloat16EEEPKSK_lEENS0_5tupleIJPlS6_EEENSP_IJSD_SD_EEES6_PiJS6_EEE10hipError_tPvRmT3_T4_T5_T6_T7_T9_mT8_P12ihipStream_tbDpT10_ENKUlT_T0_E_clISt17integral_constantIbLb1EES1C_IbLb0EEEEDaS18_S19_EUlS18_E_NS1_11comp_targetILNS1_3genE4ELNS1_11target_archE910ELNS1_3gpuE8ELNS1_3repE0EEENS1_30default_config_static_selectorELNS0_4arch9wavefront6targetE0EEEvT1_,"axG",@progbits,_ZN7rocprim17ROCPRIM_400000_NS6detail17trampoline_kernelINS0_14default_configENS1_25partition_config_selectorILNS1_17partition_subalgoE5ElNS0_10empty_typeEbEEZZNS1_14partition_implILS5_5ELb0ES3_mN6hipcub16HIPCUB_304000_NS21CountingInputIteratorIllEEPS6_NSA_22TransformInputIteratorIbN2at6native12_GLOBAL__N_19NonZeroOpIN3c108BFloat16EEEPKSK_lEENS0_5tupleIJPlS6_EEENSP_IJSD_SD_EEES6_PiJS6_EEE10hipError_tPvRmT3_T4_T5_T6_T7_T9_mT8_P12ihipStream_tbDpT10_ENKUlT_T0_E_clISt17integral_constantIbLb1EES1C_IbLb0EEEEDaS18_S19_EUlS18_E_NS1_11comp_targetILNS1_3genE4ELNS1_11target_archE910ELNS1_3gpuE8ELNS1_3repE0EEENS1_30default_config_static_selectorELNS0_4arch9wavefront6targetE0EEEvT1_,comdat
.Lfunc_end816:
	.size	_ZN7rocprim17ROCPRIM_400000_NS6detail17trampoline_kernelINS0_14default_configENS1_25partition_config_selectorILNS1_17partition_subalgoE5ElNS0_10empty_typeEbEEZZNS1_14partition_implILS5_5ELb0ES3_mN6hipcub16HIPCUB_304000_NS21CountingInputIteratorIllEEPS6_NSA_22TransformInputIteratorIbN2at6native12_GLOBAL__N_19NonZeroOpIN3c108BFloat16EEEPKSK_lEENS0_5tupleIJPlS6_EEENSP_IJSD_SD_EEES6_PiJS6_EEE10hipError_tPvRmT3_T4_T5_T6_T7_T9_mT8_P12ihipStream_tbDpT10_ENKUlT_T0_E_clISt17integral_constantIbLb1EES1C_IbLb0EEEEDaS18_S19_EUlS18_E_NS1_11comp_targetILNS1_3genE4ELNS1_11target_archE910ELNS1_3gpuE8ELNS1_3repE0EEENS1_30default_config_static_selectorELNS0_4arch9wavefront6targetE0EEEvT1_, .Lfunc_end816-_ZN7rocprim17ROCPRIM_400000_NS6detail17trampoline_kernelINS0_14default_configENS1_25partition_config_selectorILNS1_17partition_subalgoE5ElNS0_10empty_typeEbEEZZNS1_14partition_implILS5_5ELb0ES3_mN6hipcub16HIPCUB_304000_NS21CountingInputIteratorIllEEPS6_NSA_22TransformInputIteratorIbN2at6native12_GLOBAL__N_19NonZeroOpIN3c108BFloat16EEEPKSK_lEENS0_5tupleIJPlS6_EEENSP_IJSD_SD_EEES6_PiJS6_EEE10hipError_tPvRmT3_T4_T5_T6_T7_T9_mT8_P12ihipStream_tbDpT10_ENKUlT_T0_E_clISt17integral_constantIbLb1EES1C_IbLb0EEEEDaS18_S19_EUlS18_E_NS1_11comp_targetILNS1_3genE4ELNS1_11target_archE910ELNS1_3gpuE8ELNS1_3repE0EEENS1_30default_config_static_selectorELNS0_4arch9wavefront6targetE0EEEvT1_
                                        ; -- End function
	.section	.AMDGPU.csdata,"",@progbits
; Kernel info:
; codeLenInByte = 0
; NumSgprs: 0
; NumVgprs: 0
; ScratchSize: 0
; MemoryBound: 0
; FloatMode: 240
; IeeeMode: 1
; LDSByteSize: 0 bytes/workgroup (compile time only)
; SGPRBlocks: 0
; VGPRBlocks: 0
; NumSGPRsForWavesPerEU: 1
; NumVGPRsForWavesPerEU: 1
; Occupancy: 15
; WaveLimiterHint : 0
; COMPUTE_PGM_RSRC2:SCRATCH_EN: 0
; COMPUTE_PGM_RSRC2:USER_SGPR: 15
; COMPUTE_PGM_RSRC2:TRAP_HANDLER: 0
; COMPUTE_PGM_RSRC2:TGID_X_EN: 1
; COMPUTE_PGM_RSRC2:TGID_Y_EN: 0
; COMPUTE_PGM_RSRC2:TGID_Z_EN: 0
; COMPUTE_PGM_RSRC2:TIDIG_COMP_CNT: 0
	.section	.text._ZN7rocprim17ROCPRIM_400000_NS6detail17trampoline_kernelINS0_14default_configENS1_25partition_config_selectorILNS1_17partition_subalgoE5ElNS0_10empty_typeEbEEZZNS1_14partition_implILS5_5ELb0ES3_mN6hipcub16HIPCUB_304000_NS21CountingInputIteratorIllEEPS6_NSA_22TransformInputIteratorIbN2at6native12_GLOBAL__N_19NonZeroOpIN3c108BFloat16EEEPKSK_lEENS0_5tupleIJPlS6_EEENSP_IJSD_SD_EEES6_PiJS6_EEE10hipError_tPvRmT3_T4_T5_T6_T7_T9_mT8_P12ihipStream_tbDpT10_ENKUlT_T0_E_clISt17integral_constantIbLb1EES1C_IbLb0EEEEDaS18_S19_EUlS18_E_NS1_11comp_targetILNS1_3genE3ELNS1_11target_archE908ELNS1_3gpuE7ELNS1_3repE0EEENS1_30default_config_static_selectorELNS0_4arch9wavefront6targetE0EEEvT1_,"axG",@progbits,_ZN7rocprim17ROCPRIM_400000_NS6detail17trampoline_kernelINS0_14default_configENS1_25partition_config_selectorILNS1_17partition_subalgoE5ElNS0_10empty_typeEbEEZZNS1_14partition_implILS5_5ELb0ES3_mN6hipcub16HIPCUB_304000_NS21CountingInputIteratorIllEEPS6_NSA_22TransformInputIteratorIbN2at6native12_GLOBAL__N_19NonZeroOpIN3c108BFloat16EEEPKSK_lEENS0_5tupleIJPlS6_EEENSP_IJSD_SD_EEES6_PiJS6_EEE10hipError_tPvRmT3_T4_T5_T6_T7_T9_mT8_P12ihipStream_tbDpT10_ENKUlT_T0_E_clISt17integral_constantIbLb1EES1C_IbLb0EEEEDaS18_S19_EUlS18_E_NS1_11comp_targetILNS1_3genE3ELNS1_11target_archE908ELNS1_3gpuE7ELNS1_3repE0EEENS1_30default_config_static_selectorELNS0_4arch9wavefront6targetE0EEEvT1_,comdat
	.globl	_ZN7rocprim17ROCPRIM_400000_NS6detail17trampoline_kernelINS0_14default_configENS1_25partition_config_selectorILNS1_17partition_subalgoE5ElNS0_10empty_typeEbEEZZNS1_14partition_implILS5_5ELb0ES3_mN6hipcub16HIPCUB_304000_NS21CountingInputIteratorIllEEPS6_NSA_22TransformInputIteratorIbN2at6native12_GLOBAL__N_19NonZeroOpIN3c108BFloat16EEEPKSK_lEENS0_5tupleIJPlS6_EEENSP_IJSD_SD_EEES6_PiJS6_EEE10hipError_tPvRmT3_T4_T5_T6_T7_T9_mT8_P12ihipStream_tbDpT10_ENKUlT_T0_E_clISt17integral_constantIbLb1EES1C_IbLb0EEEEDaS18_S19_EUlS18_E_NS1_11comp_targetILNS1_3genE3ELNS1_11target_archE908ELNS1_3gpuE7ELNS1_3repE0EEENS1_30default_config_static_selectorELNS0_4arch9wavefront6targetE0EEEvT1_ ; -- Begin function _ZN7rocprim17ROCPRIM_400000_NS6detail17trampoline_kernelINS0_14default_configENS1_25partition_config_selectorILNS1_17partition_subalgoE5ElNS0_10empty_typeEbEEZZNS1_14partition_implILS5_5ELb0ES3_mN6hipcub16HIPCUB_304000_NS21CountingInputIteratorIllEEPS6_NSA_22TransformInputIteratorIbN2at6native12_GLOBAL__N_19NonZeroOpIN3c108BFloat16EEEPKSK_lEENS0_5tupleIJPlS6_EEENSP_IJSD_SD_EEES6_PiJS6_EEE10hipError_tPvRmT3_T4_T5_T6_T7_T9_mT8_P12ihipStream_tbDpT10_ENKUlT_T0_E_clISt17integral_constantIbLb1EES1C_IbLb0EEEEDaS18_S19_EUlS18_E_NS1_11comp_targetILNS1_3genE3ELNS1_11target_archE908ELNS1_3gpuE7ELNS1_3repE0EEENS1_30default_config_static_selectorELNS0_4arch9wavefront6targetE0EEEvT1_
	.p2align	8
	.type	_ZN7rocprim17ROCPRIM_400000_NS6detail17trampoline_kernelINS0_14default_configENS1_25partition_config_selectorILNS1_17partition_subalgoE5ElNS0_10empty_typeEbEEZZNS1_14partition_implILS5_5ELb0ES3_mN6hipcub16HIPCUB_304000_NS21CountingInputIteratorIllEEPS6_NSA_22TransformInputIteratorIbN2at6native12_GLOBAL__N_19NonZeroOpIN3c108BFloat16EEEPKSK_lEENS0_5tupleIJPlS6_EEENSP_IJSD_SD_EEES6_PiJS6_EEE10hipError_tPvRmT3_T4_T5_T6_T7_T9_mT8_P12ihipStream_tbDpT10_ENKUlT_T0_E_clISt17integral_constantIbLb1EES1C_IbLb0EEEEDaS18_S19_EUlS18_E_NS1_11comp_targetILNS1_3genE3ELNS1_11target_archE908ELNS1_3gpuE7ELNS1_3repE0EEENS1_30default_config_static_selectorELNS0_4arch9wavefront6targetE0EEEvT1_,@function
_ZN7rocprim17ROCPRIM_400000_NS6detail17trampoline_kernelINS0_14default_configENS1_25partition_config_selectorILNS1_17partition_subalgoE5ElNS0_10empty_typeEbEEZZNS1_14partition_implILS5_5ELb0ES3_mN6hipcub16HIPCUB_304000_NS21CountingInputIteratorIllEEPS6_NSA_22TransformInputIteratorIbN2at6native12_GLOBAL__N_19NonZeroOpIN3c108BFloat16EEEPKSK_lEENS0_5tupleIJPlS6_EEENSP_IJSD_SD_EEES6_PiJS6_EEE10hipError_tPvRmT3_T4_T5_T6_T7_T9_mT8_P12ihipStream_tbDpT10_ENKUlT_T0_E_clISt17integral_constantIbLb1EES1C_IbLb0EEEEDaS18_S19_EUlS18_E_NS1_11comp_targetILNS1_3genE3ELNS1_11target_archE908ELNS1_3gpuE7ELNS1_3repE0EEENS1_30default_config_static_selectorELNS0_4arch9wavefront6targetE0EEEvT1_: ; @_ZN7rocprim17ROCPRIM_400000_NS6detail17trampoline_kernelINS0_14default_configENS1_25partition_config_selectorILNS1_17partition_subalgoE5ElNS0_10empty_typeEbEEZZNS1_14partition_implILS5_5ELb0ES3_mN6hipcub16HIPCUB_304000_NS21CountingInputIteratorIllEEPS6_NSA_22TransformInputIteratorIbN2at6native12_GLOBAL__N_19NonZeroOpIN3c108BFloat16EEEPKSK_lEENS0_5tupleIJPlS6_EEENSP_IJSD_SD_EEES6_PiJS6_EEE10hipError_tPvRmT3_T4_T5_T6_T7_T9_mT8_P12ihipStream_tbDpT10_ENKUlT_T0_E_clISt17integral_constantIbLb1EES1C_IbLb0EEEEDaS18_S19_EUlS18_E_NS1_11comp_targetILNS1_3genE3ELNS1_11target_archE908ELNS1_3gpuE7ELNS1_3repE0EEENS1_30default_config_static_selectorELNS0_4arch9wavefront6targetE0EEEvT1_
; %bb.0:
	.section	.rodata,"a",@progbits
	.p2align	6, 0x0
	.amdhsa_kernel _ZN7rocprim17ROCPRIM_400000_NS6detail17trampoline_kernelINS0_14default_configENS1_25partition_config_selectorILNS1_17partition_subalgoE5ElNS0_10empty_typeEbEEZZNS1_14partition_implILS5_5ELb0ES3_mN6hipcub16HIPCUB_304000_NS21CountingInputIteratorIllEEPS6_NSA_22TransformInputIteratorIbN2at6native12_GLOBAL__N_19NonZeroOpIN3c108BFloat16EEEPKSK_lEENS0_5tupleIJPlS6_EEENSP_IJSD_SD_EEES6_PiJS6_EEE10hipError_tPvRmT3_T4_T5_T6_T7_T9_mT8_P12ihipStream_tbDpT10_ENKUlT_T0_E_clISt17integral_constantIbLb1EES1C_IbLb0EEEEDaS18_S19_EUlS18_E_NS1_11comp_targetILNS1_3genE3ELNS1_11target_archE908ELNS1_3gpuE7ELNS1_3repE0EEENS1_30default_config_static_selectorELNS0_4arch9wavefront6targetE0EEEvT1_
		.amdhsa_group_segment_fixed_size 0
		.amdhsa_private_segment_fixed_size 0
		.amdhsa_kernarg_size 120
		.amdhsa_user_sgpr_count 15
		.amdhsa_user_sgpr_dispatch_ptr 0
		.amdhsa_user_sgpr_queue_ptr 0
		.amdhsa_user_sgpr_kernarg_segment_ptr 1
		.amdhsa_user_sgpr_dispatch_id 0
		.amdhsa_user_sgpr_private_segment_size 0
		.amdhsa_wavefront_size32 1
		.amdhsa_uses_dynamic_stack 0
		.amdhsa_enable_private_segment 0
		.amdhsa_system_sgpr_workgroup_id_x 1
		.amdhsa_system_sgpr_workgroup_id_y 0
		.amdhsa_system_sgpr_workgroup_id_z 0
		.amdhsa_system_sgpr_workgroup_info 0
		.amdhsa_system_vgpr_workitem_id 0
		.amdhsa_next_free_vgpr 1
		.amdhsa_next_free_sgpr 1
		.amdhsa_reserve_vcc 0
		.amdhsa_float_round_mode_32 0
		.amdhsa_float_round_mode_16_64 0
		.amdhsa_float_denorm_mode_32 3
		.amdhsa_float_denorm_mode_16_64 3
		.amdhsa_dx10_clamp 1
		.amdhsa_ieee_mode 1
		.amdhsa_fp16_overflow 0
		.amdhsa_workgroup_processor_mode 1
		.amdhsa_memory_ordered 1
		.amdhsa_forward_progress 0
		.amdhsa_shared_vgpr_count 0
		.amdhsa_exception_fp_ieee_invalid_op 0
		.amdhsa_exception_fp_denorm_src 0
		.amdhsa_exception_fp_ieee_div_zero 0
		.amdhsa_exception_fp_ieee_overflow 0
		.amdhsa_exception_fp_ieee_underflow 0
		.amdhsa_exception_fp_ieee_inexact 0
		.amdhsa_exception_int_div_zero 0
	.end_amdhsa_kernel
	.section	.text._ZN7rocprim17ROCPRIM_400000_NS6detail17trampoline_kernelINS0_14default_configENS1_25partition_config_selectorILNS1_17partition_subalgoE5ElNS0_10empty_typeEbEEZZNS1_14partition_implILS5_5ELb0ES3_mN6hipcub16HIPCUB_304000_NS21CountingInputIteratorIllEEPS6_NSA_22TransformInputIteratorIbN2at6native12_GLOBAL__N_19NonZeroOpIN3c108BFloat16EEEPKSK_lEENS0_5tupleIJPlS6_EEENSP_IJSD_SD_EEES6_PiJS6_EEE10hipError_tPvRmT3_T4_T5_T6_T7_T9_mT8_P12ihipStream_tbDpT10_ENKUlT_T0_E_clISt17integral_constantIbLb1EES1C_IbLb0EEEEDaS18_S19_EUlS18_E_NS1_11comp_targetILNS1_3genE3ELNS1_11target_archE908ELNS1_3gpuE7ELNS1_3repE0EEENS1_30default_config_static_selectorELNS0_4arch9wavefront6targetE0EEEvT1_,"axG",@progbits,_ZN7rocprim17ROCPRIM_400000_NS6detail17trampoline_kernelINS0_14default_configENS1_25partition_config_selectorILNS1_17partition_subalgoE5ElNS0_10empty_typeEbEEZZNS1_14partition_implILS5_5ELb0ES3_mN6hipcub16HIPCUB_304000_NS21CountingInputIteratorIllEEPS6_NSA_22TransformInputIteratorIbN2at6native12_GLOBAL__N_19NonZeroOpIN3c108BFloat16EEEPKSK_lEENS0_5tupleIJPlS6_EEENSP_IJSD_SD_EEES6_PiJS6_EEE10hipError_tPvRmT3_T4_T5_T6_T7_T9_mT8_P12ihipStream_tbDpT10_ENKUlT_T0_E_clISt17integral_constantIbLb1EES1C_IbLb0EEEEDaS18_S19_EUlS18_E_NS1_11comp_targetILNS1_3genE3ELNS1_11target_archE908ELNS1_3gpuE7ELNS1_3repE0EEENS1_30default_config_static_selectorELNS0_4arch9wavefront6targetE0EEEvT1_,comdat
.Lfunc_end817:
	.size	_ZN7rocprim17ROCPRIM_400000_NS6detail17trampoline_kernelINS0_14default_configENS1_25partition_config_selectorILNS1_17partition_subalgoE5ElNS0_10empty_typeEbEEZZNS1_14partition_implILS5_5ELb0ES3_mN6hipcub16HIPCUB_304000_NS21CountingInputIteratorIllEEPS6_NSA_22TransformInputIteratorIbN2at6native12_GLOBAL__N_19NonZeroOpIN3c108BFloat16EEEPKSK_lEENS0_5tupleIJPlS6_EEENSP_IJSD_SD_EEES6_PiJS6_EEE10hipError_tPvRmT3_T4_T5_T6_T7_T9_mT8_P12ihipStream_tbDpT10_ENKUlT_T0_E_clISt17integral_constantIbLb1EES1C_IbLb0EEEEDaS18_S19_EUlS18_E_NS1_11comp_targetILNS1_3genE3ELNS1_11target_archE908ELNS1_3gpuE7ELNS1_3repE0EEENS1_30default_config_static_selectorELNS0_4arch9wavefront6targetE0EEEvT1_, .Lfunc_end817-_ZN7rocprim17ROCPRIM_400000_NS6detail17trampoline_kernelINS0_14default_configENS1_25partition_config_selectorILNS1_17partition_subalgoE5ElNS0_10empty_typeEbEEZZNS1_14partition_implILS5_5ELb0ES3_mN6hipcub16HIPCUB_304000_NS21CountingInputIteratorIllEEPS6_NSA_22TransformInputIteratorIbN2at6native12_GLOBAL__N_19NonZeroOpIN3c108BFloat16EEEPKSK_lEENS0_5tupleIJPlS6_EEENSP_IJSD_SD_EEES6_PiJS6_EEE10hipError_tPvRmT3_T4_T5_T6_T7_T9_mT8_P12ihipStream_tbDpT10_ENKUlT_T0_E_clISt17integral_constantIbLb1EES1C_IbLb0EEEEDaS18_S19_EUlS18_E_NS1_11comp_targetILNS1_3genE3ELNS1_11target_archE908ELNS1_3gpuE7ELNS1_3repE0EEENS1_30default_config_static_selectorELNS0_4arch9wavefront6targetE0EEEvT1_
                                        ; -- End function
	.section	.AMDGPU.csdata,"",@progbits
; Kernel info:
; codeLenInByte = 0
; NumSgprs: 0
; NumVgprs: 0
; ScratchSize: 0
; MemoryBound: 0
; FloatMode: 240
; IeeeMode: 1
; LDSByteSize: 0 bytes/workgroup (compile time only)
; SGPRBlocks: 0
; VGPRBlocks: 0
; NumSGPRsForWavesPerEU: 1
; NumVGPRsForWavesPerEU: 1
; Occupancy: 16
; WaveLimiterHint : 0
; COMPUTE_PGM_RSRC2:SCRATCH_EN: 0
; COMPUTE_PGM_RSRC2:USER_SGPR: 15
; COMPUTE_PGM_RSRC2:TRAP_HANDLER: 0
; COMPUTE_PGM_RSRC2:TGID_X_EN: 1
; COMPUTE_PGM_RSRC2:TGID_Y_EN: 0
; COMPUTE_PGM_RSRC2:TGID_Z_EN: 0
; COMPUTE_PGM_RSRC2:TIDIG_COMP_CNT: 0
	.section	.text._ZN7rocprim17ROCPRIM_400000_NS6detail17trampoline_kernelINS0_14default_configENS1_25partition_config_selectorILNS1_17partition_subalgoE5ElNS0_10empty_typeEbEEZZNS1_14partition_implILS5_5ELb0ES3_mN6hipcub16HIPCUB_304000_NS21CountingInputIteratorIllEEPS6_NSA_22TransformInputIteratorIbN2at6native12_GLOBAL__N_19NonZeroOpIN3c108BFloat16EEEPKSK_lEENS0_5tupleIJPlS6_EEENSP_IJSD_SD_EEES6_PiJS6_EEE10hipError_tPvRmT3_T4_T5_T6_T7_T9_mT8_P12ihipStream_tbDpT10_ENKUlT_T0_E_clISt17integral_constantIbLb1EES1C_IbLb0EEEEDaS18_S19_EUlS18_E_NS1_11comp_targetILNS1_3genE2ELNS1_11target_archE906ELNS1_3gpuE6ELNS1_3repE0EEENS1_30default_config_static_selectorELNS0_4arch9wavefront6targetE0EEEvT1_,"axG",@progbits,_ZN7rocprim17ROCPRIM_400000_NS6detail17trampoline_kernelINS0_14default_configENS1_25partition_config_selectorILNS1_17partition_subalgoE5ElNS0_10empty_typeEbEEZZNS1_14partition_implILS5_5ELb0ES3_mN6hipcub16HIPCUB_304000_NS21CountingInputIteratorIllEEPS6_NSA_22TransformInputIteratorIbN2at6native12_GLOBAL__N_19NonZeroOpIN3c108BFloat16EEEPKSK_lEENS0_5tupleIJPlS6_EEENSP_IJSD_SD_EEES6_PiJS6_EEE10hipError_tPvRmT3_T4_T5_T6_T7_T9_mT8_P12ihipStream_tbDpT10_ENKUlT_T0_E_clISt17integral_constantIbLb1EES1C_IbLb0EEEEDaS18_S19_EUlS18_E_NS1_11comp_targetILNS1_3genE2ELNS1_11target_archE906ELNS1_3gpuE6ELNS1_3repE0EEENS1_30default_config_static_selectorELNS0_4arch9wavefront6targetE0EEEvT1_,comdat
	.globl	_ZN7rocprim17ROCPRIM_400000_NS6detail17trampoline_kernelINS0_14default_configENS1_25partition_config_selectorILNS1_17partition_subalgoE5ElNS0_10empty_typeEbEEZZNS1_14partition_implILS5_5ELb0ES3_mN6hipcub16HIPCUB_304000_NS21CountingInputIteratorIllEEPS6_NSA_22TransformInputIteratorIbN2at6native12_GLOBAL__N_19NonZeroOpIN3c108BFloat16EEEPKSK_lEENS0_5tupleIJPlS6_EEENSP_IJSD_SD_EEES6_PiJS6_EEE10hipError_tPvRmT3_T4_T5_T6_T7_T9_mT8_P12ihipStream_tbDpT10_ENKUlT_T0_E_clISt17integral_constantIbLb1EES1C_IbLb0EEEEDaS18_S19_EUlS18_E_NS1_11comp_targetILNS1_3genE2ELNS1_11target_archE906ELNS1_3gpuE6ELNS1_3repE0EEENS1_30default_config_static_selectorELNS0_4arch9wavefront6targetE0EEEvT1_ ; -- Begin function _ZN7rocprim17ROCPRIM_400000_NS6detail17trampoline_kernelINS0_14default_configENS1_25partition_config_selectorILNS1_17partition_subalgoE5ElNS0_10empty_typeEbEEZZNS1_14partition_implILS5_5ELb0ES3_mN6hipcub16HIPCUB_304000_NS21CountingInputIteratorIllEEPS6_NSA_22TransformInputIteratorIbN2at6native12_GLOBAL__N_19NonZeroOpIN3c108BFloat16EEEPKSK_lEENS0_5tupleIJPlS6_EEENSP_IJSD_SD_EEES6_PiJS6_EEE10hipError_tPvRmT3_T4_T5_T6_T7_T9_mT8_P12ihipStream_tbDpT10_ENKUlT_T0_E_clISt17integral_constantIbLb1EES1C_IbLb0EEEEDaS18_S19_EUlS18_E_NS1_11comp_targetILNS1_3genE2ELNS1_11target_archE906ELNS1_3gpuE6ELNS1_3repE0EEENS1_30default_config_static_selectorELNS0_4arch9wavefront6targetE0EEEvT1_
	.p2align	8
	.type	_ZN7rocprim17ROCPRIM_400000_NS6detail17trampoline_kernelINS0_14default_configENS1_25partition_config_selectorILNS1_17partition_subalgoE5ElNS0_10empty_typeEbEEZZNS1_14partition_implILS5_5ELb0ES3_mN6hipcub16HIPCUB_304000_NS21CountingInputIteratorIllEEPS6_NSA_22TransformInputIteratorIbN2at6native12_GLOBAL__N_19NonZeroOpIN3c108BFloat16EEEPKSK_lEENS0_5tupleIJPlS6_EEENSP_IJSD_SD_EEES6_PiJS6_EEE10hipError_tPvRmT3_T4_T5_T6_T7_T9_mT8_P12ihipStream_tbDpT10_ENKUlT_T0_E_clISt17integral_constantIbLb1EES1C_IbLb0EEEEDaS18_S19_EUlS18_E_NS1_11comp_targetILNS1_3genE2ELNS1_11target_archE906ELNS1_3gpuE6ELNS1_3repE0EEENS1_30default_config_static_selectorELNS0_4arch9wavefront6targetE0EEEvT1_,@function
_ZN7rocprim17ROCPRIM_400000_NS6detail17trampoline_kernelINS0_14default_configENS1_25partition_config_selectorILNS1_17partition_subalgoE5ElNS0_10empty_typeEbEEZZNS1_14partition_implILS5_5ELb0ES3_mN6hipcub16HIPCUB_304000_NS21CountingInputIteratorIllEEPS6_NSA_22TransformInputIteratorIbN2at6native12_GLOBAL__N_19NonZeroOpIN3c108BFloat16EEEPKSK_lEENS0_5tupleIJPlS6_EEENSP_IJSD_SD_EEES6_PiJS6_EEE10hipError_tPvRmT3_T4_T5_T6_T7_T9_mT8_P12ihipStream_tbDpT10_ENKUlT_T0_E_clISt17integral_constantIbLb1EES1C_IbLb0EEEEDaS18_S19_EUlS18_E_NS1_11comp_targetILNS1_3genE2ELNS1_11target_archE906ELNS1_3gpuE6ELNS1_3repE0EEENS1_30default_config_static_selectorELNS0_4arch9wavefront6targetE0EEEvT1_: ; @_ZN7rocprim17ROCPRIM_400000_NS6detail17trampoline_kernelINS0_14default_configENS1_25partition_config_selectorILNS1_17partition_subalgoE5ElNS0_10empty_typeEbEEZZNS1_14partition_implILS5_5ELb0ES3_mN6hipcub16HIPCUB_304000_NS21CountingInputIteratorIllEEPS6_NSA_22TransformInputIteratorIbN2at6native12_GLOBAL__N_19NonZeroOpIN3c108BFloat16EEEPKSK_lEENS0_5tupleIJPlS6_EEENSP_IJSD_SD_EEES6_PiJS6_EEE10hipError_tPvRmT3_T4_T5_T6_T7_T9_mT8_P12ihipStream_tbDpT10_ENKUlT_T0_E_clISt17integral_constantIbLb1EES1C_IbLb0EEEEDaS18_S19_EUlS18_E_NS1_11comp_targetILNS1_3genE2ELNS1_11target_archE906ELNS1_3gpuE6ELNS1_3repE0EEENS1_30default_config_static_selectorELNS0_4arch9wavefront6targetE0EEEvT1_
; %bb.0:
	.section	.rodata,"a",@progbits
	.p2align	6, 0x0
	.amdhsa_kernel _ZN7rocprim17ROCPRIM_400000_NS6detail17trampoline_kernelINS0_14default_configENS1_25partition_config_selectorILNS1_17partition_subalgoE5ElNS0_10empty_typeEbEEZZNS1_14partition_implILS5_5ELb0ES3_mN6hipcub16HIPCUB_304000_NS21CountingInputIteratorIllEEPS6_NSA_22TransformInputIteratorIbN2at6native12_GLOBAL__N_19NonZeroOpIN3c108BFloat16EEEPKSK_lEENS0_5tupleIJPlS6_EEENSP_IJSD_SD_EEES6_PiJS6_EEE10hipError_tPvRmT3_T4_T5_T6_T7_T9_mT8_P12ihipStream_tbDpT10_ENKUlT_T0_E_clISt17integral_constantIbLb1EES1C_IbLb0EEEEDaS18_S19_EUlS18_E_NS1_11comp_targetILNS1_3genE2ELNS1_11target_archE906ELNS1_3gpuE6ELNS1_3repE0EEENS1_30default_config_static_selectorELNS0_4arch9wavefront6targetE0EEEvT1_
		.amdhsa_group_segment_fixed_size 0
		.amdhsa_private_segment_fixed_size 0
		.amdhsa_kernarg_size 120
		.amdhsa_user_sgpr_count 15
		.amdhsa_user_sgpr_dispatch_ptr 0
		.amdhsa_user_sgpr_queue_ptr 0
		.amdhsa_user_sgpr_kernarg_segment_ptr 1
		.amdhsa_user_sgpr_dispatch_id 0
		.amdhsa_user_sgpr_private_segment_size 0
		.amdhsa_wavefront_size32 1
		.amdhsa_uses_dynamic_stack 0
		.amdhsa_enable_private_segment 0
		.amdhsa_system_sgpr_workgroup_id_x 1
		.amdhsa_system_sgpr_workgroup_id_y 0
		.amdhsa_system_sgpr_workgroup_id_z 0
		.amdhsa_system_sgpr_workgroup_info 0
		.amdhsa_system_vgpr_workitem_id 0
		.amdhsa_next_free_vgpr 1
		.amdhsa_next_free_sgpr 1
		.amdhsa_reserve_vcc 0
		.amdhsa_float_round_mode_32 0
		.amdhsa_float_round_mode_16_64 0
		.amdhsa_float_denorm_mode_32 3
		.amdhsa_float_denorm_mode_16_64 3
		.amdhsa_dx10_clamp 1
		.amdhsa_ieee_mode 1
		.amdhsa_fp16_overflow 0
		.amdhsa_workgroup_processor_mode 1
		.amdhsa_memory_ordered 1
		.amdhsa_forward_progress 0
		.amdhsa_shared_vgpr_count 0
		.amdhsa_exception_fp_ieee_invalid_op 0
		.amdhsa_exception_fp_denorm_src 0
		.amdhsa_exception_fp_ieee_div_zero 0
		.amdhsa_exception_fp_ieee_overflow 0
		.amdhsa_exception_fp_ieee_underflow 0
		.amdhsa_exception_fp_ieee_inexact 0
		.amdhsa_exception_int_div_zero 0
	.end_amdhsa_kernel
	.section	.text._ZN7rocprim17ROCPRIM_400000_NS6detail17trampoline_kernelINS0_14default_configENS1_25partition_config_selectorILNS1_17partition_subalgoE5ElNS0_10empty_typeEbEEZZNS1_14partition_implILS5_5ELb0ES3_mN6hipcub16HIPCUB_304000_NS21CountingInputIteratorIllEEPS6_NSA_22TransformInputIteratorIbN2at6native12_GLOBAL__N_19NonZeroOpIN3c108BFloat16EEEPKSK_lEENS0_5tupleIJPlS6_EEENSP_IJSD_SD_EEES6_PiJS6_EEE10hipError_tPvRmT3_T4_T5_T6_T7_T9_mT8_P12ihipStream_tbDpT10_ENKUlT_T0_E_clISt17integral_constantIbLb1EES1C_IbLb0EEEEDaS18_S19_EUlS18_E_NS1_11comp_targetILNS1_3genE2ELNS1_11target_archE906ELNS1_3gpuE6ELNS1_3repE0EEENS1_30default_config_static_selectorELNS0_4arch9wavefront6targetE0EEEvT1_,"axG",@progbits,_ZN7rocprim17ROCPRIM_400000_NS6detail17trampoline_kernelINS0_14default_configENS1_25partition_config_selectorILNS1_17partition_subalgoE5ElNS0_10empty_typeEbEEZZNS1_14partition_implILS5_5ELb0ES3_mN6hipcub16HIPCUB_304000_NS21CountingInputIteratorIllEEPS6_NSA_22TransformInputIteratorIbN2at6native12_GLOBAL__N_19NonZeroOpIN3c108BFloat16EEEPKSK_lEENS0_5tupleIJPlS6_EEENSP_IJSD_SD_EEES6_PiJS6_EEE10hipError_tPvRmT3_T4_T5_T6_T7_T9_mT8_P12ihipStream_tbDpT10_ENKUlT_T0_E_clISt17integral_constantIbLb1EES1C_IbLb0EEEEDaS18_S19_EUlS18_E_NS1_11comp_targetILNS1_3genE2ELNS1_11target_archE906ELNS1_3gpuE6ELNS1_3repE0EEENS1_30default_config_static_selectorELNS0_4arch9wavefront6targetE0EEEvT1_,comdat
.Lfunc_end818:
	.size	_ZN7rocprim17ROCPRIM_400000_NS6detail17trampoline_kernelINS0_14default_configENS1_25partition_config_selectorILNS1_17partition_subalgoE5ElNS0_10empty_typeEbEEZZNS1_14partition_implILS5_5ELb0ES3_mN6hipcub16HIPCUB_304000_NS21CountingInputIteratorIllEEPS6_NSA_22TransformInputIteratorIbN2at6native12_GLOBAL__N_19NonZeroOpIN3c108BFloat16EEEPKSK_lEENS0_5tupleIJPlS6_EEENSP_IJSD_SD_EEES6_PiJS6_EEE10hipError_tPvRmT3_T4_T5_T6_T7_T9_mT8_P12ihipStream_tbDpT10_ENKUlT_T0_E_clISt17integral_constantIbLb1EES1C_IbLb0EEEEDaS18_S19_EUlS18_E_NS1_11comp_targetILNS1_3genE2ELNS1_11target_archE906ELNS1_3gpuE6ELNS1_3repE0EEENS1_30default_config_static_selectorELNS0_4arch9wavefront6targetE0EEEvT1_, .Lfunc_end818-_ZN7rocprim17ROCPRIM_400000_NS6detail17trampoline_kernelINS0_14default_configENS1_25partition_config_selectorILNS1_17partition_subalgoE5ElNS0_10empty_typeEbEEZZNS1_14partition_implILS5_5ELb0ES3_mN6hipcub16HIPCUB_304000_NS21CountingInputIteratorIllEEPS6_NSA_22TransformInputIteratorIbN2at6native12_GLOBAL__N_19NonZeroOpIN3c108BFloat16EEEPKSK_lEENS0_5tupleIJPlS6_EEENSP_IJSD_SD_EEES6_PiJS6_EEE10hipError_tPvRmT3_T4_T5_T6_T7_T9_mT8_P12ihipStream_tbDpT10_ENKUlT_T0_E_clISt17integral_constantIbLb1EES1C_IbLb0EEEEDaS18_S19_EUlS18_E_NS1_11comp_targetILNS1_3genE2ELNS1_11target_archE906ELNS1_3gpuE6ELNS1_3repE0EEENS1_30default_config_static_selectorELNS0_4arch9wavefront6targetE0EEEvT1_
                                        ; -- End function
	.section	.AMDGPU.csdata,"",@progbits
; Kernel info:
; codeLenInByte = 0
; NumSgprs: 0
; NumVgprs: 0
; ScratchSize: 0
; MemoryBound: 0
; FloatMode: 240
; IeeeMode: 1
; LDSByteSize: 0 bytes/workgroup (compile time only)
; SGPRBlocks: 0
; VGPRBlocks: 0
; NumSGPRsForWavesPerEU: 1
; NumVGPRsForWavesPerEU: 1
; Occupancy: 16
; WaveLimiterHint : 0
; COMPUTE_PGM_RSRC2:SCRATCH_EN: 0
; COMPUTE_PGM_RSRC2:USER_SGPR: 15
; COMPUTE_PGM_RSRC2:TRAP_HANDLER: 0
; COMPUTE_PGM_RSRC2:TGID_X_EN: 1
; COMPUTE_PGM_RSRC2:TGID_Y_EN: 0
; COMPUTE_PGM_RSRC2:TGID_Z_EN: 0
; COMPUTE_PGM_RSRC2:TIDIG_COMP_CNT: 0
	.section	.text._ZN7rocprim17ROCPRIM_400000_NS6detail17trampoline_kernelINS0_14default_configENS1_25partition_config_selectorILNS1_17partition_subalgoE5ElNS0_10empty_typeEbEEZZNS1_14partition_implILS5_5ELb0ES3_mN6hipcub16HIPCUB_304000_NS21CountingInputIteratorIllEEPS6_NSA_22TransformInputIteratorIbN2at6native12_GLOBAL__N_19NonZeroOpIN3c108BFloat16EEEPKSK_lEENS0_5tupleIJPlS6_EEENSP_IJSD_SD_EEES6_PiJS6_EEE10hipError_tPvRmT3_T4_T5_T6_T7_T9_mT8_P12ihipStream_tbDpT10_ENKUlT_T0_E_clISt17integral_constantIbLb1EES1C_IbLb0EEEEDaS18_S19_EUlS18_E_NS1_11comp_targetILNS1_3genE10ELNS1_11target_archE1200ELNS1_3gpuE4ELNS1_3repE0EEENS1_30default_config_static_selectorELNS0_4arch9wavefront6targetE0EEEvT1_,"axG",@progbits,_ZN7rocprim17ROCPRIM_400000_NS6detail17trampoline_kernelINS0_14default_configENS1_25partition_config_selectorILNS1_17partition_subalgoE5ElNS0_10empty_typeEbEEZZNS1_14partition_implILS5_5ELb0ES3_mN6hipcub16HIPCUB_304000_NS21CountingInputIteratorIllEEPS6_NSA_22TransformInputIteratorIbN2at6native12_GLOBAL__N_19NonZeroOpIN3c108BFloat16EEEPKSK_lEENS0_5tupleIJPlS6_EEENSP_IJSD_SD_EEES6_PiJS6_EEE10hipError_tPvRmT3_T4_T5_T6_T7_T9_mT8_P12ihipStream_tbDpT10_ENKUlT_T0_E_clISt17integral_constantIbLb1EES1C_IbLb0EEEEDaS18_S19_EUlS18_E_NS1_11comp_targetILNS1_3genE10ELNS1_11target_archE1200ELNS1_3gpuE4ELNS1_3repE0EEENS1_30default_config_static_selectorELNS0_4arch9wavefront6targetE0EEEvT1_,comdat
	.globl	_ZN7rocprim17ROCPRIM_400000_NS6detail17trampoline_kernelINS0_14default_configENS1_25partition_config_selectorILNS1_17partition_subalgoE5ElNS0_10empty_typeEbEEZZNS1_14partition_implILS5_5ELb0ES3_mN6hipcub16HIPCUB_304000_NS21CountingInputIteratorIllEEPS6_NSA_22TransformInputIteratorIbN2at6native12_GLOBAL__N_19NonZeroOpIN3c108BFloat16EEEPKSK_lEENS0_5tupleIJPlS6_EEENSP_IJSD_SD_EEES6_PiJS6_EEE10hipError_tPvRmT3_T4_T5_T6_T7_T9_mT8_P12ihipStream_tbDpT10_ENKUlT_T0_E_clISt17integral_constantIbLb1EES1C_IbLb0EEEEDaS18_S19_EUlS18_E_NS1_11comp_targetILNS1_3genE10ELNS1_11target_archE1200ELNS1_3gpuE4ELNS1_3repE0EEENS1_30default_config_static_selectorELNS0_4arch9wavefront6targetE0EEEvT1_ ; -- Begin function _ZN7rocprim17ROCPRIM_400000_NS6detail17trampoline_kernelINS0_14default_configENS1_25partition_config_selectorILNS1_17partition_subalgoE5ElNS0_10empty_typeEbEEZZNS1_14partition_implILS5_5ELb0ES3_mN6hipcub16HIPCUB_304000_NS21CountingInputIteratorIllEEPS6_NSA_22TransformInputIteratorIbN2at6native12_GLOBAL__N_19NonZeroOpIN3c108BFloat16EEEPKSK_lEENS0_5tupleIJPlS6_EEENSP_IJSD_SD_EEES6_PiJS6_EEE10hipError_tPvRmT3_T4_T5_T6_T7_T9_mT8_P12ihipStream_tbDpT10_ENKUlT_T0_E_clISt17integral_constantIbLb1EES1C_IbLb0EEEEDaS18_S19_EUlS18_E_NS1_11comp_targetILNS1_3genE10ELNS1_11target_archE1200ELNS1_3gpuE4ELNS1_3repE0EEENS1_30default_config_static_selectorELNS0_4arch9wavefront6targetE0EEEvT1_
	.p2align	8
	.type	_ZN7rocprim17ROCPRIM_400000_NS6detail17trampoline_kernelINS0_14default_configENS1_25partition_config_selectorILNS1_17partition_subalgoE5ElNS0_10empty_typeEbEEZZNS1_14partition_implILS5_5ELb0ES3_mN6hipcub16HIPCUB_304000_NS21CountingInputIteratorIllEEPS6_NSA_22TransformInputIteratorIbN2at6native12_GLOBAL__N_19NonZeroOpIN3c108BFloat16EEEPKSK_lEENS0_5tupleIJPlS6_EEENSP_IJSD_SD_EEES6_PiJS6_EEE10hipError_tPvRmT3_T4_T5_T6_T7_T9_mT8_P12ihipStream_tbDpT10_ENKUlT_T0_E_clISt17integral_constantIbLb1EES1C_IbLb0EEEEDaS18_S19_EUlS18_E_NS1_11comp_targetILNS1_3genE10ELNS1_11target_archE1200ELNS1_3gpuE4ELNS1_3repE0EEENS1_30default_config_static_selectorELNS0_4arch9wavefront6targetE0EEEvT1_,@function
_ZN7rocprim17ROCPRIM_400000_NS6detail17trampoline_kernelINS0_14default_configENS1_25partition_config_selectorILNS1_17partition_subalgoE5ElNS0_10empty_typeEbEEZZNS1_14partition_implILS5_5ELb0ES3_mN6hipcub16HIPCUB_304000_NS21CountingInputIteratorIllEEPS6_NSA_22TransformInputIteratorIbN2at6native12_GLOBAL__N_19NonZeroOpIN3c108BFloat16EEEPKSK_lEENS0_5tupleIJPlS6_EEENSP_IJSD_SD_EEES6_PiJS6_EEE10hipError_tPvRmT3_T4_T5_T6_T7_T9_mT8_P12ihipStream_tbDpT10_ENKUlT_T0_E_clISt17integral_constantIbLb1EES1C_IbLb0EEEEDaS18_S19_EUlS18_E_NS1_11comp_targetILNS1_3genE10ELNS1_11target_archE1200ELNS1_3gpuE4ELNS1_3repE0EEENS1_30default_config_static_selectorELNS0_4arch9wavefront6targetE0EEEvT1_: ; @_ZN7rocprim17ROCPRIM_400000_NS6detail17trampoline_kernelINS0_14default_configENS1_25partition_config_selectorILNS1_17partition_subalgoE5ElNS0_10empty_typeEbEEZZNS1_14partition_implILS5_5ELb0ES3_mN6hipcub16HIPCUB_304000_NS21CountingInputIteratorIllEEPS6_NSA_22TransformInputIteratorIbN2at6native12_GLOBAL__N_19NonZeroOpIN3c108BFloat16EEEPKSK_lEENS0_5tupleIJPlS6_EEENSP_IJSD_SD_EEES6_PiJS6_EEE10hipError_tPvRmT3_T4_T5_T6_T7_T9_mT8_P12ihipStream_tbDpT10_ENKUlT_T0_E_clISt17integral_constantIbLb1EES1C_IbLb0EEEEDaS18_S19_EUlS18_E_NS1_11comp_targetILNS1_3genE10ELNS1_11target_archE1200ELNS1_3gpuE4ELNS1_3repE0EEENS1_30default_config_static_selectorELNS0_4arch9wavefront6targetE0EEEvT1_
; %bb.0:
	.section	.rodata,"a",@progbits
	.p2align	6, 0x0
	.amdhsa_kernel _ZN7rocprim17ROCPRIM_400000_NS6detail17trampoline_kernelINS0_14default_configENS1_25partition_config_selectorILNS1_17partition_subalgoE5ElNS0_10empty_typeEbEEZZNS1_14partition_implILS5_5ELb0ES3_mN6hipcub16HIPCUB_304000_NS21CountingInputIteratorIllEEPS6_NSA_22TransformInputIteratorIbN2at6native12_GLOBAL__N_19NonZeroOpIN3c108BFloat16EEEPKSK_lEENS0_5tupleIJPlS6_EEENSP_IJSD_SD_EEES6_PiJS6_EEE10hipError_tPvRmT3_T4_T5_T6_T7_T9_mT8_P12ihipStream_tbDpT10_ENKUlT_T0_E_clISt17integral_constantIbLb1EES1C_IbLb0EEEEDaS18_S19_EUlS18_E_NS1_11comp_targetILNS1_3genE10ELNS1_11target_archE1200ELNS1_3gpuE4ELNS1_3repE0EEENS1_30default_config_static_selectorELNS0_4arch9wavefront6targetE0EEEvT1_
		.amdhsa_group_segment_fixed_size 0
		.amdhsa_private_segment_fixed_size 0
		.amdhsa_kernarg_size 120
		.amdhsa_user_sgpr_count 15
		.amdhsa_user_sgpr_dispatch_ptr 0
		.amdhsa_user_sgpr_queue_ptr 0
		.amdhsa_user_sgpr_kernarg_segment_ptr 1
		.amdhsa_user_sgpr_dispatch_id 0
		.amdhsa_user_sgpr_private_segment_size 0
		.amdhsa_wavefront_size32 1
		.amdhsa_uses_dynamic_stack 0
		.amdhsa_enable_private_segment 0
		.amdhsa_system_sgpr_workgroup_id_x 1
		.amdhsa_system_sgpr_workgroup_id_y 0
		.amdhsa_system_sgpr_workgroup_id_z 0
		.amdhsa_system_sgpr_workgroup_info 0
		.amdhsa_system_vgpr_workitem_id 0
		.amdhsa_next_free_vgpr 1
		.amdhsa_next_free_sgpr 1
		.amdhsa_reserve_vcc 0
		.amdhsa_float_round_mode_32 0
		.amdhsa_float_round_mode_16_64 0
		.amdhsa_float_denorm_mode_32 3
		.amdhsa_float_denorm_mode_16_64 3
		.amdhsa_dx10_clamp 1
		.amdhsa_ieee_mode 1
		.amdhsa_fp16_overflow 0
		.amdhsa_workgroup_processor_mode 1
		.amdhsa_memory_ordered 1
		.amdhsa_forward_progress 0
		.amdhsa_shared_vgpr_count 0
		.amdhsa_exception_fp_ieee_invalid_op 0
		.amdhsa_exception_fp_denorm_src 0
		.amdhsa_exception_fp_ieee_div_zero 0
		.amdhsa_exception_fp_ieee_overflow 0
		.amdhsa_exception_fp_ieee_underflow 0
		.amdhsa_exception_fp_ieee_inexact 0
		.amdhsa_exception_int_div_zero 0
	.end_amdhsa_kernel
	.section	.text._ZN7rocprim17ROCPRIM_400000_NS6detail17trampoline_kernelINS0_14default_configENS1_25partition_config_selectorILNS1_17partition_subalgoE5ElNS0_10empty_typeEbEEZZNS1_14partition_implILS5_5ELb0ES3_mN6hipcub16HIPCUB_304000_NS21CountingInputIteratorIllEEPS6_NSA_22TransformInputIteratorIbN2at6native12_GLOBAL__N_19NonZeroOpIN3c108BFloat16EEEPKSK_lEENS0_5tupleIJPlS6_EEENSP_IJSD_SD_EEES6_PiJS6_EEE10hipError_tPvRmT3_T4_T5_T6_T7_T9_mT8_P12ihipStream_tbDpT10_ENKUlT_T0_E_clISt17integral_constantIbLb1EES1C_IbLb0EEEEDaS18_S19_EUlS18_E_NS1_11comp_targetILNS1_3genE10ELNS1_11target_archE1200ELNS1_3gpuE4ELNS1_3repE0EEENS1_30default_config_static_selectorELNS0_4arch9wavefront6targetE0EEEvT1_,"axG",@progbits,_ZN7rocprim17ROCPRIM_400000_NS6detail17trampoline_kernelINS0_14default_configENS1_25partition_config_selectorILNS1_17partition_subalgoE5ElNS0_10empty_typeEbEEZZNS1_14partition_implILS5_5ELb0ES3_mN6hipcub16HIPCUB_304000_NS21CountingInputIteratorIllEEPS6_NSA_22TransformInputIteratorIbN2at6native12_GLOBAL__N_19NonZeroOpIN3c108BFloat16EEEPKSK_lEENS0_5tupleIJPlS6_EEENSP_IJSD_SD_EEES6_PiJS6_EEE10hipError_tPvRmT3_T4_T5_T6_T7_T9_mT8_P12ihipStream_tbDpT10_ENKUlT_T0_E_clISt17integral_constantIbLb1EES1C_IbLb0EEEEDaS18_S19_EUlS18_E_NS1_11comp_targetILNS1_3genE10ELNS1_11target_archE1200ELNS1_3gpuE4ELNS1_3repE0EEENS1_30default_config_static_selectorELNS0_4arch9wavefront6targetE0EEEvT1_,comdat
.Lfunc_end819:
	.size	_ZN7rocprim17ROCPRIM_400000_NS6detail17trampoline_kernelINS0_14default_configENS1_25partition_config_selectorILNS1_17partition_subalgoE5ElNS0_10empty_typeEbEEZZNS1_14partition_implILS5_5ELb0ES3_mN6hipcub16HIPCUB_304000_NS21CountingInputIteratorIllEEPS6_NSA_22TransformInputIteratorIbN2at6native12_GLOBAL__N_19NonZeroOpIN3c108BFloat16EEEPKSK_lEENS0_5tupleIJPlS6_EEENSP_IJSD_SD_EEES6_PiJS6_EEE10hipError_tPvRmT3_T4_T5_T6_T7_T9_mT8_P12ihipStream_tbDpT10_ENKUlT_T0_E_clISt17integral_constantIbLb1EES1C_IbLb0EEEEDaS18_S19_EUlS18_E_NS1_11comp_targetILNS1_3genE10ELNS1_11target_archE1200ELNS1_3gpuE4ELNS1_3repE0EEENS1_30default_config_static_selectorELNS0_4arch9wavefront6targetE0EEEvT1_, .Lfunc_end819-_ZN7rocprim17ROCPRIM_400000_NS6detail17trampoline_kernelINS0_14default_configENS1_25partition_config_selectorILNS1_17partition_subalgoE5ElNS0_10empty_typeEbEEZZNS1_14partition_implILS5_5ELb0ES3_mN6hipcub16HIPCUB_304000_NS21CountingInputIteratorIllEEPS6_NSA_22TransformInputIteratorIbN2at6native12_GLOBAL__N_19NonZeroOpIN3c108BFloat16EEEPKSK_lEENS0_5tupleIJPlS6_EEENSP_IJSD_SD_EEES6_PiJS6_EEE10hipError_tPvRmT3_T4_T5_T6_T7_T9_mT8_P12ihipStream_tbDpT10_ENKUlT_T0_E_clISt17integral_constantIbLb1EES1C_IbLb0EEEEDaS18_S19_EUlS18_E_NS1_11comp_targetILNS1_3genE10ELNS1_11target_archE1200ELNS1_3gpuE4ELNS1_3repE0EEENS1_30default_config_static_selectorELNS0_4arch9wavefront6targetE0EEEvT1_
                                        ; -- End function
	.section	.AMDGPU.csdata,"",@progbits
; Kernel info:
; codeLenInByte = 0
; NumSgprs: 0
; NumVgprs: 0
; ScratchSize: 0
; MemoryBound: 0
; FloatMode: 240
; IeeeMode: 1
; LDSByteSize: 0 bytes/workgroup (compile time only)
; SGPRBlocks: 0
; VGPRBlocks: 0
; NumSGPRsForWavesPerEU: 1
; NumVGPRsForWavesPerEU: 1
; Occupancy: 16
; WaveLimiterHint : 0
; COMPUTE_PGM_RSRC2:SCRATCH_EN: 0
; COMPUTE_PGM_RSRC2:USER_SGPR: 15
; COMPUTE_PGM_RSRC2:TRAP_HANDLER: 0
; COMPUTE_PGM_RSRC2:TGID_X_EN: 1
; COMPUTE_PGM_RSRC2:TGID_Y_EN: 0
; COMPUTE_PGM_RSRC2:TGID_Z_EN: 0
; COMPUTE_PGM_RSRC2:TIDIG_COMP_CNT: 0
	.section	.text._ZN7rocprim17ROCPRIM_400000_NS6detail17trampoline_kernelINS0_14default_configENS1_25partition_config_selectorILNS1_17partition_subalgoE5ElNS0_10empty_typeEbEEZZNS1_14partition_implILS5_5ELb0ES3_mN6hipcub16HIPCUB_304000_NS21CountingInputIteratorIllEEPS6_NSA_22TransformInputIteratorIbN2at6native12_GLOBAL__N_19NonZeroOpIN3c108BFloat16EEEPKSK_lEENS0_5tupleIJPlS6_EEENSP_IJSD_SD_EEES6_PiJS6_EEE10hipError_tPvRmT3_T4_T5_T6_T7_T9_mT8_P12ihipStream_tbDpT10_ENKUlT_T0_E_clISt17integral_constantIbLb1EES1C_IbLb0EEEEDaS18_S19_EUlS18_E_NS1_11comp_targetILNS1_3genE9ELNS1_11target_archE1100ELNS1_3gpuE3ELNS1_3repE0EEENS1_30default_config_static_selectorELNS0_4arch9wavefront6targetE0EEEvT1_,"axG",@progbits,_ZN7rocprim17ROCPRIM_400000_NS6detail17trampoline_kernelINS0_14default_configENS1_25partition_config_selectorILNS1_17partition_subalgoE5ElNS0_10empty_typeEbEEZZNS1_14partition_implILS5_5ELb0ES3_mN6hipcub16HIPCUB_304000_NS21CountingInputIteratorIllEEPS6_NSA_22TransformInputIteratorIbN2at6native12_GLOBAL__N_19NonZeroOpIN3c108BFloat16EEEPKSK_lEENS0_5tupleIJPlS6_EEENSP_IJSD_SD_EEES6_PiJS6_EEE10hipError_tPvRmT3_T4_T5_T6_T7_T9_mT8_P12ihipStream_tbDpT10_ENKUlT_T0_E_clISt17integral_constantIbLb1EES1C_IbLb0EEEEDaS18_S19_EUlS18_E_NS1_11comp_targetILNS1_3genE9ELNS1_11target_archE1100ELNS1_3gpuE3ELNS1_3repE0EEENS1_30default_config_static_selectorELNS0_4arch9wavefront6targetE0EEEvT1_,comdat
	.globl	_ZN7rocprim17ROCPRIM_400000_NS6detail17trampoline_kernelINS0_14default_configENS1_25partition_config_selectorILNS1_17partition_subalgoE5ElNS0_10empty_typeEbEEZZNS1_14partition_implILS5_5ELb0ES3_mN6hipcub16HIPCUB_304000_NS21CountingInputIteratorIllEEPS6_NSA_22TransformInputIteratorIbN2at6native12_GLOBAL__N_19NonZeroOpIN3c108BFloat16EEEPKSK_lEENS0_5tupleIJPlS6_EEENSP_IJSD_SD_EEES6_PiJS6_EEE10hipError_tPvRmT3_T4_T5_T6_T7_T9_mT8_P12ihipStream_tbDpT10_ENKUlT_T0_E_clISt17integral_constantIbLb1EES1C_IbLb0EEEEDaS18_S19_EUlS18_E_NS1_11comp_targetILNS1_3genE9ELNS1_11target_archE1100ELNS1_3gpuE3ELNS1_3repE0EEENS1_30default_config_static_selectorELNS0_4arch9wavefront6targetE0EEEvT1_ ; -- Begin function _ZN7rocprim17ROCPRIM_400000_NS6detail17trampoline_kernelINS0_14default_configENS1_25partition_config_selectorILNS1_17partition_subalgoE5ElNS0_10empty_typeEbEEZZNS1_14partition_implILS5_5ELb0ES3_mN6hipcub16HIPCUB_304000_NS21CountingInputIteratorIllEEPS6_NSA_22TransformInputIteratorIbN2at6native12_GLOBAL__N_19NonZeroOpIN3c108BFloat16EEEPKSK_lEENS0_5tupleIJPlS6_EEENSP_IJSD_SD_EEES6_PiJS6_EEE10hipError_tPvRmT3_T4_T5_T6_T7_T9_mT8_P12ihipStream_tbDpT10_ENKUlT_T0_E_clISt17integral_constantIbLb1EES1C_IbLb0EEEEDaS18_S19_EUlS18_E_NS1_11comp_targetILNS1_3genE9ELNS1_11target_archE1100ELNS1_3gpuE3ELNS1_3repE0EEENS1_30default_config_static_selectorELNS0_4arch9wavefront6targetE0EEEvT1_
	.p2align	8
	.type	_ZN7rocprim17ROCPRIM_400000_NS6detail17trampoline_kernelINS0_14default_configENS1_25partition_config_selectorILNS1_17partition_subalgoE5ElNS0_10empty_typeEbEEZZNS1_14partition_implILS5_5ELb0ES3_mN6hipcub16HIPCUB_304000_NS21CountingInputIteratorIllEEPS6_NSA_22TransformInputIteratorIbN2at6native12_GLOBAL__N_19NonZeroOpIN3c108BFloat16EEEPKSK_lEENS0_5tupleIJPlS6_EEENSP_IJSD_SD_EEES6_PiJS6_EEE10hipError_tPvRmT3_T4_T5_T6_T7_T9_mT8_P12ihipStream_tbDpT10_ENKUlT_T0_E_clISt17integral_constantIbLb1EES1C_IbLb0EEEEDaS18_S19_EUlS18_E_NS1_11comp_targetILNS1_3genE9ELNS1_11target_archE1100ELNS1_3gpuE3ELNS1_3repE0EEENS1_30default_config_static_selectorELNS0_4arch9wavefront6targetE0EEEvT1_,@function
_ZN7rocprim17ROCPRIM_400000_NS6detail17trampoline_kernelINS0_14default_configENS1_25partition_config_selectorILNS1_17partition_subalgoE5ElNS0_10empty_typeEbEEZZNS1_14partition_implILS5_5ELb0ES3_mN6hipcub16HIPCUB_304000_NS21CountingInputIteratorIllEEPS6_NSA_22TransformInputIteratorIbN2at6native12_GLOBAL__N_19NonZeroOpIN3c108BFloat16EEEPKSK_lEENS0_5tupleIJPlS6_EEENSP_IJSD_SD_EEES6_PiJS6_EEE10hipError_tPvRmT3_T4_T5_T6_T7_T9_mT8_P12ihipStream_tbDpT10_ENKUlT_T0_E_clISt17integral_constantIbLb1EES1C_IbLb0EEEEDaS18_S19_EUlS18_E_NS1_11comp_targetILNS1_3genE9ELNS1_11target_archE1100ELNS1_3gpuE3ELNS1_3repE0EEENS1_30default_config_static_selectorELNS0_4arch9wavefront6targetE0EEEvT1_: ; @_ZN7rocprim17ROCPRIM_400000_NS6detail17trampoline_kernelINS0_14default_configENS1_25partition_config_selectorILNS1_17partition_subalgoE5ElNS0_10empty_typeEbEEZZNS1_14partition_implILS5_5ELb0ES3_mN6hipcub16HIPCUB_304000_NS21CountingInputIteratorIllEEPS6_NSA_22TransformInputIteratorIbN2at6native12_GLOBAL__N_19NonZeroOpIN3c108BFloat16EEEPKSK_lEENS0_5tupleIJPlS6_EEENSP_IJSD_SD_EEES6_PiJS6_EEE10hipError_tPvRmT3_T4_T5_T6_T7_T9_mT8_P12ihipStream_tbDpT10_ENKUlT_T0_E_clISt17integral_constantIbLb1EES1C_IbLb0EEEEDaS18_S19_EUlS18_E_NS1_11comp_targetILNS1_3genE9ELNS1_11target_archE1100ELNS1_3gpuE3ELNS1_3repE0EEENS1_30default_config_static_selectorELNS0_4arch9wavefront6targetE0EEEvT1_
; %bb.0:
	s_clause 0x4
	s_load_b128 s[8:11], s[0:1], 0x8
	s_load_b128 s[4:7], s[0:1], 0x48
	s_load_b32 s14, s[0:1], 0x70
	s_load_b64 s[2:3], s[0:1], 0x58
	s_load_b64 s[12:13], s[0:1], 0x20
	s_waitcnt lgkmcnt(0)
	s_add_u32 s18, s10, s8
	s_load_b64 s[6:7], s[6:7], 0x0
	s_mul_i32 s17, s14, 0x300
	s_addc_u32 s19, s11, s9
	s_add_i32 s14, s14, -1
	s_add_u32 s8, s10, s17
	s_addc_u32 s9, s11, 0
	s_cmp_eq_u32 s15, s14
	v_cmp_ge_u64_e64 s3, s[8:9], s[2:3]
	s_cselect_b32 s14, -1, 0
	s_mul_i32 s8, s15, 0x300
	s_mov_b32 s9, 0
	s_delay_alu instid0(VALU_DEP_1) | instskip(NEXT) | instid1(SALU_CYCLE_1)
	s_and_b32 s3, s14, s3
	s_xor_b32 s16, s3, -1
	s_mov_b32 s3, -1
	s_and_b32 vcc_lo, exec_lo, s16
	s_cbranch_vccz .LBB820_2
; %bb.1:
	s_add_u32 s3, s18, s8
	s_addc_u32 s20, s19, 0
	v_add_co_u32 v1, s3, s3, v0
	s_delay_alu instid0(VALU_DEP_1) | instskip(SKIP_1) | instid1(VALU_DEP_3)
	v_add_co_ci_u32_e64 v2, null, s20, 0, s3
	v_lshlrev_b32_e32 v13, 3, v0
	v_add_co_u32 v3, vcc_lo, 0x80, v1
	s_delay_alu instid0(VALU_DEP_3)
	v_add_co_ci_u32_e32 v4, vcc_lo, 0, v2, vcc_lo
	v_add_co_u32 v5, vcc_lo, 0x100, v1
	v_add_co_ci_u32_e32 v6, vcc_lo, 0, v2, vcc_lo
	v_add_co_u32 v7, vcc_lo, 0x180, v1
	;; [unrolled: 2-line block ×4, first 2 shown]
	v_add_co_ci_u32_e32 v12, vcc_lo, 0, v2, vcc_lo
	ds_store_2addr_stride64_b64 v13, v[1:2], v[3:4] offset1:2
	ds_store_2addr_stride64_b64 v13, v[5:6], v[7:8] offset0:4 offset1:6
	ds_store_2addr_stride64_b64 v13, v[9:10], v[11:12] offset0:8 offset1:10
	s_waitcnt lgkmcnt(0)
	s_mov_b32 s3, s9
	s_barrier
.LBB820_2:
	v_or_b32_e32 v17, 0x100, v0
	v_or_b32_e32 v16, 0x180, v0
	;; [unrolled: 1-line block ×4, first 2 shown]
	s_and_not1_b32 vcc_lo, exec_lo, s3
	s_cbranch_vccnz .LBB820_4
; %bb.3:
	v_or_b32_e32 v3, 0x80, v0
	s_add_u32 s3, s18, s8
	s_addc_u32 s18, s19, 0
	v_add_co_u32 v1, s19, s3, v0
	s_delay_alu instid0(VALU_DEP_1) | instskip(SKIP_1) | instid1(VALU_DEP_1)
	v_add_co_ci_u32_e64 v2, null, s18, 0, s19
	v_add_co_u32 v3, s19, s3, v3
	v_add_co_ci_u32_e64 v4, null, s18, 0, s19
	v_add_co_u32 v5, s19, s3, v17
	s_delay_alu instid0(VALU_DEP_1) | instskip(SKIP_1) | instid1(VALU_DEP_1)
	v_add_co_ci_u32_e64 v6, null, s18, 0, s19
	v_add_co_u32 v7, s19, s3, v16
	v_add_co_ci_u32_e64 v8, null, s18, 0, s19
	v_add_co_u32 v9, s19, s3, v14
	v_lshlrev_b32_e32 v15, 3, v0
	v_add_co_u32 v11, s3, s3, v13
	v_add_co_ci_u32_e64 v10, null, s18, 0, s19
	v_add_co_ci_u32_e64 v12, null, s18, 0, s3
	ds_store_2addr_stride64_b64 v15, v[1:2], v[3:4] offset1:2
	ds_store_2addr_stride64_b64 v15, v[5:6], v[7:8] offset0:4 offset1:6
	ds_store_2addr_stride64_b64 v15, v[9:10], v[11:12] offset0:8 offset1:10
	s_waitcnt lgkmcnt(0)
	s_barrier
.LBB820_4:
	v_mul_u32_u24_e32 v1, 6, v0
	s_waitcnt lgkmcnt(0)
	buffer_gl0_inv
	s_lshl_b64 s[18:19], s[10:11], 1
	s_delay_alu instid0(SALU_CYCLE_1)
	s_add_u32 s3, s12, s18
	v_lshlrev_b32_e32 v15, 3, v1
	s_addc_u32 s11, s13, s19
	s_lshl_b64 s[8:9], s[8:9], 1
	ds_load_b128 v[9:12], v15
	ds_load_b128 v[5:8], v15 offset:16
	ds_load_b128 v[1:4], v15 offset:32
	s_add_u32 s12, s3, s8
	s_addc_u32 s13, s11, s9
	s_and_b32 vcc_lo, exec_lo, s16
	s_mov_b32 s3, -1
	s_waitcnt lgkmcnt(0)
	s_barrier
	buffer_gl0_inv
	s_cbranch_vccz .LBB820_6
; %bb.5:
	v_lshlrev_b32_e32 v18, 1, v0
	s_mov_b32 s3, 0
	s_clause 0x5
	global_load_u16 v19, v18, s[12:13]
	global_load_u16 v20, v18, s[12:13] offset:256
	global_load_u16 v21, v18, s[12:13] offset:512
	;; [unrolled: 1-line block ×5, first 2 shown]
	s_waitcnt vmcnt(5)
	v_and_b32_e32 v19, 0x7fff, v19
	s_waitcnt vmcnt(4)
	v_and_b32_e32 v20, 0x7fff, v20
	;; [unrolled: 2-line block ×5, first 2 shown]
	v_cmp_ne_u16_e32 vcc_lo, 0, v19
	s_waitcnt vmcnt(0)
	v_and_b32_e32 v18, 0x7fff, v18
	v_cndmask_b32_e64 v19, 0, 1, vcc_lo
	v_cmp_ne_u16_e32 vcc_lo, 0, v20
	v_cndmask_b32_e64 v20, 0, 1, vcc_lo
	v_cmp_ne_u16_e32 vcc_lo, 0, v21
	;; [unrolled: 2-line block ×5, first 2 shown]
	v_cndmask_b32_e64 v18, 0, 1, vcc_lo
	ds_store_b8 v0, v19
	ds_store_b8 v0, v20 offset:128
	ds_store_b8 v0, v21 offset:256
	;; [unrolled: 1-line block ×5, first 2 shown]
	s_waitcnt lgkmcnt(0)
	s_barrier
.LBB820_6:
	s_load_b64 s[8:9], s[0:1], 0x68
	s_and_not1_b32 vcc_lo, exec_lo, s3
	s_cbranch_vccnz .LBB820_20
; %bb.7:
	s_add_i32 s17, s17, s10
	v_dual_mov_b32 v18, 0 :: v_dual_mov_b32 v19, 0
	s_sub_i32 s2, s2, s17
	s_mov_b32 s3, exec_lo
	s_addk_i32 s2, 0x300
	s_delay_alu instid0(SALU_CYCLE_1)
	v_cmpx_gt_u32_e64 s2, v0
	s_cbranch_execz .LBB820_9
; %bb.8:
	v_lshlrev_b32_e32 v19, 1, v0
	global_load_u16 v19, v19, s[12:13]
	s_waitcnt vmcnt(0)
	v_and_b32_e32 v19, 0x7fff, v19
	s_delay_alu instid0(VALU_DEP_1)
	v_cmp_ne_u16_e32 vcc_lo, 0, v19
	v_cndmask_b32_e64 v19, 0, 1, vcc_lo
.LBB820_9:
	s_or_b32 exec_lo, exec_lo, s3
	v_or_b32_e32 v20, 0x80, v0
	s_mov_b32 s3, exec_lo
	s_delay_alu instid0(VALU_DEP_1)
	v_cmpx_gt_u32_e64 s2, v20
	s_cbranch_execz .LBB820_11
; %bb.10:
	v_lshlrev_b32_e32 v18, 1, v0
	global_load_u16 v18, v18, s[12:13] offset:256
	s_waitcnt vmcnt(0)
	v_and_b32_e32 v18, 0x7fff, v18
	s_delay_alu instid0(VALU_DEP_1)
	v_cmp_ne_u16_e32 vcc_lo, 0, v18
	v_cndmask_b32_e64 v18, 0, 1, vcc_lo
.LBB820_11:
	s_or_b32 exec_lo, exec_lo, s3
	v_cmp_gt_u32_e32 vcc_lo, s2, v17
	v_dual_mov_b32 v17, 0 :: v_dual_mov_b32 v20, 0
	s_and_saveexec_b32 s3, vcc_lo
	s_cbranch_execz .LBB820_13
; %bb.12:
	v_lshlrev_b32_e32 v20, 1, v0
	global_load_u16 v20, v20, s[12:13] offset:512
	s_waitcnt vmcnt(0)
	v_and_b32_e32 v20, 0x7fff, v20
	s_delay_alu instid0(VALU_DEP_1)
	v_cmp_ne_u16_e32 vcc_lo, 0, v20
	v_cndmask_b32_e64 v20, 0, 1, vcc_lo
.LBB820_13:
	s_or_b32 exec_lo, exec_lo, s3
	s_delay_alu instid0(SALU_CYCLE_1)
	s_mov_b32 s3, exec_lo
	v_cmpx_gt_u32_e64 s2, v16
	s_cbranch_execz .LBB820_15
; %bb.14:
	v_lshlrev_b32_e32 v16, 1, v0
	global_load_u16 v16, v16, s[12:13] offset:768
	s_waitcnt vmcnt(0)
	v_and_b32_e32 v16, 0x7fff, v16
	s_delay_alu instid0(VALU_DEP_1)
	v_cmp_ne_u16_e32 vcc_lo, 0, v16
	v_cndmask_b32_e64 v17, 0, 1, vcc_lo
.LBB820_15:
	s_or_b32 exec_lo, exec_lo, s3
	v_cmp_gt_u32_e32 vcc_lo, s2, v14
	v_mov_b32_e32 v14, 0
	v_mov_b32_e32 v16, 0
	s_and_saveexec_b32 s3, vcc_lo
	s_cbranch_execz .LBB820_17
; %bb.16:
	v_lshlrev_b32_e32 v16, 1, v0
	global_load_u16 v16, v16, s[12:13] offset:1024
	s_waitcnt vmcnt(0)
	v_and_b32_e32 v16, 0x7fff, v16
	s_delay_alu instid0(VALU_DEP_1)
	v_cmp_ne_u16_e32 vcc_lo, 0, v16
	v_cndmask_b32_e64 v16, 0, 1, vcc_lo
.LBB820_17:
	s_or_b32 exec_lo, exec_lo, s3
	v_cmp_gt_u32_e32 vcc_lo, s2, v13
	s_and_saveexec_b32 s2, vcc_lo
	s_cbranch_execz .LBB820_19
; %bb.18:
	v_lshlrev_b32_e32 v13, 1, v0
	global_load_u16 v13, v13, s[12:13] offset:1280
	s_waitcnt vmcnt(0)
	v_and_b32_e32 v13, 0x7fff, v13
	s_delay_alu instid0(VALU_DEP_1)
	v_cmp_ne_u16_e32 vcc_lo, 0, v13
	v_cndmask_b32_e64 v14, 0, 1, vcc_lo
.LBB820_19:
	s_or_b32 exec_lo, exec_lo, s2
	ds_store_b8 v0, v19
	ds_store_b8 v0, v18 offset:128
	ds_store_b8 v0, v20 offset:256
	;; [unrolled: 1-line block ×5, first 2 shown]
	s_waitcnt lgkmcnt(0)
	s_barrier
.LBB820_20:
	v_mad_i32_i24 v43, 0xffffffd6, v0, v15
	s_waitcnt lgkmcnt(0)
	buffer_gl0_inv
	v_mbcnt_lo_u32_b32 v42, -1, 0
	s_cmp_lg_u32 s15, 0
	s_mov_b32 s3, -1
	ds_load_u16 v36, v43
	ds_load_u16 v33, v43 offset:2
	ds_load_u16 v31, v43 offset:4
	v_mov_b32_e32 v14, 0
	v_and_b32_e32 v44, 15, v42
	s_waitcnt lgkmcnt(0)
	s_barrier
	buffer_gl0_inv
	v_and_b32_e32 v41, 0xff, v36
	v_lshrrev_b16 v34, 8, v36
	v_lshrrev_b16 v35, 8, v33
	v_and_b32_e32 v39, 0xff, v33
	v_lshrrev_b16 v32, 8, v31
	v_and_b32_e32 v37, 0xff, v31
	v_and_b32_e32 v40, 0xffff, v34
	;; [unrolled: 1-line block ×3, first 2 shown]
	s_delay_alu instid0(VALU_DEP_4) | instskip(NEXT) | instid1(VALU_DEP_3)
	v_and_b32_e32 v16, 0xffff, v32
	v_add_co_u32 v13, s2, v40, v41
	s_delay_alu instid0(VALU_DEP_1) | instskip(SKIP_1) | instid1(VALU_DEP_3)
	v_add_co_ci_u32_e64 v15, null, 0, 0, s2
	v_cmp_ne_u32_e64 s2, 0, v44
	v_add_co_u32 v13, vcc_lo, v13, v39
	s_delay_alu instid0(VALU_DEP_3) | instskip(NEXT) | instid1(VALU_DEP_2)
	v_add_co_ci_u32_e32 v15, vcc_lo, 0, v15, vcc_lo
	v_add_co_u32 v13, vcc_lo, v13, v38
	s_delay_alu instid0(VALU_DEP_2) | instskip(NEXT) | instid1(VALU_DEP_2)
	v_add_co_ci_u32_e32 v15, vcc_lo, 0, v15, vcc_lo
	v_add_co_u32 v13, vcc_lo, v13, v37
	s_delay_alu instid0(VALU_DEP_2) | instskip(NEXT) | instid1(VALU_DEP_2)
	v_add_co_ci_u32_e32 v15, vcc_lo, 0, v15, vcc_lo
	v_add_co_u32 v21, vcc_lo, v13, v16
	s_delay_alu instid0(VALU_DEP_2)
	v_add_co_ci_u32_e32 v22, vcc_lo, 0, v15, vcc_lo
	s_cbranch_scc0 .LBB820_89
; %bb.21:
	s_delay_alu instid0(VALU_DEP_2)
	v_mov_b32_e32 v15, v21
	v_mov_b32_dpp v13, v21 row_shr:1 row_mask:0xf bank_mask:0xf
	v_mov_b32_dpp v18, v14 row_shr:1 row_mask:0xf bank_mask:0xf
	v_dual_mov_b32 v17, v21 :: v_dual_mov_b32 v16, v22
	s_and_saveexec_b32 s3, s2
; %bb.22:
	s_delay_alu instid0(VALU_DEP_3) | instskip(SKIP_1) | instid1(VALU_DEP_2)
	v_add_co_u32 v17, vcc_lo, v21, v13
	v_add_co_ci_u32_e32 v14, vcc_lo, 0, v22, vcc_lo
	v_add_co_u32 v13, vcc_lo, 0, v17
	s_delay_alu instid0(VALU_DEP_2) | instskip(NEXT) | instid1(VALU_DEP_1)
	v_add_co_ci_u32_e32 v14, vcc_lo, v18, v14, vcc_lo
	v_dual_mov_b32 v16, v14 :: v_dual_mov_b32 v15, v13
; %bb.23:
	s_or_b32 exec_lo, exec_lo, s3
	v_mov_b32_dpp v13, v17 row_shr:2 row_mask:0xf bank_mask:0xf
	v_mov_b32_dpp v18, v14 row_shr:2 row_mask:0xf bank_mask:0xf
	s_mov_b32 s3, exec_lo
	v_cmpx_lt_u32_e32 1, v44
; %bb.24:
	s_delay_alu instid0(VALU_DEP_3) | instskip(SKIP_1) | instid1(VALU_DEP_2)
	v_add_co_u32 v17, vcc_lo, v15, v13
	v_add_co_ci_u32_e32 v14, vcc_lo, 0, v16, vcc_lo
	v_add_co_u32 v13, vcc_lo, 0, v17
	s_delay_alu instid0(VALU_DEP_2) | instskip(NEXT) | instid1(VALU_DEP_1)
	v_add_co_ci_u32_e32 v14, vcc_lo, v18, v14, vcc_lo
	v_dual_mov_b32 v16, v14 :: v_dual_mov_b32 v15, v13
; %bb.25:
	s_or_b32 exec_lo, exec_lo, s3
	v_mov_b32_dpp v13, v17 row_shr:4 row_mask:0xf bank_mask:0xf
	v_mov_b32_dpp v18, v14 row_shr:4 row_mask:0xf bank_mask:0xf
	s_mov_b32 s3, exec_lo
	v_cmpx_lt_u32_e32 3, v44
	;; [unrolled: 14-line block ×3, first 2 shown]
; %bb.28:
	s_delay_alu instid0(VALU_DEP_3) | instskip(SKIP_1) | instid1(VALU_DEP_2)
	v_add_co_u32 v17, vcc_lo, v15, v18
	v_add_co_ci_u32_e32 v14, vcc_lo, 0, v16, vcc_lo
	v_add_co_u32 v15, vcc_lo, 0, v17
	s_delay_alu instid0(VALU_DEP_2) | instskip(NEXT) | instid1(VALU_DEP_1)
	v_add_co_ci_u32_e32 v16, vcc_lo, v13, v14, vcc_lo
	v_mov_b32_e32 v14, v16
; %bb.29:
	s_or_b32 exec_lo, exec_lo, s3
	ds_swizzle_b32 v13, v17 offset:swizzle(BROADCAST,32,15)
	ds_swizzle_b32 v18, v14 offset:swizzle(BROADCAST,32,15)
	v_and_b32_e32 v19, 16, v42
	s_mov_b32 s3, exec_lo
	s_delay_alu instid0(VALU_DEP_1)
	v_cmpx_ne_u32_e32 0, v19
	s_cbranch_execz .LBB820_31
; %bb.30:
	s_waitcnt lgkmcnt(1)
	v_add_co_u32 v17, vcc_lo, v15, v13
	v_add_co_ci_u32_e32 v14, vcc_lo, 0, v16, vcc_lo
	s_delay_alu instid0(VALU_DEP_2) | instskip(SKIP_1) | instid1(VALU_DEP_2)
	v_add_co_u32 v13, vcc_lo, 0, v17
	s_waitcnt lgkmcnt(0)
	v_add_co_ci_u32_e32 v14, vcc_lo, v18, v14, vcc_lo
	s_delay_alu instid0(VALU_DEP_1)
	v_dual_mov_b32 v16, v14 :: v_dual_mov_b32 v15, v13
.LBB820_31:
	s_or_b32 exec_lo, exec_lo, s3
	s_waitcnt lgkmcnt(0)
	v_or_b32_e32 v18, 31, v0
	v_lshrrev_b32_e32 v13, 5, v0
	s_mov_b32 s3, exec_lo
	s_delay_alu instid0(VALU_DEP_2)
	v_cmpx_eq_u32_e64 v18, v0
	s_cbranch_execz .LBB820_33
; %bb.32:
	s_delay_alu instid0(VALU_DEP_2)
	v_lshlrev_b32_e32 v18, 3, v13
	ds_store_b64 v18, v[15:16]
.LBB820_33:
	s_or_b32 exec_lo, exec_lo, s3
	s_delay_alu instid0(SALU_CYCLE_1)
	s_mov_b32 s3, exec_lo
	s_waitcnt lgkmcnt(0)
	s_barrier
	buffer_gl0_inv
	v_cmpx_gt_u32_e32 4, v0
	s_cbranch_execz .LBB820_39
; %bb.34:
	v_lshlrev_b32_e32 v18, 3, v0
	s_mov_b32 s10, exec_lo
	ds_load_b64 v[15:16], v18
	s_waitcnt lgkmcnt(0)
	v_dual_mov_b32 v20, v15 :: v_dual_and_b32 v19, 3, v42
	v_mov_b32_dpp v24, v15 row_shr:1 row_mask:0xf bank_mask:0xf
	v_mov_b32_dpp v23, v16 row_shr:1 row_mask:0xf bank_mask:0xf
	s_delay_alu instid0(VALU_DEP_3)
	v_cmpx_ne_u32_e32 0, v19
; %bb.35:
	s_delay_alu instid0(VALU_DEP_3) | instskip(SKIP_1) | instid1(VALU_DEP_2)
	v_add_co_u32 v20, vcc_lo, v15, v24
	v_add_co_ci_u32_e32 v16, vcc_lo, 0, v16, vcc_lo
	v_add_co_u32 v15, vcc_lo, 0, v20
	s_delay_alu instid0(VALU_DEP_2)
	v_add_co_ci_u32_e32 v16, vcc_lo, v23, v16, vcc_lo
; %bb.36:
	s_or_b32 exec_lo, exec_lo, s10
	v_mov_b32_dpp v23, v20 row_shr:2 row_mask:0xf bank_mask:0xf
	s_delay_alu instid0(VALU_DEP_2)
	v_mov_b32_dpp v20, v16 row_shr:2 row_mask:0xf bank_mask:0xf
	s_mov_b32 s10, exec_lo
	v_cmpx_lt_u32_e32 1, v19
; %bb.37:
	s_delay_alu instid0(VALU_DEP_3) | instskip(SKIP_1) | instid1(VALU_DEP_2)
	v_add_co_u32 v15, vcc_lo, v15, v23
	v_add_co_ci_u32_e32 v16, vcc_lo, 0, v16, vcc_lo
	v_add_co_u32 v15, vcc_lo, v15, 0
	s_delay_alu instid0(VALU_DEP_2)
	v_add_co_ci_u32_e32 v16, vcc_lo, v16, v20, vcc_lo
; %bb.38:
	s_or_b32 exec_lo, exec_lo, s10
	ds_store_b64 v18, v[15:16]
.LBB820_39:
	s_or_b32 exec_lo, exec_lo, s3
	v_cmp_gt_u32_e32 vcc_lo, 32, v0
	s_mov_b32 s10, exec_lo
	s_waitcnt lgkmcnt(0)
	s_barrier
	buffer_gl0_inv
                                        ; implicit-def: $vgpr23_vgpr24
	v_cmpx_lt_u32_e32 31, v0
	s_cbranch_execz .LBB820_41
; %bb.40:
	v_lshl_add_u32 v13, v13, 3, -8
	ds_load_b64 v[23:24], v13
	s_waitcnt lgkmcnt(0)
	v_add_co_u32 v17, s3, v17, v23
	s_delay_alu instid0(VALU_DEP_1)
	v_add_co_ci_u32_e64 v14, s3, v14, v24, s3
.LBB820_41:
	s_or_b32 exec_lo, exec_lo, s10
	v_add_nc_u32_e32 v13, -1, v42
	s_delay_alu instid0(VALU_DEP_1) | instskip(NEXT) | instid1(VALU_DEP_1)
	v_cmp_gt_i32_e64 s3, 0, v13
	v_cndmask_b32_e64 v13, v13, v42, s3
	v_cmp_eq_u32_e64 s3, 0, v42
	s_delay_alu instid0(VALU_DEP_2)
	v_lshlrev_b32_e32 v13, 2, v13
	ds_bpermute_b32 v29, v13, v17
	ds_bpermute_b32 v30, v13, v14
	s_and_saveexec_b32 s10, vcc_lo
	s_cbranch_execz .LBB820_84
; %bb.42:
	v_mov_b32_e32 v16, 0
	ds_load_b64 v[13:14], v16 offset:24
	s_and_saveexec_b32 s11, s3
	s_cbranch_execz .LBB820_44
; %bb.43:
	s_add_i32 s12, s15, 32
	s_mov_b32 s13, 0
	s_delay_alu instid0(SALU_CYCLE_1) | instskip(NEXT) | instid1(SALU_CYCLE_1)
	s_lshl_b64 s[12:13], s[12:13], 4
	s_add_u32 s12, s8, s12
	s_addc_u32 s13, s9, s13
	s_delay_alu instid0(SALU_CYCLE_1)
	v_dual_mov_b32 v15, 1 :: v_dual_mov_b32 v18, s13
	v_mov_b32_e32 v17, s12
	s_waitcnt lgkmcnt(0)
	;;#ASMSTART
	global_store_dwordx4 v[17:18], v[13:16] off	
s_waitcnt vmcnt(0)
	;;#ASMEND
.LBB820_44:
	s_or_b32 exec_lo, exec_lo, s11
	v_xad_u32 v25, v42, -1, s15
	s_mov_b32 s12, 0
	s_mov_b32 s11, exec_lo
	s_delay_alu instid0(VALU_DEP_1) | instskip(NEXT) | instid1(VALU_DEP_1)
	v_add_nc_u32_e32 v15, 32, v25
	v_lshlrev_b64 v[15:16], 4, v[15:16]
	s_delay_alu instid0(VALU_DEP_1) | instskip(NEXT) | instid1(VALU_DEP_2)
	v_add_co_u32 v15, vcc_lo, s8, v15
	v_add_co_ci_u32_e32 v16, vcc_lo, s9, v16, vcc_lo
	;;#ASMSTART
	global_load_dwordx4 v[17:20], v[15:16] off glc	
s_waitcnt vmcnt(0)
	;;#ASMEND
	v_and_b32_e32 v20, 0xff, v18
	v_and_b32_e32 v26, 0xff00, v18
	v_or3_b32 v17, v17, 0, 0
	v_and_b32_e32 v27, 0xff000000, v18
	v_and_b32_e32 v18, 0xff0000, v18
	s_delay_alu instid0(VALU_DEP_4) | instskip(SKIP_2) | instid1(VALU_DEP_3)
	v_or3_b32 v20, 0, v20, v26
	v_and_b32_e32 v26, 0xff, v19
	v_or3_b32 v17, v17, 0, 0
	v_or3_b32 v18, v20, v18, v27
	s_delay_alu instid0(VALU_DEP_3)
	v_cmpx_eq_u16_e32 0, v26
	s_cbranch_execz .LBB820_50
; %bb.45:
	s_mov_b32 s13, 1
	.p2align	6
.LBB820_46:                             ; =>This Loop Header: Depth=1
                                        ;     Child Loop BB820_47 Depth 2
	s_delay_alu instid0(SALU_CYCLE_1)
	s_max_u32 s17, s13, 1
.LBB820_47:                             ;   Parent Loop BB820_46 Depth=1
                                        ; =>  This Inner Loop Header: Depth=2
	s_delay_alu instid0(SALU_CYCLE_1)
	s_add_i32 s17, s17, -1
	s_sleep 1
	s_cmp_eq_u32 s17, 0
	s_cbranch_scc0 .LBB820_47
; %bb.48:                               ;   in Loop: Header=BB820_46 Depth=1
	;;#ASMSTART
	global_load_dwordx4 v[17:20], v[15:16] off glc	
s_waitcnt vmcnt(0)
	;;#ASMEND
	v_and_b32_e32 v20, 0xff, v19
	s_cmp_lt_u32 s13, 32
	s_cselect_b32 s17, -1, 0
	s_delay_alu instid0(SALU_CYCLE_1) | instskip(NEXT) | instid1(VALU_DEP_1)
	s_cmp_lg_u32 s17, 0
	v_cmp_ne_u16_e32 vcc_lo, 0, v20
	s_addc_u32 s13, s13, 0
	s_or_b32 s12, vcc_lo, s12
	s_delay_alu instid0(SALU_CYCLE_1)
	s_and_not1_b32 exec_lo, exec_lo, s12
	s_cbranch_execnz .LBB820_46
; %bb.49:
	s_or_b32 exec_lo, exec_lo, s12
.LBB820_50:
	s_delay_alu instid0(SALU_CYCLE_1)
	s_or_b32 exec_lo, exec_lo, s11
	v_cmp_ne_u32_e32 vcc_lo, 31, v42
	v_and_b32_e32 v16, 0xff, v19
	v_lshlrev_b32_e64 v46, v42, -1
	s_mov_b32 s11, exec_lo
	v_add_co_ci_u32_e32 v15, vcc_lo, 0, v42, vcc_lo
	s_delay_alu instid0(VALU_DEP_3) | instskip(NEXT) | instid1(VALU_DEP_2)
	v_cmp_eq_u16_e32 vcc_lo, 2, v16
	v_dual_mov_b32 v16, v17 :: v_dual_lshlrev_b32 v45, 2, v15
	v_and_or_b32 v15, vcc_lo, v46, 0x80000000
	ds_bpermute_b32 v26, v45, v17
	ds_bpermute_b32 v20, v45, v18
	v_ctz_i32_b32_e32 v15, v15
	s_delay_alu instid0(VALU_DEP_1)
	v_cmpx_lt_u32_e64 v42, v15
	s_cbranch_execz .LBB820_52
; %bb.51:
	s_waitcnt lgkmcnt(1)
	v_add_co_u32 v16, vcc_lo, v17, v26
	v_add_co_ci_u32_e32 v18, vcc_lo, 0, v18, vcc_lo
	s_delay_alu instid0(VALU_DEP_2) | instskip(SKIP_1) | instid1(VALU_DEP_2)
	v_add_co_u32 v17, vcc_lo, 0, v16
	s_waitcnt lgkmcnt(0)
	v_add_co_ci_u32_e32 v18, vcc_lo, v20, v18, vcc_lo
.LBB820_52:
	s_or_b32 exec_lo, exec_lo, s11
	v_cmp_gt_u32_e32 vcc_lo, 30, v42
	v_add_nc_u32_e32 v48, 2, v42
	s_mov_b32 s11, exec_lo
	s_waitcnt lgkmcnt(0)
	v_cndmask_b32_e64 v20, 0, 1, vcc_lo
	s_delay_alu instid0(VALU_DEP_1) | instskip(NEXT) | instid1(VALU_DEP_1)
	v_lshlrev_b32_e32 v20, 1, v20
	v_add_lshl_u32 v47, v20, v42, 2
	ds_bpermute_b32 v26, v47, v16
	ds_bpermute_b32 v20, v47, v18
	v_cmpx_le_u32_e64 v48, v15
	s_cbranch_execz .LBB820_54
; %bb.53:
	s_waitcnt lgkmcnt(1)
	v_add_co_u32 v16, vcc_lo, v17, v26
	v_add_co_ci_u32_e32 v18, vcc_lo, 0, v18, vcc_lo
	s_delay_alu instid0(VALU_DEP_2) | instskip(SKIP_1) | instid1(VALU_DEP_2)
	v_add_co_u32 v17, vcc_lo, 0, v16
	s_waitcnt lgkmcnt(0)
	v_add_co_ci_u32_e32 v18, vcc_lo, v20, v18, vcc_lo
.LBB820_54:
	s_or_b32 exec_lo, exec_lo, s11
	v_cmp_gt_u32_e32 vcc_lo, 28, v42
	v_add_nc_u32_e32 v50, 4, v42
	s_mov_b32 s11, exec_lo
	s_waitcnt lgkmcnt(0)
	v_cndmask_b32_e64 v20, 0, 1, vcc_lo
	s_delay_alu instid0(VALU_DEP_1) | instskip(NEXT) | instid1(VALU_DEP_1)
	v_lshlrev_b32_e32 v20, 2, v20
	v_add_lshl_u32 v49, v20, v42, 2
	ds_bpermute_b32 v26, v49, v16
	ds_bpermute_b32 v20, v49, v18
	v_cmpx_le_u32_e64 v50, v15
	;; [unrolled: 22-line block ×4, first 2 shown]
	s_cbranch_execz .LBB820_60
; %bb.59:
	s_waitcnt lgkmcnt(1)
	v_add_co_u32 v15, vcc_lo, v17, v20
	v_add_co_ci_u32_e32 v18, vcc_lo, 0, v18, vcc_lo
	s_delay_alu instid0(VALU_DEP_2) | instskip(SKIP_1) | instid1(VALU_DEP_2)
	v_add_co_u32 v17, vcc_lo, v15, 0
	s_waitcnt lgkmcnt(0)
	v_add_co_ci_u32_e32 v18, vcc_lo, v18, v16, vcc_lo
.LBB820_60:
	s_or_b32 exec_lo, exec_lo, s11
	v_mov_b32_e32 v26, 0
	s_branch .LBB820_62
.LBB820_61:                             ;   in Loop: Header=BB820_62 Depth=1
	s_or_b32 exec_lo, exec_lo, s11
	v_add_co_u32 v17, vcc_lo, v17, v15
	v_subrev_nc_u32_e32 v25, 32, v25
	v_add_co_ci_u32_e32 v18, vcc_lo, v18, v16, vcc_lo
.LBB820_62:                             ; =>This Loop Header: Depth=1
                                        ;     Child Loop BB820_65 Depth 2
                                        ;       Child Loop BB820_66 Depth 3
	v_and_b32_e32 v15, 0xff, v19
	s_delay_alu instid0(VALU_DEP_1) | instskip(SKIP_2) | instid1(VALU_DEP_1)
	v_cmp_ne_u16_e32 vcc_lo, 2, v15
	v_cndmask_b32_e64 v15, 0, 1, vcc_lo
	;;#ASMSTART
	;;#ASMEND
	v_cmp_ne_u32_e32 vcc_lo, 0, v15
	s_waitcnt lgkmcnt(0)
	v_dual_mov_b32 v15, v17 :: v_dual_mov_b32 v16, v18
	s_cmp_lg_u32 vcc_lo, exec_lo
	s_cbranch_scc1 .LBB820_79
; %bb.63:                               ;   in Loop: Header=BB820_62 Depth=1
	v_lshlrev_b64 v[17:18], 4, v[25:26]
	s_mov_b32 s11, exec_lo
	s_delay_alu instid0(VALU_DEP_1) | instskip(NEXT) | instid1(VALU_DEP_2)
	v_add_co_u32 v27, vcc_lo, s8, v17
	v_add_co_ci_u32_e32 v28, vcc_lo, s9, v18, vcc_lo
	;;#ASMSTART
	global_load_dwordx4 v[17:20], v[27:28] off glc	
s_waitcnt vmcnt(0)
	;;#ASMEND
	v_and_b32_e32 v20, 0xff, v18
	v_and_b32_e32 v55, 0xff00, v18
	v_or3_b32 v17, v17, 0, 0
	v_and_b32_e32 v56, 0xff000000, v18
	v_and_b32_e32 v18, 0xff0000, v18
	s_delay_alu instid0(VALU_DEP_4) | instskip(SKIP_2) | instid1(VALU_DEP_3)
	v_or3_b32 v20, 0, v20, v55
	v_and_b32_e32 v55, 0xff, v19
	v_or3_b32 v17, v17, 0, 0
	v_or3_b32 v18, v20, v18, v56
	s_delay_alu instid0(VALU_DEP_3)
	v_cmpx_eq_u16_e32 0, v55
	s_cbranch_execz .LBB820_69
; %bb.64:                               ;   in Loop: Header=BB820_62 Depth=1
	s_mov_b32 s13, 1
	s_mov_b32 s12, 0
	.p2align	6
.LBB820_65:                             ;   Parent Loop BB820_62 Depth=1
                                        ; =>  This Loop Header: Depth=2
                                        ;       Child Loop BB820_66 Depth 3
	s_max_u32 s17, s13, 1
.LBB820_66:                             ;   Parent Loop BB820_62 Depth=1
                                        ;     Parent Loop BB820_65 Depth=2
                                        ; =>    This Inner Loop Header: Depth=3
	s_delay_alu instid0(SALU_CYCLE_1)
	s_add_i32 s17, s17, -1
	s_sleep 1
	s_cmp_eq_u32 s17, 0
	s_cbranch_scc0 .LBB820_66
; %bb.67:                               ;   in Loop: Header=BB820_65 Depth=2
	;;#ASMSTART
	global_load_dwordx4 v[17:20], v[27:28] off glc	
s_waitcnt vmcnt(0)
	;;#ASMEND
	v_and_b32_e32 v20, 0xff, v19
	s_cmp_lt_u32 s13, 32
	s_cselect_b32 s17, -1, 0
	s_delay_alu instid0(SALU_CYCLE_1) | instskip(NEXT) | instid1(VALU_DEP_1)
	s_cmp_lg_u32 s17, 0
	v_cmp_ne_u16_e32 vcc_lo, 0, v20
	s_addc_u32 s13, s13, 0
	s_or_b32 s12, vcc_lo, s12
	s_delay_alu instid0(SALU_CYCLE_1)
	s_and_not1_b32 exec_lo, exec_lo, s12
	s_cbranch_execnz .LBB820_65
; %bb.68:                               ;   in Loop: Header=BB820_62 Depth=1
	s_or_b32 exec_lo, exec_lo, s12
.LBB820_69:                             ;   in Loop: Header=BB820_62 Depth=1
	s_delay_alu instid0(SALU_CYCLE_1)
	s_or_b32 exec_lo, exec_lo, s11
	v_dual_mov_b32 v27, v17 :: v_dual_and_b32 v20, 0xff, v19
	ds_bpermute_b32 v55, v45, v17
	ds_bpermute_b32 v28, v45, v18
	s_mov_b32 s11, exec_lo
	v_cmp_eq_u16_e32 vcc_lo, 2, v20
	v_and_or_b32 v20, vcc_lo, v46, 0x80000000
	s_delay_alu instid0(VALU_DEP_1) | instskip(NEXT) | instid1(VALU_DEP_1)
	v_ctz_i32_b32_e32 v20, v20
	v_cmpx_lt_u32_e64 v42, v20
	s_cbranch_execz .LBB820_71
; %bb.70:                               ;   in Loop: Header=BB820_62 Depth=1
	s_waitcnt lgkmcnt(1)
	v_add_co_u32 v27, vcc_lo, v17, v55
	v_add_co_ci_u32_e32 v18, vcc_lo, 0, v18, vcc_lo
	s_delay_alu instid0(VALU_DEP_2) | instskip(SKIP_1) | instid1(VALU_DEP_2)
	v_add_co_u32 v17, vcc_lo, 0, v27
	s_waitcnt lgkmcnt(0)
	v_add_co_ci_u32_e32 v18, vcc_lo, v28, v18, vcc_lo
.LBB820_71:                             ;   in Loop: Header=BB820_62 Depth=1
	s_or_b32 exec_lo, exec_lo, s11
	s_waitcnt lgkmcnt(1)
	ds_bpermute_b32 v55, v47, v27
	s_waitcnt lgkmcnt(1)
	ds_bpermute_b32 v28, v47, v18
	s_mov_b32 s11, exec_lo
	v_cmpx_le_u32_e64 v48, v20
	s_cbranch_execz .LBB820_73
; %bb.72:                               ;   in Loop: Header=BB820_62 Depth=1
	s_waitcnt lgkmcnt(1)
	v_add_co_u32 v27, vcc_lo, v17, v55
	v_add_co_ci_u32_e32 v18, vcc_lo, 0, v18, vcc_lo
	s_delay_alu instid0(VALU_DEP_2) | instskip(SKIP_1) | instid1(VALU_DEP_2)
	v_add_co_u32 v17, vcc_lo, 0, v27
	s_waitcnt lgkmcnt(0)
	v_add_co_ci_u32_e32 v18, vcc_lo, v28, v18, vcc_lo
.LBB820_73:                             ;   in Loop: Header=BB820_62 Depth=1
	s_or_b32 exec_lo, exec_lo, s11
	s_waitcnt lgkmcnt(1)
	ds_bpermute_b32 v55, v49, v27
	s_waitcnt lgkmcnt(1)
	ds_bpermute_b32 v28, v49, v18
	s_mov_b32 s11, exec_lo
	v_cmpx_le_u32_e64 v50, v20
	;; [unrolled: 17-line block ×3, first 2 shown]
	s_cbranch_execz .LBB820_77
; %bb.76:                               ;   in Loop: Header=BB820_62 Depth=1
	s_waitcnt lgkmcnt(1)
	v_add_co_u32 v27, vcc_lo, v17, v55
	v_add_co_ci_u32_e32 v18, vcc_lo, 0, v18, vcc_lo
	s_delay_alu instid0(VALU_DEP_2) | instskip(SKIP_1) | instid1(VALU_DEP_2)
	v_add_co_u32 v17, vcc_lo, 0, v27
	s_waitcnt lgkmcnt(0)
	v_add_co_ci_u32_e32 v18, vcc_lo, v28, v18, vcc_lo
.LBB820_77:                             ;   in Loop: Header=BB820_62 Depth=1
	s_or_b32 exec_lo, exec_lo, s11
	s_waitcnt lgkmcnt(0)
	ds_bpermute_b32 v28, v53, v27
	ds_bpermute_b32 v27, v53, v18
	s_mov_b32 s11, exec_lo
	v_cmpx_le_u32_e64 v54, v20
	s_cbranch_execz .LBB820_61
; %bb.78:                               ;   in Loop: Header=BB820_62 Depth=1
	s_waitcnt lgkmcnt(1)
	v_add_co_u32 v17, vcc_lo, v17, v28
	v_add_co_ci_u32_e32 v18, vcc_lo, 0, v18, vcc_lo
	s_delay_alu instid0(VALU_DEP_2) | instskip(SKIP_1) | instid1(VALU_DEP_2)
	v_add_co_u32 v17, vcc_lo, v17, 0
	s_waitcnt lgkmcnt(0)
	v_add_co_ci_u32_e32 v18, vcc_lo, v18, v27, vcc_lo
	s_branch .LBB820_61
.LBB820_79:                             ;   in Loop: Header=BB820_62 Depth=1
                                        ; implicit-def: $vgpr17_vgpr18
	s_cbranch_execz .LBB820_62
; %bb.80:
	s_and_saveexec_b32 s11, s3
	s_cbranch_execz .LBB820_82
; %bb.81:
	s_add_i32 s12, s15, 32
	s_mov_b32 s13, 0
	v_add_co_u32 v17, vcc_lo, v15, v13
	s_lshl_b64 s[12:13], s[12:13], 4
	v_dual_mov_b32 v19, 2 :: v_dual_mov_b32 v20, 0
	s_add_u32 s12, s8, s12
	s_addc_u32 s13, s9, s13
	v_add_co_ci_u32_e32 v18, vcc_lo, v16, v14, vcc_lo
	v_dual_mov_b32 v26, s13 :: v_dual_mov_b32 v25, s12
	;;#ASMSTART
	global_store_dwordx4 v[25:26], v[17:20] off	
s_waitcnt vmcnt(0)
	;;#ASMEND
	ds_store_b128 v20, v[13:16] offset:6144
.LBB820_82:
	s_or_b32 exec_lo, exec_lo, s11
	v_cmp_eq_u32_e32 vcc_lo, 0, v0
	s_and_b32 exec_lo, exec_lo, vcc_lo
	s_cbranch_execz .LBB820_84
; %bb.83:
	v_mov_b32_e32 v13, 0
	ds_store_b64 v13, v[15:16] offset:24
.LBB820_84:
	s_or_b32 exec_lo, exec_lo, s10
	s_waitcnt lgkmcnt(1)
	v_cndmask_b32_e64 v16, v29, v23, s3
	v_cmp_ne_u32_e32 vcc_lo, 0, v0
	v_mov_b32_e32 v15, 0
	s_waitcnt lgkmcnt(0)
	s_barrier
	buffer_gl0_inv
	v_cndmask_b32_e32 v16, 0, v16, vcc_lo
	ds_load_b64 v[13:14], v15 offset:24
	v_cndmask_b32_e64 v17, v30, v24, s3
	s_waitcnt lgkmcnt(0)
	s_barrier
	buffer_gl0_inv
	v_cndmask_b32_e32 v17, 0, v17, vcc_lo
	v_add_co_u32 v29, vcc_lo, v13, v16
	s_delay_alu instid0(VALU_DEP_2) | instskip(SKIP_3) | instid1(VALU_DEP_2)
	v_add_co_ci_u32_e32 v30, vcc_lo, v14, v17, vcc_lo
	ds_load_b128 v[13:16], v15 offset:6144
	v_add_co_u32 v27, vcc_lo, v29, v41
	v_add_co_ci_u32_e32 v28, vcc_lo, 0, v30, vcc_lo
	v_add_co_u32 v25, vcc_lo, v27, v40
	s_delay_alu instid0(VALU_DEP_2) | instskip(NEXT) | instid1(VALU_DEP_2)
	v_add_co_ci_u32_e32 v26, vcc_lo, 0, v28, vcc_lo
	v_add_co_u32 v23, vcc_lo, v25, v39
	s_delay_alu instid0(VALU_DEP_2) | instskip(NEXT) | instid1(VALU_DEP_2)
	;; [unrolled: 3-line block ×3, first 2 shown]
	v_add_co_ci_u32_e32 v20, vcc_lo, 0, v24, vcc_lo
	v_add_co_u32 v17, vcc_lo, v19, v37
	s_delay_alu instid0(VALU_DEP_2)
	v_add_co_ci_u32_e32 v18, vcc_lo, 0, v20, vcc_lo
	s_load_b64 s[10:11], s[0:1], 0x30
.LBB820_85:
	s_waitcnt lgkmcnt(0)
	v_cmp_gt_u64_e32 vcc_lo, 0x81, v[13:14]
	s_mov_b32 s0, -1
	s_cbranch_vccnz .LBB820_113
.LBB820_86:
	s_and_b32 vcc_lo, exec_lo, s0
	s_cbranch_vccnz .LBB820_132
.LBB820_87:
	v_cmp_eq_u32_e32 vcc_lo, 0, v0
	s_and_b32 s0, vcc_lo, s14
	s_delay_alu instid0(SALU_CYCLE_1)
	s_and_saveexec_b32 s1, s0
	s_cbranch_execnz .LBB820_148
.LBB820_88:
	s_nop 0
	s_sendmsg sendmsg(MSG_DEALLOC_VGPRS)
	s_endpgm
.LBB820_89:
                                        ; kill: def $vgpr13_vgpr14 killed $sgpr0_sgpr1 killed $exec
                                        ; implicit-def: $vgpr17_vgpr18
                                        ; implicit-def: $vgpr19_vgpr20
                                        ; implicit-def: $vgpr23_vgpr24
                                        ; implicit-def: $vgpr25_vgpr26
                                        ; implicit-def: $vgpr27_vgpr28
                                        ; implicit-def: $vgpr29_vgpr30
                                        ; implicit-def: $vgpr15_vgpr16
	s_load_b64 s[10:11], s[0:1], 0x30
	s_and_b32 vcc_lo, exec_lo, s3
	s_cbranch_vccz .LBB820_85
; %bb.90:
	s_waitcnt lgkmcnt(0)
	v_dual_mov_b32 v14, 0 :: v_dual_mov_b32 v15, v21
	v_mov_b32_dpp v16, v21 row_shr:1 row_mask:0xf bank_mask:0xf
	s_delay_alu instid0(VALU_DEP_2)
	v_mov_b32_dpp v13, v14 row_shr:1 row_mask:0xf bank_mask:0xf
	s_and_saveexec_b32 s0, s2
; %bb.91:
	s_delay_alu instid0(VALU_DEP_2) | instskip(SKIP_1) | instid1(VALU_DEP_2)
	v_add_co_u32 v15, vcc_lo, v21, v16
	v_add_co_ci_u32_e32 v14, vcc_lo, 0, v22, vcc_lo
	v_add_co_u32 v21, vcc_lo, 0, v15
	s_delay_alu instid0(VALU_DEP_2) | instskip(NEXT) | instid1(VALU_DEP_1)
	v_add_co_ci_u32_e32 v22, vcc_lo, v13, v14, vcc_lo
	v_mov_b32_e32 v14, v22
; %bb.92:
	s_or_b32 exec_lo, exec_lo, s0
	v_mov_b32_dpp v13, v15 row_shr:2 row_mask:0xf bank_mask:0xf
	s_delay_alu instid0(VALU_DEP_2)
	v_mov_b32_dpp v16, v14 row_shr:2 row_mask:0xf bank_mask:0xf
	s_mov_b32 s0, exec_lo
	v_cmpx_lt_u32_e32 1, v44
; %bb.93:
	s_delay_alu instid0(VALU_DEP_3) | instskip(SKIP_1) | instid1(VALU_DEP_2)
	v_add_co_u32 v15, vcc_lo, v21, v13
	v_add_co_ci_u32_e32 v14, vcc_lo, 0, v22, vcc_lo
	v_add_co_u32 v13, vcc_lo, 0, v15
	s_delay_alu instid0(VALU_DEP_2) | instskip(NEXT) | instid1(VALU_DEP_1)
	v_add_co_ci_u32_e32 v14, vcc_lo, v16, v14, vcc_lo
	v_dual_mov_b32 v22, v14 :: v_dual_mov_b32 v21, v13
; %bb.94:
	s_or_b32 exec_lo, exec_lo, s0
	v_mov_b32_dpp v13, v15 row_shr:4 row_mask:0xf bank_mask:0xf
	v_mov_b32_dpp v16, v14 row_shr:4 row_mask:0xf bank_mask:0xf
	s_mov_b32 s0, exec_lo
	v_cmpx_lt_u32_e32 3, v44
; %bb.95:
	s_delay_alu instid0(VALU_DEP_3) | instskip(SKIP_1) | instid1(VALU_DEP_2)
	v_add_co_u32 v15, vcc_lo, v21, v13
	v_add_co_ci_u32_e32 v14, vcc_lo, 0, v22, vcc_lo
	v_add_co_u32 v13, vcc_lo, 0, v15
	s_delay_alu instid0(VALU_DEP_2) | instskip(NEXT) | instid1(VALU_DEP_1)
	v_add_co_ci_u32_e32 v14, vcc_lo, v16, v14, vcc_lo
	v_dual_mov_b32 v22, v14 :: v_dual_mov_b32 v21, v13
; %bb.96:
	s_or_b32 exec_lo, exec_lo, s0
	v_mov_b32_dpp v16, v15 row_shr:8 row_mask:0xf bank_mask:0xf
	v_mov_b32_dpp v13, v14 row_shr:8 row_mask:0xf bank_mask:0xf
	s_mov_b32 s0, exec_lo
	v_cmpx_lt_u32_e32 7, v44
; %bb.97:
	s_delay_alu instid0(VALU_DEP_3) | instskip(SKIP_1) | instid1(VALU_DEP_2)
	v_add_co_u32 v15, vcc_lo, v21, v16
	v_add_co_ci_u32_e32 v14, vcc_lo, 0, v22, vcc_lo
	v_add_co_u32 v21, vcc_lo, 0, v15
	s_delay_alu instid0(VALU_DEP_2) | instskip(NEXT) | instid1(VALU_DEP_1)
	v_add_co_ci_u32_e32 v22, vcc_lo, v13, v14, vcc_lo
	v_mov_b32_e32 v14, v22
; %bb.98:
	s_or_b32 exec_lo, exec_lo, s0
	ds_swizzle_b32 v15, v15 offset:swizzle(BROADCAST,32,15)
	ds_swizzle_b32 v13, v14 offset:swizzle(BROADCAST,32,15)
	v_and_b32_e32 v14, 16, v42
	s_mov_b32 s0, exec_lo
	s_delay_alu instid0(VALU_DEP_1)
	v_cmpx_ne_u32_e32 0, v14
	s_cbranch_execz .LBB820_100
; %bb.99:
	s_waitcnt lgkmcnt(1)
	v_add_co_u32 v14, vcc_lo, v21, v15
	v_add_co_ci_u32_e32 v15, vcc_lo, 0, v22, vcc_lo
	s_delay_alu instid0(VALU_DEP_2) | instskip(SKIP_1) | instid1(VALU_DEP_2)
	v_add_co_u32 v21, vcc_lo, v14, 0
	s_waitcnt lgkmcnt(0)
	v_add_co_ci_u32_e32 v22, vcc_lo, v15, v13, vcc_lo
.LBB820_100:
	s_or_b32 exec_lo, exec_lo, s0
	s_waitcnt lgkmcnt(0)
	v_or_b32_e32 v13, 31, v0
	v_lshrrev_b32_e32 v15, 5, v0
	s_mov_b32 s0, exec_lo
	s_delay_alu instid0(VALU_DEP_2)
	v_cmpx_eq_u32_e64 v13, v0
	s_cbranch_execz .LBB820_102
; %bb.101:
	s_delay_alu instid0(VALU_DEP_2)
	v_lshlrev_b32_e32 v13, 3, v15
	ds_store_b64 v13, v[21:22]
.LBB820_102:
	s_or_b32 exec_lo, exec_lo, s0
	s_delay_alu instid0(SALU_CYCLE_1)
	s_mov_b32 s0, exec_lo
	s_waitcnt lgkmcnt(0)
	s_barrier
	buffer_gl0_inv
	v_cmpx_gt_u32_e32 4, v0
	s_cbranch_execz .LBB820_108
; %bb.103:
	v_lshlrev_b32_e32 v13, 1, v0
	s_mov_b32 s1, exec_lo
	s_delay_alu instid0(VALU_DEP_1)
	v_add_nc_u32_e32 v16, v43, v13
	ds_load_b64 v[13:14], v16
	s_waitcnt lgkmcnt(0)
	v_dual_mov_b32 v18, v13 :: v_dual_and_b32 v17, 3, v42
	v_mov_b32_dpp v20, v13 row_shr:1 row_mask:0xf bank_mask:0xf
	v_mov_b32_dpp v19, v14 row_shr:1 row_mask:0xf bank_mask:0xf
	s_delay_alu instid0(VALU_DEP_3)
	v_cmpx_ne_u32_e32 0, v17
; %bb.104:
	s_delay_alu instid0(VALU_DEP_3) | instskip(SKIP_1) | instid1(VALU_DEP_2)
	v_add_co_u32 v18, vcc_lo, v13, v20
	v_add_co_ci_u32_e32 v14, vcc_lo, 0, v14, vcc_lo
	v_add_co_u32 v13, vcc_lo, 0, v18
	s_delay_alu instid0(VALU_DEP_2)
	v_add_co_ci_u32_e32 v14, vcc_lo, v19, v14, vcc_lo
; %bb.105:
	s_or_b32 exec_lo, exec_lo, s1
	v_mov_b32_dpp v19, v18 row_shr:2 row_mask:0xf bank_mask:0xf
	s_delay_alu instid0(VALU_DEP_2)
	v_mov_b32_dpp v18, v14 row_shr:2 row_mask:0xf bank_mask:0xf
	s_mov_b32 s1, exec_lo
	v_cmpx_lt_u32_e32 1, v17
; %bb.106:
	s_delay_alu instid0(VALU_DEP_3) | instskip(SKIP_1) | instid1(VALU_DEP_2)
	v_add_co_u32 v13, vcc_lo, v13, v19
	v_add_co_ci_u32_e32 v14, vcc_lo, 0, v14, vcc_lo
	v_add_co_u32 v13, vcc_lo, v13, 0
	s_delay_alu instid0(VALU_DEP_2)
	v_add_co_ci_u32_e32 v14, vcc_lo, v14, v18, vcc_lo
; %bb.107:
	s_or_b32 exec_lo, exec_lo, s1
	ds_store_b64 v16, v[13:14]
.LBB820_108:
	s_or_b32 exec_lo, exec_lo, s0
	v_mov_b32_e32 v17, 0
	v_mov_b32_e32 v18, 0
	s_mov_b32 s0, exec_lo
	s_waitcnt lgkmcnt(0)
	s_barrier
	buffer_gl0_inv
	v_cmpx_lt_u32_e32 31, v0
	s_cbranch_execz .LBB820_110
; %bb.109:
	v_lshl_add_u32 v13, v15, 3, -8
	ds_load_b64 v[17:18], v13
.LBB820_110:
	s_or_b32 exec_lo, exec_lo, s0
	v_dual_mov_b32 v16, 0 :: v_dual_add_nc_u32 v13, -1, v42
	s_delay_alu instid0(VALU_DEP_1) | instskip(SKIP_4) | instid1(VALU_DEP_3)
	v_cmp_gt_i32_e32 vcc_lo, 0, v13
	v_cndmask_b32_e32 v13, v13, v42, vcc_lo
	s_waitcnt lgkmcnt(0)
	v_add_co_u32 v14, vcc_lo, v17, v21
	v_add_co_ci_u32_e32 v15, vcc_lo, v18, v22, vcc_lo
	v_lshlrev_b32_e32 v13, 2, v13
	v_cmp_eq_u32_e32 vcc_lo, 0, v0
	ds_bpermute_b32 v19, v13, v14
	ds_bpermute_b32 v20, v13, v15
	ds_load_b64 v[13:14], v16 offset:24
	s_and_saveexec_b32 s0, vcc_lo
	s_cbranch_execz .LBB820_112
; %bb.111:
	s_add_u32 s2, s8, 0x200
	s_addc_u32 s3, s9, 0
	s_delay_alu instid0(SALU_CYCLE_1)
	v_dual_mov_b32 v15, 2 :: v_dual_mov_b32 v22, s3
	v_mov_b32_e32 v21, s2
	s_waitcnt lgkmcnt(0)
	;;#ASMSTART
	global_store_dwordx4 v[21:22], v[13:16] off	
s_waitcnt vmcnt(0)
	;;#ASMEND
.LBB820_112:
	s_or_b32 exec_lo, exec_lo, s0
	v_cmp_eq_u32_e64 s0, 0, v42
	s_waitcnt lgkmcnt(0)
	s_barrier
	buffer_gl0_inv
	v_cndmask_b32_e64 v15, v19, v17, s0
	v_cndmask_b32_e64 v16, v20, v18, s0
	s_delay_alu instid0(VALU_DEP_2) | instskip(NEXT) | instid1(VALU_DEP_2)
	v_cndmask_b32_e64 v29, v15, 0, vcc_lo
	v_cndmask_b32_e64 v30, v16, 0, vcc_lo
	v_mov_b32_e32 v15, 0
	v_mov_b32_e32 v16, 0
	s_delay_alu instid0(VALU_DEP_4) | instskip(NEXT) | instid1(VALU_DEP_4)
	v_add_co_u32 v27, vcc_lo, v29, v41
	v_add_co_ci_u32_e32 v28, vcc_lo, 0, v30, vcc_lo
	s_delay_alu instid0(VALU_DEP_2) | instskip(NEXT) | instid1(VALU_DEP_2)
	v_add_co_u32 v25, vcc_lo, v27, v40
	v_add_co_ci_u32_e32 v26, vcc_lo, 0, v28, vcc_lo
	s_delay_alu instid0(VALU_DEP_2) | instskip(NEXT) | instid1(VALU_DEP_2)
	;; [unrolled: 3-line block ×4, first 2 shown]
	v_add_co_u32 v17, vcc_lo, v19, v37
	v_add_co_ci_u32_e32 v18, vcc_lo, 0, v20, vcc_lo
	v_cmp_gt_u64_e32 vcc_lo, 0x81, v[13:14]
	s_mov_b32 s0, -1
	s_cbranch_vccz .LBB820_86
.LBB820_113:
	v_add_co_u32 v21, vcc_lo, v15, v13
	v_add_co_ci_u32_e32 v22, vcc_lo, v16, v14, vcc_lo
	s_delay_alu instid0(VALU_DEP_1) | instskip(SKIP_1) | instid1(SALU_CYCLE_1)
	v_cmp_lt_u64_e32 vcc_lo, v[29:30], v[21:22]
	s_or_b32 s1, s16, vcc_lo
	s_and_saveexec_b32 s0, s1
	s_cbranch_execz .LBB820_116
; %bb.114:
	v_and_b32_e32 v37, 1, v36
	s_delay_alu instid0(VALU_DEP_1)
	v_cmp_eq_u32_e32 vcc_lo, 1, v37
	s_and_b32 exec_lo, exec_lo, vcc_lo
	s_cbranch_execz .LBB820_116
; %bb.115:
	v_lshlrev_b64 v[37:38], 3, v[29:30]
	s_lshl_b64 s[2:3], s[6:7], 3
	s_delay_alu instid0(SALU_CYCLE_1) | instskip(SKIP_1) | instid1(VALU_DEP_1)
	s_add_u32 s1, s10, s2
	s_addc_u32 s2, s11, s3
	v_add_co_u32 v37, vcc_lo, s1, v37
	s_delay_alu instid0(VALU_DEP_2)
	v_add_co_ci_u32_e32 v38, vcc_lo, s2, v38, vcc_lo
	global_store_b64 v[37:38], v[9:10], off
.LBB820_116:
	s_or_b32 exec_lo, exec_lo, s0
	v_cmp_lt_u64_e32 vcc_lo, v[27:28], v[21:22]
	s_or_b32 s1, s16, vcc_lo
	s_delay_alu instid0(SALU_CYCLE_1)
	s_and_saveexec_b32 s0, s1
	s_cbranch_execz .LBB820_119
; %bb.117:
	v_and_b32_e32 v30, 1, v34
	s_delay_alu instid0(VALU_DEP_1)
	v_cmp_eq_u32_e32 vcc_lo, 1, v30
	s_and_b32 exec_lo, exec_lo, vcc_lo
	s_cbranch_execz .LBB820_119
; %bb.118:
	v_lshlrev_b64 v[37:38], 3, v[27:28]
	s_lshl_b64 s[2:3], s[6:7], 3
	s_delay_alu instid0(SALU_CYCLE_1) | instskip(SKIP_1) | instid1(VALU_DEP_1)
	s_add_u32 s1, s10, s2
	s_addc_u32 s2, s11, s3
	v_add_co_u32 v37, vcc_lo, s1, v37
	s_delay_alu instid0(VALU_DEP_2)
	v_add_co_ci_u32_e32 v38, vcc_lo, s2, v38, vcc_lo
	global_store_b64 v[37:38], v[11:12], off
.LBB820_119:
	s_or_b32 exec_lo, exec_lo, s0
	v_cmp_lt_u64_e32 vcc_lo, v[25:26], v[21:22]
	s_or_b32 s1, s16, vcc_lo
	s_delay_alu instid0(SALU_CYCLE_1)
	s_and_saveexec_b32 s0, s1
	s_cbranch_execz .LBB820_122
; %bb.120:
	v_and_b32_e32 v28, 1, v33
	s_delay_alu instid0(VALU_DEP_1)
	v_cmp_eq_u32_e32 vcc_lo, 1, v28
	s_and_b32 exec_lo, exec_lo, vcc_lo
	s_cbranch_execz .LBB820_122
; %bb.121:
	v_lshlrev_b64 v[37:38], 3, v[25:26]
	s_lshl_b64 s[2:3], s[6:7], 3
	s_delay_alu instid0(SALU_CYCLE_1) | instskip(SKIP_1) | instid1(VALU_DEP_1)
	s_add_u32 s1, s10, s2
	s_addc_u32 s2, s11, s3
	v_add_co_u32 v37, vcc_lo, s1, v37
	s_delay_alu instid0(VALU_DEP_2)
	v_add_co_ci_u32_e32 v38, vcc_lo, s2, v38, vcc_lo
	global_store_b64 v[37:38], v[5:6], off
.LBB820_122:
	s_or_b32 exec_lo, exec_lo, s0
	v_cmp_lt_u64_e32 vcc_lo, v[23:24], v[21:22]
	s_or_b32 s1, s16, vcc_lo
	s_delay_alu instid0(SALU_CYCLE_1)
	s_and_saveexec_b32 s0, s1
	s_cbranch_execz .LBB820_125
; %bb.123:
	v_and_b32_e32 v26, 1, v35
	s_delay_alu instid0(VALU_DEP_1)
	v_cmp_eq_u32_e32 vcc_lo, 1, v26
	s_and_b32 exec_lo, exec_lo, vcc_lo
	s_cbranch_execz .LBB820_125
; %bb.124:
	v_lshlrev_b64 v[37:38], 3, v[23:24]
	s_lshl_b64 s[2:3], s[6:7], 3
	s_delay_alu instid0(SALU_CYCLE_1) | instskip(SKIP_1) | instid1(VALU_DEP_1)
	s_add_u32 s1, s10, s2
	s_addc_u32 s2, s11, s3
	v_add_co_u32 v37, vcc_lo, s1, v37
	s_delay_alu instid0(VALU_DEP_2)
	v_add_co_ci_u32_e32 v38, vcc_lo, s2, v38, vcc_lo
	global_store_b64 v[37:38], v[7:8], off
.LBB820_125:
	s_or_b32 exec_lo, exec_lo, s0
	v_cmp_lt_u64_e32 vcc_lo, v[19:20], v[21:22]
	s_or_b32 s1, s16, vcc_lo
	s_delay_alu instid0(SALU_CYCLE_1)
	s_and_saveexec_b32 s0, s1
	s_cbranch_execz .LBB820_128
; %bb.126:
	v_and_b32_e32 v24, 1, v31
	s_delay_alu instid0(VALU_DEP_1)
	v_cmp_eq_u32_e32 vcc_lo, 1, v24
	s_and_b32 exec_lo, exec_lo, vcc_lo
	s_cbranch_execz .LBB820_128
; %bb.127:
	v_lshlrev_b64 v[37:38], 3, v[19:20]
	s_lshl_b64 s[2:3], s[6:7], 3
	s_delay_alu instid0(SALU_CYCLE_1) | instskip(SKIP_1) | instid1(VALU_DEP_1)
	s_add_u32 s1, s10, s2
	s_addc_u32 s2, s11, s3
	v_add_co_u32 v37, vcc_lo, s1, v37
	s_delay_alu instid0(VALU_DEP_2)
	v_add_co_ci_u32_e32 v38, vcc_lo, s2, v38, vcc_lo
	global_store_b64 v[37:38], v[1:2], off
.LBB820_128:
	s_or_b32 exec_lo, exec_lo, s0
	v_cmp_lt_u64_e32 vcc_lo, v[17:18], v[21:22]
	s_or_b32 s1, s16, vcc_lo
	s_delay_alu instid0(SALU_CYCLE_1)
	s_and_saveexec_b32 s0, s1
	s_cbranch_execz .LBB820_131
; %bb.129:
	v_and_b32_e32 v20, 1, v32
	s_delay_alu instid0(VALU_DEP_1)
	v_cmp_eq_u32_e32 vcc_lo, 1, v20
	s_and_b32 exec_lo, exec_lo, vcc_lo
	s_cbranch_execz .LBB820_131
; %bb.130:
	v_lshlrev_b64 v[20:21], 3, v[17:18]
	s_lshl_b64 s[2:3], s[6:7], 3
	s_delay_alu instid0(SALU_CYCLE_1) | instskip(SKIP_1) | instid1(VALU_DEP_1)
	s_add_u32 s1, s10, s2
	s_addc_u32 s2, s11, s3
	v_add_co_u32 v20, vcc_lo, s1, v20
	s_delay_alu instid0(VALU_DEP_2)
	v_add_co_ci_u32_e32 v21, vcc_lo, s2, v21, vcc_lo
	global_store_b64 v[20:21], v[3:4], off
.LBB820_131:
	s_or_b32 exec_lo, exec_lo, s0
	s_branch .LBB820_87
.LBB820_132:
	v_and_b32_e32 v18, 1, v36
	s_mov_b32 s0, exec_lo
	s_delay_alu instid0(VALU_DEP_1)
	v_cmpx_eq_u32_e32 1, v18
	s_cbranch_execz .LBB820_134
; %bb.133:
	v_sub_nc_u32_e32 v18, v29, v15
	s_delay_alu instid0(VALU_DEP_1)
	v_lshlrev_b32_e32 v18, 3, v18
	ds_store_b64 v18, v[9:10]
.LBB820_134:
	s_or_b32 exec_lo, exec_lo, s0
	v_and_b32_e32 v9, 1, v34
	s_mov_b32 s0, exec_lo
	s_delay_alu instid0(VALU_DEP_1)
	v_cmpx_eq_u32_e32 1, v9
	s_cbranch_execz .LBB820_136
; %bb.135:
	v_sub_nc_u32_e32 v9, v27, v15
	s_delay_alu instid0(VALU_DEP_1)
	v_lshlrev_b32_e32 v9, 3, v9
	ds_store_b64 v9, v[11:12]
.LBB820_136:
	s_or_b32 exec_lo, exec_lo, s0
	;; [unrolled: 12-line block ×6, first 2 shown]
	v_mov_b32_e32 v3, 0
	s_mov_b32 s1, exec_lo
	s_waitcnt lgkmcnt(0)
	s_waitcnt_vscnt null, 0x0
	s_barrier
	buffer_gl0_inv
	v_mov_b32_e32 v1, v3
	s_delay_alu instid0(VALU_DEP_1)
	v_cmpx_gt_u64_e64 v[13:14], v[0:1]
	s_cbranch_execz .LBB820_147
; %bb.145:
	v_lshlrev_b64 v[4:5], 3, v[15:16]
	s_lshl_b64 s[2:3], s[6:7], 3
	v_or_b32_e32 v2, 0x80, v0
	s_delay_alu instid0(VALU_DEP_2) | instskip(NEXT) | instid1(VALU_DEP_3)
	v_add_co_u32 v4, vcc_lo, s10, v4
	v_add_co_ci_u32_e32 v5, vcc_lo, s11, v5, vcc_lo
	s_delay_alu instid0(VALU_DEP_2) | instskip(NEXT) | instid1(VALU_DEP_2)
	v_add_co_u32 v6, vcc_lo, v4, s2
	v_add_co_ci_u32_e32 v7, vcc_lo, s3, v5, vcc_lo
	v_dual_mov_b32 v5, v1 :: v_dual_mov_b32 v4, v0
	s_mov_b32 s2, 0
	.p2align	6
.LBB820_146:                            ; =>This Inner Loop Header: Depth=1
	s_delay_alu instid0(VALU_DEP_1) | instskip(NEXT) | instid1(VALU_DEP_2)
	v_lshlrev_b32_e32 v1, 3, v4
	v_lshlrev_b64 v[10:11], 3, v[4:5]
	v_dual_mov_b32 v5, v3 :: v_dual_mov_b32 v4, v2
	v_cmp_le_u64_e32 vcc_lo, v[13:14], v[2:3]
	v_add_nc_u32_e32 v2, 0x80, v2
	ds_load_b64 v[8:9], v1
	v_add_co_u32 v10, s0, v6, v10
	s_delay_alu instid0(VALU_DEP_1)
	v_add_co_ci_u32_e64 v11, s0, v7, v11, s0
	s_or_b32 s2, vcc_lo, s2
	s_waitcnt lgkmcnt(0)
	global_store_b64 v[10:11], v[8:9], off
	s_and_not1_b32 exec_lo, exec_lo, s2
	s_cbranch_execnz .LBB820_146
.LBB820_147:
	s_or_b32 exec_lo, exec_lo, s1
	v_cmp_eq_u32_e32 vcc_lo, 0, v0
	s_and_b32 s0, vcc_lo, s14
	s_delay_alu instid0(SALU_CYCLE_1)
	s_and_saveexec_b32 s1, s0
	s_cbranch_execz .LBB820_88
.LBB820_148:
	v_add_co_u32 v0, vcc_lo, v15, v13
	v_add_co_ci_u32_e32 v1, vcc_lo, v16, v14, vcc_lo
	v_mov_b32_e32 v2, 0
	s_delay_alu instid0(VALU_DEP_3) | instskip(NEXT) | instid1(VALU_DEP_3)
	v_add_co_u32 v0, vcc_lo, v0, s6
	v_add_co_ci_u32_e32 v1, vcc_lo, s7, v1, vcc_lo
	global_store_b64 v2, v[0:1], s[4:5]
	s_nop 0
	s_sendmsg sendmsg(MSG_DEALLOC_VGPRS)
	s_endpgm
	.section	.rodata,"a",@progbits
	.p2align	6, 0x0
	.amdhsa_kernel _ZN7rocprim17ROCPRIM_400000_NS6detail17trampoline_kernelINS0_14default_configENS1_25partition_config_selectorILNS1_17partition_subalgoE5ElNS0_10empty_typeEbEEZZNS1_14partition_implILS5_5ELb0ES3_mN6hipcub16HIPCUB_304000_NS21CountingInputIteratorIllEEPS6_NSA_22TransformInputIteratorIbN2at6native12_GLOBAL__N_19NonZeroOpIN3c108BFloat16EEEPKSK_lEENS0_5tupleIJPlS6_EEENSP_IJSD_SD_EEES6_PiJS6_EEE10hipError_tPvRmT3_T4_T5_T6_T7_T9_mT8_P12ihipStream_tbDpT10_ENKUlT_T0_E_clISt17integral_constantIbLb1EES1C_IbLb0EEEEDaS18_S19_EUlS18_E_NS1_11comp_targetILNS1_3genE9ELNS1_11target_archE1100ELNS1_3gpuE3ELNS1_3repE0EEENS1_30default_config_static_selectorELNS0_4arch9wavefront6targetE0EEEvT1_
		.amdhsa_group_segment_fixed_size 6160
		.amdhsa_private_segment_fixed_size 0
		.amdhsa_kernarg_size 120
		.amdhsa_user_sgpr_count 15
		.amdhsa_user_sgpr_dispatch_ptr 0
		.amdhsa_user_sgpr_queue_ptr 0
		.amdhsa_user_sgpr_kernarg_segment_ptr 1
		.amdhsa_user_sgpr_dispatch_id 0
		.amdhsa_user_sgpr_private_segment_size 0
		.amdhsa_wavefront_size32 1
		.amdhsa_uses_dynamic_stack 0
		.amdhsa_enable_private_segment 0
		.amdhsa_system_sgpr_workgroup_id_x 1
		.amdhsa_system_sgpr_workgroup_id_y 0
		.amdhsa_system_sgpr_workgroup_id_z 0
		.amdhsa_system_sgpr_workgroup_info 0
		.amdhsa_system_vgpr_workitem_id 0
		.amdhsa_next_free_vgpr 57
		.amdhsa_next_free_sgpr 21
		.amdhsa_reserve_vcc 1
		.amdhsa_float_round_mode_32 0
		.amdhsa_float_round_mode_16_64 0
		.amdhsa_float_denorm_mode_32 3
		.amdhsa_float_denorm_mode_16_64 3
		.amdhsa_dx10_clamp 1
		.amdhsa_ieee_mode 1
		.amdhsa_fp16_overflow 0
		.amdhsa_workgroup_processor_mode 1
		.amdhsa_memory_ordered 1
		.amdhsa_forward_progress 0
		.amdhsa_shared_vgpr_count 0
		.amdhsa_exception_fp_ieee_invalid_op 0
		.amdhsa_exception_fp_denorm_src 0
		.amdhsa_exception_fp_ieee_div_zero 0
		.amdhsa_exception_fp_ieee_overflow 0
		.amdhsa_exception_fp_ieee_underflow 0
		.amdhsa_exception_fp_ieee_inexact 0
		.amdhsa_exception_int_div_zero 0
	.end_amdhsa_kernel
	.section	.text._ZN7rocprim17ROCPRIM_400000_NS6detail17trampoline_kernelINS0_14default_configENS1_25partition_config_selectorILNS1_17partition_subalgoE5ElNS0_10empty_typeEbEEZZNS1_14partition_implILS5_5ELb0ES3_mN6hipcub16HIPCUB_304000_NS21CountingInputIteratorIllEEPS6_NSA_22TransformInputIteratorIbN2at6native12_GLOBAL__N_19NonZeroOpIN3c108BFloat16EEEPKSK_lEENS0_5tupleIJPlS6_EEENSP_IJSD_SD_EEES6_PiJS6_EEE10hipError_tPvRmT3_T4_T5_T6_T7_T9_mT8_P12ihipStream_tbDpT10_ENKUlT_T0_E_clISt17integral_constantIbLb1EES1C_IbLb0EEEEDaS18_S19_EUlS18_E_NS1_11comp_targetILNS1_3genE9ELNS1_11target_archE1100ELNS1_3gpuE3ELNS1_3repE0EEENS1_30default_config_static_selectorELNS0_4arch9wavefront6targetE0EEEvT1_,"axG",@progbits,_ZN7rocprim17ROCPRIM_400000_NS6detail17trampoline_kernelINS0_14default_configENS1_25partition_config_selectorILNS1_17partition_subalgoE5ElNS0_10empty_typeEbEEZZNS1_14partition_implILS5_5ELb0ES3_mN6hipcub16HIPCUB_304000_NS21CountingInputIteratorIllEEPS6_NSA_22TransformInputIteratorIbN2at6native12_GLOBAL__N_19NonZeroOpIN3c108BFloat16EEEPKSK_lEENS0_5tupleIJPlS6_EEENSP_IJSD_SD_EEES6_PiJS6_EEE10hipError_tPvRmT3_T4_T5_T6_T7_T9_mT8_P12ihipStream_tbDpT10_ENKUlT_T0_E_clISt17integral_constantIbLb1EES1C_IbLb0EEEEDaS18_S19_EUlS18_E_NS1_11comp_targetILNS1_3genE9ELNS1_11target_archE1100ELNS1_3gpuE3ELNS1_3repE0EEENS1_30default_config_static_selectorELNS0_4arch9wavefront6targetE0EEEvT1_,comdat
.Lfunc_end820:
	.size	_ZN7rocprim17ROCPRIM_400000_NS6detail17trampoline_kernelINS0_14default_configENS1_25partition_config_selectorILNS1_17partition_subalgoE5ElNS0_10empty_typeEbEEZZNS1_14partition_implILS5_5ELb0ES3_mN6hipcub16HIPCUB_304000_NS21CountingInputIteratorIllEEPS6_NSA_22TransformInputIteratorIbN2at6native12_GLOBAL__N_19NonZeroOpIN3c108BFloat16EEEPKSK_lEENS0_5tupleIJPlS6_EEENSP_IJSD_SD_EEES6_PiJS6_EEE10hipError_tPvRmT3_T4_T5_T6_T7_T9_mT8_P12ihipStream_tbDpT10_ENKUlT_T0_E_clISt17integral_constantIbLb1EES1C_IbLb0EEEEDaS18_S19_EUlS18_E_NS1_11comp_targetILNS1_3genE9ELNS1_11target_archE1100ELNS1_3gpuE3ELNS1_3repE0EEENS1_30default_config_static_selectorELNS0_4arch9wavefront6targetE0EEEvT1_, .Lfunc_end820-_ZN7rocprim17ROCPRIM_400000_NS6detail17trampoline_kernelINS0_14default_configENS1_25partition_config_selectorILNS1_17partition_subalgoE5ElNS0_10empty_typeEbEEZZNS1_14partition_implILS5_5ELb0ES3_mN6hipcub16HIPCUB_304000_NS21CountingInputIteratorIllEEPS6_NSA_22TransformInputIteratorIbN2at6native12_GLOBAL__N_19NonZeroOpIN3c108BFloat16EEEPKSK_lEENS0_5tupleIJPlS6_EEENSP_IJSD_SD_EEES6_PiJS6_EEE10hipError_tPvRmT3_T4_T5_T6_T7_T9_mT8_P12ihipStream_tbDpT10_ENKUlT_T0_E_clISt17integral_constantIbLb1EES1C_IbLb0EEEEDaS18_S19_EUlS18_E_NS1_11comp_targetILNS1_3genE9ELNS1_11target_archE1100ELNS1_3gpuE3ELNS1_3repE0EEENS1_30default_config_static_selectorELNS0_4arch9wavefront6targetE0EEEvT1_
                                        ; -- End function
	.section	.AMDGPU.csdata,"",@progbits
; Kernel info:
; codeLenInByte = 6596
; NumSgprs: 23
; NumVgprs: 57
; ScratchSize: 0
; MemoryBound: 0
; FloatMode: 240
; IeeeMode: 1
; LDSByteSize: 6160 bytes/workgroup (compile time only)
; SGPRBlocks: 2
; VGPRBlocks: 7
; NumSGPRsForWavesPerEU: 23
; NumVGPRsForWavesPerEU: 57
; Occupancy: 16
; WaveLimiterHint : 1
; COMPUTE_PGM_RSRC2:SCRATCH_EN: 0
; COMPUTE_PGM_RSRC2:USER_SGPR: 15
; COMPUTE_PGM_RSRC2:TRAP_HANDLER: 0
; COMPUTE_PGM_RSRC2:TGID_X_EN: 1
; COMPUTE_PGM_RSRC2:TGID_Y_EN: 0
; COMPUTE_PGM_RSRC2:TGID_Z_EN: 0
; COMPUTE_PGM_RSRC2:TIDIG_COMP_CNT: 0
	.section	.text._ZN7rocprim17ROCPRIM_400000_NS6detail17trampoline_kernelINS0_14default_configENS1_25partition_config_selectorILNS1_17partition_subalgoE5ElNS0_10empty_typeEbEEZZNS1_14partition_implILS5_5ELb0ES3_mN6hipcub16HIPCUB_304000_NS21CountingInputIteratorIllEEPS6_NSA_22TransformInputIteratorIbN2at6native12_GLOBAL__N_19NonZeroOpIN3c108BFloat16EEEPKSK_lEENS0_5tupleIJPlS6_EEENSP_IJSD_SD_EEES6_PiJS6_EEE10hipError_tPvRmT3_T4_T5_T6_T7_T9_mT8_P12ihipStream_tbDpT10_ENKUlT_T0_E_clISt17integral_constantIbLb1EES1C_IbLb0EEEEDaS18_S19_EUlS18_E_NS1_11comp_targetILNS1_3genE8ELNS1_11target_archE1030ELNS1_3gpuE2ELNS1_3repE0EEENS1_30default_config_static_selectorELNS0_4arch9wavefront6targetE0EEEvT1_,"axG",@progbits,_ZN7rocprim17ROCPRIM_400000_NS6detail17trampoline_kernelINS0_14default_configENS1_25partition_config_selectorILNS1_17partition_subalgoE5ElNS0_10empty_typeEbEEZZNS1_14partition_implILS5_5ELb0ES3_mN6hipcub16HIPCUB_304000_NS21CountingInputIteratorIllEEPS6_NSA_22TransformInputIteratorIbN2at6native12_GLOBAL__N_19NonZeroOpIN3c108BFloat16EEEPKSK_lEENS0_5tupleIJPlS6_EEENSP_IJSD_SD_EEES6_PiJS6_EEE10hipError_tPvRmT3_T4_T5_T6_T7_T9_mT8_P12ihipStream_tbDpT10_ENKUlT_T0_E_clISt17integral_constantIbLb1EES1C_IbLb0EEEEDaS18_S19_EUlS18_E_NS1_11comp_targetILNS1_3genE8ELNS1_11target_archE1030ELNS1_3gpuE2ELNS1_3repE0EEENS1_30default_config_static_selectorELNS0_4arch9wavefront6targetE0EEEvT1_,comdat
	.globl	_ZN7rocprim17ROCPRIM_400000_NS6detail17trampoline_kernelINS0_14default_configENS1_25partition_config_selectorILNS1_17partition_subalgoE5ElNS0_10empty_typeEbEEZZNS1_14partition_implILS5_5ELb0ES3_mN6hipcub16HIPCUB_304000_NS21CountingInputIteratorIllEEPS6_NSA_22TransformInputIteratorIbN2at6native12_GLOBAL__N_19NonZeroOpIN3c108BFloat16EEEPKSK_lEENS0_5tupleIJPlS6_EEENSP_IJSD_SD_EEES6_PiJS6_EEE10hipError_tPvRmT3_T4_T5_T6_T7_T9_mT8_P12ihipStream_tbDpT10_ENKUlT_T0_E_clISt17integral_constantIbLb1EES1C_IbLb0EEEEDaS18_S19_EUlS18_E_NS1_11comp_targetILNS1_3genE8ELNS1_11target_archE1030ELNS1_3gpuE2ELNS1_3repE0EEENS1_30default_config_static_selectorELNS0_4arch9wavefront6targetE0EEEvT1_ ; -- Begin function _ZN7rocprim17ROCPRIM_400000_NS6detail17trampoline_kernelINS0_14default_configENS1_25partition_config_selectorILNS1_17partition_subalgoE5ElNS0_10empty_typeEbEEZZNS1_14partition_implILS5_5ELb0ES3_mN6hipcub16HIPCUB_304000_NS21CountingInputIteratorIllEEPS6_NSA_22TransformInputIteratorIbN2at6native12_GLOBAL__N_19NonZeroOpIN3c108BFloat16EEEPKSK_lEENS0_5tupleIJPlS6_EEENSP_IJSD_SD_EEES6_PiJS6_EEE10hipError_tPvRmT3_T4_T5_T6_T7_T9_mT8_P12ihipStream_tbDpT10_ENKUlT_T0_E_clISt17integral_constantIbLb1EES1C_IbLb0EEEEDaS18_S19_EUlS18_E_NS1_11comp_targetILNS1_3genE8ELNS1_11target_archE1030ELNS1_3gpuE2ELNS1_3repE0EEENS1_30default_config_static_selectorELNS0_4arch9wavefront6targetE0EEEvT1_
	.p2align	8
	.type	_ZN7rocprim17ROCPRIM_400000_NS6detail17trampoline_kernelINS0_14default_configENS1_25partition_config_selectorILNS1_17partition_subalgoE5ElNS0_10empty_typeEbEEZZNS1_14partition_implILS5_5ELb0ES3_mN6hipcub16HIPCUB_304000_NS21CountingInputIteratorIllEEPS6_NSA_22TransformInputIteratorIbN2at6native12_GLOBAL__N_19NonZeroOpIN3c108BFloat16EEEPKSK_lEENS0_5tupleIJPlS6_EEENSP_IJSD_SD_EEES6_PiJS6_EEE10hipError_tPvRmT3_T4_T5_T6_T7_T9_mT8_P12ihipStream_tbDpT10_ENKUlT_T0_E_clISt17integral_constantIbLb1EES1C_IbLb0EEEEDaS18_S19_EUlS18_E_NS1_11comp_targetILNS1_3genE8ELNS1_11target_archE1030ELNS1_3gpuE2ELNS1_3repE0EEENS1_30default_config_static_selectorELNS0_4arch9wavefront6targetE0EEEvT1_,@function
_ZN7rocprim17ROCPRIM_400000_NS6detail17trampoline_kernelINS0_14default_configENS1_25partition_config_selectorILNS1_17partition_subalgoE5ElNS0_10empty_typeEbEEZZNS1_14partition_implILS5_5ELb0ES3_mN6hipcub16HIPCUB_304000_NS21CountingInputIteratorIllEEPS6_NSA_22TransformInputIteratorIbN2at6native12_GLOBAL__N_19NonZeroOpIN3c108BFloat16EEEPKSK_lEENS0_5tupleIJPlS6_EEENSP_IJSD_SD_EEES6_PiJS6_EEE10hipError_tPvRmT3_T4_T5_T6_T7_T9_mT8_P12ihipStream_tbDpT10_ENKUlT_T0_E_clISt17integral_constantIbLb1EES1C_IbLb0EEEEDaS18_S19_EUlS18_E_NS1_11comp_targetILNS1_3genE8ELNS1_11target_archE1030ELNS1_3gpuE2ELNS1_3repE0EEENS1_30default_config_static_selectorELNS0_4arch9wavefront6targetE0EEEvT1_: ; @_ZN7rocprim17ROCPRIM_400000_NS6detail17trampoline_kernelINS0_14default_configENS1_25partition_config_selectorILNS1_17partition_subalgoE5ElNS0_10empty_typeEbEEZZNS1_14partition_implILS5_5ELb0ES3_mN6hipcub16HIPCUB_304000_NS21CountingInputIteratorIllEEPS6_NSA_22TransformInputIteratorIbN2at6native12_GLOBAL__N_19NonZeroOpIN3c108BFloat16EEEPKSK_lEENS0_5tupleIJPlS6_EEENSP_IJSD_SD_EEES6_PiJS6_EEE10hipError_tPvRmT3_T4_T5_T6_T7_T9_mT8_P12ihipStream_tbDpT10_ENKUlT_T0_E_clISt17integral_constantIbLb1EES1C_IbLb0EEEEDaS18_S19_EUlS18_E_NS1_11comp_targetILNS1_3genE8ELNS1_11target_archE1030ELNS1_3gpuE2ELNS1_3repE0EEENS1_30default_config_static_selectorELNS0_4arch9wavefront6targetE0EEEvT1_
; %bb.0:
	.section	.rodata,"a",@progbits
	.p2align	6, 0x0
	.amdhsa_kernel _ZN7rocprim17ROCPRIM_400000_NS6detail17trampoline_kernelINS0_14default_configENS1_25partition_config_selectorILNS1_17partition_subalgoE5ElNS0_10empty_typeEbEEZZNS1_14partition_implILS5_5ELb0ES3_mN6hipcub16HIPCUB_304000_NS21CountingInputIteratorIllEEPS6_NSA_22TransformInputIteratorIbN2at6native12_GLOBAL__N_19NonZeroOpIN3c108BFloat16EEEPKSK_lEENS0_5tupleIJPlS6_EEENSP_IJSD_SD_EEES6_PiJS6_EEE10hipError_tPvRmT3_T4_T5_T6_T7_T9_mT8_P12ihipStream_tbDpT10_ENKUlT_T0_E_clISt17integral_constantIbLb1EES1C_IbLb0EEEEDaS18_S19_EUlS18_E_NS1_11comp_targetILNS1_3genE8ELNS1_11target_archE1030ELNS1_3gpuE2ELNS1_3repE0EEENS1_30default_config_static_selectorELNS0_4arch9wavefront6targetE0EEEvT1_
		.amdhsa_group_segment_fixed_size 0
		.amdhsa_private_segment_fixed_size 0
		.amdhsa_kernarg_size 120
		.amdhsa_user_sgpr_count 15
		.amdhsa_user_sgpr_dispatch_ptr 0
		.amdhsa_user_sgpr_queue_ptr 0
		.amdhsa_user_sgpr_kernarg_segment_ptr 1
		.amdhsa_user_sgpr_dispatch_id 0
		.amdhsa_user_sgpr_private_segment_size 0
		.amdhsa_wavefront_size32 1
		.amdhsa_uses_dynamic_stack 0
		.amdhsa_enable_private_segment 0
		.amdhsa_system_sgpr_workgroup_id_x 1
		.amdhsa_system_sgpr_workgroup_id_y 0
		.amdhsa_system_sgpr_workgroup_id_z 0
		.amdhsa_system_sgpr_workgroup_info 0
		.amdhsa_system_vgpr_workitem_id 0
		.amdhsa_next_free_vgpr 1
		.amdhsa_next_free_sgpr 1
		.amdhsa_reserve_vcc 0
		.amdhsa_float_round_mode_32 0
		.amdhsa_float_round_mode_16_64 0
		.amdhsa_float_denorm_mode_32 3
		.amdhsa_float_denorm_mode_16_64 3
		.amdhsa_dx10_clamp 1
		.amdhsa_ieee_mode 1
		.amdhsa_fp16_overflow 0
		.amdhsa_workgroup_processor_mode 1
		.amdhsa_memory_ordered 1
		.amdhsa_forward_progress 0
		.amdhsa_shared_vgpr_count 0
		.amdhsa_exception_fp_ieee_invalid_op 0
		.amdhsa_exception_fp_denorm_src 0
		.amdhsa_exception_fp_ieee_div_zero 0
		.amdhsa_exception_fp_ieee_overflow 0
		.amdhsa_exception_fp_ieee_underflow 0
		.amdhsa_exception_fp_ieee_inexact 0
		.amdhsa_exception_int_div_zero 0
	.end_amdhsa_kernel
	.section	.text._ZN7rocprim17ROCPRIM_400000_NS6detail17trampoline_kernelINS0_14default_configENS1_25partition_config_selectorILNS1_17partition_subalgoE5ElNS0_10empty_typeEbEEZZNS1_14partition_implILS5_5ELb0ES3_mN6hipcub16HIPCUB_304000_NS21CountingInputIteratorIllEEPS6_NSA_22TransformInputIteratorIbN2at6native12_GLOBAL__N_19NonZeroOpIN3c108BFloat16EEEPKSK_lEENS0_5tupleIJPlS6_EEENSP_IJSD_SD_EEES6_PiJS6_EEE10hipError_tPvRmT3_T4_T5_T6_T7_T9_mT8_P12ihipStream_tbDpT10_ENKUlT_T0_E_clISt17integral_constantIbLb1EES1C_IbLb0EEEEDaS18_S19_EUlS18_E_NS1_11comp_targetILNS1_3genE8ELNS1_11target_archE1030ELNS1_3gpuE2ELNS1_3repE0EEENS1_30default_config_static_selectorELNS0_4arch9wavefront6targetE0EEEvT1_,"axG",@progbits,_ZN7rocprim17ROCPRIM_400000_NS6detail17trampoline_kernelINS0_14default_configENS1_25partition_config_selectorILNS1_17partition_subalgoE5ElNS0_10empty_typeEbEEZZNS1_14partition_implILS5_5ELb0ES3_mN6hipcub16HIPCUB_304000_NS21CountingInputIteratorIllEEPS6_NSA_22TransformInputIteratorIbN2at6native12_GLOBAL__N_19NonZeroOpIN3c108BFloat16EEEPKSK_lEENS0_5tupleIJPlS6_EEENSP_IJSD_SD_EEES6_PiJS6_EEE10hipError_tPvRmT3_T4_T5_T6_T7_T9_mT8_P12ihipStream_tbDpT10_ENKUlT_T0_E_clISt17integral_constantIbLb1EES1C_IbLb0EEEEDaS18_S19_EUlS18_E_NS1_11comp_targetILNS1_3genE8ELNS1_11target_archE1030ELNS1_3gpuE2ELNS1_3repE0EEENS1_30default_config_static_selectorELNS0_4arch9wavefront6targetE0EEEvT1_,comdat
.Lfunc_end821:
	.size	_ZN7rocprim17ROCPRIM_400000_NS6detail17trampoline_kernelINS0_14default_configENS1_25partition_config_selectorILNS1_17partition_subalgoE5ElNS0_10empty_typeEbEEZZNS1_14partition_implILS5_5ELb0ES3_mN6hipcub16HIPCUB_304000_NS21CountingInputIteratorIllEEPS6_NSA_22TransformInputIteratorIbN2at6native12_GLOBAL__N_19NonZeroOpIN3c108BFloat16EEEPKSK_lEENS0_5tupleIJPlS6_EEENSP_IJSD_SD_EEES6_PiJS6_EEE10hipError_tPvRmT3_T4_T5_T6_T7_T9_mT8_P12ihipStream_tbDpT10_ENKUlT_T0_E_clISt17integral_constantIbLb1EES1C_IbLb0EEEEDaS18_S19_EUlS18_E_NS1_11comp_targetILNS1_3genE8ELNS1_11target_archE1030ELNS1_3gpuE2ELNS1_3repE0EEENS1_30default_config_static_selectorELNS0_4arch9wavefront6targetE0EEEvT1_, .Lfunc_end821-_ZN7rocprim17ROCPRIM_400000_NS6detail17trampoline_kernelINS0_14default_configENS1_25partition_config_selectorILNS1_17partition_subalgoE5ElNS0_10empty_typeEbEEZZNS1_14partition_implILS5_5ELb0ES3_mN6hipcub16HIPCUB_304000_NS21CountingInputIteratorIllEEPS6_NSA_22TransformInputIteratorIbN2at6native12_GLOBAL__N_19NonZeroOpIN3c108BFloat16EEEPKSK_lEENS0_5tupleIJPlS6_EEENSP_IJSD_SD_EEES6_PiJS6_EEE10hipError_tPvRmT3_T4_T5_T6_T7_T9_mT8_P12ihipStream_tbDpT10_ENKUlT_T0_E_clISt17integral_constantIbLb1EES1C_IbLb0EEEEDaS18_S19_EUlS18_E_NS1_11comp_targetILNS1_3genE8ELNS1_11target_archE1030ELNS1_3gpuE2ELNS1_3repE0EEENS1_30default_config_static_selectorELNS0_4arch9wavefront6targetE0EEEvT1_
                                        ; -- End function
	.section	.AMDGPU.csdata,"",@progbits
; Kernel info:
; codeLenInByte = 0
; NumSgprs: 0
; NumVgprs: 0
; ScratchSize: 0
; MemoryBound: 0
; FloatMode: 240
; IeeeMode: 1
; LDSByteSize: 0 bytes/workgroup (compile time only)
; SGPRBlocks: 0
; VGPRBlocks: 0
; NumSGPRsForWavesPerEU: 1
; NumVGPRsForWavesPerEU: 1
; Occupancy: 16
; WaveLimiterHint : 0
; COMPUTE_PGM_RSRC2:SCRATCH_EN: 0
; COMPUTE_PGM_RSRC2:USER_SGPR: 15
; COMPUTE_PGM_RSRC2:TRAP_HANDLER: 0
; COMPUTE_PGM_RSRC2:TGID_X_EN: 1
; COMPUTE_PGM_RSRC2:TGID_Y_EN: 0
; COMPUTE_PGM_RSRC2:TGID_Z_EN: 0
; COMPUTE_PGM_RSRC2:TIDIG_COMP_CNT: 0
	.section	.text._ZN7rocprim17ROCPRIM_400000_NS6detail17trampoline_kernelINS0_14default_configENS1_25partition_config_selectorILNS1_17partition_subalgoE5ElNS0_10empty_typeEbEEZZNS1_14partition_implILS5_5ELb0ES3_mN6hipcub16HIPCUB_304000_NS21CountingInputIteratorIllEEPS6_NSA_22TransformInputIteratorIbN2at6native12_GLOBAL__N_19NonZeroOpIN3c108BFloat16EEEPKSK_lEENS0_5tupleIJPlS6_EEENSP_IJSD_SD_EEES6_PiJS6_EEE10hipError_tPvRmT3_T4_T5_T6_T7_T9_mT8_P12ihipStream_tbDpT10_ENKUlT_T0_E_clISt17integral_constantIbLb0EES1C_IbLb1EEEEDaS18_S19_EUlS18_E_NS1_11comp_targetILNS1_3genE0ELNS1_11target_archE4294967295ELNS1_3gpuE0ELNS1_3repE0EEENS1_30default_config_static_selectorELNS0_4arch9wavefront6targetE0EEEvT1_,"axG",@progbits,_ZN7rocprim17ROCPRIM_400000_NS6detail17trampoline_kernelINS0_14default_configENS1_25partition_config_selectorILNS1_17partition_subalgoE5ElNS0_10empty_typeEbEEZZNS1_14partition_implILS5_5ELb0ES3_mN6hipcub16HIPCUB_304000_NS21CountingInputIteratorIllEEPS6_NSA_22TransformInputIteratorIbN2at6native12_GLOBAL__N_19NonZeroOpIN3c108BFloat16EEEPKSK_lEENS0_5tupleIJPlS6_EEENSP_IJSD_SD_EEES6_PiJS6_EEE10hipError_tPvRmT3_T4_T5_T6_T7_T9_mT8_P12ihipStream_tbDpT10_ENKUlT_T0_E_clISt17integral_constantIbLb0EES1C_IbLb1EEEEDaS18_S19_EUlS18_E_NS1_11comp_targetILNS1_3genE0ELNS1_11target_archE4294967295ELNS1_3gpuE0ELNS1_3repE0EEENS1_30default_config_static_selectorELNS0_4arch9wavefront6targetE0EEEvT1_,comdat
	.globl	_ZN7rocprim17ROCPRIM_400000_NS6detail17trampoline_kernelINS0_14default_configENS1_25partition_config_selectorILNS1_17partition_subalgoE5ElNS0_10empty_typeEbEEZZNS1_14partition_implILS5_5ELb0ES3_mN6hipcub16HIPCUB_304000_NS21CountingInputIteratorIllEEPS6_NSA_22TransformInputIteratorIbN2at6native12_GLOBAL__N_19NonZeroOpIN3c108BFloat16EEEPKSK_lEENS0_5tupleIJPlS6_EEENSP_IJSD_SD_EEES6_PiJS6_EEE10hipError_tPvRmT3_T4_T5_T6_T7_T9_mT8_P12ihipStream_tbDpT10_ENKUlT_T0_E_clISt17integral_constantIbLb0EES1C_IbLb1EEEEDaS18_S19_EUlS18_E_NS1_11comp_targetILNS1_3genE0ELNS1_11target_archE4294967295ELNS1_3gpuE0ELNS1_3repE0EEENS1_30default_config_static_selectorELNS0_4arch9wavefront6targetE0EEEvT1_ ; -- Begin function _ZN7rocprim17ROCPRIM_400000_NS6detail17trampoline_kernelINS0_14default_configENS1_25partition_config_selectorILNS1_17partition_subalgoE5ElNS0_10empty_typeEbEEZZNS1_14partition_implILS5_5ELb0ES3_mN6hipcub16HIPCUB_304000_NS21CountingInputIteratorIllEEPS6_NSA_22TransformInputIteratorIbN2at6native12_GLOBAL__N_19NonZeroOpIN3c108BFloat16EEEPKSK_lEENS0_5tupleIJPlS6_EEENSP_IJSD_SD_EEES6_PiJS6_EEE10hipError_tPvRmT3_T4_T5_T6_T7_T9_mT8_P12ihipStream_tbDpT10_ENKUlT_T0_E_clISt17integral_constantIbLb0EES1C_IbLb1EEEEDaS18_S19_EUlS18_E_NS1_11comp_targetILNS1_3genE0ELNS1_11target_archE4294967295ELNS1_3gpuE0ELNS1_3repE0EEENS1_30default_config_static_selectorELNS0_4arch9wavefront6targetE0EEEvT1_
	.p2align	8
	.type	_ZN7rocprim17ROCPRIM_400000_NS6detail17trampoline_kernelINS0_14default_configENS1_25partition_config_selectorILNS1_17partition_subalgoE5ElNS0_10empty_typeEbEEZZNS1_14partition_implILS5_5ELb0ES3_mN6hipcub16HIPCUB_304000_NS21CountingInputIteratorIllEEPS6_NSA_22TransformInputIteratorIbN2at6native12_GLOBAL__N_19NonZeroOpIN3c108BFloat16EEEPKSK_lEENS0_5tupleIJPlS6_EEENSP_IJSD_SD_EEES6_PiJS6_EEE10hipError_tPvRmT3_T4_T5_T6_T7_T9_mT8_P12ihipStream_tbDpT10_ENKUlT_T0_E_clISt17integral_constantIbLb0EES1C_IbLb1EEEEDaS18_S19_EUlS18_E_NS1_11comp_targetILNS1_3genE0ELNS1_11target_archE4294967295ELNS1_3gpuE0ELNS1_3repE0EEENS1_30default_config_static_selectorELNS0_4arch9wavefront6targetE0EEEvT1_,@function
_ZN7rocprim17ROCPRIM_400000_NS6detail17trampoline_kernelINS0_14default_configENS1_25partition_config_selectorILNS1_17partition_subalgoE5ElNS0_10empty_typeEbEEZZNS1_14partition_implILS5_5ELb0ES3_mN6hipcub16HIPCUB_304000_NS21CountingInputIteratorIllEEPS6_NSA_22TransformInputIteratorIbN2at6native12_GLOBAL__N_19NonZeroOpIN3c108BFloat16EEEPKSK_lEENS0_5tupleIJPlS6_EEENSP_IJSD_SD_EEES6_PiJS6_EEE10hipError_tPvRmT3_T4_T5_T6_T7_T9_mT8_P12ihipStream_tbDpT10_ENKUlT_T0_E_clISt17integral_constantIbLb0EES1C_IbLb1EEEEDaS18_S19_EUlS18_E_NS1_11comp_targetILNS1_3genE0ELNS1_11target_archE4294967295ELNS1_3gpuE0ELNS1_3repE0EEENS1_30default_config_static_selectorELNS0_4arch9wavefront6targetE0EEEvT1_: ; @_ZN7rocprim17ROCPRIM_400000_NS6detail17trampoline_kernelINS0_14default_configENS1_25partition_config_selectorILNS1_17partition_subalgoE5ElNS0_10empty_typeEbEEZZNS1_14partition_implILS5_5ELb0ES3_mN6hipcub16HIPCUB_304000_NS21CountingInputIteratorIllEEPS6_NSA_22TransformInputIteratorIbN2at6native12_GLOBAL__N_19NonZeroOpIN3c108BFloat16EEEPKSK_lEENS0_5tupleIJPlS6_EEENSP_IJSD_SD_EEES6_PiJS6_EEE10hipError_tPvRmT3_T4_T5_T6_T7_T9_mT8_P12ihipStream_tbDpT10_ENKUlT_T0_E_clISt17integral_constantIbLb0EES1C_IbLb1EEEEDaS18_S19_EUlS18_E_NS1_11comp_targetILNS1_3genE0ELNS1_11target_archE4294967295ELNS1_3gpuE0ELNS1_3repE0EEENS1_30default_config_static_selectorELNS0_4arch9wavefront6targetE0EEEvT1_
; %bb.0:
	.section	.rodata,"a",@progbits
	.p2align	6, 0x0
	.amdhsa_kernel _ZN7rocprim17ROCPRIM_400000_NS6detail17trampoline_kernelINS0_14default_configENS1_25partition_config_selectorILNS1_17partition_subalgoE5ElNS0_10empty_typeEbEEZZNS1_14partition_implILS5_5ELb0ES3_mN6hipcub16HIPCUB_304000_NS21CountingInputIteratorIllEEPS6_NSA_22TransformInputIteratorIbN2at6native12_GLOBAL__N_19NonZeroOpIN3c108BFloat16EEEPKSK_lEENS0_5tupleIJPlS6_EEENSP_IJSD_SD_EEES6_PiJS6_EEE10hipError_tPvRmT3_T4_T5_T6_T7_T9_mT8_P12ihipStream_tbDpT10_ENKUlT_T0_E_clISt17integral_constantIbLb0EES1C_IbLb1EEEEDaS18_S19_EUlS18_E_NS1_11comp_targetILNS1_3genE0ELNS1_11target_archE4294967295ELNS1_3gpuE0ELNS1_3repE0EEENS1_30default_config_static_selectorELNS0_4arch9wavefront6targetE0EEEvT1_
		.amdhsa_group_segment_fixed_size 0
		.amdhsa_private_segment_fixed_size 0
		.amdhsa_kernarg_size 136
		.amdhsa_user_sgpr_count 15
		.amdhsa_user_sgpr_dispatch_ptr 0
		.amdhsa_user_sgpr_queue_ptr 0
		.amdhsa_user_sgpr_kernarg_segment_ptr 1
		.amdhsa_user_sgpr_dispatch_id 0
		.amdhsa_user_sgpr_private_segment_size 0
		.amdhsa_wavefront_size32 1
		.amdhsa_uses_dynamic_stack 0
		.amdhsa_enable_private_segment 0
		.amdhsa_system_sgpr_workgroup_id_x 1
		.amdhsa_system_sgpr_workgroup_id_y 0
		.amdhsa_system_sgpr_workgroup_id_z 0
		.amdhsa_system_sgpr_workgroup_info 0
		.amdhsa_system_vgpr_workitem_id 0
		.amdhsa_next_free_vgpr 1
		.amdhsa_next_free_sgpr 1
		.amdhsa_reserve_vcc 0
		.amdhsa_float_round_mode_32 0
		.amdhsa_float_round_mode_16_64 0
		.amdhsa_float_denorm_mode_32 3
		.amdhsa_float_denorm_mode_16_64 3
		.amdhsa_dx10_clamp 1
		.amdhsa_ieee_mode 1
		.amdhsa_fp16_overflow 0
		.amdhsa_workgroup_processor_mode 1
		.amdhsa_memory_ordered 1
		.amdhsa_forward_progress 0
		.amdhsa_shared_vgpr_count 0
		.amdhsa_exception_fp_ieee_invalid_op 0
		.amdhsa_exception_fp_denorm_src 0
		.amdhsa_exception_fp_ieee_div_zero 0
		.amdhsa_exception_fp_ieee_overflow 0
		.amdhsa_exception_fp_ieee_underflow 0
		.amdhsa_exception_fp_ieee_inexact 0
		.amdhsa_exception_int_div_zero 0
	.end_amdhsa_kernel
	.section	.text._ZN7rocprim17ROCPRIM_400000_NS6detail17trampoline_kernelINS0_14default_configENS1_25partition_config_selectorILNS1_17partition_subalgoE5ElNS0_10empty_typeEbEEZZNS1_14partition_implILS5_5ELb0ES3_mN6hipcub16HIPCUB_304000_NS21CountingInputIteratorIllEEPS6_NSA_22TransformInputIteratorIbN2at6native12_GLOBAL__N_19NonZeroOpIN3c108BFloat16EEEPKSK_lEENS0_5tupleIJPlS6_EEENSP_IJSD_SD_EEES6_PiJS6_EEE10hipError_tPvRmT3_T4_T5_T6_T7_T9_mT8_P12ihipStream_tbDpT10_ENKUlT_T0_E_clISt17integral_constantIbLb0EES1C_IbLb1EEEEDaS18_S19_EUlS18_E_NS1_11comp_targetILNS1_3genE0ELNS1_11target_archE4294967295ELNS1_3gpuE0ELNS1_3repE0EEENS1_30default_config_static_selectorELNS0_4arch9wavefront6targetE0EEEvT1_,"axG",@progbits,_ZN7rocprim17ROCPRIM_400000_NS6detail17trampoline_kernelINS0_14default_configENS1_25partition_config_selectorILNS1_17partition_subalgoE5ElNS0_10empty_typeEbEEZZNS1_14partition_implILS5_5ELb0ES3_mN6hipcub16HIPCUB_304000_NS21CountingInputIteratorIllEEPS6_NSA_22TransformInputIteratorIbN2at6native12_GLOBAL__N_19NonZeroOpIN3c108BFloat16EEEPKSK_lEENS0_5tupleIJPlS6_EEENSP_IJSD_SD_EEES6_PiJS6_EEE10hipError_tPvRmT3_T4_T5_T6_T7_T9_mT8_P12ihipStream_tbDpT10_ENKUlT_T0_E_clISt17integral_constantIbLb0EES1C_IbLb1EEEEDaS18_S19_EUlS18_E_NS1_11comp_targetILNS1_3genE0ELNS1_11target_archE4294967295ELNS1_3gpuE0ELNS1_3repE0EEENS1_30default_config_static_selectorELNS0_4arch9wavefront6targetE0EEEvT1_,comdat
.Lfunc_end822:
	.size	_ZN7rocprim17ROCPRIM_400000_NS6detail17trampoline_kernelINS0_14default_configENS1_25partition_config_selectorILNS1_17partition_subalgoE5ElNS0_10empty_typeEbEEZZNS1_14partition_implILS5_5ELb0ES3_mN6hipcub16HIPCUB_304000_NS21CountingInputIteratorIllEEPS6_NSA_22TransformInputIteratorIbN2at6native12_GLOBAL__N_19NonZeroOpIN3c108BFloat16EEEPKSK_lEENS0_5tupleIJPlS6_EEENSP_IJSD_SD_EEES6_PiJS6_EEE10hipError_tPvRmT3_T4_T5_T6_T7_T9_mT8_P12ihipStream_tbDpT10_ENKUlT_T0_E_clISt17integral_constantIbLb0EES1C_IbLb1EEEEDaS18_S19_EUlS18_E_NS1_11comp_targetILNS1_3genE0ELNS1_11target_archE4294967295ELNS1_3gpuE0ELNS1_3repE0EEENS1_30default_config_static_selectorELNS0_4arch9wavefront6targetE0EEEvT1_, .Lfunc_end822-_ZN7rocprim17ROCPRIM_400000_NS6detail17trampoline_kernelINS0_14default_configENS1_25partition_config_selectorILNS1_17partition_subalgoE5ElNS0_10empty_typeEbEEZZNS1_14partition_implILS5_5ELb0ES3_mN6hipcub16HIPCUB_304000_NS21CountingInputIteratorIllEEPS6_NSA_22TransformInputIteratorIbN2at6native12_GLOBAL__N_19NonZeroOpIN3c108BFloat16EEEPKSK_lEENS0_5tupleIJPlS6_EEENSP_IJSD_SD_EEES6_PiJS6_EEE10hipError_tPvRmT3_T4_T5_T6_T7_T9_mT8_P12ihipStream_tbDpT10_ENKUlT_T0_E_clISt17integral_constantIbLb0EES1C_IbLb1EEEEDaS18_S19_EUlS18_E_NS1_11comp_targetILNS1_3genE0ELNS1_11target_archE4294967295ELNS1_3gpuE0ELNS1_3repE0EEENS1_30default_config_static_selectorELNS0_4arch9wavefront6targetE0EEEvT1_
                                        ; -- End function
	.section	.AMDGPU.csdata,"",@progbits
; Kernel info:
; codeLenInByte = 0
; NumSgprs: 0
; NumVgprs: 0
; ScratchSize: 0
; MemoryBound: 0
; FloatMode: 240
; IeeeMode: 1
; LDSByteSize: 0 bytes/workgroup (compile time only)
; SGPRBlocks: 0
; VGPRBlocks: 0
; NumSGPRsForWavesPerEU: 1
; NumVGPRsForWavesPerEU: 1
; Occupancy: 16
; WaveLimiterHint : 0
; COMPUTE_PGM_RSRC2:SCRATCH_EN: 0
; COMPUTE_PGM_RSRC2:USER_SGPR: 15
; COMPUTE_PGM_RSRC2:TRAP_HANDLER: 0
; COMPUTE_PGM_RSRC2:TGID_X_EN: 1
; COMPUTE_PGM_RSRC2:TGID_Y_EN: 0
; COMPUTE_PGM_RSRC2:TGID_Z_EN: 0
; COMPUTE_PGM_RSRC2:TIDIG_COMP_CNT: 0
	.section	.text._ZN7rocprim17ROCPRIM_400000_NS6detail17trampoline_kernelINS0_14default_configENS1_25partition_config_selectorILNS1_17partition_subalgoE5ElNS0_10empty_typeEbEEZZNS1_14partition_implILS5_5ELb0ES3_mN6hipcub16HIPCUB_304000_NS21CountingInputIteratorIllEEPS6_NSA_22TransformInputIteratorIbN2at6native12_GLOBAL__N_19NonZeroOpIN3c108BFloat16EEEPKSK_lEENS0_5tupleIJPlS6_EEENSP_IJSD_SD_EEES6_PiJS6_EEE10hipError_tPvRmT3_T4_T5_T6_T7_T9_mT8_P12ihipStream_tbDpT10_ENKUlT_T0_E_clISt17integral_constantIbLb0EES1C_IbLb1EEEEDaS18_S19_EUlS18_E_NS1_11comp_targetILNS1_3genE5ELNS1_11target_archE942ELNS1_3gpuE9ELNS1_3repE0EEENS1_30default_config_static_selectorELNS0_4arch9wavefront6targetE0EEEvT1_,"axG",@progbits,_ZN7rocprim17ROCPRIM_400000_NS6detail17trampoline_kernelINS0_14default_configENS1_25partition_config_selectorILNS1_17partition_subalgoE5ElNS0_10empty_typeEbEEZZNS1_14partition_implILS5_5ELb0ES3_mN6hipcub16HIPCUB_304000_NS21CountingInputIteratorIllEEPS6_NSA_22TransformInputIteratorIbN2at6native12_GLOBAL__N_19NonZeroOpIN3c108BFloat16EEEPKSK_lEENS0_5tupleIJPlS6_EEENSP_IJSD_SD_EEES6_PiJS6_EEE10hipError_tPvRmT3_T4_T5_T6_T7_T9_mT8_P12ihipStream_tbDpT10_ENKUlT_T0_E_clISt17integral_constantIbLb0EES1C_IbLb1EEEEDaS18_S19_EUlS18_E_NS1_11comp_targetILNS1_3genE5ELNS1_11target_archE942ELNS1_3gpuE9ELNS1_3repE0EEENS1_30default_config_static_selectorELNS0_4arch9wavefront6targetE0EEEvT1_,comdat
	.globl	_ZN7rocprim17ROCPRIM_400000_NS6detail17trampoline_kernelINS0_14default_configENS1_25partition_config_selectorILNS1_17partition_subalgoE5ElNS0_10empty_typeEbEEZZNS1_14partition_implILS5_5ELb0ES3_mN6hipcub16HIPCUB_304000_NS21CountingInputIteratorIllEEPS6_NSA_22TransformInputIteratorIbN2at6native12_GLOBAL__N_19NonZeroOpIN3c108BFloat16EEEPKSK_lEENS0_5tupleIJPlS6_EEENSP_IJSD_SD_EEES6_PiJS6_EEE10hipError_tPvRmT3_T4_T5_T6_T7_T9_mT8_P12ihipStream_tbDpT10_ENKUlT_T0_E_clISt17integral_constantIbLb0EES1C_IbLb1EEEEDaS18_S19_EUlS18_E_NS1_11comp_targetILNS1_3genE5ELNS1_11target_archE942ELNS1_3gpuE9ELNS1_3repE0EEENS1_30default_config_static_selectorELNS0_4arch9wavefront6targetE0EEEvT1_ ; -- Begin function _ZN7rocprim17ROCPRIM_400000_NS6detail17trampoline_kernelINS0_14default_configENS1_25partition_config_selectorILNS1_17partition_subalgoE5ElNS0_10empty_typeEbEEZZNS1_14partition_implILS5_5ELb0ES3_mN6hipcub16HIPCUB_304000_NS21CountingInputIteratorIllEEPS6_NSA_22TransformInputIteratorIbN2at6native12_GLOBAL__N_19NonZeroOpIN3c108BFloat16EEEPKSK_lEENS0_5tupleIJPlS6_EEENSP_IJSD_SD_EEES6_PiJS6_EEE10hipError_tPvRmT3_T4_T5_T6_T7_T9_mT8_P12ihipStream_tbDpT10_ENKUlT_T0_E_clISt17integral_constantIbLb0EES1C_IbLb1EEEEDaS18_S19_EUlS18_E_NS1_11comp_targetILNS1_3genE5ELNS1_11target_archE942ELNS1_3gpuE9ELNS1_3repE0EEENS1_30default_config_static_selectorELNS0_4arch9wavefront6targetE0EEEvT1_
	.p2align	8
	.type	_ZN7rocprim17ROCPRIM_400000_NS6detail17trampoline_kernelINS0_14default_configENS1_25partition_config_selectorILNS1_17partition_subalgoE5ElNS0_10empty_typeEbEEZZNS1_14partition_implILS5_5ELb0ES3_mN6hipcub16HIPCUB_304000_NS21CountingInputIteratorIllEEPS6_NSA_22TransformInputIteratorIbN2at6native12_GLOBAL__N_19NonZeroOpIN3c108BFloat16EEEPKSK_lEENS0_5tupleIJPlS6_EEENSP_IJSD_SD_EEES6_PiJS6_EEE10hipError_tPvRmT3_T4_T5_T6_T7_T9_mT8_P12ihipStream_tbDpT10_ENKUlT_T0_E_clISt17integral_constantIbLb0EES1C_IbLb1EEEEDaS18_S19_EUlS18_E_NS1_11comp_targetILNS1_3genE5ELNS1_11target_archE942ELNS1_3gpuE9ELNS1_3repE0EEENS1_30default_config_static_selectorELNS0_4arch9wavefront6targetE0EEEvT1_,@function
_ZN7rocprim17ROCPRIM_400000_NS6detail17trampoline_kernelINS0_14default_configENS1_25partition_config_selectorILNS1_17partition_subalgoE5ElNS0_10empty_typeEbEEZZNS1_14partition_implILS5_5ELb0ES3_mN6hipcub16HIPCUB_304000_NS21CountingInputIteratorIllEEPS6_NSA_22TransformInputIteratorIbN2at6native12_GLOBAL__N_19NonZeroOpIN3c108BFloat16EEEPKSK_lEENS0_5tupleIJPlS6_EEENSP_IJSD_SD_EEES6_PiJS6_EEE10hipError_tPvRmT3_T4_T5_T6_T7_T9_mT8_P12ihipStream_tbDpT10_ENKUlT_T0_E_clISt17integral_constantIbLb0EES1C_IbLb1EEEEDaS18_S19_EUlS18_E_NS1_11comp_targetILNS1_3genE5ELNS1_11target_archE942ELNS1_3gpuE9ELNS1_3repE0EEENS1_30default_config_static_selectorELNS0_4arch9wavefront6targetE0EEEvT1_: ; @_ZN7rocprim17ROCPRIM_400000_NS6detail17trampoline_kernelINS0_14default_configENS1_25partition_config_selectorILNS1_17partition_subalgoE5ElNS0_10empty_typeEbEEZZNS1_14partition_implILS5_5ELb0ES3_mN6hipcub16HIPCUB_304000_NS21CountingInputIteratorIllEEPS6_NSA_22TransformInputIteratorIbN2at6native12_GLOBAL__N_19NonZeroOpIN3c108BFloat16EEEPKSK_lEENS0_5tupleIJPlS6_EEENSP_IJSD_SD_EEES6_PiJS6_EEE10hipError_tPvRmT3_T4_T5_T6_T7_T9_mT8_P12ihipStream_tbDpT10_ENKUlT_T0_E_clISt17integral_constantIbLb0EES1C_IbLb1EEEEDaS18_S19_EUlS18_E_NS1_11comp_targetILNS1_3genE5ELNS1_11target_archE942ELNS1_3gpuE9ELNS1_3repE0EEENS1_30default_config_static_selectorELNS0_4arch9wavefront6targetE0EEEvT1_
; %bb.0:
	.section	.rodata,"a",@progbits
	.p2align	6, 0x0
	.amdhsa_kernel _ZN7rocprim17ROCPRIM_400000_NS6detail17trampoline_kernelINS0_14default_configENS1_25partition_config_selectorILNS1_17partition_subalgoE5ElNS0_10empty_typeEbEEZZNS1_14partition_implILS5_5ELb0ES3_mN6hipcub16HIPCUB_304000_NS21CountingInputIteratorIllEEPS6_NSA_22TransformInputIteratorIbN2at6native12_GLOBAL__N_19NonZeroOpIN3c108BFloat16EEEPKSK_lEENS0_5tupleIJPlS6_EEENSP_IJSD_SD_EEES6_PiJS6_EEE10hipError_tPvRmT3_T4_T5_T6_T7_T9_mT8_P12ihipStream_tbDpT10_ENKUlT_T0_E_clISt17integral_constantIbLb0EES1C_IbLb1EEEEDaS18_S19_EUlS18_E_NS1_11comp_targetILNS1_3genE5ELNS1_11target_archE942ELNS1_3gpuE9ELNS1_3repE0EEENS1_30default_config_static_selectorELNS0_4arch9wavefront6targetE0EEEvT1_
		.amdhsa_group_segment_fixed_size 0
		.amdhsa_private_segment_fixed_size 0
		.amdhsa_kernarg_size 136
		.amdhsa_user_sgpr_count 15
		.amdhsa_user_sgpr_dispatch_ptr 0
		.amdhsa_user_sgpr_queue_ptr 0
		.amdhsa_user_sgpr_kernarg_segment_ptr 1
		.amdhsa_user_sgpr_dispatch_id 0
		.amdhsa_user_sgpr_private_segment_size 0
		.amdhsa_wavefront_size32 1
		.amdhsa_uses_dynamic_stack 0
		.amdhsa_enable_private_segment 0
		.amdhsa_system_sgpr_workgroup_id_x 1
		.amdhsa_system_sgpr_workgroup_id_y 0
		.amdhsa_system_sgpr_workgroup_id_z 0
		.amdhsa_system_sgpr_workgroup_info 0
		.amdhsa_system_vgpr_workitem_id 0
		.amdhsa_next_free_vgpr 1
		.amdhsa_next_free_sgpr 1
		.amdhsa_reserve_vcc 0
		.amdhsa_float_round_mode_32 0
		.amdhsa_float_round_mode_16_64 0
		.amdhsa_float_denorm_mode_32 3
		.amdhsa_float_denorm_mode_16_64 3
		.amdhsa_dx10_clamp 1
		.amdhsa_ieee_mode 1
		.amdhsa_fp16_overflow 0
		.amdhsa_workgroup_processor_mode 1
		.amdhsa_memory_ordered 1
		.amdhsa_forward_progress 0
		.amdhsa_shared_vgpr_count 0
		.amdhsa_exception_fp_ieee_invalid_op 0
		.amdhsa_exception_fp_denorm_src 0
		.amdhsa_exception_fp_ieee_div_zero 0
		.amdhsa_exception_fp_ieee_overflow 0
		.amdhsa_exception_fp_ieee_underflow 0
		.amdhsa_exception_fp_ieee_inexact 0
		.amdhsa_exception_int_div_zero 0
	.end_amdhsa_kernel
	.section	.text._ZN7rocprim17ROCPRIM_400000_NS6detail17trampoline_kernelINS0_14default_configENS1_25partition_config_selectorILNS1_17partition_subalgoE5ElNS0_10empty_typeEbEEZZNS1_14partition_implILS5_5ELb0ES3_mN6hipcub16HIPCUB_304000_NS21CountingInputIteratorIllEEPS6_NSA_22TransformInputIteratorIbN2at6native12_GLOBAL__N_19NonZeroOpIN3c108BFloat16EEEPKSK_lEENS0_5tupleIJPlS6_EEENSP_IJSD_SD_EEES6_PiJS6_EEE10hipError_tPvRmT3_T4_T5_T6_T7_T9_mT8_P12ihipStream_tbDpT10_ENKUlT_T0_E_clISt17integral_constantIbLb0EES1C_IbLb1EEEEDaS18_S19_EUlS18_E_NS1_11comp_targetILNS1_3genE5ELNS1_11target_archE942ELNS1_3gpuE9ELNS1_3repE0EEENS1_30default_config_static_selectorELNS0_4arch9wavefront6targetE0EEEvT1_,"axG",@progbits,_ZN7rocprim17ROCPRIM_400000_NS6detail17trampoline_kernelINS0_14default_configENS1_25partition_config_selectorILNS1_17partition_subalgoE5ElNS0_10empty_typeEbEEZZNS1_14partition_implILS5_5ELb0ES3_mN6hipcub16HIPCUB_304000_NS21CountingInputIteratorIllEEPS6_NSA_22TransformInputIteratorIbN2at6native12_GLOBAL__N_19NonZeroOpIN3c108BFloat16EEEPKSK_lEENS0_5tupleIJPlS6_EEENSP_IJSD_SD_EEES6_PiJS6_EEE10hipError_tPvRmT3_T4_T5_T6_T7_T9_mT8_P12ihipStream_tbDpT10_ENKUlT_T0_E_clISt17integral_constantIbLb0EES1C_IbLb1EEEEDaS18_S19_EUlS18_E_NS1_11comp_targetILNS1_3genE5ELNS1_11target_archE942ELNS1_3gpuE9ELNS1_3repE0EEENS1_30default_config_static_selectorELNS0_4arch9wavefront6targetE0EEEvT1_,comdat
.Lfunc_end823:
	.size	_ZN7rocprim17ROCPRIM_400000_NS6detail17trampoline_kernelINS0_14default_configENS1_25partition_config_selectorILNS1_17partition_subalgoE5ElNS0_10empty_typeEbEEZZNS1_14partition_implILS5_5ELb0ES3_mN6hipcub16HIPCUB_304000_NS21CountingInputIteratorIllEEPS6_NSA_22TransformInputIteratorIbN2at6native12_GLOBAL__N_19NonZeroOpIN3c108BFloat16EEEPKSK_lEENS0_5tupleIJPlS6_EEENSP_IJSD_SD_EEES6_PiJS6_EEE10hipError_tPvRmT3_T4_T5_T6_T7_T9_mT8_P12ihipStream_tbDpT10_ENKUlT_T0_E_clISt17integral_constantIbLb0EES1C_IbLb1EEEEDaS18_S19_EUlS18_E_NS1_11comp_targetILNS1_3genE5ELNS1_11target_archE942ELNS1_3gpuE9ELNS1_3repE0EEENS1_30default_config_static_selectorELNS0_4arch9wavefront6targetE0EEEvT1_, .Lfunc_end823-_ZN7rocprim17ROCPRIM_400000_NS6detail17trampoline_kernelINS0_14default_configENS1_25partition_config_selectorILNS1_17partition_subalgoE5ElNS0_10empty_typeEbEEZZNS1_14partition_implILS5_5ELb0ES3_mN6hipcub16HIPCUB_304000_NS21CountingInputIteratorIllEEPS6_NSA_22TransformInputIteratorIbN2at6native12_GLOBAL__N_19NonZeroOpIN3c108BFloat16EEEPKSK_lEENS0_5tupleIJPlS6_EEENSP_IJSD_SD_EEES6_PiJS6_EEE10hipError_tPvRmT3_T4_T5_T6_T7_T9_mT8_P12ihipStream_tbDpT10_ENKUlT_T0_E_clISt17integral_constantIbLb0EES1C_IbLb1EEEEDaS18_S19_EUlS18_E_NS1_11comp_targetILNS1_3genE5ELNS1_11target_archE942ELNS1_3gpuE9ELNS1_3repE0EEENS1_30default_config_static_selectorELNS0_4arch9wavefront6targetE0EEEvT1_
                                        ; -- End function
	.section	.AMDGPU.csdata,"",@progbits
; Kernel info:
; codeLenInByte = 0
; NumSgprs: 0
; NumVgprs: 0
; ScratchSize: 0
; MemoryBound: 0
; FloatMode: 240
; IeeeMode: 1
; LDSByteSize: 0 bytes/workgroup (compile time only)
; SGPRBlocks: 0
; VGPRBlocks: 0
; NumSGPRsForWavesPerEU: 1
; NumVGPRsForWavesPerEU: 1
; Occupancy: 16
; WaveLimiterHint : 0
; COMPUTE_PGM_RSRC2:SCRATCH_EN: 0
; COMPUTE_PGM_RSRC2:USER_SGPR: 15
; COMPUTE_PGM_RSRC2:TRAP_HANDLER: 0
; COMPUTE_PGM_RSRC2:TGID_X_EN: 1
; COMPUTE_PGM_RSRC2:TGID_Y_EN: 0
; COMPUTE_PGM_RSRC2:TGID_Z_EN: 0
; COMPUTE_PGM_RSRC2:TIDIG_COMP_CNT: 0
	.section	.text._ZN7rocprim17ROCPRIM_400000_NS6detail17trampoline_kernelINS0_14default_configENS1_25partition_config_selectorILNS1_17partition_subalgoE5ElNS0_10empty_typeEbEEZZNS1_14partition_implILS5_5ELb0ES3_mN6hipcub16HIPCUB_304000_NS21CountingInputIteratorIllEEPS6_NSA_22TransformInputIteratorIbN2at6native12_GLOBAL__N_19NonZeroOpIN3c108BFloat16EEEPKSK_lEENS0_5tupleIJPlS6_EEENSP_IJSD_SD_EEES6_PiJS6_EEE10hipError_tPvRmT3_T4_T5_T6_T7_T9_mT8_P12ihipStream_tbDpT10_ENKUlT_T0_E_clISt17integral_constantIbLb0EES1C_IbLb1EEEEDaS18_S19_EUlS18_E_NS1_11comp_targetILNS1_3genE4ELNS1_11target_archE910ELNS1_3gpuE8ELNS1_3repE0EEENS1_30default_config_static_selectorELNS0_4arch9wavefront6targetE0EEEvT1_,"axG",@progbits,_ZN7rocprim17ROCPRIM_400000_NS6detail17trampoline_kernelINS0_14default_configENS1_25partition_config_selectorILNS1_17partition_subalgoE5ElNS0_10empty_typeEbEEZZNS1_14partition_implILS5_5ELb0ES3_mN6hipcub16HIPCUB_304000_NS21CountingInputIteratorIllEEPS6_NSA_22TransformInputIteratorIbN2at6native12_GLOBAL__N_19NonZeroOpIN3c108BFloat16EEEPKSK_lEENS0_5tupleIJPlS6_EEENSP_IJSD_SD_EEES6_PiJS6_EEE10hipError_tPvRmT3_T4_T5_T6_T7_T9_mT8_P12ihipStream_tbDpT10_ENKUlT_T0_E_clISt17integral_constantIbLb0EES1C_IbLb1EEEEDaS18_S19_EUlS18_E_NS1_11comp_targetILNS1_3genE4ELNS1_11target_archE910ELNS1_3gpuE8ELNS1_3repE0EEENS1_30default_config_static_selectorELNS0_4arch9wavefront6targetE0EEEvT1_,comdat
	.globl	_ZN7rocprim17ROCPRIM_400000_NS6detail17trampoline_kernelINS0_14default_configENS1_25partition_config_selectorILNS1_17partition_subalgoE5ElNS0_10empty_typeEbEEZZNS1_14partition_implILS5_5ELb0ES3_mN6hipcub16HIPCUB_304000_NS21CountingInputIteratorIllEEPS6_NSA_22TransformInputIteratorIbN2at6native12_GLOBAL__N_19NonZeroOpIN3c108BFloat16EEEPKSK_lEENS0_5tupleIJPlS6_EEENSP_IJSD_SD_EEES6_PiJS6_EEE10hipError_tPvRmT3_T4_T5_T6_T7_T9_mT8_P12ihipStream_tbDpT10_ENKUlT_T0_E_clISt17integral_constantIbLb0EES1C_IbLb1EEEEDaS18_S19_EUlS18_E_NS1_11comp_targetILNS1_3genE4ELNS1_11target_archE910ELNS1_3gpuE8ELNS1_3repE0EEENS1_30default_config_static_selectorELNS0_4arch9wavefront6targetE0EEEvT1_ ; -- Begin function _ZN7rocprim17ROCPRIM_400000_NS6detail17trampoline_kernelINS0_14default_configENS1_25partition_config_selectorILNS1_17partition_subalgoE5ElNS0_10empty_typeEbEEZZNS1_14partition_implILS5_5ELb0ES3_mN6hipcub16HIPCUB_304000_NS21CountingInputIteratorIllEEPS6_NSA_22TransformInputIteratorIbN2at6native12_GLOBAL__N_19NonZeroOpIN3c108BFloat16EEEPKSK_lEENS0_5tupleIJPlS6_EEENSP_IJSD_SD_EEES6_PiJS6_EEE10hipError_tPvRmT3_T4_T5_T6_T7_T9_mT8_P12ihipStream_tbDpT10_ENKUlT_T0_E_clISt17integral_constantIbLb0EES1C_IbLb1EEEEDaS18_S19_EUlS18_E_NS1_11comp_targetILNS1_3genE4ELNS1_11target_archE910ELNS1_3gpuE8ELNS1_3repE0EEENS1_30default_config_static_selectorELNS0_4arch9wavefront6targetE0EEEvT1_
	.p2align	8
	.type	_ZN7rocprim17ROCPRIM_400000_NS6detail17trampoline_kernelINS0_14default_configENS1_25partition_config_selectorILNS1_17partition_subalgoE5ElNS0_10empty_typeEbEEZZNS1_14partition_implILS5_5ELb0ES3_mN6hipcub16HIPCUB_304000_NS21CountingInputIteratorIllEEPS6_NSA_22TransformInputIteratorIbN2at6native12_GLOBAL__N_19NonZeroOpIN3c108BFloat16EEEPKSK_lEENS0_5tupleIJPlS6_EEENSP_IJSD_SD_EEES6_PiJS6_EEE10hipError_tPvRmT3_T4_T5_T6_T7_T9_mT8_P12ihipStream_tbDpT10_ENKUlT_T0_E_clISt17integral_constantIbLb0EES1C_IbLb1EEEEDaS18_S19_EUlS18_E_NS1_11comp_targetILNS1_3genE4ELNS1_11target_archE910ELNS1_3gpuE8ELNS1_3repE0EEENS1_30default_config_static_selectorELNS0_4arch9wavefront6targetE0EEEvT1_,@function
_ZN7rocprim17ROCPRIM_400000_NS6detail17trampoline_kernelINS0_14default_configENS1_25partition_config_selectorILNS1_17partition_subalgoE5ElNS0_10empty_typeEbEEZZNS1_14partition_implILS5_5ELb0ES3_mN6hipcub16HIPCUB_304000_NS21CountingInputIteratorIllEEPS6_NSA_22TransformInputIteratorIbN2at6native12_GLOBAL__N_19NonZeroOpIN3c108BFloat16EEEPKSK_lEENS0_5tupleIJPlS6_EEENSP_IJSD_SD_EEES6_PiJS6_EEE10hipError_tPvRmT3_T4_T5_T6_T7_T9_mT8_P12ihipStream_tbDpT10_ENKUlT_T0_E_clISt17integral_constantIbLb0EES1C_IbLb1EEEEDaS18_S19_EUlS18_E_NS1_11comp_targetILNS1_3genE4ELNS1_11target_archE910ELNS1_3gpuE8ELNS1_3repE0EEENS1_30default_config_static_selectorELNS0_4arch9wavefront6targetE0EEEvT1_: ; @_ZN7rocprim17ROCPRIM_400000_NS6detail17trampoline_kernelINS0_14default_configENS1_25partition_config_selectorILNS1_17partition_subalgoE5ElNS0_10empty_typeEbEEZZNS1_14partition_implILS5_5ELb0ES3_mN6hipcub16HIPCUB_304000_NS21CountingInputIteratorIllEEPS6_NSA_22TransformInputIteratorIbN2at6native12_GLOBAL__N_19NonZeroOpIN3c108BFloat16EEEPKSK_lEENS0_5tupleIJPlS6_EEENSP_IJSD_SD_EEES6_PiJS6_EEE10hipError_tPvRmT3_T4_T5_T6_T7_T9_mT8_P12ihipStream_tbDpT10_ENKUlT_T0_E_clISt17integral_constantIbLb0EES1C_IbLb1EEEEDaS18_S19_EUlS18_E_NS1_11comp_targetILNS1_3genE4ELNS1_11target_archE910ELNS1_3gpuE8ELNS1_3repE0EEENS1_30default_config_static_selectorELNS0_4arch9wavefront6targetE0EEEvT1_
; %bb.0:
	.section	.rodata,"a",@progbits
	.p2align	6, 0x0
	.amdhsa_kernel _ZN7rocprim17ROCPRIM_400000_NS6detail17trampoline_kernelINS0_14default_configENS1_25partition_config_selectorILNS1_17partition_subalgoE5ElNS0_10empty_typeEbEEZZNS1_14partition_implILS5_5ELb0ES3_mN6hipcub16HIPCUB_304000_NS21CountingInputIteratorIllEEPS6_NSA_22TransformInputIteratorIbN2at6native12_GLOBAL__N_19NonZeroOpIN3c108BFloat16EEEPKSK_lEENS0_5tupleIJPlS6_EEENSP_IJSD_SD_EEES6_PiJS6_EEE10hipError_tPvRmT3_T4_T5_T6_T7_T9_mT8_P12ihipStream_tbDpT10_ENKUlT_T0_E_clISt17integral_constantIbLb0EES1C_IbLb1EEEEDaS18_S19_EUlS18_E_NS1_11comp_targetILNS1_3genE4ELNS1_11target_archE910ELNS1_3gpuE8ELNS1_3repE0EEENS1_30default_config_static_selectorELNS0_4arch9wavefront6targetE0EEEvT1_
		.amdhsa_group_segment_fixed_size 0
		.amdhsa_private_segment_fixed_size 0
		.amdhsa_kernarg_size 136
		.amdhsa_user_sgpr_count 15
		.amdhsa_user_sgpr_dispatch_ptr 0
		.amdhsa_user_sgpr_queue_ptr 0
		.amdhsa_user_sgpr_kernarg_segment_ptr 1
		.amdhsa_user_sgpr_dispatch_id 0
		.amdhsa_user_sgpr_private_segment_size 0
		.amdhsa_wavefront_size32 1
		.amdhsa_uses_dynamic_stack 0
		.amdhsa_enable_private_segment 0
		.amdhsa_system_sgpr_workgroup_id_x 1
		.amdhsa_system_sgpr_workgroup_id_y 0
		.amdhsa_system_sgpr_workgroup_id_z 0
		.amdhsa_system_sgpr_workgroup_info 0
		.amdhsa_system_vgpr_workitem_id 0
		.amdhsa_next_free_vgpr 1
		.amdhsa_next_free_sgpr 1
		.amdhsa_reserve_vcc 0
		.amdhsa_float_round_mode_32 0
		.amdhsa_float_round_mode_16_64 0
		.amdhsa_float_denorm_mode_32 3
		.amdhsa_float_denorm_mode_16_64 3
		.amdhsa_dx10_clamp 1
		.amdhsa_ieee_mode 1
		.amdhsa_fp16_overflow 0
		.amdhsa_workgroup_processor_mode 1
		.amdhsa_memory_ordered 1
		.amdhsa_forward_progress 0
		.amdhsa_shared_vgpr_count 0
		.amdhsa_exception_fp_ieee_invalid_op 0
		.amdhsa_exception_fp_denorm_src 0
		.amdhsa_exception_fp_ieee_div_zero 0
		.amdhsa_exception_fp_ieee_overflow 0
		.amdhsa_exception_fp_ieee_underflow 0
		.amdhsa_exception_fp_ieee_inexact 0
		.amdhsa_exception_int_div_zero 0
	.end_amdhsa_kernel
	.section	.text._ZN7rocprim17ROCPRIM_400000_NS6detail17trampoline_kernelINS0_14default_configENS1_25partition_config_selectorILNS1_17partition_subalgoE5ElNS0_10empty_typeEbEEZZNS1_14partition_implILS5_5ELb0ES3_mN6hipcub16HIPCUB_304000_NS21CountingInputIteratorIllEEPS6_NSA_22TransformInputIteratorIbN2at6native12_GLOBAL__N_19NonZeroOpIN3c108BFloat16EEEPKSK_lEENS0_5tupleIJPlS6_EEENSP_IJSD_SD_EEES6_PiJS6_EEE10hipError_tPvRmT3_T4_T5_T6_T7_T9_mT8_P12ihipStream_tbDpT10_ENKUlT_T0_E_clISt17integral_constantIbLb0EES1C_IbLb1EEEEDaS18_S19_EUlS18_E_NS1_11comp_targetILNS1_3genE4ELNS1_11target_archE910ELNS1_3gpuE8ELNS1_3repE0EEENS1_30default_config_static_selectorELNS0_4arch9wavefront6targetE0EEEvT1_,"axG",@progbits,_ZN7rocprim17ROCPRIM_400000_NS6detail17trampoline_kernelINS0_14default_configENS1_25partition_config_selectorILNS1_17partition_subalgoE5ElNS0_10empty_typeEbEEZZNS1_14partition_implILS5_5ELb0ES3_mN6hipcub16HIPCUB_304000_NS21CountingInputIteratorIllEEPS6_NSA_22TransformInputIteratorIbN2at6native12_GLOBAL__N_19NonZeroOpIN3c108BFloat16EEEPKSK_lEENS0_5tupleIJPlS6_EEENSP_IJSD_SD_EEES6_PiJS6_EEE10hipError_tPvRmT3_T4_T5_T6_T7_T9_mT8_P12ihipStream_tbDpT10_ENKUlT_T0_E_clISt17integral_constantIbLb0EES1C_IbLb1EEEEDaS18_S19_EUlS18_E_NS1_11comp_targetILNS1_3genE4ELNS1_11target_archE910ELNS1_3gpuE8ELNS1_3repE0EEENS1_30default_config_static_selectorELNS0_4arch9wavefront6targetE0EEEvT1_,comdat
.Lfunc_end824:
	.size	_ZN7rocprim17ROCPRIM_400000_NS6detail17trampoline_kernelINS0_14default_configENS1_25partition_config_selectorILNS1_17partition_subalgoE5ElNS0_10empty_typeEbEEZZNS1_14partition_implILS5_5ELb0ES3_mN6hipcub16HIPCUB_304000_NS21CountingInputIteratorIllEEPS6_NSA_22TransformInputIteratorIbN2at6native12_GLOBAL__N_19NonZeroOpIN3c108BFloat16EEEPKSK_lEENS0_5tupleIJPlS6_EEENSP_IJSD_SD_EEES6_PiJS6_EEE10hipError_tPvRmT3_T4_T5_T6_T7_T9_mT8_P12ihipStream_tbDpT10_ENKUlT_T0_E_clISt17integral_constantIbLb0EES1C_IbLb1EEEEDaS18_S19_EUlS18_E_NS1_11comp_targetILNS1_3genE4ELNS1_11target_archE910ELNS1_3gpuE8ELNS1_3repE0EEENS1_30default_config_static_selectorELNS0_4arch9wavefront6targetE0EEEvT1_, .Lfunc_end824-_ZN7rocprim17ROCPRIM_400000_NS6detail17trampoline_kernelINS0_14default_configENS1_25partition_config_selectorILNS1_17partition_subalgoE5ElNS0_10empty_typeEbEEZZNS1_14partition_implILS5_5ELb0ES3_mN6hipcub16HIPCUB_304000_NS21CountingInputIteratorIllEEPS6_NSA_22TransformInputIteratorIbN2at6native12_GLOBAL__N_19NonZeroOpIN3c108BFloat16EEEPKSK_lEENS0_5tupleIJPlS6_EEENSP_IJSD_SD_EEES6_PiJS6_EEE10hipError_tPvRmT3_T4_T5_T6_T7_T9_mT8_P12ihipStream_tbDpT10_ENKUlT_T0_E_clISt17integral_constantIbLb0EES1C_IbLb1EEEEDaS18_S19_EUlS18_E_NS1_11comp_targetILNS1_3genE4ELNS1_11target_archE910ELNS1_3gpuE8ELNS1_3repE0EEENS1_30default_config_static_selectorELNS0_4arch9wavefront6targetE0EEEvT1_
                                        ; -- End function
	.section	.AMDGPU.csdata,"",@progbits
; Kernel info:
; codeLenInByte = 0
; NumSgprs: 0
; NumVgprs: 0
; ScratchSize: 0
; MemoryBound: 0
; FloatMode: 240
; IeeeMode: 1
; LDSByteSize: 0 bytes/workgroup (compile time only)
; SGPRBlocks: 0
; VGPRBlocks: 0
; NumSGPRsForWavesPerEU: 1
; NumVGPRsForWavesPerEU: 1
; Occupancy: 15
; WaveLimiterHint : 0
; COMPUTE_PGM_RSRC2:SCRATCH_EN: 0
; COMPUTE_PGM_RSRC2:USER_SGPR: 15
; COMPUTE_PGM_RSRC2:TRAP_HANDLER: 0
; COMPUTE_PGM_RSRC2:TGID_X_EN: 1
; COMPUTE_PGM_RSRC2:TGID_Y_EN: 0
; COMPUTE_PGM_RSRC2:TGID_Z_EN: 0
; COMPUTE_PGM_RSRC2:TIDIG_COMP_CNT: 0
	.section	.text._ZN7rocprim17ROCPRIM_400000_NS6detail17trampoline_kernelINS0_14default_configENS1_25partition_config_selectorILNS1_17partition_subalgoE5ElNS0_10empty_typeEbEEZZNS1_14partition_implILS5_5ELb0ES3_mN6hipcub16HIPCUB_304000_NS21CountingInputIteratorIllEEPS6_NSA_22TransformInputIteratorIbN2at6native12_GLOBAL__N_19NonZeroOpIN3c108BFloat16EEEPKSK_lEENS0_5tupleIJPlS6_EEENSP_IJSD_SD_EEES6_PiJS6_EEE10hipError_tPvRmT3_T4_T5_T6_T7_T9_mT8_P12ihipStream_tbDpT10_ENKUlT_T0_E_clISt17integral_constantIbLb0EES1C_IbLb1EEEEDaS18_S19_EUlS18_E_NS1_11comp_targetILNS1_3genE3ELNS1_11target_archE908ELNS1_3gpuE7ELNS1_3repE0EEENS1_30default_config_static_selectorELNS0_4arch9wavefront6targetE0EEEvT1_,"axG",@progbits,_ZN7rocprim17ROCPRIM_400000_NS6detail17trampoline_kernelINS0_14default_configENS1_25partition_config_selectorILNS1_17partition_subalgoE5ElNS0_10empty_typeEbEEZZNS1_14partition_implILS5_5ELb0ES3_mN6hipcub16HIPCUB_304000_NS21CountingInputIteratorIllEEPS6_NSA_22TransformInputIteratorIbN2at6native12_GLOBAL__N_19NonZeroOpIN3c108BFloat16EEEPKSK_lEENS0_5tupleIJPlS6_EEENSP_IJSD_SD_EEES6_PiJS6_EEE10hipError_tPvRmT3_T4_T5_T6_T7_T9_mT8_P12ihipStream_tbDpT10_ENKUlT_T0_E_clISt17integral_constantIbLb0EES1C_IbLb1EEEEDaS18_S19_EUlS18_E_NS1_11comp_targetILNS1_3genE3ELNS1_11target_archE908ELNS1_3gpuE7ELNS1_3repE0EEENS1_30default_config_static_selectorELNS0_4arch9wavefront6targetE0EEEvT1_,comdat
	.globl	_ZN7rocprim17ROCPRIM_400000_NS6detail17trampoline_kernelINS0_14default_configENS1_25partition_config_selectorILNS1_17partition_subalgoE5ElNS0_10empty_typeEbEEZZNS1_14partition_implILS5_5ELb0ES3_mN6hipcub16HIPCUB_304000_NS21CountingInputIteratorIllEEPS6_NSA_22TransformInputIteratorIbN2at6native12_GLOBAL__N_19NonZeroOpIN3c108BFloat16EEEPKSK_lEENS0_5tupleIJPlS6_EEENSP_IJSD_SD_EEES6_PiJS6_EEE10hipError_tPvRmT3_T4_T5_T6_T7_T9_mT8_P12ihipStream_tbDpT10_ENKUlT_T0_E_clISt17integral_constantIbLb0EES1C_IbLb1EEEEDaS18_S19_EUlS18_E_NS1_11comp_targetILNS1_3genE3ELNS1_11target_archE908ELNS1_3gpuE7ELNS1_3repE0EEENS1_30default_config_static_selectorELNS0_4arch9wavefront6targetE0EEEvT1_ ; -- Begin function _ZN7rocprim17ROCPRIM_400000_NS6detail17trampoline_kernelINS0_14default_configENS1_25partition_config_selectorILNS1_17partition_subalgoE5ElNS0_10empty_typeEbEEZZNS1_14partition_implILS5_5ELb0ES3_mN6hipcub16HIPCUB_304000_NS21CountingInputIteratorIllEEPS6_NSA_22TransformInputIteratorIbN2at6native12_GLOBAL__N_19NonZeroOpIN3c108BFloat16EEEPKSK_lEENS0_5tupleIJPlS6_EEENSP_IJSD_SD_EEES6_PiJS6_EEE10hipError_tPvRmT3_T4_T5_T6_T7_T9_mT8_P12ihipStream_tbDpT10_ENKUlT_T0_E_clISt17integral_constantIbLb0EES1C_IbLb1EEEEDaS18_S19_EUlS18_E_NS1_11comp_targetILNS1_3genE3ELNS1_11target_archE908ELNS1_3gpuE7ELNS1_3repE0EEENS1_30default_config_static_selectorELNS0_4arch9wavefront6targetE0EEEvT1_
	.p2align	8
	.type	_ZN7rocprim17ROCPRIM_400000_NS6detail17trampoline_kernelINS0_14default_configENS1_25partition_config_selectorILNS1_17partition_subalgoE5ElNS0_10empty_typeEbEEZZNS1_14partition_implILS5_5ELb0ES3_mN6hipcub16HIPCUB_304000_NS21CountingInputIteratorIllEEPS6_NSA_22TransformInputIteratorIbN2at6native12_GLOBAL__N_19NonZeroOpIN3c108BFloat16EEEPKSK_lEENS0_5tupleIJPlS6_EEENSP_IJSD_SD_EEES6_PiJS6_EEE10hipError_tPvRmT3_T4_T5_T6_T7_T9_mT8_P12ihipStream_tbDpT10_ENKUlT_T0_E_clISt17integral_constantIbLb0EES1C_IbLb1EEEEDaS18_S19_EUlS18_E_NS1_11comp_targetILNS1_3genE3ELNS1_11target_archE908ELNS1_3gpuE7ELNS1_3repE0EEENS1_30default_config_static_selectorELNS0_4arch9wavefront6targetE0EEEvT1_,@function
_ZN7rocprim17ROCPRIM_400000_NS6detail17trampoline_kernelINS0_14default_configENS1_25partition_config_selectorILNS1_17partition_subalgoE5ElNS0_10empty_typeEbEEZZNS1_14partition_implILS5_5ELb0ES3_mN6hipcub16HIPCUB_304000_NS21CountingInputIteratorIllEEPS6_NSA_22TransformInputIteratorIbN2at6native12_GLOBAL__N_19NonZeroOpIN3c108BFloat16EEEPKSK_lEENS0_5tupleIJPlS6_EEENSP_IJSD_SD_EEES6_PiJS6_EEE10hipError_tPvRmT3_T4_T5_T6_T7_T9_mT8_P12ihipStream_tbDpT10_ENKUlT_T0_E_clISt17integral_constantIbLb0EES1C_IbLb1EEEEDaS18_S19_EUlS18_E_NS1_11comp_targetILNS1_3genE3ELNS1_11target_archE908ELNS1_3gpuE7ELNS1_3repE0EEENS1_30default_config_static_selectorELNS0_4arch9wavefront6targetE0EEEvT1_: ; @_ZN7rocprim17ROCPRIM_400000_NS6detail17trampoline_kernelINS0_14default_configENS1_25partition_config_selectorILNS1_17partition_subalgoE5ElNS0_10empty_typeEbEEZZNS1_14partition_implILS5_5ELb0ES3_mN6hipcub16HIPCUB_304000_NS21CountingInputIteratorIllEEPS6_NSA_22TransformInputIteratorIbN2at6native12_GLOBAL__N_19NonZeroOpIN3c108BFloat16EEEPKSK_lEENS0_5tupleIJPlS6_EEENSP_IJSD_SD_EEES6_PiJS6_EEE10hipError_tPvRmT3_T4_T5_T6_T7_T9_mT8_P12ihipStream_tbDpT10_ENKUlT_T0_E_clISt17integral_constantIbLb0EES1C_IbLb1EEEEDaS18_S19_EUlS18_E_NS1_11comp_targetILNS1_3genE3ELNS1_11target_archE908ELNS1_3gpuE7ELNS1_3repE0EEENS1_30default_config_static_selectorELNS0_4arch9wavefront6targetE0EEEvT1_
; %bb.0:
	.section	.rodata,"a",@progbits
	.p2align	6, 0x0
	.amdhsa_kernel _ZN7rocprim17ROCPRIM_400000_NS6detail17trampoline_kernelINS0_14default_configENS1_25partition_config_selectorILNS1_17partition_subalgoE5ElNS0_10empty_typeEbEEZZNS1_14partition_implILS5_5ELb0ES3_mN6hipcub16HIPCUB_304000_NS21CountingInputIteratorIllEEPS6_NSA_22TransformInputIteratorIbN2at6native12_GLOBAL__N_19NonZeroOpIN3c108BFloat16EEEPKSK_lEENS0_5tupleIJPlS6_EEENSP_IJSD_SD_EEES6_PiJS6_EEE10hipError_tPvRmT3_T4_T5_T6_T7_T9_mT8_P12ihipStream_tbDpT10_ENKUlT_T0_E_clISt17integral_constantIbLb0EES1C_IbLb1EEEEDaS18_S19_EUlS18_E_NS1_11comp_targetILNS1_3genE3ELNS1_11target_archE908ELNS1_3gpuE7ELNS1_3repE0EEENS1_30default_config_static_selectorELNS0_4arch9wavefront6targetE0EEEvT1_
		.amdhsa_group_segment_fixed_size 0
		.amdhsa_private_segment_fixed_size 0
		.amdhsa_kernarg_size 136
		.amdhsa_user_sgpr_count 15
		.amdhsa_user_sgpr_dispatch_ptr 0
		.amdhsa_user_sgpr_queue_ptr 0
		.amdhsa_user_sgpr_kernarg_segment_ptr 1
		.amdhsa_user_sgpr_dispatch_id 0
		.amdhsa_user_sgpr_private_segment_size 0
		.amdhsa_wavefront_size32 1
		.amdhsa_uses_dynamic_stack 0
		.amdhsa_enable_private_segment 0
		.amdhsa_system_sgpr_workgroup_id_x 1
		.amdhsa_system_sgpr_workgroup_id_y 0
		.amdhsa_system_sgpr_workgroup_id_z 0
		.amdhsa_system_sgpr_workgroup_info 0
		.amdhsa_system_vgpr_workitem_id 0
		.amdhsa_next_free_vgpr 1
		.amdhsa_next_free_sgpr 1
		.amdhsa_reserve_vcc 0
		.amdhsa_float_round_mode_32 0
		.amdhsa_float_round_mode_16_64 0
		.amdhsa_float_denorm_mode_32 3
		.amdhsa_float_denorm_mode_16_64 3
		.amdhsa_dx10_clamp 1
		.amdhsa_ieee_mode 1
		.amdhsa_fp16_overflow 0
		.amdhsa_workgroup_processor_mode 1
		.amdhsa_memory_ordered 1
		.amdhsa_forward_progress 0
		.amdhsa_shared_vgpr_count 0
		.amdhsa_exception_fp_ieee_invalid_op 0
		.amdhsa_exception_fp_denorm_src 0
		.amdhsa_exception_fp_ieee_div_zero 0
		.amdhsa_exception_fp_ieee_overflow 0
		.amdhsa_exception_fp_ieee_underflow 0
		.amdhsa_exception_fp_ieee_inexact 0
		.amdhsa_exception_int_div_zero 0
	.end_amdhsa_kernel
	.section	.text._ZN7rocprim17ROCPRIM_400000_NS6detail17trampoline_kernelINS0_14default_configENS1_25partition_config_selectorILNS1_17partition_subalgoE5ElNS0_10empty_typeEbEEZZNS1_14partition_implILS5_5ELb0ES3_mN6hipcub16HIPCUB_304000_NS21CountingInputIteratorIllEEPS6_NSA_22TransformInputIteratorIbN2at6native12_GLOBAL__N_19NonZeroOpIN3c108BFloat16EEEPKSK_lEENS0_5tupleIJPlS6_EEENSP_IJSD_SD_EEES6_PiJS6_EEE10hipError_tPvRmT3_T4_T5_T6_T7_T9_mT8_P12ihipStream_tbDpT10_ENKUlT_T0_E_clISt17integral_constantIbLb0EES1C_IbLb1EEEEDaS18_S19_EUlS18_E_NS1_11comp_targetILNS1_3genE3ELNS1_11target_archE908ELNS1_3gpuE7ELNS1_3repE0EEENS1_30default_config_static_selectorELNS0_4arch9wavefront6targetE0EEEvT1_,"axG",@progbits,_ZN7rocprim17ROCPRIM_400000_NS6detail17trampoline_kernelINS0_14default_configENS1_25partition_config_selectorILNS1_17partition_subalgoE5ElNS0_10empty_typeEbEEZZNS1_14partition_implILS5_5ELb0ES3_mN6hipcub16HIPCUB_304000_NS21CountingInputIteratorIllEEPS6_NSA_22TransformInputIteratorIbN2at6native12_GLOBAL__N_19NonZeroOpIN3c108BFloat16EEEPKSK_lEENS0_5tupleIJPlS6_EEENSP_IJSD_SD_EEES6_PiJS6_EEE10hipError_tPvRmT3_T4_T5_T6_T7_T9_mT8_P12ihipStream_tbDpT10_ENKUlT_T0_E_clISt17integral_constantIbLb0EES1C_IbLb1EEEEDaS18_S19_EUlS18_E_NS1_11comp_targetILNS1_3genE3ELNS1_11target_archE908ELNS1_3gpuE7ELNS1_3repE0EEENS1_30default_config_static_selectorELNS0_4arch9wavefront6targetE0EEEvT1_,comdat
.Lfunc_end825:
	.size	_ZN7rocprim17ROCPRIM_400000_NS6detail17trampoline_kernelINS0_14default_configENS1_25partition_config_selectorILNS1_17partition_subalgoE5ElNS0_10empty_typeEbEEZZNS1_14partition_implILS5_5ELb0ES3_mN6hipcub16HIPCUB_304000_NS21CountingInputIteratorIllEEPS6_NSA_22TransformInputIteratorIbN2at6native12_GLOBAL__N_19NonZeroOpIN3c108BFloat16EEEPKSK_lEENS0_5tupleIJPlS6_EEENSP_IJSD_SD_EEES6_PiJS6_EEE10hipError_tPvRmT3_T4_T5_T6_T7_T9_mT8_P12ihipStream_tbDpT10_ENKUlT_T0_E_clISt17integral_constantIbLb0EES1C_IbLb1EEEEDaS18_S19_EUlS18_E_NS1_11comp_targetILNS1_3genE3ELNS1_11target_archE908ELNS1_3gpuE7ELNS1_3repE0EEENS1_30default_config_static_selectorELNS0_4arch9wavefront6targetE0EEEvT1_, .Lfunc_end825-_ZN7rocprim17ROCPRIM_400000_NS6detail17trampoline_kernelINS0_14default_configENS1_25partition_config_selectorILNS1_17partition_subalgoE5ElNS0_10empty_typeEbEEZZNS1_14partition_implILS5_5ELb0ES3_mN6hipcub16HIPCUB_304000_NS21CountingInputIteratorIllEEPS6_NSA_22TransformInputIteratorIbN2at6native12_GLOBAL__N_19NonZeroOpIN3c108BFloat16EEEPKSK_lEENS0_5tupleIJPlS6_EEENSP_IJSD_SD_EEES6_PiJS6_EEE10hipError_tPvRmT3_T4_T5_T6_T7_T9_mT8_P12ihipStream_tbDpT10_ENKUlT_T0_E_clISt17integral_constantIbLb0EES1C_IbLb1EEEEDaS18_S19_EUlS18_E_NS1_11comp_targetILNS1_3genE3ELNS1_11target_archE908ELNS1_3gpuE7ELNS1_3repE0EEENS1_30default_config_static_selectorELNS0_4arch9wavefront6targetE0EEEvT1_
                                        ; -- End function
	.section	.AMDGPU.csdata,"",@progbits
; Kernel info:
; codeLenInByte = 0
; NumSgprs: 0
; NumVgprs: 0
; ScratchSize: 0
; MemoryBound: 0
; FloatMode: 240
; IeeeMode: 1
; LDSByteSize: 0 bytes/workgroup (compile time only)
; SGPRBlocks: 0
; VGPRBlocks: 0
; NumSGPRsForWavesPerEU: 1
; NumVGPRsForWavesPerEU: 1
; Occupancy: 16
; WaveLimiterHint : 0
; COMPUTE_PGM_RSRC2:SCRATCH_EN: 0
; COMPUTE_PGM_RSRC2:USER_SGPR: 15
; COMPUTE_PGM_RSRC2:TRAP_HANDLER: 0
; COMPUTE_PGM_RSRC2:TGID_X_EN: 1
; COMPUTE_PGM_RSRC2:TGID_Y_EN: 0
; COMPUTE_PGM_RSRC2:TGID_Z_EN: 0
; COMPUTE_PGM_RSRC2:TIDIG_COMP_CNT: 0
	.section	.text._ZN7rocprim17ROCPRIM_400000_NS6detail17trampoline_kernelINS0_14default_configENS1_25partition_config_selectorILNS1_17partition_subalgoE5ElNS0_10empty_typeEbEEZZNS1_14partition_implILS5_5ELb0ES3_mN6hipcub16HIPCUB_304000_NS21CountingInputIteratorIllEEPS6_NSA_22TransformInputIteratorIbN2at6native12_GLOBAL__N_19NonZeroOpIN3c108BFloat16EEEPKSK_lEENS0_5tupleIJPlS6_EEENSP_IJSD_SD_EEES6_PiJS6_EEE10hipError_tPvRmT3_T4_T5_T6_T7_T9_mT8_P12ihipStream_tbDpT10_ENKUlT_T0_E_clISt17integral_constantIbLb0EES1C_IbLb1EEEEDaS18_S19_EUlS18_E_NS1_11comp_targetILNS1_3genE2ELNS1_11target_archE906ELNS1_3gpuE6ELNS1_3repE0EEENS1_30default_config_static_selectorELNS0_4arch9wavefront6targetE0EEEvT1_,"axG",@progbits,_ZN7rocprim17ROCPRIM_400000_NS6detail17trampoline_kernelINS0_14default_configENS1_25partition_config_selectorILNS1_17partition_subalgoE5ElNS0_10empty_typeEbEEZZNS1_14partition_implILS5_5ELb0ES3_mN6hipcub16HIPCUB_304000_NS21CountingInputIteratorIllEEPS6_NSA_22TransformInputIteratorIbN2at6native12_GLOBAL__N_19NonZeroOpIN3c108BFloat16EEEPKSK_lEENS0_5tupleIJPlS6_EEENSP_IJSD_SD_EEES6_PiJS6_EEE10hipError_tPvRmT3_T4_T5_T6_T7_T9_mT8_P12ihipStream_tbDpT10_ENKUlT_T0_E_clISt17integral_constantIbLb0EES1C_IbLb1EEEEDaS18_S19_EUlS18_E_NS1_11comp_targetILNS1_3genE2ELNS1_11target_archE906ELNS1_3gpuE6ELNS1_3repE0EEENS1_30default_config_static_selectorELNS0_4arch9wavefront6targetE0EEEvT1_,comdat
	.globl	_ZN7rocprim17ROCPRIM_400000_NS6detail17trampoline_kernelINS0_14default_configENS1_25partition_config_selectorILNS1_17partition_subalgoE5ElNS0_10empty_typeEbEEZZNS1_14partition_implILS5_5ELb0ES3_mN6hipcub16HIPCUB_304000_NS21CountingInputIteratorIllEEPS6_NSA_22TransformInputIteratorIbN2at6native12_GLOBAL__N_19NonZeroOpIN3c108BFloat16EEEPKSK_lEENS0_5tupleIJPlS6_EEENSP_IJSD_SD_EEES6_PiJS6_EEE10hipError_tPvRmT3_T4_T5_T6_T7_T9_mT8_P12ihipStream_tbDpT10_ENKUlT_T0_E_clISt17integral_constantIbLb0EES1C_IbLb1EEEEDaS18_S19_EUlS18_E_NS1_11comp_targetILNS1_3genE2ELNS1_11target_archE906ELNS1_3gpuE6ELNS1_3repE0EEENS1_30default_config_static_selectorELNS0_4arch9wavefront6targetE0EEEvT1_ ; -- Begin function _ZN7rocprim17ROCPRIM_400000_NS6detail17trampoline_kernelINS0_14default_configENS1_25partition_config_selectorILNS1_17partition_subalgoE5ElNS0_10empty_typeEbEEZZNS1_14partition_implILS5_5ELb0ES3_mN6hipcub16HIPCUB_304000_NS21CountingInputIteratorIllEEPS6_NSA_22TransformInputIteratorIbN2at6native12_GLOBAL__N_19NonZeroOpIN3c108BFloat16EEEPKSK_lEENS0_5tupleIJPlS6_EEENSP_IJSD_SD_EEES6_PiJS6_EEE10hipError_tPvRmT3_T4_T5_T6_T7_T9_mT8_P12ihipStream_tbDpT10_ENKUlT_T0_E_clISt17integral_constantIbLb0EES1C_IbLb1EEEEDaS18_S19_EUlS18_E_NS1_11comp_targetILNS1_3genE2ELNS1_11target_archE906ELNS1_3gpuE6ELNS1_3repE0EEENS1_30default_config_static_selectorELNS0_4arch9wavefront6targetE0EEEvT1_
	.p2align	8
	.type	_ZN7rocprim17ROCPRIM_400000_NS6detail17trampoline_kernelINS0_14default_configENS1_25partition_config_selectorILNS1_17partition_subalgoE5ElNS0_10empty_typeEbEEZZNS1_14partition_implILS5_5ELb0ES3_mN6hipcub16HIPCUB_304000_NS21CountingInputIteratorIllEEPS6_NSA_22TransformInputIteratorIbN2at6native12_GLOBAL__N_19NonZeroOpIN3c108BFloat16EEEPKSK_lEENS0_5tupleIJPlS6_EEENSP_IJSD_SD_EEES6_PiJS6_EEE10hipError_tPvRmT3_T4_T5_T6_T7_T9_mT8_P12ihipStream_tbDpT10_ENKUlT_T0_E_clISt17integral_constantIbLb0EES1C_IbLb1EEEEDaS18_S19_EUlS18_E_NS1_11comp_targetILNS1_3genE2ELNS1_11target_archE906ELNS1_3gpuE6ELNS1_3repE0EEENS1_30default_config_static_selectorELNS0_4arch9wavefront6targetE0EEEvT1_,@function
_ZN7rocprim17ROCPRIM_400000_NS6detail17trampoline_kernelINS0_14default_configENS1_25partition_config_selectorILNS1_17partition_subalgoE5ElNS0_10empty_typeEbEEZZNS1_14partition_implILS5_5ELb0ES3_mN6hipcub16HIPCUB_304000_NS21CountingInputIteratorIllEEPS6_NSA_22TransformInputIteratorIbN2at6native12_GLOBAL__N_19NonZeroOpIN3c108BFloat16EEEPKSK_lEENS0_5tupleIJPlS6_EEENSP_IJSD_SD_EEES6_PiJS6_EEE10hipError_tPvRmT3_T4_T5_T6_T7_T9_mT8_P12ihipStream_tbDpT10_ENKUlT_T0_E_clISt17integral_constantIbLb0EES1C_IbLb1EEEEDaS18_S19_EUlS18_E_NS1_11comp_targetILNS1_3genE2ELNS1_11target_archE906ELNS1_3gpuE6ELNS1_3repE0EEENS1_30default_config_static_selectorELNS0_4arch9wavefront6targetE0EEEvT1_: ; @_ZN7rocprim17ROCPRIM_400000_NS6detail17trampoline_kernelINS0_14default_configENS1_25partition_config_selectorILNS1_17partition_subalgoE5ElNS0_10empty_typeEbEEZZNS1_14partition_implILS5_5ELb0ES3_mN6hipcub16HIPCUB_304000_NS21CountingInputIteratorIllEEPS6_NSA_22TransformInputIteratorIbN2at6native12_GLOBAL__N_19NonZeroOpIN3c108BFloat16EEEPKSK_lEENS0_5tupleIJPlS6_EEENSP_IJSD_SD_EEES6_PiJS6_EEE10hipError_tPvRmT3_T4_T5_T6_T7_T9_mT8_P12ihipStream_tbDpT10_ENKUlT_T0_E_clISt17integral_constantIbLb0EES1C_IbLb1EEEEDaS18_S19_EUlS18_E_NS1_11comp_targetILNS1_3genE2ELNS1_11target_archE906ELNS1_3gpuE6ELNS1_3repE0EEENS1_30default_config_static_selectorELNS0_4arch9wavefront6targetE0EEEvT1_
; %bb.0:
	.section	.rodata,"a",@progbits
	.p2align	6, 0x0
	.amdhsa_kernel _ZN7rocprim17ROCPRIM_400000_NS6detail17trampoline_kernelINS0_14default_configENS1_25partition_config_selectorILNS1_17partition_subalgoE5ElNS0_10empty_typeEbEEZZNS1_14partition_implILS5_5ELb0ES3_mN6hipcub16HIPCUB_304000_NS21CountingInputIteratorIllEEPS6_NSA_22TransformInputIteratorIbN2at6native12_GLOBAL__N_19NonZeroOpIN3c108BFloat16EEEPKSK_lEENS0_5tupleIJPlS6_EEENSP_IJSD_SD_EEES6_PiJS6_EEE10hipError_tPvRmT3_T4_T5_T6_T7_T9_mT8_P12ihipStream_tbDpT10_ENKUlT_T0_E_clISt17integral_constantIbLb0EES1C_IbLb1EEEEDaS18_S19_EUlS18_E_NS1_11comp_targetILNS1_3genE2ELNS1_11target_archE906ELNS1_3gpuE6ELNS1_3repE0EEENS1_30default_config_static_selectorELNS0_4arch9wavefront6targetE0EEEvT1_
		.amdhsa_group_segment_fixed_size 0
		.amdhsa_private_segment_fixed_size 0
		.amdhsa_kernarg_size 136
		.amdhsa_user_sgpr_count 15
		.amdhsa_user_sgpr_dispatch_ptr 0
		.amdhsa_user_sgpr_queue_ptr 0
		.amdhsa_user_sgpr_kernarg_segment_ptr 1
		.amdhsa_user_sgpr_dispatch_id 0
		.amdhsa_user_sgpr_private_segment_size 0
		.amdhsa_wavefront_size32 1
		.amdhsa_uses_dynamic_stack 0
		.amdhsa_enable_private_segment 0
		.amdhsa_system_sgpr_workgroup_id_x 1
		.amdhsa_system_sgpr_workgroup_id_y 0
		.amdhsa_system_sgpr_workgroup_id_z 0
		.amdhsa_system_sgpr_workgroup_info 0
		.amdhsa_system_vgpr_workitem_id 0
		.amdhsa_next_free_vgpr 1
		.amdhsa_next_free_sgpr 1
		.amdhsa_reserve_vcc 0
		.amdhsa_float_round_mode_32 0
		.amdhsa_float_round_mode_16_64 0
		.amdhsa_float_denorm_mode_32 3
		.amdhsa_float_denorm_mode_16_64 3
		.amdhsa_dx10_clamp 1
		.amdhsa_ieee_mode 1
		.amdhsa_fp16_overflow 0
		.amdhsa_workgroup_processor_mode 1
		.amdhsa_memory_ordered 1
		.amdhsa_forward_progress 0
		.amdhsa_shared_vgpr_count 0
		.amdhsa_exception_fp_ieee_invalid_op 0
		.amdhsa_exception_fp_denorm_src 0
		.amdhsa_exception_fp_ieee_div_zero 0
		.amdhsa_exception_fp_ieee_overflow 0
		.amdhsa_exception_fp_ieee_underflow 0
		.amdhsa_exception_fp_ieee_inexact 0
		.amdhsa_exception_int_div_zero 0
	.end_amdhsa_kernel
	.section	.text._ZN7rocprim17ROCPRIM_400000_NS6detail17trampoline_kernelINS0_14default_configENS1_25partition_config_selectorILNS1_17partition_subalgoE5ElNS0_10empty_typeEbEEZZNS1_14partition_implILS5_5ELb0ES3_mN6hipcub16HIPCUB_304000_NS21CountingInputIteratorIllEEPS6_NSA_22TransformInputIteratorIbN2at6native12_GLOBAL__N_19NonZeroOpIN3c108BFloat16EEEPKSK_lEENS0_5tupleIJPlS6_EEENSP_IJSD_SD_EEES6_PiJS6_EEE10hipError_tPvRmT3_T4_T5_T6_T7_T9_mT8_P12ihipStream_tbDpT10_ENKUlT_T0_E_clISt17integral_constantIbLb0EES1C_IbLb1EEEEDaS18_S19_EUlS18_E_NS1_11comp_targetILNS1_3genE2ELNS1_11target_archE906ELNS1_3gpuE6ELNS1_3repE0EEENS1_30default_config_static_selectorELNS0_4arch9wavefront6targetE0EEEvT1_,"axG",@progbits,_ZN7rocprim17ROCPRIM_400000_NS6detail17trampoline_kernelINS0_14default_configENS1_25partition_config_selectorILNS1_17partition_subalgoE5ElNS0_10empty_typeEbEEZZNS1_14partition_implILS5_5ELb0ES3_mN6hipcub16HIPCUB_304000_NS21CountingInputIteratorIllEEPS6_NSA_22TransformInputIteratorIbN2at6native12_GLOBAL__N_19NonZeroOpIN3c108BFloat16EEEPKSK_lEENS0_5tupleIJPlS6_EEENSP_IJSD_SD_EEES6_PiJS6_EEE10hipError_tPvRmT3_T4_T5_T6_T7_T9_mT8_P12ihipStream_tbDpT10_ENKUlT_T0_E_clISt17integral_constantIbLb0EES1C_IbLb1EEEEDaS18_S19_EUlS18_E_NS1_11comp_targetILNS1_3genE2ELNS1_11target_archE906ELNS1_3gpuE6ELNS1_3repE0EEENS1_30default_config_static_selectorELNS0_4arch9wavefront6targetE0EEEvT1_,comdat
.Lfunc_end826:
	.size	_ZN7rocprim17ROCPRIM_400000_NS6detail17trampoline_kernelINS0_14default_configENS1_25partition_config_selectorILNS1_17partition_subalgoE5ElNS0_10empty_typeEbEEZZNS1_14partition_implILS5_5ELb0ES3_mN6hipcub16HIPCUB_304000_NS21CountingInputIteratorIllEEPS6_NSA_22TransformInputIteratorIbN2at6native12_GLOBAL__N_19NonZeroOpIN3c108BFloat16EEEPKSK_lEENS0_5tupleIJPlS6_EEENSP_IJSD_SD_EEES6_PiJS6_EEE10hipError_tPvRmT3_T4_T5_T6_T7_T9_mT8_P12ihipStream_tbDpT10_ENKUlT_T0_E_clISt17integral_constantIbLb0EES1C_IbLb1EEEEDaS18_S19_EUlS18_E_NS1_11comp_targetILNS1_3genE2ELNS1_11target_archE906ELNS1_3gpuE6ELNS1_3repE0EEENS1_30default_config_static_selectorELNS0_4arch9wavefront6targetE0EEEvT1_, .Lfunc_end826-_ZN7rocprim17ROCPRIM_400000_NS6detail17trampoline_kernelINS0_14default_configENS1_25partition_config_selectorILNS1_17partition_subalgoE5ElNS0_10empty_typeEbEEZZNS1_14partition_implILS5_5ELb0ES3_mN6hipcub16HIPCUB_304000_NS21CountingInputIteratorIllEEPS6_NSA_22TransformInputIteratorIbN2at6native12_GLOBAL__N_19NonZeroOpIN3c108BFloat16EEEPKSK_lEENS0_5tupleIJPlS6_EEENSP_IJSD_SD_EEES6_PiJS6_EEE10hipError_tPvRmT3_T4_T5_T6_T7_T9_mT8_P12ihipStream_tbDpT10_ENKUlT_T0_E_clISt17integral_constantIbLb0EES1C_IbLb1EEEEDaS18_S19_EUlS18_E_NS1_11comp_targetILNS1_3genE2ELNS1_11target_archE906ELNS1_3gpuE6ELNS1_3repE0EEENS1_30default_config_static_selectorELNS0_4arch9wavefront6targetE0EEEvT1_
                                        ; -- End function
	.section	.AMDGPU.csdata,"",@progbits
; Kernel info:
; codeLenInByte = 0
; NumSgprs: 0
; NumVgprs: 0
; ScratchSize: 0
; MemoryBound: 0
; FloatMode: 240
; IeeeMode: 1
; LDSByteSize: 0 bytes/workgroup (compile time only)
; SGPRBlocks: 0
; VGPRBlocks: 0
; NumSGPRsForWavesPerEU: 1
; NumVGPRsForWavesPerEU: 1
; Occupancy: 16
; WaveLimiterHint : 0
; COMPUTE_PGM_RSRC2:SCRATCH_EN: 0
; COMPUTE_PGM_RSRC2:USER_SGPR: 15
; COMPUTE_PGM_RSRC2:TRAP_HANDLER: 0
; COMPUTE_PGM_RSRC2:TGID_X_EN: 1
; COMPUTE_PGM_RSRC2:TGID_Y_EN: 0
; COMPUTE_PGM_RSRC2:TGID_Z_EN: 0
; COMPUTE_PGM_RSRC2:TIDIG_COMP_CNT: 0
	.section	.text._ZN7rocprim17ROCPRIM_400000_NS6detail17trampoline_kernelINS0_14default_configENS1_25partition_config_selectorILNS1_17partition_subalgoE5ElNS0_10empty_typeEbEEZZNS1_14partition_implILS5_5ELb0ES3_mN6hipcub16HIPCUB_304000_NS21CountingInputIteratorIllEEPS6_NSA_22TransformInputIteratorIbN2at6native12_GLOBAL__N_19NonZeroOpIN3c108BFloat16EEEPKSK_lEENS0_5tupleIJPlS6_EEENSP_IJSD_SD_EEES6_PiJS6_EEE10hipError_tPvRmT3_T4_T5_T6_T7_T9_mT8_P12ihipStream_tbDpT10_ENKUlT_T0_E_clISt17integral_constantIbLb0EES1C_IbLb1EEEEDaS18_S19_EUlS18_E_NS1_11comp_targetILNS1_3genE10ELNS1_11target_archE1200ELNS1_3gpuE4ELNS1_3repE0EEENS1_30default_config_static_selectorELNS0_4arch9wavefront6targetE0EEEvT1_,"axG",@progbits,_ZN7rocprim17ROCPRIM_400000_NS6detail17trampoline_kernelINS0_14default_configENS1_25partition_config_selectorILNS1_17partition_subalgoE5ElNS0_10empty_typeEbEEZZNS1_14partition_implILS5_5ELb0ES3_mN6hipcub16HIPCUB_304000_NS21CountingInputIteratorIllEEPS6_NSA_22TransformInputIteratorIbN2at6native12_GLOBAL__N_19NonZeroOpIN3c108BFloat16EEEPKSK_lEENS0_5tupleIJPlS6_EEENSP_IJSD_SD_EEES6_PiJS6_EEE10hipError_tPvRmT3_T4_T5_T6_T7_T9_mT8_P12ihipStream_tbDpT10_ENKUlT_T0_E_clISt17integral_constantIbLb0EES1C_IbLb1EEEEDaS18_S19_EUlS18_E_NS1_11comp_targetILNS1_3genE10ELNS1_11target_archE1200ELNS1_3gpuE4ELNS1_3repE0EEENS1_30default_config_static_selectorELNS0_4arch9wavefront6targetE0EEEvT1_,comdat
	.globl	_ZN7rocprim17ROCPRIM_400000_NS6detail17trampoline_kernelINS0_14default_configENS1_25partition_config_selectorILNS1_17partition_subalgoE5ElNS0_10empty_typeEbEEZZNS1_14partition_implILS5_5ELb0ES3_mN6hipcub16HIPCUB_304000_NS21CountingInputIteratorIllEEPS6_NSA_22TransformInputIteratorIbN2at6native12_GLOBAL__N_19NonZeroOpIN3c108BFloat16EEEPKSK_lEENS0_5tupleIJPlS6_EEENSP_IJSD_SD_EEES6_PiJS6_EEE10hipError_tPvRmT3_T4_T5_T6_T7_T9_mT8_P12ihipStream_tbDpT10_ENKUlT_T0_E_clISt17integral_constantIbLb0EES1C_IbLb1EEEEDaS18_S19_EUlS18_E_NS1_11comp_targetILNS1_3genE10ELNS1_11target_archE1200ELNS1_3gpuE4ELNS1_3repE0EEENS1_30default_config_static_selectorELNS0_4arch9wavefront6targetE0EEEvT1_ ; -- Begin function _ZN7rocprim17ROCPRIM_400000_NS6detail17trampoline_kernelINS0_14default_configENS1_25partition_config_selectorILNS1_17partition_subalgoE5ElNS0_10empty_typeEbEEZZNS1_14partition_implILS5_5ELb0ES3_mN6hipcub16HIPCUB_304000_NS21CountingInputIteratorIllEEPS6_NSA_22TransformInputIteratorIbN2at6native12_GLOBAL__N_19NonZeroOpIN3c108BFloat16EEEPKSK_lEENS0_5tupleIJPlS6_EEENSP_IJSD_SD_EEES6_PiJS6_EEE10hipError_tPvRmT3_T4_T5_T6_T7_T9_mT8_P12ihipStream_tbDpT10_ENKUlT_T0_E_clISt17integral_constantIbLb0EES1C_IbLb1EEEEDaS18_S19_EUlS18_E_NS1_11comp_targetILNS1_3genE10ELNS1_11target_archE1200ELNS1_3gpuE4ELNS1_3repE0EEENS1_30default_config_static_selectorELNS0_4arch9wavefront6targetE0EEEvT1_
	.p2align	8
	.type	_ZN7rocprim17ROCPRIM_400000_NS6detail17trampoline_kernelINS0_14default_configENS1_25partition_config_selectorILNS1_17partition_subalgoE5ElNS0_10empty_typeEbEEZZNS1_14partition_implILS5_5ELb0ES3_mN6hipcub16HIPCUB_304000_NS21CountingInputIteratorIllEEPS6_NSA_22TransformInputIteratorIbN2at6native12_GLOBAL__N_19NonZeroOpIN3c108BFloat16EEEPKSK_lEENS0_5tupleIJPlS6_EEENSP_IJSD_SD_EEES6_PiJS6_EEE10hipError_tPvRmT3_T4_T5_T6_T7_T9_mT8_P12ihipStream_tbDpT10_ENKUlT_T0_E_clISt17integral_constantIbLb0EES1C_IbLb1EEEEDaS18_S19_EUlS18_E_NS1_11comp_targetILNS1_3genE10ELNS1_11target_archE1200ELNS1_3gpuE4ELNS1_3repE0EEENS1_30default_config_static_selectorELNS0_4arch9wavefront6targetE0EEEvT1_,@function
_ZN7rocprim17ROCPRIM_400000_NS6detail17trampoline_kernelINS0_14default_configENS1_25partition_config_selectorILNS1_17partition_subalgoE5ElNS0_10empty_typeEbEEZZNS1_14partition_implILS5_5ELb0ES3_mN6hipcub16HIPCUB_304000_NS21CountingInputIteratorIllEEPS6_NSA_22TransformInputIteratorIbN2at6native12_GLOBAL__N_19NonZeroOpIN3c108BFloat16EEEPKSK_lEENS0_5tupleIJPlS6_EEENSP_IJSD_SD_EEES6_PiJS6_EEE10hipError_tPvRmT3_T4_T5_T6_T7_T9_mT8_P12ihipStream_tbDpT10_ENKUlT_T0_E_clISt17integral_constantIbLb0EES1C_IbLb1EEEEDaS18_S19_EUlS18_E_NS1_11comp_targetILNS1_3genE10ELNS1_11target_archE1200ELNS1_3gpuE4ELNS1_3repE0EEENS1_30default_config_static_selectorELNS0_4arch9wavefront6targetE0EEEvT1_: ; @_ZN7rocprim17ROCPRIM_400000_NS6detail17trampoline_kernelINS0_14default_configENS1_25partition_config_selectorILNS1_17partition_subalgoE5ElNS0_10empty_typeEbEEZZNS1_14partition_implILS5_5ELb0ES3_mN6hipcub16HIPCUB_304000_NS21CountingInputIteratorIllEEPS6_NSA_22TransformInputIteratorIbN2at6native12_GLOBAL__N_19NonZeroOpIN3c108BFloat16EEEPKSK_lEENS0_5tupleIJPlS6_EEENSP_IJSD_SD_EEES6_PiJS6_EEE10hipError_tPvRmT3_T4_T5_T6_T7_T9_mT8_P12ihipStream_tbDpT10_ENKUlT_T0_E_clISt17integral_constantIbLb0EES1C_IbLb1EEEEDaS18_S19_EUlS18_E_NS1_11comp_targetILNS1_3genE10ELNS1_11target_archE1200ELNS1_3gpuE4ELNS1_3repE0EEENS1_30default_config_static_selectorELNS0_4arch9wavefront6targetE0EEEvT1_
; %bb.0:
	.section	.rodata,"a",@progbits
	.p2align	6, 0x0
	.amdhsa_kernel _ZN7rocprim17ROCPRIM_400000_NS6detail17trampoline_kernelINS0_14default_configENS1_25partition_config_selectorILNS1_17partition_subalgoE5ElNS0_10empty_typeEbEEZZNS1_14partition_implILS5_5ELb0ES3_mN6hipcub16HIPCUB_304000_NS21CountingInputIteratorIllEEPS6_NSA_22TransformInputIteratorIbN2at6native12_GLOBAL__N_19NonZeroOpIN3c108BFloat16EEEPKSK_lEENS0_5tupleIJPlS6_EEENSP_IJSD_SD_EEES6_PiJS6_EEE10hipError_tPvRmT3_T4_T5_T6_T7_T9_mT8_P12ihipStream_tbDpT10_ENKUlT_T0_E_clISt17integral_constantIbLb0EES1C_IbLb1EEEEDaS18_S19_EUlS18_E_NS1_11comp_targetILNS1_3genE10ELNS1_11target_archE1200ELNS1_3gpuE4ELNS1_3repE0EEENS1_30default_config_static_selectorELNS0_4arch9wavefront6targetE0EEEvT1_
		.amdhsa_group_segment_fixed_size 0
		.amdhsa_private_segment_fixed_size 0
		.amdhsa_kernarg_size 136
		.amdhsa_user_sgpr_count 15
		.amdhsa_user_sgpr_dispatch_ptr 0
		.amdhsa_user_sgpr_queue_ptr 0
		.amdhsa_user_sgpr_kernarg_segment_ptr 1
		.amdhsa_user_sgpr_dispatch_id 0
		.amdhsa_user_sgpr_private_segment_size 0
		.amdhsa_wavefront_size32 1
		.amdhsa_uses_dynamic_stack 0
		.amdhsa_enable_private_segment 0
		.amdhsa_system_sgpr_workgroup_id_x 1
		.amdhsa_system_sgpr_workgroup_id_y 0
		.amdhsa_system_sgpr_workgroup_id_z 0
		.amdhsa_system_sgpr_workgroup_info 0
		.amdhsa_system_vgpr_workitem_id 0
		.amdhsa_next_free_vgpr 1
		.amdhsa_next_free_sgpr 1
		.amdhsa_reserve_vcc 0
		.amdhsa_float_round_mode_32 0
		.amdhsa_float_round_mode_16_64 0
		.amdhsa_float_denorm_mode_32 3
		.amdhsa_float_denorm_mode_16_64 3
		.amdhsa_dx10_clamp 1
		.amdhsa_ieee_mode 1
		.amdhsa_fp16_overflow 0
		.amdhsa_workgroup_processor_mode 1
		.amdhsa_memory_ordered 1
		.amdhsa_forward_progress 0
		.amdhsa_shared_vgpr_count 0
		.amdhsa_exception_fp_ieee_invalid_op 0
		.amdhsa_exception_fp_denorm_src 0
		.amdhsa_exception_fp_ieee_div_zero 0
		.amdhsa_exception_fp_ieee_overflow 0
		.amdhsa_exception_fp_ieee_underflow 0
		.amdhsa_exception_fp_ieee_inexact 0
		.amdhsa_exception_int_div_zero 0
	.end_amdhsa_kernel
	.section	.text._ZN7rocprim17ROCPRIM_400000_NS6detail17trampoline_kernelINS0_14default_configENS1_25partition_config_selectorILNS1_17partition_subalgoE5ElNS0_10empty_typeEbEEZZNS1_14partition_implILS5_5ELb0ES3_mN6hipcub16HIPCUB_304000_NS21CountingInputIteratorIllEEPS6_NSA_22TransformInputIteratorIbN2at6native12_GLOBAL__N_19NonZeroOpIN3c108BFloat16EEEPKSK_lEENS0_5tupleIJPlS6_EEENSP_IJSD_SD_EEES6_PiJS6_EEE10hipError_tPvRmT3_T4_T5_T6_T7_T9_mT8_P12ihipStream_tbDpT10_ENKUlT_T0_E_clISt17integral_constantIbLb0EES1C_IbLb1EEEEDaS18_S19_EUlS18_E_NS1_11comp_targetILNS1_3genE10ELNS1_11target_archE1200ELNS1_3gpuE4ELNS1_3repE0EEENS1_30default_config_static_selectorELNS0_4arch9wavefront6targetE0EEEvT1_,"axG",@progbits,_ZN7rocprim17ROCPRIM_400000_NS6detail17trampoline_kernelINS0_14default_configENS1_25partition_config_selectorILNS1_17partition_subalgoE5ElNS0_10empty_typeEbEEZZNS1_14partition_implILS5_5ELb0ES3_mN6hipcub16HIPCUB_304000_NS21CountingInputIteratorIllEEPS6_NSA_22TransformInputIteratorIbN2at6native12_GLOBAL__N_19NonZeroOpIN3c108BFloat16EEEPKSK_lEENS0_5tupleIJPlS6_EEENSP_IJSD_SD_EEES6_PiJS6_EEE10hipError_tPvRmT3_T4_T5_T6_T7_T9_mT8_P12ihipStream_tbDpT10_ENKUlT_T0_E_clISt17integral_constantIbLb0EES1C_IbLb1EEEEDaS18_S19_EUlS18_E_NS1_11comp_targetILNS1_3genE10ELNS1_11target_archE1200ELNS1_3gpuE4ELNS1_3repE0EEENS1_30default_config_static_selectorELNS0_4arch9wavefront6targetE0EEEvT1_,comdat
.Lfunc_end827:
	.size	_ZN7rocprim17ROCPRIM_400000_NS6detail17trampoline_kernelINS0_14default_configENS1_25partition_config_selectorILNS1_17partition_subalgoE5ElNS0_10empty_typeEbEEZZNS1_14partition_implILS5_5ELb0ES3_mN6hipcub16HIPCUB_304000_NS21CountingInputIteratorIllEEPS6_NSA_22TransformInputIteratorIbN2at6native12_GLOBAL__N_19NonZeroOpIN3c108BFloat16EEEPKSK_lEENS0_5tupleIJPlS6_EEENSP_IJSD_SD_EEES6_PiJS6_EEE10hipError_tPvRmT3_T4_T5_T6_T7_T9_mT8_P12ihipStream_tbDpT10_ENKUlT_T0_E_clISt17integral_constantIbLb0EES1C_IbLb1EEEEDaS18_S19_EUlS18_E_NS1_11comp_targetILNS1_3genE10ELNS1_11target_archE1200ELNS1_3gpuE4ELNS1_3repE0EEENS1_30default_config_static_selectorELNS0_4arch9wavefront6targetE0EEEvT1_, .Lfunc_end827-_ZN7rocprim17ROCPRIM_400000_NS6detail17trampoline_kernelINS0_14default_configENS1_25partition_config_selectorILNS1_17partition_subalgoE5ElNS0_10empty_typeEbEEZZNS1_14partition_implILS5_5ELb0ES3_mN6hipcub16HIPCUB_304000_NS21CountingInputIteratorIllEEPS6_NSA_22TransformInputIteratorIbN2at6native12_GLOBAL__N_19NonZeroOpIN3c108BFloat16EEEPKSK_lEENS0_5tupleIJPlS6_EEENSP_IJSD_SD_EEES6_PiJS6_EEE10hipError_tPvRmT3_T4_T5_T6_T7_T9_mT8_P12ihipStream_tbDpT10_ENKUlT_T0_E_clISt17integral_constantIbLb0EES1C_IbLb1EEEEDaS18_S19_EUlS18_E_NS1_11comp_targetILNS1_3genE10ELNS1_11target_archE1200ELNS1_3gpuE4ELNS1_3repE0EEENS1_30default_config_static_selectorELNS0_4arch9wavefront6targetE0EEEvT1_
                                        ; -- End function
	.section	.AMDGPU.csdata,"",@progbits
; Kernel info:
; codeLenInByte = 0
; NumSgprs: 0
; NumVgprs: 0
; ScratchSize: 0
; MemoryBound: 0
; FloatMode: 240
; IeeeMode: 1
; LDSByteSize: 0 bytes/workgroup (compile time only)
; SGPRBlocks: 0
; VGPRBlocks: 0
; NumSGPRsForWavesPerEU: 1
; NumVGPRsForWavesPerEU: 1
; Occupancy: 16
; WaveLimiterHint : 0
; COMPUTE_PGM_RSRC2:SCRATCH_EN: 0
; COMPUTE_PGM_RSRC2:USER_SGPR: 15
; COMPUTE_PGM_RSRC2:TRAP_HANDLER: 0
; COMPUTE_PGM_RSRC2:TGID_X_EN: 1
; COMPUTE_PGM_RSRC2:TGID_Y_EN: 0
; COMPUTE_PGM_RSRC2:TGID_Z_EN: 0
; COMPUTE_PGM_RSRC2:TIDIG_COMP_CNT: 0
	.section	.text._ZN7rocprim17ROCPRIM_400000_NS6detail17trampoline_kernelINS0_14default_configENS1_25partition_config_selectorILNS1_17partition_subalgoE5ElNS0_10empty_typeEbEEZZNS1_14partition_implILS5_5ELb0ES3_mN6hipcub16HIPCUB_304000_NS21CountingInputIteratorIllEEPS6_NSA_22TransformInputIteratorIbN2at6native12_GLOBAL__N_19NonZeroOpIN3c108BFloat16EEEPKSK_lEENS0_5tupleIJPlS6_EEENSP_IJSD_SD_EEES6_PiJS6_EEE10hipError_tPvRmT3_T4_T5_T6_T7_T9_mT8_P12ihipStream_tbDpT10_ENKUlT_T0_E_clISt17integral_constantIbLb0EES1C_IbLb1EEEEDaS18_S19_EUlS18_E_NS1_11comp_targetILNS1_3genE9ELNS1_11target_archE1100ELNS1_3gpuE3ELNS1_3repE0EEENS1_30default_config_static_selectorELNS0_4arch9wavefront6targetE0EEEvT1_,"axG",@progbits,_ZN7rocprim17ROCPRIM_400000_NS6detail17trampoline_kernelINS0_14default_configENS1_25partition_config_selectorILNS1_17partition_subalgoE5ElNS0_10empty_typeEbEEZZNS1_14partition_implILS5_5ELb0ES3_mN6hipcub16HIPCUB_304000_NS21CountingInputIteratorIllEEPS6_NSA_22TransformInputIteratorIbN2at6native12_GLOBAL__N_19NonZeroOpIN3c108BFloat16EEEPKSK_lEENS0_5tupleIJPlS6_EEENSP_IJSD_SD_EEES6_PiJS6_EEE10hipError_tPvRmT3_T4_T5_T6_T7_T9_mT8_P12ihipStream_tbDpT10_ENKUlT_T0_E_clISt17integral_constantIbLb0EES1C_IbLb1EEEEDaS18_S19_EUlS18_E_NS1_11comp_targetILNS1_3genE9ELNS1_11target_archE1100ELNS1_3gpuE3ELNS1_3repE0EEENS1_30default_config_static_selectorELNS0_4arch9wavefront6targetE0EEEvT1_,comdat
	.globl	_ZN7rocprim17ROCPRIM_400000_NS6detail17trampoline_kernelINS0_14default_configENS1_25partition_config_selectorILNS1_17partition_subalgoE5ElNS0_10empty_typeEbEEZZNS1_14partition_implILS5_5ELb0ES3_mN6hipcub16HIPCUB_304000_NS21CountingInputIteratorIllEEPS6_NSA_22TransformInputIteratorIbN2at6native12_GLOBAL__N_19NonZeroOpIN3c108BFloat16EEEPKSK_lEENS0_5tupleIJPlS6_EEENSP_IJSD_SD_EEES6_PiJS6_EEE10hipError_tPvRmT3_T4_T5_T6_T7_T9_mT8_P12ihipStream_tbDpT10_ENKUlT_T0_E_clISt17integral_constantIbLb0EES1C_IbLb1EEEEDaS18_S19_EUlS18_E_NS1_11comp_targetILNS1_3genE9ELNS1_11target_archE1100ELNS1_3gpuE3ELNS1_3repE0EEENS1_30default_config_static_selectorELNS0_4arch9wavefront6targetE0EEEvT1_ ; -- Begin function _ZN7rocprim17ROCPRIM_400000_NS6detail17trampoline_kernelINS0_14default_configENS1_25partition_config_selectorILNS1_17partition_subalgoE5ElNS0_10empty_typeEbEEZZNS1_14partition_implILS5_5ELb0ES3_mN6hipcub16HIPCUB_304000_NS21CountingInputIteratorIllEEPS6_NSA_22TransformInputIteratorIbN2at6native12_GLOBAL__N_19NonZeroOpIN3c108BFloat16EEEPKSK_lEENS0_5tupleIJPlS6_EEENSP_IJSD_SD_EEES6_PiJS6_EEE10hipError_tPvRmT3_T4_T5_T6_T7_T9_mT8_P12ihipStream_tbDpT10_ENKUlT_T0_E_clISt17integral_constantIbLb0EES1C_IbLb1EEEEDaS18_S19_EUlS18_E_NS1_11comp_targetILNS1_3genE9ELNS1_11target_archE1100ELNS1_3gpuE3ELNS1_3repE0EEENS1_30default_config_static_selectorELNS0_4arch9wavefront6targetE0EEEvT1_
	.p2align	8
	.type	_ZN7rocprim17ROCPRIM_400000_NS6detail17trampoline_kernelINS0_14default_configENS1_25partition_config_selectorILNS1_17partition_subalgoE5ElNS0_10empty_typeEbEEZZNS1_14partition_implILS5_5ELb0ES3_mN6hipcub16HIPCUB_304000_NS21CountingInputIteratorIllEEPS6_NSA_22TransformInputIteratorIbN2at6native12_GLOBAL__N_19NonZeroOpIN3c108BFloat16EEEPKSK_lEENS0_5tupleIJPlS6_EEENSP_IJSD_SD_EEES6_PiJS6_EEE10hipError_tPvRmT3_T4_T5_T6_T7_T9_mT8_P12ihipStream_tbDpT10_ENKUlT_T0_E_clISt17integral_constantIbLb0EES1C_IbLb1EEEEDaS18_S19_EUlS18_E_NS1_11comp_targetILNS1_3genE9ELNS1_11target_archE1100ELNS1_3gpuE3ELNS1_3repE0EEENS1_30default_config_static_selectorELNS0_4arch9wavefront6targetE0EEEvT1_,@function
_ZN7rocprim17ROCPRIM_400000_NS6detail17trampoline_kernelINS0_14default_configENS1_25partition_config_selectorILNS1_17partition_subalgoE5ElNS0_10empty_typeEbEEZZNS1_14partition_implILS5_5ELb0ES3_mN6hipcub16HIPCUB_304000_NS21CountingInputIteratorIllEEPS6_NSA_22TransformInputIteratorIbN2at6native12_GLOBAL__N_19NonZeroOpIN3c108BFloat16EEEPKSK_lEENS0_5tupleIJPlS6_EEENSP_IJSD_SD_EEES6_PiJS6_EEE10hipError_tPvRmT3_T4_T5_T6_T7_T9_mT8_P12ihipStream_tbDpT10_ENKUlT_T0_E_clISt17integral_constantIbLb0EES1C_IbLb1EEEEDaS18_S19_EUlS18_E_NS1_11comp_targetILNS1_3genE9ELNS1_11target_archE1100ELNS1_3gpuE3ELNS1_3repE0EEENS1_30default_config_static_selectorELNS0_4arch9wavefront6targetE0EEEvT1_: ; @_ZN7rocprim17ROCPRIM_400000_NS6detail17trampoline_kernelINS0_14default_configENS1_25partition_config_selectorILNS1_17partition_subalgoE5ElNS0_10empty_typeEbEEZZNS1_14partition_implILS5_5ELb0ES3_mN6hipcub16HIPCUB_304000_NS21CountingInputIteratorIllEEPS6_NSA_22TransformInputIteratorIbN2at6native12_GLOBAL__N_19NonZeroOpIN3c108BFloat16EEEPKSK_lEENS0_5tupleIJPlS6_EEENSP_IJSD_SD_EEES6_PiJS6_EEE10hipError_tPvRmT3_T4_T5_T6_T7_T9_mT8_P12ihipStream_tbDpT10_ENKUlT_T0_E_clISt17integral_constantIbLb0EES1C_IbLb1EEEEDaS18_S19_EUlS18_E_NS1_11comp_targetILNS1_3genE9ELNS1_11target_archE1100ELNS1_3gpuE3ELNS1_3repE0EEENS1_30default_config_static_selectorELNS0_4arch9wavefront6targetE0EEEvT1_
; %bb.0:
	s_clause 0x4
	s_load_b64 s[18:19], s[0:1], 0x20
	s_load_b64 s[12:13], s[0:1], 0x30
	;; [unrolled: 1-line block ×3, first 2 shown]
	s_load_b128 s[4:7], s[0:1], 0x48
	s_load_b64 s[14:15], s[0:1], 0x68
	v_cmp_eq_u32_e64 s2, 0, v0
	s_delay_alu instid0(VALU_DEP_1)
	s_and_saveexec_b32 s3, s2
	s_cbranch_execz .LBB828_4
; %bb.1:
	s_mov_b32 s9, exec_lo
	s_mov_b32 s8, exec_lo
	v_mbcnt_lo_u32_b32 v1, s9, 0
                                        ; implicit-def: $vgpr2
	s_delay_alu instid0(VALU_DEP_1)
	v_cmpx_eq_u32_e32 0, v1
	s_cbranch_execz .LBB828_3
; %bb.2:
	s_load_b64 s[10:11], s[0:1], 0x78
	s_bcnt1_i32_b32 s9, s9
	s_delay_alu instid0(SALU_CYCLE_1)
	v_dual_mov_b32 v2, 0 :: v_dual_mov_b32 v3, s9
	s_waitcnt lgkmcnt(0)
	global_atomic_add_u32 v2, v2, v3, s[10:11] glc
.LBB828_3:
	s_or_b32 exec_lo, exec_lo, s8
	s_waitcnt vmcnt(0)
	v_readfirstlane_b32 s8, v2
	s_delay_alu instid0(VALU_DEP_1)
	v_dual_mov_b32 v2, 0 :: v_dual_add_nc_u32 v1, s8, v1
	ds_store_b32 v2, v1
.LBB828_4:
	s_or_b32 exec_lo, exec_lo, s3
	v_mov_b32_e32 v1, 0
	s_clause 0x1
	s_load_b128 s[8:11], s[0:1], 0x8
	s_load_b32 s0, s[0:1], 0x70
	s_waitcnt lgkmcnt(0)
	s_barrier
	buffer_gl0_inv
	ds_load_b32 v3, v1
	s_waitcnt lgkmcnt(0)
	s_barrier
	buffer_gl0_inv
	global_load_b64 v[1:2], v1, s[6:7]
	s_add_u32 s21, s10, s8
	s_mul_i32 s20, s0, 0x300
	s_addc_u32 s22, s11, s9
	s_add_i32 s3, s0, -1
	s_add_u32 s0, s10, s20
	v_readfirstlane_b32 s9, v3
	s_addc_u32 s1, s11, 0
	s_delay_alu instid0(SALU_CYCLE_1) | instskip(SKIP_1) | instid1(VALU_DEP_2)
	v_cmp_ge_u64_e64 s0, s[0:1], s[16:17]
	s_mov_b32 s17, -1
	s_cmp_eq_u32 s9, s3
	s_cselect_b32 s3, -1, 0
	s_delay_alu instid0(VALU_DEP_1) | instid1(SALU_CYCLE_1)
	s_and_b32 s1, s0, s3
	s_mul_i32 s0, s9, 0x300
	s_xor_b32 s8, s1, -1
	s_mov_b32 s1, 0
	s_and_b32 vcc_lo, exec_lo, s8
	s_waitcnt vmcnt(0)
	v_readfirstlane_b32 s6, v1
	v_readfirstlane_b32 s7, v2
	s_cbranch_vccz .LBB828_6
; %bb.5:
	s_add_u32 s17, s0, s21
	s_addc_u32 s23, 0, s22
	v_add_co_u32 v1, s17, s17, v0
	s_delay_alu instid0(VALU_DEP_1) | instskip(SKIP_1) | instid1(VALU_DEP_3)
	v_add_co_ci_u32_e64 v2, null, s23, 0, s17
	v_lshlrev_b32_e32 v13, 3, v0
	v_add_co_u32 v3, vcc_lo, 0x80, v1
	s_delay_alu instid0(VALU_DEP_3)
	v_add_co_ci_u32_e32 v4, vcc_lo, 0, v2, vcc_lo
	v_add_co_u32 v5, vcc_lo, 0x100, v1
	v_add_co_ci_u32_e32 v6, vcc_lo, 0, v2, vcc_lo
	v_add_co_u32 v7, vcc_lo, 0x180, v1
	;; [unrolled: 2-line block ×4, first 2 shown]
	v_add_co_ci_u32_e32 v12, vcc_lo, 0, v2, vcc_lo
	ds_store_2addr_stride64_b64 v13, v[1:2], v[3:4] offset1:2
	ds_store_2addr_stride64_b64 v13, v[5:6], v[7:8] offset0:4 offset1:6
	ds_store_2addr_stride64_b64 v13, v[9:10], v[11:12] offset0:8 offset1:10
	s_waitcnt lgkmcnt(0)
	s_mov_b32 s17, s1
	s_barrier
.LBB828_6:
	v_or_b32_e32 v17, 0x100, v0
	v_or_b32_e32 v16, 0x180, v0
	;; [unrolled: 1-line block ×4, first 2 shown]
	s_and_not1_b32 vcc_lo, exec_lo, s17
	s_cbranch_vccnz .LBB828_8
; %bb.7:
	v_or_b32_e32 v3, 0x80, v0
	s_add_u32 s17, s21, s0
	s_addc_u32 s21, s22, 0
	v_add_co_u32 v1, s22, s17, v0
	s_delay_alu instid0(VALU_DEP_1) | instskip(SKIP_1) | instid1(VALU_DEP_1)
	v_add_co_ci_u32_e64 v2, null, s21, 0, s22
	v_add_co_u32 v3, s22, s17, v3
	v_add_co_ci_u32_e64 v4, null, s21, 0, s22
	v_add_co_u32 v5, s22, s17, v17
	s_delay_alu instid0(VALU_DEP_1) | instskip(SKIP_1) | instid1(VALU_DEP_1)
	v_add_co_ci_u32_e64 v6, null, s21, 0, s22
	v_add_co_u32 v7, s22, s17, v16
	v_add_co_ci_u32_e64 v8, null, s21, 0, s22
	v_add_co_u32 v9, s22, s17, v14
	v_lshlrev_b32_e32 v15, 3, v0
	v_add_co_u32 v11, s17, s17, v13
	v_add_co_ci_u32_e64 v10, null, s21, 0, s22
	v_add_co_ci_u32_e64 v12, null, s21, 0, s17
	ds_store_2addr_stride64_b64 v15, v[1:2], v[3:4] offset1:2
	ds_store_2addr_stride64_b64 v15, v[5:6], v[7:8] offset0:4 offset1:6
	ds_store_2addr_stride64_b64 v15, v[9:10], v[11:12] offset0:8 offset1:10
	s_waitcnt lgkmcnt(0)
	s_barrier
.LBB828_8:
	v_mul_u32_u24_e32 v1, 6, v0
	buffer_gl0_inv
	s_lshl_b64 s[22:23], s[10:11], 1
	s_delay_alu instid0(SALU_CYCLE_1)
	s_add_u32 s11, s18, s22
	v_lshlrev_b32_e32 v15, 3, v1
	s_addc_u32 s17, s19, s23
	s_lshl_b64 s[0:1], s[0:1], 1
	ds_load_b128 v[9:12], v15
	ds_load_b128 v[5:8], v15 offset:16
	ds_load_b128 v[1:4], v15 offset:32
	s_add_u32 s0, s11, s0
	s_addc_u32 s1, s17, s1
	s_and_b32 vcc_lo, exec_lo, s8
	s_mov_b32 s11, -1
	s_waitcnt lgkmcnt(0)
	s_barrier
	buffer_gl0_inv
	s_cbranch_vccz .LBB828_10
; %bb.9:
	v_lshlrev_b32_e32 v18, 1, v0
	s_mov_b32 s11, 0
	s_clause 0x5
	global_load_u16 v19, v18, s[0:1]
	global_load_u16 v20, v18, s[0:1] offset:256
	global_load_u16 v21, v18, s[0:1] offset:512
	;; [unrolled: 1-line block ×5, first 2 shown]
	s_waitcnt vmcnt(5)
	v_and_b32_e32 v19, 0x7fff, v19
	s_waitcnt vmcnt(4)
	v_and_b32_e32 v20, 0x7fff, v20
	;; [unrolled: 2-line block ×5, first 2 shown]
	v_cmp_ne_u16_e32 vcc_lo, 0, v19
	s_waitcnt vmcnt(0)
	v_and_b32_e32 v18, 0x7fff, v18
	v_cndmask_b32_e64 v19, 0, 1, vcc_lo
	v_cmp_ne_u16_e32 vcc_lo, 0, v20
	v_cndmask_b32_e64 v20, 0, 1, vcc_lo
	v_cmp_ne_u16_e32 vcc_lo, 0, v21
	;; [unrolled: 2-line block ×5, first 2 shown]
	v_cndmask_b32_e64 v18, 0, 1, vcc_lo
	ds_store_b8 v0, v19
	ds_store_b8 v0, v20 offset:128
	ds_store_b8 v0, v21 offset:256
	;; [unrolled: 1-line block ×5, first 2 shown]
	s_waitcnt lgkmcnt(0)
	s_barrier
.LBB828_10:
	s_and_not1_b32 vcc_lo, exec_lo, s11
	s_cbranch_vccnz .LBB828_24
; %bb.11:
	s_add_i32 s20, s20, s10
	v_dual_mov_b32 v18, 0 :: v_dual_mov_b32 v19, 0
	s_sub_i32 s10, s16, s20
	s_mov_b32 s11, exec_lo
	s_addk_i32 s10, 0x300
	s_delay_alu instid0(SALU_CYCLE_1)
	v_cmpx_gt_u32_e64 s10, v0
	s_cbranch_execz .LBB828_13
; %bb.12:
	v_lshlrev_b32_e32 v19, 1, v0
	global_load_u16 v19, v19, s[0:1]
	s_waitcnt vmcnt(0)
	v_and_b32_e32 v19, 0x7fff, v19
	s_delay_alu instid0(VALU_DEP_1)
	v_cmp_ne_u16_e32 vcc_lo, 0, v19
	v_cndmask_b32_e64 v19, 0, 1, vcc_lo
.LBB828_13:
	s_or_b32 exec_lo, exec_lo, s11
	v_or_b32_e32 v20, 0x80, v0
	s_mov_b32 s11, exec_lo
	s_delay_alu instid0(VALU_DEP_1)
	v_cmpx_gt_u32_e64 s10, v20
	s_cbranch_execz .LBB828_15
; %bb.14:
	v_lshlrev_b32_e32 v18, 1, v0
	global_load_u16 v18, v18, s[0:1] offset:256
	s_waitcnt vmcnt(0)
	v_and_b32_e32 v18, 0x7fff, v18
	s_delay_alu instid0(VALU_DEP_1)
	v_cmp_ne_u16_e32 vcc_lo, 0, v18
	v_cndmask_b32_e64 v18, 0, 1, vcc_lo
.LBB828_15:
	s_or_b32 exec_lo, exec_lo, s11
	v_cmp_gt_u32_e32 vcc_lo, s10, v17
	v_dual_mov_b32 v17, 0 :: v_dual_mov_b32 v20, 0
	s_and_saveexec_b32 s11, vcc_lo
	s_cbranch_execz .LBB828_17
; %bb.16:
	v_lshlrev_b32_e32 v20, 1, v0
	global_load_u16 v20, v20, s[0:1] offset:512
	s_waitcnt vmcnt(0)
	v_and_b32_e32 v20, 0x7fff, v20
	s_delay_alu instid0(VALU_DEP_1)
	v_cmp_ne_u16_e32 vcc_lo, 0, v20
	v_cndmask_b32_e64 v20, 0, 1, vcc_lo
.LBB828_17:
	s_or_b32 exec_lo, exec_lo, s11
	s_delay_alu instid0(SALU_CYCLE_1)
	s_mov_b32 s11, exec_lo
	v_cmpx_gt_u32_e64 s10, v16
	s_cbranch_execz .LBB828_19
; %bb.18:
	v_lshlrev_b32_e32 v16, 1, v0
	global_load_u16 v16, v16, s[0:1] offset:768
	s_waitcnt vmcnt(0)
	v_and_b32_e32 v16, 0x7fff, v16
	s_delay_alu instid0(VALU_DEP_1)
	v_cmp_ne_u16_e32 vcc_lo, 0, v16
	v_cndmask_b32_e64 v17, 0, 1, vcc_lo
.LBB828_19:
	s_or_b32 exec_lo, exec_lo, s11
	v_cmp_gt_u32_e32 vcc_lo, s10, v14
	v_mov_b32_e32 v14, 0
	v_mov_b32_e32 v16, 0
	s_and_saveexec_b32 s11, vcc_lo
	s_cbranch_execz .LBB828_21
; %bb.20:
	v_lshlrev_b32_e32 v16, 1, v0
	global_load_u16 v16, v16, s[0:1] offset:1024
	s_waitcnt vmcnt(0)
	v_and_b32_e32 v16, 0x7fff, v16
	s_delay_alu instid0(VALU_DEP_1)
	v_cmp_ne_u16_e32 vcc_lo, 0, v16
	v_cndmask_b32_e64 v16, 0, 1, vcc_lo
.LBB828_21:
	s_or_b32 exec_lo, exec_lo, s11
	v_cmp_gt_u32_e32 vcc_lo, s10, v13
	s_and_saveexec_b32 s10, vcc_lo
	s_cbranch_execz .LBB828_23
; %bb.22:
	v_lshlrev_b32_e32 v13, 1, v0
	global_load_u16 v13, v13, s[0:1] offset:1280
	s_waitcnt vmcnt(0)
	v_and_b32_e32 v13, 0x7fff, v13
	s_delay_alu instid0(VALU_DEP_1)
	v_cmp_ne_u16_e32 vcc_lo, 0, v13
	v_cndmask_b32_e64 v14, 0, 1, vcc_lo
.LBB828_23:
	s_or_b32 exec_lo, exec_lo, s10
	ds_store_b8 v0, v19
	ds_store_b8 v0, v18 offset:128
	ds_store_b8 v0, v20 offset:256
	;; [unrolled: 1-line block ×5, first 2 shown]
	s_waitcnt lgkmcnt(0)
	s_barrier
.LBB828_24:
	v_mad_i32_i24 v43, 0xffffffd6, v0, v15
	buffer_gl0_inv
	v_mbcnt_lo_u32_b32 v42, -1, 0
	s_cmp_lg_u32 s9, 0
	s_mov_b32 s1, -1
	ds_load_u16 v36, v43
	ds_load_u16 v33, v43 offset:2
	ds_load_u16 v31, v43 offset:4
	v_mov_b32_e32 v14, 0
	v_and_b32_e32 v44, 15, v42
	s_waitcnt lgkmcnt(0)
	s_barrier
	buffer_gl0_inv
	v_and_b32_e32 v41, 0xff, v36
	v_lshrrev_b16 v34, 8, v36
	v_lshrrev_b16 v35, 8, v33
	v_and_b32_e32 v39, 0xff, v33
	v_lshrrev_b16 v32, 8, v31
	v_and_b32_e32 v37, 0xff, v31
	v_and_b32_e32 v40, 0xffff, v34
	;; [unrolled: 1-line block ×3, first 2 shown]
	s_delay_alu instid0(VALU_DEP_4) | instskip(NEXT) | instid1(VALU_DEP_3)
	v_and_b32_e32 v16, 0xffff, v32
	v_add_co_u32 v13, s0, v40, v41
	s_delay_alu instid0(VALU_DEP_1) | instskip(SKIP_1) | instid1(VALU_DEP_3)
	v_add_co_ci_u32_e64 v15, null, 0, 0, s0
	v_cmp_ne_u32_e64 s0, 0, v44
	v_add_co_u32 v13, vcc_lo, v13, v39
	s_delay_alu instid0(VALU_DEP_3) | instskip(NEXT) | instid1(VALU_DEP_2)
	v_add_co_ci_u32_e32 v15, vcc_lo, 0, v15, vcc_lo
	v_add_co_u32 v13, vcc_lo, v13, v38
	s_delay_alu instid0(VALU_DEP_2) | instskip(NEXT) | instid1(VALU_DEP_2)
	v_add_co_ci_u32_e32 v15, vcc_lo, 0, v15, vcc_lo
	v_add_co_u32 v13, vcc_lo, v13, v37
	s_delay_alu instid0(VALU_DEP_2) | instskip(NEXT) | instid1(VALU_DEP_2)
	v_add_co_ci_u32_e32 v15, vcc_lo, 0, v15, vcc_lo
	v_add_co_u32 v21, vcc_lo, v13, v16
	s_delay_alu instid0(VALU_DEP_2)
	v_add_co_ci_u32_e32 v22, vcc_lo, 0, v15, vcc_lo
	s_cbranch_scc0 .LBB828_88
; %bb.25:
	s_delay_alu instid0(VALU_DEP_2)
	v_mov_b32_e32 v15, v21
	v_mov_b32_dpp v13, v21 row_shr:1 row_mask:0xf bank_mask:0xf
	v_mov_b32_dpp v18, v14 row_shr:1 row_mask:0xf bank_mask:0xf
	v_dual_mov_b32 v17, v21 :: v_dual_mov_b32 v16, v22
	s_and_saveexec_b32 s1, s0
; %bb.26:
	s_delay_alu instid0(VALU_DEP_3) | instskip(SKIP_1) | instid1(VALU_DEP_2)
	v_add_co_u32 v17, vcc_lo, v21, v13
	v_add_co_ci_u32_e32 v14, vcc_lo, 0, v22, vcc_lo
	v_add_co_u32 v13, vcc_lo, 0, v17
	s_delay_alu instid0(VALU_DEP_2) | instskip(NEXT) | instid1(VALU_DEP_1)
	v_add_co_ci_u32_e32 v14, vcc_lo, v18, v14, vcc_lo
	v_dual_mov_b32 v16, v14 :: v_dual_mov_b32 v15, v13
; %bb.27:
	s_or_b32 exec_lo, exec_lo, s1
	v_mov_b32_dpp v13, v17 row_shr:2 row_mask:0xf bank_mask:0xf
	v_mov_b32_dpp v18, v14 row_shr:2 row_mask:0xf bank_mask:0xf
	s_mov_b32 s1, exec_lo
	v_cmpx_lt_u32_e32 1, v44
; %bb.28:
	s_delay_alu instid0(VALU_DEP_3) | instskip(SKIP_1) | instid1(VALU_DEP_2)
	v_add_co_u32 v17, vcc_lo, v15, v13
	v_add_co_ci_u32_e32 v14, vcc_lo, 0, v16, vcc_lo
	v_add_co_u32 v13, vcc_lo, 0, v17
	s_delay_alu instid0(VALU_DEP_2) | instskip(NEXT) | instid1(VALU_DEP_1)
	v_add_co_ci_u32_e32 v14, vcc_lo, v18, v14, vcc_lo
	v_dual_mov_b32 v16, v14 :: v_dual_mov_b32 v15, v13
; %bb.29:
	s_or_b32 exec_lo, exec_lo, s1
	v_mov_b32_dpp v13, v17 row_shr:4 row_mask:0xf bank_mask:0xf
	v_mov_b32_dpp v18, v14 row_shr:4 row_mask:0xf bank_mask:0xf
	s_mov_b32 s1, exec_lo
	v_cmpx_lt_u32_e32 3, v44
	;; [unrolled: 14-line block ×3, first 2 shown]
; %bb.32:
	s_delay_alu instid0(VALU_DEP_3) | instskip(SKIP_1) | instid1(VALU_DEP_2)
	v_add_co_u32 v17, vcc_lo, v15, v18
	v_add_co_ci_u32_e32 v14, vcc_lo, 0, v16, vcc_lo
	v_add_co_u32 v15, vcc_lo, 0, v17
	s_delay_alu instid0(VALU_DEP_2) | instskip(NEXT) | instid1(VALU_DEP_1)
	v_add_co_ci_u32_e32 v16, vcc_lo, v13, v14, vcc_lo
	v_mov_b32_e32 v14, v16
; %bb.33:
	s_or_b32 exec_lo, exec_lo, s1
	ds_swizzle_b32 v13, v17 offset:swizzle(BROADCAST,32,15)
	ds_swizzle_b32 v18, v14 offset:swizzle(BROADCAST,32,15)
	v_and_b32_e32 v19, 16, v42
	s_mov_b32 s1, exec_lo
	s_delay_alu instid0(VALU_DEP_1)
	v_cmpx_ne_u32_e32 0, v19
	s_cbranch_execz .LBB828_35
; %bb.34:
	s_waitcnt lgkmcnt(1)
	v_add_co_u32 v17, vcc_lo, v15, v13
	v_add_co_ci_u32_e32 v14, vcc_lo, 0, v16, vcc_lo
	s_delay_alu instid0(VALU_DEP_2) | instskip(SKIP_1) | instid1(VALU_DEP_2)
	v_add_co_u32 v13, vcc_lo, 0, v17
	s_waitcnt lgkmcnt(0)
	v_add_co_ci_u32_e32 v14, vcc_lo, v18, v14, vcc_lo
	s_delay_alu instid0(VALU_DEP_1)
	v_dual_mov_b32 v16, v14 :: v_dual_mov_b32 v15, v13
.LBB828_35:
	s_or_b32 exec_lo, exec_lo, s1
	s_waitcnt lgkmcnt(0)
	v_or_b32_e32 v18, 31, v0
	v_lshrrev_b32_e32 v13, 5, v0
	s_mov_b32 s1, exec_lo
	s_delay_alu instid0(VALU_DEP_2)
	v_cmpx_eq_u32_e64 v18, v0
	s_cbranch_execz .LBB828_37
; %bb.36:
	s_delay_alu instid0(VALU_DEP_2)
	v_lshlrev_b32_e32 v18, 3, v13
	ds_store_b64 v18, v[15:16]
.LBB828_37:
	s_or_b32 exec_lo, exec_lo, s1
	s_delay_alu instid0(SALU_CYCLE_1)
	s_mov_b32 s1, exec_lo
	s_waitcnt lgkmcnt(0)
	s_barrier
	buffer_gl0_inv
	v_cmpx_gt_u32_e32 4, v0
	s_cbranch_execz .LBB828_43
; %bb.38:
	v_lshlrev_b32_e32 v18, 3, v0
	s_mov_b32 s10, exec_lo
	ds_load_b64 v[15:16], v18
	s_waitcnt lgkmcnt(0)
	v_dual_mov_b32 v20, v15 :: v_dual_and_b32 v19, 3, v42
	v_mov_b32_dpp v24, v15 row_shr:1 row_mask:0xf bank_mask:0xf
	v_mov_b32_dpp v23, v16 row_shr:1 row_mask:0xf bank_mask:0xf
	s_delay_alu instid0(VALU_DEP_3)
	v_cmpx_ne_u32_e32 0, v19
; %bb.39:
	s_delay_alu instid0(VALU_DEP_3) | instskip(SKIP_1) | instid1(VALU_DEP_2)
	v_add_co_u32 v20, vcc_lo, v15, v24
	v_add_co_ci_u32_e32 v16, vcc_lo, 0, v16, vcc_lo
	v_add_co_u32 v15, vcc_lo, 0, v20
	s_delay_alu instid0(VALU_DEP_2)
	v_add_co_ci_u32_e32 v16, vcc_lo, v23, v16, vcc_lo
; %bb.40:
	s_or_b32 exec_lo, exec_lo, s10
	v_mov_b32_dpp v23, v20 row_shr:2 row_mask:0xf bank_mask:0xf
	s_delay_alu instid0(VALU_DEP_2)
	v_mov_b32_dpp v20, v16 row_shr:2 row_mask:0xf bank_mask:0xf
	s_mov_b32 s10, exec_lo
	v_cmpx_lt_u32_e32 1, v19
; %bb.41:
	s_delay_alu instid0(VALU_DEP_3) | instskip(SKIP_1) | instid1(VALU_DEP_2)
	v_add_co_u32 v15, vcc_lo, v15, v23
	v_add_co_ci_u32_e32 v16, vcc_lo, 0, v16, vcc_lo
	v_add_co_u32 v15, vcc_lo, v15, 0
	s_delay_alu instid0(VALU_DEP_2)
	v_add_co_ci_u32_e32 v16, vcc_lo, v16, v20, vcc_lo
; %bb.42:
	s_or_b32 exec_lo, exec_lo, s10
	ds_store_b64 v18, v[15:16]
.LBB828_43:
	s_or_b32 exec_lo, exec_lo, s1
	v_cmp_gt_u32_e32 vcc_lo, 32, v0
	s_mov_b32 s10, exec_lo
	s_waitcnt lgkmcnt(0)
	s_barrier
	buffer_gl0_inv
                                        ; implicit-def: $vgpr23_vgpr24
	v_cmpx_lt_u32_e32 31, v0
	s_cbranch_execz .LBB828_45
; %bb.44:
	v_lshl_add_u32 v13, v13, 3, -8
	ds_load_b64 v[23:24], v13
	s_waitcnt lgkmcnt(0)
	v_add_co_u32 v17, s1, v17, v23
	s_delay_alu instid0(VALU_DEP_1)
	v_add_co_ci_u32_e64 v14, s1, v14, v24, s1
.LBB828_45:
	s_or_b32 exec_lo, exec_lo, s10
	v_add_nc_u32_e32 v13, -1, v42
	s_delay_alu instid0(VALU_DEP_1) | instskip(NEXT) | instid1(VALU_DEP_1)
	v_cmp_gt_i32_e64 s1, 0, v13
	v_cndmask_b32_e64 v13, v13, v42, s1
	v_cmp_eq_u32_e64 s1, 0, v42
	s_delay_alu instid0(VALU_DEP_2)
	v_lshlrev_b32_e32 v13, 2, v13
	ds_bpermute_b32 v29, v13, v17
	ds_bpermute_b32 v30, v13, v14
	s_and_saveexec_b32 s10, vcc_lo
	s_cbranch_execz .LBB828_83
; %bb.46:
	v_mov_b32_e32 v16, 0
	ds_load_b64 v[13:14], v16 offset:24
	s_and_saveexec_b32 s11, s1
	s_cbranch_execz .LBB828_48
; %bb.47:
	s_add_i32 s16, s9, 32
	s_mov_b32 s17, 0
	s_delay_alu instid0(SALU_CYCLE_1) | instskip(NEXT) | instid1(SALU_CYCLE_1)
	s_lshl_b64 s[16:17], s[16:17], 4
	s_add_u32 s16, s14, s16
	s_addc_u32 s17, s15, s17
	s_delay_alu instid0(SALU_CYCLE_1)
	v_dual_mov_b32 v15, 1 :: v_dual_mov_b32 v18, s17
	v_mov_b32_e32 v17, s16
	s_waitcnt lgkmcnt(0)
	;;#ASMSTART
	global_store_dwordx4 v[17:18], v[13:16] off	
s_waitcnt vmcnt(0)
	;;#ASMEND
.LBB828_48:
	s_or_b32 exec_lo, exec_lo, s11
	v_xad_u32 v25, v42, -1, s9
	s_mov_b32 s16, 0
	s_mov_b32 s11, exec_lo
	s_delay_alu instid0(VALU_DEP_1) | instskip(NEXT) | instid1(VALU_DEP_1)
	v_add_nc_u32_e32 v15, 32, v25
	v_lshlrev_b64 v[15:16], 4, v[15:16]
	s_delay_alu instid0(VALU_DEP_1) | instskip(NEXT) | instid1(VALU_DEP_2)
	v_add_co_u32 v15, vcc_lo, s14, v15
	v_add_co_ci_u32_e32 v16, vcc_lo, s15, v16, vcc_lo
	;;#ASMSTART
	global_load_dwordx4 v[17:20], v[15:16] off glc	
s_waitcnt vmcnt(0)
	;;#ASMEND
	v_and_b32_e32 v20, 0xff, v18
	v_and_b32_e32 v26, 0xff00, v18
	v_or3_b32 v17, v17, 0, 0
	v_and_b32_e32 v27, 0xff000000, v18
	v_and_b32_e32 v18, 0xff0000, v18
	s_delay_alu instid0(VALU_DEP_4) | instskip(SKIP_2) | instid1(VALU_DEP_3)
	v_or3_b32 v20, 0, v20, v26
	v_and_b32_e32 v26, 0xff, v19
	v_or3_b32 v17, v17, 0, 0
	v_or3_b32 v18, v20, v18, v27
	s_delay_alu instid0(VALU_DEP_3)
	v_cmpx_eq_u16_e32 0, v26
	s_cbranch_execz .LBB828_51
.LBB828_49:                             ; =>This Inner Loop Header: Depth=1
	;;#ASMSTART
	global_load_dwordx4 v[17:20], v[15:16] off glc	
s_waitcnt vmcnt(0)
	;;#ASMEND
	v_and_b32_e32 v20, 0xff, v19
	s_delay_alu instid0(VALU_DEP_1) | instskip(SKIP_1) | instid1(SALU_CYCLE_1)
	v_cmp_ne_u16_e32 vcc_lo, 0, v20
	s_or_b32 s16, vcc_lo, s16
	s_and_not1_b32 exec_lo, exec_lo, s16
	s_cbranch_execnz .LBB828_49
; %bb.50:
	s_or_b32 exec_lo, exec_lo, s16
.LBB828_51:
	s_delay_alu instid0(SALU_CYCLE_1)
	s_or_b32 exec_lo, exec_lo, s11
	v_cmp_ne_u32_e32 vcc_lo, 31, v42
	v_and_b32_e32 v16, 0xff, v19
	v_lshlrev_b32_e64 v46, v42, -1
	s_mov_b32 s11, exec_lo
	v_add_co_ci_u32_e32 v15, vcc_lo, 0, v42, vcc_lo
	s_delay_alu instid0(VALU_DEP_3) | instskip(NEXT) | instid1(VALU_DEP_2)
	v_cmp_eq_u16_e32 vcc_lo, 2, v16
	v_dual_mov_b32 v16, v17 :: v_dual_lshlrev_b32 v45, 2, v15
	v_and_or_b32 v15, vcc_lo, v46, 0x80000000
	ds_bpermute_b32 v26, v45, v17
	ds_bpermute_b32 v20, v45, v18
	v_ctz_i32_b32_e32 v15, v15
	s_delay_alu instid0(VALU_DEP_1)
	v_cmpx_lt_u32_e64 v42, v15
	s_cbranch_execz .LBB828_53
; %bb.52:
	s_waitcnt lgkmcnt(1)
	v_add_co_u32 v16, vcc_lo, v17, v26
	v_add_co_ci_u32_e32 v18, vcc_lo, 0, v18, vcc_lo
	s_delay_alu instid0(VALU_DEP_2) | instskip(SKIP_1) | instid1(VALU_DEP_2)
	v_add_co_u32 v17, vcc_lo, 0, v16
	s_waitcnt lgkmcnt(0)
	v_add_co_ci_u32_e32 v18, vcc_lo, v20, v18, vcc_lo
.LBB828_53:
	s_or_b32 exec_lo, exec_lo, s11
	v_cmp_gt_u32_e32 vcc_lo, 30, v42
	v_add_nc_u32_e32 v48, 2, v42
	s_mov_b32 s11, exec_lo
	s_waitcnt lgkmcnt(0)
	v_cndmask_b32_e64 v20, 0, 1, vcc_lo
	s_delay_alu instid0(VALU_DEP_1) | instskip(NEXT) | instid1(VALU_DEP_1)
	v_lshlrev_b32_e32 v20, 1, v20
	v_add_lshl_u32 v47, v20, v42, 2
	ds_bpermute_b32 v26, v47, v16
	ds_bpermute_b32 v20, v47, v18
	v_cmpx_le_u32_e64 v48, v15
	s_cbranch_execz .LBB828_55
; %bb.54:
	s_waitcnt lgkmcnt(1)
	v_add_co_u32 v16, vcc_lo, v17, v26
	v_add_co_ci_u32_e32 v18, vcc_lo, 0, v18, vcc_lo
	s_delay_alu instid0(VALU_DEP_2) | instskip(SKIP_1) | instid1(VALU_DEP_2)
	v_add_co_u32 v17, vcc_lo, 0, v16
	s_waitcnt lgkmcnt(0)
	v_add_co_ci_u32_e32 v18, vcc_lo, v20, v18, vcc_lo
.LBB828_55:
	s_or_b32 exec_lo, exec_lo, s11
	v_cmp_gt_u32_e32 vcc_lo, 28, v42
	v_add_nc_u32_e32 v50, 4, v42
	s_mov_b32 s11, exec_lo
	s_waitcnt lgkmcnt(0)
	v_cndmask_b32_e64 v20, 0, 1, vcc_lo
	s_delay_alu instid0(VALU_DEP_1) | instskip(NEXT) | instid1(VALU_DEP_1)
	v_lshlrev_b32_e32 v20, 2, v20
	v_add_lshl_u32 v49, v20, v42, 2
	ds_bpermute_b32 v26, v49, v16
	ds_bpermute_b32 v20, v49, v18
	v_cmpx_le_u32_e64 v50, v15
	s_cbranch_execz .LBB828_57
; %bb.56:
	s_waitcnt lgkmcnt(1)
	v_add_co_u32 v16, vcc_lo, v17, v26
	v_add_co_ci_u32_e32 v18, vcc_lo, 0, v18, vcc_lo
	s_delay_alu instid0(VALU_DEP_2) | instskip(SKIP_1) | instid1(VALU_DEP_2)
	v_add_co_u32 v17, vcc_lo, 0, v16
	s_waitcnt lgkmcnt(0)
	v_add_co_ci_u32_e32 v18, vcc_lo, v20, v18, vcc_lo
.LBB828_57:
	s_or_b32 exec_lo, exec_lo, s11
	v_cmp_gt_u32_e32 vcc_lo, 24, v42
	v_add_nc_u32_e32 v52, 8, v42
	s_mov_b32 s11, exec_lo
	s_waitcnt lgkmcnt(0)
	v_cndmask_b32_e64 v20, 0, 1, vcc_lo
	s_delay_alu instid0(VALU_DEP_1) | instskip(NEXT) | instid1(VALU_DEP_1)
	v_lshlrev_b32_e32 v20, 3, v20
	v_add_lshl_u32 v51, v20, v42, 2
	ds_bpermute_b32 v26, v51, v16
	ds_bpermute_b32 v20, v51, v18
	v_cmpx_le_u32_e64 v52, v15
	s_cbranch_execz .LBB828_59
; %bb.58:
	s_waitcnt lgkmcnt(1)
	v_add_co_u32 v16, vcc_lo, v17, v26
	v_add_co_ci_u32_e32 v18, vcc_lo, 0, v18, vcc_lo
	s_delay_alu instid0(VALU_DEP_2) | instskip(SKIP_1) | instid1(VALU_DEP_2)
	v_add_co_u32 v17, vcc_lo, 0, v16
	s_waitcnt lgkmcnt(0)
	v_add_co_ci_u32_e32 v18, vcc_lo, v20, v18, vcc_lo
.LBB828_59:
	s_or_b32 exec_lo, exec_lo, s11
	v_cmp_gt_u32_e32 vcc_lo, 16, v42
	v_add_nc_u32_e32 v54, 16, v42
	s_mov_b32 s11, exec_lo
	s_waitcnt lgkmcnt(0)
	v_cndmask_b32_e64 v20, 0, 1, vcc_lo
	s_delay_alu instid0(VALU_DEP_1) | instskip(NEXT) | instid1(VALU_DEP_1)
	v_lshlrev_b32_e32 v20, 4, v20
	v_add_lshl_u32 v53, v20, v42, 2
	ds_bpermute_b32 v20, v53, v16
	ds_bpermute_b32 v16, v53, v18
	v_cmpx_le_u32_e64 v54, v15
	s_cbranch_execz .LBB828_61
; %bb.60:
	s_waitcnt lgkmcnt(1)
	v_add_co_u32 v15, vcc_lo, v17, v20
	v_add_co_ci_u32_e32 v18, vcc_lo, 0, v18, vcc_lo
	s_delay_alu instid0(VALU_DEP_2) | instskip(SKIP_1) | instid1(VALU_DEP_2)
	v_add_co_u32 v17, vcc_lo, v15, 0
	s_waitcnt lgkmcnt(0)
	v_add_co_ci_u32_e32 v18, vcc_lo, v18, v16, vcc_lo
.LBB828_61:
	s_or_b32 exec_lo, exec_lo, s11
	v_mov_b32_e32 v26, 0
	s_branch .LBB828_63
.LBB828_62:                             ;   in Loop: Header=BB828_63 Depth=1
	s_or_b32 exec_lo, exec_lo, s11
	v_add_co_u32 v17, vcc_lo, v17, v15
	v_subrev_nc_u32_e32 v25, 32, v25
	v_add_co_ci_u32_e32 v18, vcc_lo, v18, v16, vcc_lo
.LBB828_63:                             ; =>This Loop Header: Depth=1
                                        ;     Child Loop BB828_66 Depth 2
	v_and_b32_e32 v15, 0xff, v19
	s_delay_alu instid0(VALU_DEP_1) | instskip(SKIP_2) | instid1(VALU_DEP_1)
	v_cmp_ne_u16_e32 vcc_lo, 2, v15
	v_cndmask_b32_e64 v15, 0, 1, vcc_lo
	;;#ASMSTART
	;;#ASMEND
	v_cmp_ne_u32_e32 vcc_lo, 0, v15
	s_waitcnt lgkmcnt(0)
	v_dual_mov_b32 v15, v17 :: v_dual_mov_b32 v16, v18
	s_cmp_lg_u32 vcc_lo, exec_lo
	s_cbranch_scc1 .LBB828_78
; %bb.64:                               ;   in Loop: Header=BB828_63 Depth=1
	v_lshlrev_b64 v[17:18], 4, v[25:26]
	s_mov_b32 s11, exec_lo
	s_delay_alu instid0(VALU_DEP_1) | instskip(NEXT) | instid1(VALU_DEP_2)
	v_add_co_u32 v27, vcc_lo, s14, v17
	v_add_co_ci_u32_e32 v28, vcc_lo, s15, v18, vcc_lo
	;;#ASMSTART
	global_load_dwordx4 v[17:20], v[27:28] off glc	
s_waitcnt vmcnt(0)
	;;#ASMEND
	v_and_b32_e32 v20, 0xff, v18
	v_and_b32_e32 v55, 0xff00, v18
	v_or3_b32 v17, v17, 0, 0
	v_and_b32_e32 v56, 0xff000000, v18
	v_and_b32_e32 v18, 0xff0000, v18
	s_delay_alu instid0(VALU_DEP_4) | instskip(SKIP_2) | instid1(VALU_DEP_3)
	v_or3_b32 v20, 0, v20, v55
	v_and_b32_e32 v55, 0xff, v19
	v_or3_b32 v17, v17, 0, 0
	v_or3_b32 v18, v20, v18, v56
	s_delay_alu instid0(VALU_DEP_3)
	v_cmpx_eq_u16_e32 0, v55
	s_cbranch_execz .LBB828_68
; %bb.65:                               ;   in Loop: Header=BB828_63 Depth=1
	s_mov_b32 s16, 0
.LBB828_66:                             ;   Parent Loop BB828_63 Depth=1
                                        ; =>  This Inner Loop Header: Depth=2
	;;#ASMSTART
	global_load_dwordx4 v[17:20], v[27:28] off glc	
s_waitcnt vmcnt(0)
	;;#ASMEND
	v_and_b32_e32 v20, 0xff, v19
	s_delay_alu instid0(VALU_DEP_1) | instskip(SKIP_1) | instid1(SALU_CYCLE_1)
	v_cmp_ne_u16_e32 vcc_lo, 0, v20
	s_or_b32 s16, vcc_lo, s16
	s_and_not1_b32 exec_lo, exec_lo, s16
	s_cbranch_execnz .LBB828_66
; %bb.67:                               ;   in Loop: Header=BB828_63 Depth=1
	s_or_b32 exec_lo, exec_lo, s16
.LBB828_68:                             ;   in Loop: Header=BB828_63 Depth=1
	s_delay_alu instid0(SALU_CYCLE_1)
	s_or_b32 exec_lo, exec_lo, s11
	v_dual_mov_b32 v27, v17 :: v_dual_and_b32 v20, 0xff, v19
	ds_bpermute_b32 v55, v45, v17
	ds_bpermute_b32 v28, v45, v18
	s_mov_b32 s11, exec_lo
	v_cmp_eq_u16_e32 vcc_lo, 2, v20
	v_and_or_b32 v20, vcc_lo, v46, 0x80000000
	s_delay_alu instid0(VALU_DEP_1) | instskip(NEXT) | instid1(VALU_DEP_1)
	v_ctz_i32_b32_e32 v20, v20
	v_cmpx_lt_u32_e64 v42, v20
	s_cbranch_execz .LBB828_70
; %bb.69:                               ;   in Loop: Header=BB828_63 Depth=1
	s_waitcnt lgkmcnt(1)
	v_add_co_u32 v27, vcc_lo, v17, v55
	v_add_co_ci_u32_e32 v18, vcc_lo, 0, v18, vcc_lo
	s_delay_alu instid0(VALU_DEP_2) | instskip(SKIP_1) | instid1(VALU_DEP_2)
	v_add_co_u32 v17, vcc_lo, 0, v27
	s_waitcnt lgkmcnt(0)
	v_add_co_ci_u32_e32 v18, vcc_lo, v28, v18, vcc_lo
.LBB828_70:                             ;   in Loop: Header=BB828_63 Depth=1
	s_or_b32 exec_lo, exec_lo, s11
	s_waitcnt lgkmcnt(1)
	ds_bpermute_b32 v55, v47, v27
	s_waitcnt lgkmcnt(1)
	ds_bpermute_b32 v28, v47, v18
	s_mov_b32 s11, exec_lo
	v_cmpx_le_u32_e64 v48, v20
	s_cbranch_execz .LBB828_72
; %bb.71:                               ;   in Loop: Header=BB828_63 Depth=1
	s_waitcnt lgkmcnt(1)
	v_add_co_u32 v27, vcc_lo, v17, v55
	v_add_co_ci_u32_e32 v18, vcc_lo, 0, v18, vcc_lo
	s_delay_alu instid0(VALU_DEP_2) | instskip(SKIP_1) | instid1(VALU_DEP_2)
	v_add_co_u32 v17, vcc_lo, 0, v27
	s_waitcnt lgkmcnt(0)
	v_add_co_ci_u32_e32 v18, vcc_lo, v28, v18, vcc_lo
.LBB828_72:                             ;   in Loop: Header=BB828_63 Depth=1
	s_or_b32 exec_lo, exec_lo, s11
	s_waitcnt lgkmcnt(1)
	ds_bpermute_b32 v55, v49, v27
	s_waitcnt lgkmcnt(1)
	ds_bpermute_b32 v28, v49, v18
	s_mov_b32 s11, exec_lo
	v_cmpx_le_u32_e64 v50, v20
	;; [unrolled: 17-line block ×3, first 2 shown]
	s_cbranch_execz .LBB828_76
; %bb.75:                               ;   in Loop: Header=BB828_63 Depth=1
	s_waitcnt lgkmcnt(1)
	v_add_co_u32 v27, vcc_lo, v17, v55
	v_add_co_ci_u32_e32 v18, vcc_lo, 0, v18, vcc_lo
	s_delay_alu instid0(VALU_DEP_2) | instskip(SKIP_1) | instid1(VALU_DEP_2)
	v_add_co_u32 v17, vcc_lo, 0, v27
	s_waitcnt lgkmcnt(0)
	v_add_co_ci_u32_e32 v18, vcc_lo, v28, v18, vcc_lo
.LBB828_76:                             ;   in Loop: Header=BB828_63 Depth=1
	s_or_b32 exec_lo, exec_lo, s11
	s_waitcnt lgkmcnt(0)
	ds_bpermute_b32 v28, v53, v27
	ds_bpermute_b32 v27, v53, v18
	s_mov_b32 s11, exec_lo
	v_cmpx_le_u32_e64 v54, v20
	s_cbranch_execz .LBB828_62
; %bb.77:                               ;   in Loop: Header=BB828_63 Depth=1
	s_waitcnt lgkmcnt(1)
	v_add_co_u32 v17, vcc_lo, v17, v28
	v_add_co_ci_u32_e32 v18, vcc_lo, 0, v18, vcc_lo
	s_delay_alu instid0(VALU_DEP_2) | instskip(SKIP_1) | instid1(VALU_DEP_2)
	v_add_co_u32 v17, vcc_lo, v17, 0
	s_waitcnt lgkmcnt(0)
	v_add_co_ci_u32_e32 v18, vcc_lo, v18, v27, vcc_lo
	s_branch .LBB828_62
.LBB828_78:                             ;   in Loop: Header=BB828_63 Depth=1
                                        ; implicit-def: $vgpr17_vgpr18
	s_cbranch_execz .LBB828_63
; %bb.79:
	s_and_saveexec_b32 s11, s1
	s_cbranch_execz .LBB828_81
; %bb.80:
	s_add_i32 s16, s9, 32
	s_mov_b32 s17, 0
	v_add_co_u32 v17, vcc_lo, v15, v13
	s_lshl_b64 s[16:17], s[16:17], 4
	v_dual_mov_b32 v19, 2 :: v_dual_mov_b32 v20, 0
	s_add_u32 s16, s14, s16
	s_addc_u32 s17, s15, s17
	v_add_co_ci_u32_e32 v18, vcc_lo, v16, v14, vcc_lo
	v_dual_mov_b32 v26, s17 :: v_dual_mov_b32 v25, s16
	;;#ASMSTART
	global_store_dwordx4 v[25:26], v[17:20] off	
s_waitcnt vmcnt(0)
	;;#ASMEND
	ds_store_b128 v20, v[13:16] offset:6144
.LBB828_81:
	s_or_b32 exec_lo, exec_lo, s11
	s_delay_alu instid0(SALU_CYCLE_1)
	s_and_b32 exec_lo, exec_lo, s2
	s_cbranch_execz .LBB828_83
; %bb.82:
	v_mov_b32_e32 v13, 0
	ds_store_b64 v13, v[15:16] offset:24
.LBB828_83:
	s_or_b32 exec_lo, exec_lo, s10
	v_mov_b32_e32 v15, 0
	s_waitcnt lgkmcnt(0)
	s_barrier
	buffer_gl0_inv
	v_cndmask_b32_e64 v16, v29, v23, s1
	ds_load_b64 v[13:14], v15 offset:24
	v_cndmask_b32_e64 v17, v30, v24, s1
	s_waitcnt lgkmcnt(0)
	s_barrier
	v_cndmask_b32_e64 v16, v16, 0, s2
	buffer_gl0_inv
	v_cndmask_b32_e64 v17, v17, 0, s2
	v_add_co_u32 v29, vcc_lo, v13, v16
	s_delay_alu instid0(VALU_DEP_2) | instskip(SKIP_3) | instid1(VALU_DEP_2)
	v_add_co_ci_u32_e32 v30, vcc_lo, v14, v17, vcc_lo
	ds_load_b128 v[13:16], v15 offset:6144
	v_add_co_u32 v27, vcc_lo, v29, v41
	v_add_co_ci_u32_e32 v28, vcc_lo, 0, v30, vcc_lo
	v_add_co_u32 v25, vcc_lo, v27, v40
	s_delay_alu instid0(VALU_DEP_2) | instskip(NEXT) | instid1(VALU_DEP_2)
	v_add_co_ci_u32_e32 v26, vcc_lo, 0, v28, vcc_lo
	v_add_co_u32 v23, vcc_lo, v25, v39
	s_delay_alu instid0(VALU_DEP_2) | instskip(NEXT) | instid1(VALU_DEP_2)
	;; [unrolled: 3-line block ×3, first 2 shown]
	v_add_co_ci_u32_e32 v20, vcc_lo, 0, v24, vcc_lo
	v_add_co_u32 v17, vcc_lo, v19, v37
	s_delay_alu instid0(VALU_DEP_2)
	v_add_co_ci_u32_e32 v18, vcc_lo, 0, v20, vcc_lo
.LBB828_84:
	s_waitcnt lgkmcnt(0)
	v_cmp_gt_u64_e32 vcc_lo, 0x81, v[13:14]
	s_mov_b32 s0, -1
	s_cbranch_vccnz .LBB828_112
.LBB828_85:
	s_and_b32 vcc_lo, exec_lo, s0
	s_cbranch_vccnz .LBB828_131
.LBB828_86:
	s_and_b32 s0, s2, s3
	s_delay_alu instid0(SALU_CYCLE_1)
	s_and_saveexec_b32 s1, s0
	s_cbranch_execnz .LBB828_147
.LBB828_87:
	s_nop 0
	s_sendmsg sendmsg(MSG_DEALLOC_VGPRS)
	s_endpgm
.LBB828_88:
                                        ; kill: def $vgpr13_vgpr14 killed $sgpr0_sgpr1 killed $exec
                                        ; implicit-def: $vgpr17_vgpr18
                                        ; implicit-def: $vgpr19_vgpr20
                                        ; implicit-def: $vgpr23_vgpr24
                                        ; implicit-def: $vgpr25_vgpr26
                                        ; implicit-def: $vgpr27_vgpr28
                                        ; implicit-def: $vgpr29_vgpr30
                                        ; implicit-def: $vgpr15_vgpr16
	s_and_b32 vcc_lo, exec_lo, s1
	s_cbranch_vccz .LBB828_84
; %bb.89:
	s_waitcnt lgkmcnt(0)
	v_dual_mov_b32 v14, 0 :: v_dual_mov_b32 v15, v21
	v_mov_b32_dpp v16, v21 row_shr:1 row_mask:0xf bank_mask:0xf
	s_delay_alu instid0(VALU_DEP_2)
	v_mov_b32_dpp v13, v14 row_shr:1 row_mask:0xf bank_mask:0xf
	s_and_saveexec_b32 s1, s0
; %bb.90:
	s_delay_alu instid0(VALU_DEP_2) | instskip(SKIP_1) | instid1(VALU_DEP_2)
	v_add_co_u32 v15, vcc_lo, v21, v16
	v_add_co_ci_u32_e32 v14, vcc_lo, 0, v22, vcc_lo
	v_add_co_u32 v21, vcc_lo, 0, v15
	s_delay_alu instid0(VALU_DEP_2) | instskip(NEXT) | instid1(VALU_DEP_1)
	v_add_co_ci_u32_e32 v22, vcc_lo, v13, v14, vcc_lo
	v_mov_b32_e32 v14, v22
; %bb.91:
	s_or_b32 exec_lo, exec_lo, s1
	v_mov_b32_dpp v13, v15 row_shr:2 row_mask:0xf bank_mask:0xf
	s_delay_alu instid0(VALU_DEP_2)
	v_mov_b32_dpp v16, v14 row_shr:2 row_mask:0xf bank_mask:0xf
	s_mov_b32 s0, exec_lo
	v_cmpx_lt_u32_e32 1, v44
; %bb.92:
	s_delay_alu instid0(VALU_DEP_3) | instskip(SKIP_1) | instid1(VALU_DEP_2)
	v_add_co_u32 v15, vcc_lo, v21, v13
	v_add_co_ci_u32_e32 v14, vcc_lo, 0, v22, vcc_lo
	v_add_co_u32 v13, vcc_lo, 0, v15
	s_delay_alu instid0(VALU_DEP_2) | instskip(NEXT) | instid1(VALU_DEP_1)
	v_add_co_ci_u32_e32 v14, vcc_lo, v16, v14, vcc_lo
	v_dual_mov_b32 v22, v14 :: v_dual_mov_b32 v21, v13
; %bb.93:
	s_or_b32 exec_lo, exec_lo, s0
	v_mov_b32_dpp v13, v15 row_shr:4 row_mask:0xf bank_mask:0xf
	v_mov_b32_dpp v16, v14 row_shr:4 row_mask:0xf bank_mask:0xf
	s_mov_b32 s0, exec_lo
	v_cmpx_lt_u32_e32 3, v44
; %bb.94:
	s_delay_alu instid0(VALU_DEP_3) | instskip(SKIP_1) | instid1(VALU_DEP_2)
	v_add_co_u32 v15, vcc_lo, v21, v13
	v_add_co_ci_u32_e32 v14, vcc_lo, 0, v22, vcc_lo
	v_add_co_u32 v13, vcc_lo, 0, v15
	s_delay_alu instid0(VALU_DEP_2) | instskip(NEXT) | instid1(VALU_DEP_1)
	v_add_co_ci_u32_e32 v14, vcc_lo, v16, v14, vcc_lo
	v_dual_mov_b32 v22, v14 :: v_dual_mov_b32 v21, v13
; %bb.95:
	s_or_b32 exec_lo, exec_lo, s0
	v_mov_b32_dpp v16, v15 row_shr:8 row_mask:0xf bank_mask:0xf
	v_mov_b32_dpp v13, v14 row_shr:8 row_mask:0xf bank_mask:0xf
	s_mov_b32 s0, exec_lo
	v_cmpx_lt_u32_e32 7, v44
; %bb.96:
	s_delay_alu instid0(VALU_DEP_3) | instskip(SKIP_1) | instid1(VALU_DEP_2)
	v_add_co_u32 v15, vcc_lo, v21, v16
	v_add_co_ci_u32_e32 v14, vcc_lo, 0, v22, vcc_lo
	v_add_co_u32 v21, vcc_lo, 0, v15
	s_delay_alu instid0(VALU_DEP_2) | instskip(NEXT) | instid1(VALU_DEP_1)
	v_add_co_ci_u32_e32 v22, vcc_lo, v13, v14, vcc_lo
	v_mov_b32_e32 v14, v22
; %bb.97:
	s_or_b32 exec_lo, exec_lo, s0
	ds_swizzle_b32 v15, v15 offset:swizzle(BROADCAST,32,15)
	ds_swizzle_b32 v13, v14 offset:swizzle(BROADCAST,32,15)
	v_and_b32_e32 v14, 16, v42
	s_mov_b32 s0, exec_lo
	s_delay_alu instid0(VALU_DEP_1)
	v_cmpx_ne_u32_e32 0, v14
	s_cbranch_execz .LBB828_99
; %bb.98:
	s_waitcnt lgkmcnt(1)
	v_add_co_u32 v14, vcc_lo, v21, v15
	v_add_co_ci_u32_e32 v15, vcc_lo, 0, v22, vcc_lo
	s_delay_alu instid0(VALU_DEP_2) | instskip(SKIP_1) | instid1(VALU_DEP_2)
	v_add_co_u32 v21, vcc_lo, v14, 0
	s_waitcnt lgkmcnt(0)
	v_add_co_ci_u32_e32 v22, vcc_lo, v15, v13, vcc_lo
.LBB828_99:
	s_or_b32 exec_lo, exec_lo, s0
	s_waitcnt lgkmcnt(0)
	v_or_b32_e32 v13, 31, v0
	v_lshrrev_b32_e32 v15, 5, v0
	s_mov_b32 s0, exec_lo
	s_delay_alu instid0(VALU_DEP_2)
	v_cmpx_eq_u32_e64 v13, v0
	s_cbranch_execz .LBB828_101
; %bb.100:
	s_delay_alu instid0(VALU_DEP_2)
	v_lshlrev_b32_e32 v13, 3, v15
	ds_store_b64 v13, v[21:22]
.LBB828_101:
	s_or_b32 exec_lo, exec_lo, s0
	s_delay_alu instid0(SALU_CYCLE_1)
	s_mov_b32 s0, exec_lo
	s_waitcnt lgkmcnt(0)
	s_barrier
	buffer_gl0_inv
	v_cmpx_gt_u32_e32 4, v0
	s_cbranch_execz .LBB828_107
; %bb.102:
	v_lshlrev_b32_e32 v13, 1, v0
	s_mov_b32 s1, exec_lo
	s_delay_alu instid0(VALU_DEP_1)
	v_add_nc_u32_e32 v16, v43, v13
	ds_load_b64 v[13:14], v16
	s_waitcnt lgkmcnt(0)
	v_dual_mov_b32 v18, v13 :: v_dual_and_b32 v17, 3, v42
	v_mov_b32_dpp v20, v13 row_shr:1 row_mask:0xf bank_mask:0xf
	v_mov_b32_dpp v19, v14 row_shr:1 row_mask:0xf bank_mask:0xf
	s_delay_alu instid0(VALU_DEP_3)
	v_cmpx_ne_u32_e32 0, v17
; %bb.103:
	s_delay_alu instid0(VALU_DEP_3) | instskip(SKIP_1) | instid1(VALU_DEP_2)
	v_add_co_u32 v18, vcc_lo, v13, v20
	v_add_co_ci_u32_e32 v14, vcc_lo, 0, v14, vcc_lo
	v_add_co_u32 v13, vcc_lo, 0, v18
	s_delay_alu instid0(VALU_DEP_2)
	v_add_co_ci_u32_e32 v14, vcc_lo, v19, v14, vcc_lo
; %bb.104:
	s_or_b32 exec_lo, exec_lo, s1
	v_mov_b32_dpp v19, v18 row_shr:2 row_mask:0xf bank_mask:0xf
	s_delay_alu instid0(VALU_DEP_2)
	v_mov_b32_dpp v18, v14 row_shr:2 row_mask:0xf bank_mask:0xf
	s_mov_b32 s1, exec_lo
	v_cmpx_lt_u32_e32 1, v17
; %bb.105:
	s_delay_alu instid0(VALU_DEP_3) | instskip(SKIP_1) | instid1(VALU_DEP_2)
	v_add_co_u32 v13, vcc_lo, v13, v19
	v_add_co_ci_u32_e32 v14, vcc_lo, 0, v14, vcc_lo
	v_add_co_u32 v13, vcc_lo, v13, 0
	s_delay_alu instid0(VALU_DEP_2)
	v_add_co_ci_u32_e32 v14, vcc_lo, v14, v18, vcc_lo
; %bb.106:
	s_or_b32 exec_lo, exec_lo, s1
	ds_store_b64 v16, v[13:14]
.LBB828_107:
	s_or_b32 exec_lo, exec_lo, s0
	v_mov_b32_e32 v17, 0
	v_mov_b32_e32 v18, 0
	s_mov_b32 s0, exec_lo
	s_waitcnt lgkmcnt(0)
	s_barrier
	buffer_gl0_inv
	v_cmpx_lt_u32_e32 31, v0
	s_cbranch_execz .LBB828_109
; %bb.108:
	v_lshl_add_u32 v13, v15, 3, -8
	ds_load_b64 v[17:18], v13
.LBB828_109:
	s_or_b32 exec_lo, exec_lo, s0
	v_dual_mov_b32 v16, 0 :: v_dual_add_nc_u32 v13, -1, v42
	s_delay_alu instid0(VALU_DEP_1) | instskip(SKIP_4) | instid1(VALU_DEP_3)
	v_cmp_gt_i32_e32 vcc_lo, 0, v13
	v_cndmask_b32_e32 v13, v13, v42, vcc_lo
	s_waitcnt lgkmcnt(0)
	v_add_co_u32 v14, vcc_lo, v17, v21
	v_add_co_ci_u32_e32 v15, vcc_lo, v18, v22, vcc_lo
	v_lshlrev_b32_e32 v13, 2, v13
	ds_bpermute_b32 v19, v13, v14
	ds_bpermute_b32 v20, v13, v15
	ds_load_b64 v[13:14], v16 offset:24
	s_and_saveexec_b32 s0, s2
	s_cbranch_execz .LBB828_111
; %bb.110:
	s_add_u32 s10, s14, 0x200
	s_addc_u32 s11, s15, 0
	s_delay_alu instid0(SALU_CYCLE_1)
	v_dual_mov_b32 v15, 2 :: v_dual_mov_b32 v22, s11
	v_mov_b32_e32 v21, s10
	s_waitcnt lgkmcnt(0)
	;;#ASMSTART
	global_store_dwordx4 v[21:22], v[13:16] off	
s_waitcnt vmcnt(0)
	;;#ASMEND
.LBB828_111:
	s_or_b32 exec_lo, exec_lo, s0
	v_cmp_eq_u32_e32 vcc_lo, 0, v42
	s_waitcnt lgkmcnt(0)
	s_barrier
	buffer_gl0_inv
	v_dual_cndmask_b32 v15, v19, v17 :: v_dual_cndmask_b32 v16, v20, v18
	s_delay_alu instid0(VALU_DEP_1) | instskip(NEXT) | instid1(VALU_DEP_2)
	v_cndmask_b32_e64 v29, v15, 0, s2
	v_cndmask_b32_e64 v30, v16, 0, s2
	v_mov_b32_e32 v15, 0
	v_mov_b32_e32 v16, 0
	s_delay_alu instid0(VALU_DEP_4) | instskip(NEXT) | instid1(VALU_DEP_4)
	v_add_co_u32 v27, vcc_lo, v29, v41
	v_add_co_ci_u32_e32 v28, vcc_lo, 0, v30, vcc_lo
	s_delay_alu instid0(VALU_DEP_2) | instskip(NEXT) | instid1(VALU_DEP_2)
	v_add_co_u32 v25, vcc_lo, v27, v40
	v_add_co_ci_u32_e32 v26, vcc_lo, 0, v28, vcc_lo
	s_delay_alu instid0(VALU_DEP_2) | instskip(NEXT) | instid1(VALU_DEP_2)
	;; [unrolled: 3-line block ×4, first 2 shown]
	v_add_co_u32 v17, vcc_lo, v19, v37
	v_add_co_ci_u32_e32 v18, vcc_lo, 0, v20, vcc_lo
	v_cmp_gt_u64_e32 vcc_lo, 0x81, v[13:14]
	s_mov_b32 s0, -1
	s_cbranch_vccz .LBB828_85
.LBB828_112:
	v_add_co_u32 v21, vcc_lo, v15, v13
	v_add_co_ci_u32_e32 v22, vcc_lo, v16, v14, vcc_lo
	s_delay_alu instid0(VALU_DEP_1) | instskip(SKIP_1) | instid1(SALU_CYCLE_1)
	v_cmp_lt_u64_e32 vcc_lo, v[29:30], v[21:22]
	s_or_b32 s1, s8, vcc_lo
	s_and_saveexec_b32 s0, s1
	s_cbranch_execz .LBB828_115
; %bb.113:
	v_and_b32_e32 v37, 1, v36
	s_delay_alu instid0(VALU_DEP_1)
	v_cmp_eq_u32_e32 vcc_lo, 1, v37
	s_and_b32 exec_lo, exec_lo, vcc_lo
	s_cbranch_execz .LBB828_115
; %bb.114:
	v_lshlrev_b64 v[37:38], 3, v[29:30]
	s_lshl_b64 s[10:11], s[6:7], 3
	s_delay_alu instid0(SALU_CYCLE_1) | instskip(SKIP_1) | instid1(VALU_DEP_1)
	s_add_u32 s1, s12, s10
	s_addc_u32 s9, s13, s11
	v_add_co_u32 v37, vcc_lo, s1, v37
	s_delay_alu instid0(VALU_DEP_2)
	v_add_co_ci_u32_e32 v38, vcc_lo, s9, v38, vcc_lo
	global_store_b64 v[37:38], v[9:10], off
.LBB828_115:
	s_or_b32 exec_lo, exec_lo, s0
	v_cmp_lt_u64_e32 vcc_lo, v[27:28], v[21:22]
	s_or_b32 s1, s8, vcc_lo
	s_delay_alu instid0(SALU_CYCLE_1)
	s_and_saveexec_b32 s0, s1
	s_cbranch_execz .LBB828_118
; %bb.116:
	v_and_b32_e32 v30, 1, v34
	s_delay_alu instid0(VALU_DEP_1)
	v_cmp_eq_u32_e32 vcc_lo, 1, v30
	s_and_b32 exec_lo, exec_lo, vcc_lo
	s_cbranch_execz .LBB828_118
; %bb.117:
	v_lshlrev_b64 v[37:38], 3, v[27:28]
	s_lshl_b64 s[10:11], s[6:7], 3
	s_delay_alu instid0(SALU_CYCLE_1) | instskip(SKIP_1) | instid1(VALU_DEP_1)
	s_add_u32 s1, s12, s10
	s_addc_u32 s9, s13, s11
	v_add_co_u32 v37, vcc_lo, s1, v37
	s_delay_alu instid0(VALU_DEP_2)
	v_add_co_ci_u32_e32 v38, vcc_lo, s9, v38, vcc_lo
	global_store_b64 v[37:38], v[11:12], off
.LBB828_118:
	s_or_b32 exec_lo, exec_lo, s0
	v_cmp_lt_u64_e32 vcc_lo, v[25:26], v[21:22]
	s_or_b32 s1, s8, vcc_lo
	s_delay_alu instid0(SALU_CYCLE_1)
	;; [unrolled: 23-line block ×5, first 2 shown]
	s_and_saveexec_b32 s0, s1
	s_cbranch_execz .LBB828_130
; %bb.128:
	v_and_b32_e32 v20, 1, v32
	s_delay_alu instid0(VALU_DEP_1)
	v_cmp_eq_u32_e32 vcc_lo, 1, v20
	s_and_b32 exec_lo, exec_lo, vcc_lo
	s_cbranch_execz .LBB828_130
; %bb.129:
	v_lshlrev_b64 v[20:21], 3, v[17:18]
	s_lshl_b64 s[8:9], s[6:7], 3
	s_delay_alu instid0(SALU_CYCLE_1) | instskip(SKIP_1) | instid1(VALU_DEP_1)
	s_add_u32 s1, s12, s8
	s_addc_u32 s8, s13, s9
	v_add_co_u32 v20, vcc_lo, s1, v20
	s_delay_alu instid0(VALU_DEP_2)
	v_add_co_ci_u32_e32 v21, vcc_lo, s8, v21, vcc_lo
	global_store_b64 v[20:21], v[3:4], off
.LBB828_130:
	s_or_b32 exec_lo, exec_lo, s0
	s_branch .LBB828_86
.LBB828_131:
	v_and_b32_e32 v18, 1, v36
	s_mov_b32 s0, exec_lo
	s_delay_alu instid0(VALU_DEP_1)
	v_cmpx_eq_u32_e32 1, v18
	s_cbranch_execz .LBB828_133
; %bb.132:
	v_sub_nc_u32_e32 v18, v29, v15
	s_delay_alu instid0(VALU_DEP_1)
	v_lshlrev_b32_e32 v18, 3, v18
	ds_store_b64 v18, v[9:10]
.LBB828_133:
	s_or_b32 exec_lo, exec_lo, s0
	v_and_b32_e32 v9, 1, v34
	s_mov_b32 s0, exec_lo
	s_delay_alu instid0(VALU_DEP_1)
	v_cmpx_eq_u32_e32 1, v9
	s_cbranch_execz .LBB828_135
; %bb.134:
	v_sub_nc_u32_e32 v9, v27, v15
	s_delay_alu instid0(VALU_DEP_1)
	v_lshlrev_b32_e32 v9, 3, v9
	ds_store_b64 v9, v[11:12]
.LBB828_135:
	s_or_b32 exec_lo, exec_lo, s0
	;; [unrolled: 12-line block ×6, first 2 shown]
	v_mov_b32_e32 v1, 0
	s_mov_b32 s1, exec_lo
	s_waitcnt lgkmcnt(0)
	s_waitcnt_vscnt null, 0x0
	s_barrier
	buffer_gl0_inv
	v_cmpx_gt_u64_e64 v[13:14], v[0:1]
	s_cbranch_execz .LBB828_146
; %bb.144:
	v_lshlrev_b64 v[4:5], 3, v[15:16]
	s_lshl_b64 s[8:9], s[6:7], 3
	v_dual_mov_b32 v3, v1 :: v_dual_mov_b32 v2, v0
	v_or_b32_e32 v0, 0x80, v0
	s_delay_alu instid0(VALU_DEP_3) | instskip(NEXT) | instid1(VALU_DEP_4)
	v_add_co_u32 v4, vcc_lo, s12, v4
	v_add_co_ci_u32_e32 v5, vcc_lo, s13, v5, vcc_lo
	s_delay_alu instid0(VALU_DEP_2) | instskip(NEXT) | instid1(VALU_DEP_2)
	v_add_co_u32 v4, vcc_lo, v4, s8
	v_add_co_ci_u32_e32 v5, vcc_lo, s9, v5, vcc_lo
	s_mov_b32 s8, 0
	.p2align	6
.LBB828_145:                            ; =>This Inner Loop Header: Depth=1
	v_lshlrev_b32_e32 v6, 3, v2
	v_lshlrev_b64 v[8:9], 3, v[2:3]
	v_mov_b32_e32 v3, v1
	v_cmp_le_u64_e32 vcc_lo, v[13:14], v[0:1]
	v_mov_b32_e32 v2, v0
	ds_load_b64 v[6:7], v6
	v_add_nc_u32_e32 v0, 0x80, v0
	v_add_co_u32 v8, s0, v4, v8
	s_delay_alu instid0(VALU_DEP_1)
	v_add_co_ci_u32_e64 v9, s0, v5, v9, s0
	s_or_b32 s8, vcc_lo, s8
	s_waitcnt lgkmcnt(0)
	global_store_b64 v[8:9], v[6:7], off
	s_and_not1_b32 exec_lo, exec_lo, s8
	s_cbranch_execnz .LBB828_145
.LBB828_146:
	s_or_b32 exec_lo, exec_lo, s1
	s_and_b32 s0, s2, s3
	s_delay_alu instid0(SALU_CYCLE_1)
	s_and_saveexec_b32 s1, s0
	s_cbranch_execz .LBB828_87
.LBB828_147:
	v_add_co_u32 v0, vcc_lo, v15, v13
	v_add_co_ci_u32_e32 v1, vcc_lo, v16, v14, vcc_lo
	v_mov_b32_e32 v2, 0
	s_delay_alu instid0(VALU_DEP_3) | instskip(NEXT) | instid1(VALU_DEP_3)
	v_add_co_u32 v0, vcc_lo, v0, s6
	v_add_co_ci_u32_e32 v1, vcc_lo, s7, v1, vcc_lo
	global_store_b64 v2, v[0:1], s[4:5]
	s_nop 0
	s_sendmsg sendmsg(MSG_DEALLOC_VGPRS)
	s_endpgm
	.section	.rodata,"a",@progbits
	.p2align	6, 0x0
	.amdhsa_kernel _ZN7rocprim17ROCPRIM_400000_NS6detail17trampoline_kernelINS0_14default_configENS1_25partition_config_selectorILNS1_17partition_subalgoE5ElNS0_10empty_typeEbEEZZNS1_14partition_implILS5_5ELb0ES3_mN6hipcub16HIPCUB_304000_NS21CountingInputIteratorIllEEPS6_NSA_22TransformInputIteratorIbN2at6native12_GLOBAL__N_19NonZeroOpIN3c108BFloat16EEEPKSK_lEENS0_5tupleIJPlS6_EEENSP_IJSD_SD_EEES6_PiJS6_EEE10hipError_tPvRmT3_T4_T5_T6_T7_T9_mT8_P12ihipStream_tbDpT10_ENKUlT_T0_E_clISt17integral_constantIbLb0EES1C_IbLb1EEEEDaS18_S19_EUlS18_E_NS1_11comp_targetILNS1_3genE9ELNS1_11target_archE1100ELNS1_3gpuE3ELNS1_3repE0EEENS1_30default_config_static_selectorELNS0_4arch9wavefront6targetE0EEEvT1_
		.amdhsa_group_segment_fixed_size 6160
		.amdhsa_private_segment_fixed_size 0
		.amdhsa_kernarg_size 136
		.amdhsa_user_sgpr_count 15
		.amdhsa_user_sgpr_dispatch_ptr 0
		.amdhsa_user_sgpr_queue_ptr 0
		.amdhsa_user_sgpr_kernarg_segment_ptr 1
		.amdhsa_user_sgpr_dispatch_id 0
		.amdhsa_user_sgpr_private_segment_size 0
		.amdhsa_wavefront_size32 1
		.amdhsa_uses_dynamic_stack 0
		.amdhsa_enable_private_segment 0
		.amdhsa_system_sgpr_workgroup_id_x 1
		.amdhsa_system_sgpr_workgroup_id_y 0
		.amdhsa_system_sgpr_workgroup_id_z 0
		.amdhsa_system_sgpr_workgroup_info 0
		.amdhsa_system_vgpr_workitem_id 0
		.amdhsa_next_free_vgpr 57
		.amdhsa_next_free_sgpr 24
		.amdhsa_reserve_vcc 1
		.amdhsa_float_round_mode_32 0
		.amdhsa_float_round_mode_16_64 0
		.amdhsa_float_denorm_mode_32 3
		.amdhsa_float_denorm_mode_16_64 3
		.amdhsa_dx10_clamp 1
		.amdhsa_ieee_mode 1
		.amdhsa_fp16_overflow 0
		.amdhsa_workgroup_processor_mode 1
		.amdhsa_memory_ordered 1
		.amdhsa_forward_progress 0
		.amdhsa_shared_vgpr_count 0
		.amdhsa_exception_fp_ieee_invalid_op 0
		.amdhsa_exception_fp_denorm_src 0
		.amdhsa_exception_fp_ieee_div_zero 0
		.amdhsa_exception_fp_ieee_overflow 0
		.amdhsa_exception_fp_ieee_underflow 0
		.amdhsa_exception_fp_ieee_inexact 0
		.amdhsa_exception_int_div_zero 0
	.end_amdhsa_kernel
	.section	.text._ZN7rocprim17ROCPRIM_400000_NS6detail17trampoline_kernelINS0_14default_configENS1_25partition_config_selectorILNS1_17partition_subalgoE5ElNS0_10empty_typeEbEEZZNS1_14partition_implILS5_5ELb0ES3_mN6hipcub16HIPCUB_304000_NS21CountingInputIteratorIllEEPS6_NSA_22TransformInputIteratorIbN2at6native12_GLOBAL__N_19NonZeroOpIN3c108BFloat16EEEPKSK_lEENS0_5tupleIJPlS6_EEENSP_IJSD_SD_EEES6_PiJS6_EEE10hipError_tPvRmT3_T4_T5_T6_T7_T9_mT8_P12ihipStream_tbDpT10_ENKUlT_T0_E_clISt17integral_constantIbLb0EES1C_IbLb1EEEEDaS18_S19_EUlS18_E_NS1_11comp_targetILNS1_3genE9ELNS1_11target_archE1100ELNS1_3gpuE3ELNS1_3repE0EEENS1_30default_config_static_selectorELNS0_4arch9wavefront6targetE0EEEvT1_,"axG",@progbits,_ZN7rocprim17ROCPRIM_400000_NS6detail17trampoline_kernelINS0_14default_configENS1_25partition_config_selectorILNS1_17partition_subalgoE5ElNS0_10empty_typeEbEEZZNS1_14partition_implILS5_5ELb0ES3_mN6hipcub16HIPCUB_304000_NS21CountingInputIteratorIllEEPS6_NSA_22TransformInputIteratorIbN2at6native12_GLOBAL__N_19NonZeroOpIN3c108BFloat16EEEPKSK_lEENS0_5tupleIJPlS6_EEENSP_IJSD_SD_EEES6_PiJS6_EEE10hipError_tPvRmT3_T4_T5_T6_T7_T9_mT8_P12ihipStream_tbDpT10_ENKUlT_T0_E_clISt17integral_constantIbLb0EES1C_IbLb1EEEEDaS18_S19_EUlS18_E_NS1_11comp_targetILNS1_3genE9ELNS1_11target_archE1100ELNS1_3gpuE3ELNS1_3repE0EEENS1_30default_config_static_selectorELNS0_4arch9wavefront6targetE0EEEvT1_,comdat
.Lfunc_end828:
	.size	_ZN7rocprim17ROCPRIM_400000_NS6detail17trampoline_kernelINS0_14default_configENS1_25partition_config_selectorILNS1_17partition_subalgoE5ElNS0_10empty_typeEbEEZZNS1_14partition_implILS5_5ELb0ES3_mN6hipcub16HIPCUB_304000_NS21CountingInputIteratorIllEEPS6_NSA_22TransformInputIteratorIbN2at6native12_GLOBAL__N_19NonZeroOpIN3c108BFloat16EEEPKSK_lEENS0_5tupleIJPlS6_EEENSP_IJSD_SD_EEES6_PiJS6_EEE10hipError_tPvRmT3_T4_T5_T6_T7_T9_mT8_P12ihipStream_tbDpT10_ENKUlT_T0_E_clISt17integral_constantIbLb0EES1C_IbLb1EEEEDaS18_S19_EUlS18_E_NS1_11comp_targetILNS1_3genE9ELNS1_11target_archE1100ELNS1_3gpuE3ELNS1_3repE0EEENS1_30default_config_static_selectorELNS0_4arch9wavefront6targetE0EEEvT1_, .Lfunc_end828-_ZN7rocprim17ROCPRIM_400000_NS6detail17trampoline_kernelINS0_14default_configENS1_25partition_config_selectorILNS1_17partition_subalgoE5ElNS0_10empty_typeEbEEZZNS1_14partition_implILS5_5ELb0ES3_mN6hipcub16HIPCUB_304000_NS21CountingInputIteratorIllEEPS6_NSA_22TransformInputIteratorIbN2at6native12_GLOBAL__N_19NonZeroOpIN3c108BFloat16EEEPKSK_lEENS0_5tupleIJPlS6_EEENSP_IJSD_SD_EEES6_PiJS6_EEE10hipError_tPvRmT3_T4_T5_T6_T7_T9_mT8_P12ihipStream_tbDpT10_ENKUlT_T0_E_clISt17integral_constantIbLb0EES1C_IbLb1EEEEDaS18_S19_EUlS18_E_NS1_11comp_targetILNS1_3genE9ELNS1_11target_archE1100ELNS1_3gpuE3ELNS1_3repE0EEENS1_30default_config_static_selectorELNS0_4arch9wavefront6targetE0EEEvT1_
                                        ; -- End function
	.section	.AMDGPU.csdata,"",@progbits
; Kernel info:
; codeLenInByte = 6628
; NumSgprs: 26
; NumVgprs: 57
; ScratchSize: 0
; MemoryBound: 0
; FloatMode: 240
; IeeeMode: 1
; LDSByteSize: 6160 bytes/workgroup (compile time only)
; SGPRBlocks: 3
; VGPRBlocks: 7
; NumSGPRsForWavesPerEU: 26
; NumVGPRsForWavesPerEU: 57
; Occupancy: 16
; WaveLimiterHint : 1
; COMPUTE_PGM_RSRC2:SCRATCH_EN: 0
; COMPUTE_PGM_RSRC2:USER_SGPR: 15
; COMPUTE_PGM_RSRC2:TRAP_HANDLER: 0
; COMPUTE_PGM_RSRC2:TGID_X_EN: 1
; COMPUTE_PGM_RSRC2:TGID_Y_EN: 0
; COMPUTE_PGM_RSRC2:TGID_Z_EN: 0
; COMPUTE_PGM_RSRC2:TIDIG_COMP_CNT: 0
	.section	.text._ZN7rocprim17ROCPRIM_400000_NS6detail17trampoline_kernelINS0_14default_configENS1_25partition_config_selectorILNS1_17partition_subalgoE5ElNS0_10empty_typeEbEEZZNS1_14partition_implILS5_5ELb0ES3_mN6hipcub16HIPCUB_304000_NS21CountingInputIteratorIllEEPS6_NSA_22TransformInputIteratorIbN2at6native12_GLOBAL__N_19NonZeroOpIN3c108BFloat16EEEPKSK_lEENS0_5tupleIJPlS6_EEENSP_IJSD_SD_EEES6_PiJS6_EEE10hipError_tPvRmT3_T4_T5_T6_T7_T9_mT8_P12ihipStream_tbDpT10_ENKUlT_T0_E_clISt17integral_constantIbLb0EES1C_IbLb1EEEEDaS18_S19_EUlS18_E_NS1_11comp_targetILNS1_3genE8ELNS1_11target_archE1030ELNS1_3gpuE2ELNS1_3repE0EEENS1_30default_config_static_selectorELNS0_4arch9wavefront6targetE0EEEvT1_,"axG",@progbits,_ZN7rocprim17ROCPRIM_400000_NS6detail17trampoline_kernelINS0_14default_configENS1_25partition_config_selectorILNS1_17partition_subalgoE5ElNS0_10empty_typeEbEEZZNS1_14partition_implILS5_5ELb0ES3_mN6hipcub16HIPCUB_304000_NS21CountingInputIteratorIllEEPS6_NSA_22TransformInputIteratorIbN2at6native12_GLOBAL__N_19NonZeroOpIN3c108BFloat16EEEPKSK_lEENS0_5tupleIJPlS6_EEENSP_IJSD_SD_EEES6_PiJS6_EEE10hipError_tPvRmT3_T4_T5_T6_T7_T9_mT8_P12ihipStream_tbDpT10_ENKUlT_T0_E_clISt17integral_constantIbLb0EES1C_IbLb1EEEEDaS18_S19_EUlS18_E_NS1_11comp_targetILNS1_3genE8ELNS1_11target_archE1030ELNS1_3gpuE2ELNS1_3repE0EEENS1_30default_config_static_selectorELNS0_4arch9wavefront6targetE0EEEvT1_,comdat
	.globl	_ZN7rocprim17ROCPRIM_400000_NS6detail17trampoline_kernelINS0_14default_configENS1_25partition_config_selectorILNS1_17partition_subalgoE5ElNS0_10empty_typeEbEEZZNS1_14partition_implILS5_5ELb0ES3_mN6hipcub16HIPCUB_304000_NS21CountingInputIteratorIllEEPS6_NSA_22TransformInputIteratorIbN2at6native12_GLOBAL__N_19NonZeroOpIN3c108BFloat16EEEPKSK_lEENS0_5tupleIJPlS6_EEENSP_IJSD_SD_EEES6_PiJS6_EEE10hipError_tPvRmT3_T4_T5_T6_T7_T9_mT8_P12ihipStream_tbDpT10_ENKUlT_T0_E_clISt17integral_constantIbLb0EES1C_IbLb1EEEEDaS18_S19_EUlS18_E_NS1_11comp_targetILNS1_3genE8ELNS1_11target_archE1030ELNS1_3gpuE2ELNS1_3repE0EEENS1_30default_config_static_selectorELNS0_4arch9wavefront6targetE0EEEvT1_ ; -- Begin function _ZN7rocprim17ROCPRIM_400000_NS6detail17trampoline_kernelINS0_14default_configENS1_25partition_config_selectorILNS1_17partition_subalgoE5ElNS0_10empty_typeEbEEZZNS1_14partition_implILS5_5ELb0ES3_mN6hipcub16HIPCUB_304000_NS21CountingInputIteratorIllEEPS6_NSA_22TransformInputIteratorIbN2at6native12_GLOBAL__N_19NonZeroOpIN3c108BFloat16EEEPKSK_lEENS0_5tupleIJPlS6_EEENSP_IJSD_SD_EEES6_PiJS6_EEE10hipError_tPvRmT3_T4_T5_T6_T7_T9_mT8_P12ihipStream_tbDpT10_ENKUlT_T0_E_clISt17integral_constantIbLb0EES1C_IbLb1EEEEDaS18_S19_EUlS18_E_NS1_11comp_targetILNS1_3genE8ELNS1_11target_archE1030ELNS1_3gpuE2ELNS1_3repE0EEENS1_30default_config_static_selectorELNS0_4arch9wavefront6targetE0EEEvT1_
	.p2align	8
	.type	_ZN7rocprim17ROCPRIM_400000_NS6detail17trampoline_kernelINS0_14default_configENS1_25partition_config_selectorILNS1_17partition_subalgoE5ElNS0_10empty_typeEbEEZZNS1_14partition_implILS5_5ELb0ES3_mN6hipcub16HIPCUB_304000_NS21CountingInputIteratorIllEEPS6_NSA_22TransformInputIteratorIbN2at6native12_GLOBAL__N_19NonZeroOpIN3c108BFloat16EEEPKSK_lEENS0_5tupleIJPlS6_EEENSP_IJSD_SD_EEES6_PiJS6_EEE10hipError_tPvRmT3_T4_T5_T6_T7_T9_mT8_P12ihipStream_tbDpT10_ENKUlT_T0_E_clISt17integral_constantIbLb0EES1C_IbLb1EEEEDaS18_S19_EUlS18_E_NS1_11comp_targetILNS1_3genE8ELNS1_11target_archE1030ELNS1_3gpuE2ELNS1_3repE0EEENS1_30default_config_static_selectorELNS0_4arch9wavefront6targetE0EEEvT1_,@function
_ZN7rocprim17ROCPRIM_400000_NS6detail17trampoline_kernelINS0_14default_configENS1_25partition_config_selectorILNS1_17partition_subalgoE5ElNS0_10empty_typeEbEEZZNS1_14partition_implILS5_5ELb0ES3_mN6hipcub16HIPCUB_304000_NS21CountingInputIteratorIllEEPS6_NSA_22TransformInputIteratorIbN2at6native12_GLOBAL__N_19NonZeroOpIN3c108BFloat16EEEPKSK_lEENS0_5tupleIJPlS6_EEENSP_IJSD_SD_EEES6_PiJS6_EEE10hipError_tPvRmT3_T4_T5_T6_T7_T9_mT8_P12ihipStream_tbDpT10_ENKUlT_T0_E_clISt17integral_constantIbLb0EES1C_IbLb1EEEEDaS18_S19_EUlS18_E_NS1_11comp_targetILNS1_3genE8ELNS1_11target_archE1030ELNS1_3gpuE2ELNS1_3repE0EEENS1_30default_config_static_selectorELNS0_4arch9wavefront6targetE0EEEvT1_: ; @_ZN7rocprim17ROCPRIM_400000_NS6detail17trampoline_kernelINS0_14default_configENS1_25partition_config_selectorILNS1_17partition_subalgoE5ElNS0_10empty_typeEbEEZZNS1_14partition_implILS5_5ELb0ES3_mN6hipcub16HIPCUB_304000_NS21CountingInputIteratorIllEEPS6_NSA_22TransformInputIteratorIbN2at6native12_GLOBAL__N_19NonZeroOpIN3c108BFloat16EEEPKSK_lEENS0_5tupleIJPlS6_EEENSP_IJSD_SD_EEES6_PiJS6_EEE10hipError_tPvRmT3_T4_T5_T6_T7_T9_mT8_P12ihipStream_tbDpT10_ENKUlT_T0_E_clISt17integral_constantIbLb0EES1C_IbLb1EEEEDaS18_S19_EUlS18_E_NS1_11comp_targetILNS1_3genE8ELNS1_11target_archE1030ELNS1_3gpuE2ELNS1_3repE0EEENS1_30default_config_static_selectorELNS0_4arch9wavefront6targetE0EEEvT1_
; %bb.0:
	.section	.rodata,"a",@progbits
	.p2align	6, 0x0
	.amdhsa_kernel _ZN7rocprim17ROCPRIM_400000_NS6detail17trampoline_kernelINS0_14default_configENS1_25partition_config_selectorILNS1_17partition_subalgoE5ElNS0_10empty_typeEbEEZZNS1_14partition_implILS5_5ELb0ES3_mN6hipcub16HIPCUB_304000_NS21CountingInputIteratorIllEEPS6_NSA_22TransformInputIteratorIbN2at6native12_GLOBAL__N_19NonZeroOpIN3c108BFloat16EEEPKSK_lEENS0_5tupleIJPlS6_EEENSP_IJSD_SD_EEES6_PiJS6_EEE10hipError_tPvRmT3_T4_T5_T6_T7_T9_mT8_P12ihipStream_tbDpT10_ENKUlT_T0_E_clISt17integral_constantIbLb0EES1C_IbLb1EEEEDaS18_S19_EUlS18_E_NS1_11comp_targetILNS1_3genE8ELNS1_11target_archE1030ELNS1_3gpuE2ELNS1_3repE0EEENS1_30default_config_static_selectorELNS0_4arch9wavefront6targetE0EEEvT1_
		.amdhsa_group_segment_fixed_size 0
		.amdhsa_private_segment_fixed_size 0
		.amdhsa_kernarg_size 136
		.amdhsa_user_sgpr_count 15
		.amdhsa_user_sgpr_dispatch_ptr 0
		.amdhsa_user_sgpr_queue_ptr 0
		.amdhsa_user_sgpr_kernarg_segment_ptr 1
		.amdhsa_user_sgpr_dispatch_id 0
		.amdhsa_user_sgpr_private_segment_size 0
		.amdhsa_wavefront_size32 1
		.amdhsa_uses_dynamic_stack 0
		.amdhsa_enable_private_segment 0
		.amdhsa_system_sgpr_workgroup_id_x 1
		.amdhsa_system_sgpr_workgroup_id_y 0
		.amdhsa_system_sgpr_workgroup_id_z 0
		.amdhsa_system_sgpr_workgroup_info 0
		.amdhsa_system_vgpr_workitem_id 0
		.amdhsa_next_free_vgpr 1
		.amdhsa_next_free_sgpr 1
		.amdhsa_reserve_vcc 0
		.amdhsa_float_round_mode_32 0
		.amdhsa_float_round_mode_16_64 0
		.amdhsa_float_denorm_mode_32 3
		.amdhsa_float_denorm_mode_16_64 3
		.amdhsa_dx10_clamp 1
		.amdhsa_ieee_mode 1
		.amdhsa_fp16_overflow 0
		.amdhsa_workgroup_processor_mode 1
		.amdhsa_memory_ordered 1
		.amdhsa_forward_progress 0
		.amdhsa_shared_vgpr_count 0
		.amdhsa_exception_fp_ieee_invalid_op 0
		.amdhsa_exception_fp_denorm_src 0
		.amdhsa_exception_fp_ieee_div_zero 0
		.amdhsa_exception_fp_ieee_overflow 0
		.amdhsa_exception_fp_ieee_underflow 0
		.amdhsa_exception_fp_ieee_inexact 0
		.amdhsa_exception_int_div_zero 0
	.end_amdhsa_kernel
	.section	.text._ZN7rocprim17ROCPRIM_400000_NS6detail17trampoline_kernelINS0_14default_configENS1_25partition_config_selectorILNS1_17partition_subalgoE5ElNS0_10empty_typeEbEEZZNS1_14partition_implILS5_5ELb0ES3_mN6hipcub16HIPCUB_304000_NS21CountingInputIteratorIllEEPS6_NSA_22TransformInputIteratorIbN2at6native12_GLOBAL__N_19NonZeroOpIN3c108BFloat16EEEPKSK_lEENS0_5tupleIJPlS6_EEENSP_IJSD_SD_EEES6_PiJS6_EEE10hipError_tPvRmT3_T4_T5_T6_T7_T9_mT8_P12ihipStream_tbDpT10_ENKUlT_T0_E_clISt17integral_constantIbLb0EES1C_IbLb1EEEEDaS18_S19_EUlS18_E_NS1_11comp_targetILNS1_3genE8ELNS1_11target_archE1030ELNS1_3gpuE2ELNS1_3repE0EEENS1_30default_config_static_selectorELNS0_4arch9wavefront6targetE0EEEvT1_,"axG",@progbits,_ZN7rocprim17ROCPRIM_400000_NS6detail17trampoline_kernelINS0_14default_configENS1_25partition_config_selectorILNS1_17partition_subalgoE5ElNS0_10empty_typeEbEEZZNS1_14partition_implILS5_5ELb0ES3_mN6hipcub16HIPCUB_304000_NS21CountingInputIteratorIllEEPS6_NSA_22TransformInputIteratorIbN2at6native12_GLOBAL__N_19NonZeroOpIN3c108BFloat16EEEPKSK_lEENS0_5tupleIJPlS6_EEENSP_IJSD_SD_EEES6_PiJS6_EEE10hipError_tPvRmT3_T4_T5_T6_T7_T9_mT8_P12ihipStream_tbDpT10_ENKUlT_T0_E_clISt17integral_constantIbLb0EES1C_IbLb1EEEEDaS18_S19_EUlS18_E_NS1_11comp_targetILNS1_3genE8ELNS1_11target_archE1030ELNS1_3gpuE2ELNS1_3repE0EEENS1_30default_config_static_selectorELNS0_4arch9wavefront6targetE0EEEvT1_,comdat
.Lfunc_end829:
	.size	_ZN7rocprim17ROCPRIM_400000_NS6detail17trampoline_kernelINS0_14default_configENS1_25partition_config_selectorILNS1_17partition_subalgoE5ElNS0_10empty_typeEbEEZZNS1_14partition_implILS5_5ELb0ES3_mN6hipcub16HIPCUB_304000_NS21CountingInputIteratorIllEEPS6_NSA_22TransformInputIteratorIbN2at6native12_GLOBAL__N_19NonZeroOpIN3c108BFloat16EEEPKSK_lEENS0_5tupleIJPlS6_EEENSP_IJSD_SD_EEES6_PiJS6_EEE10hipError_tPvRmT3_T4_T5_T6_T7_T9_mT8_P12ihipStream_tbDpT10_ENKUlT_T0_E_clISt17integral_constantIbLb0EES1C_IbLb1EEEEDaS18_S19_EUlS18_E_NS1_11comp_targetILNS1_3genE8ELNS1_11target_archE1030ELNS1_3gpuE2ELNS1_3repE0EEENS1_30default_config_static_selectorELNS0_4arch9wavefront6targetE0EEEvT1_, .Lfunc_end829-_ZN7rocprim17ROCPRIM_400000_NS6detail17trampoline_kernelINS0_14default_configENS1_25partition_config_selectorILNS1_17partition_subalgoE5ElNS0_10empty_typeEbEEZZNS1_14partition_implILS5_5ELb0ES3_mN6hipcub16HIPCUB_304000_NS21CountingInputIteratorIllEEPS6_NSA_22TransformInputIteratorIbN2at6native12_GLOBAL__N_19NonZeroOpIN3c108BFloat16EEEPKSK_lEENS0_5tupleIJPlS6_EEENSP_IJSD_SD_EEES6_PiJS6_EEE10hipError_tPvRmT3_T4_T5_T6_T7_T9_mT8_P12ihipStream_tbDpT10_ENKUlT_T0_E_clISt17integral_constantIbLb0EES1C_IbLb1EEEEDaS18_S19_EUlS18_E_NS1_11comp_targetILNS1_3genE8ELNS1_11target_archE1030ELNS1_3gpuE2ELNS1_3repE0EEENS1_30default_config_static_selectorELNS0_4arch9wavefront6targetE0EEEvT1_
                                        ; -- End function
	.section	.AMDGPU.csdata,"",@progbits
; Kernel info:
; codeLenInByte = 0
; NumSgprs: 0
; NumVgprs: 0
; ScratchSize: 0
; MemoryBound: 0
; FloatMode: 240
; IeeeMode: 1
; LDSByteSize: 0 bytes/workgroup (compile time only)
; SGPRBlocks: 0
; VGPRBlocks: 0
; NumSGPRsForWavesPerEU: 1
; NumVGPRsForWavesPerEU: 1
; Occupancy: 16
; WaveLimiterHint : 0
; COMPUTE_PGM_RSRC2:SCRATCH_EN: 0
; COMPUTE_PGM_RSRC2:USER_SGPR: 15
; COMPUTE_PGM_RSRC2:TRAP_HANDLER: 0
; COMPUTE_PGM_RSRC2:TGID_X_EN: 1
; COMPUTE_PGM_RSRC2:TGID_Y_EN: 0
; COMPUTE_PGM_RSRC2:TGID_Z_EN: 0
; COMPUTE_PGM_RSRC2:TIDIG_COMP_CNT: 0
	.section	.text._ZN7rocprim17ROCPRIM_400000_NS6detail17trampoline_kernelINS0_14default_configENS1_22reduce_config_selectorIiEEZNS1_11reduce_implILb1ES3_PiS7_iN6hipcub16HIPCUB_304000_NS6detail34convert_binary_result_type_wrapperINS9_3SumENS9_22TransformInputIteratorIbN2at6native12_GLOBAL__N_19NonZeroOpIN3c104HalfEEEPKSJ_lEEiEEEE10hipError_tPvRmT1_T2_T3_mT4_P12ihipStream_tbEUlT_E0_NS1_11comp_targetILNS1_3genE0ELNS1_11target_archE4294967295ELNS1_3gpuE0ELNS1_3repE0EEENS1_30default_config_static_selectorELNS0_4arch9wavefront6targetE0EEEvSS_,"axG",@progbits,_ZN7rocprim17ROCPRIM_400000_NS6detail17trampoline_kernelINS0_14default_configENS1_22reduce_config_selectorIiEEZNS1_11reduce_implILb1ES3_PiS7_iN6hipcub16HIPCUB_304000_NS6detail34convert_binary_result_type_wrapperINS9_3SumENS9_22TransformInputIteratorIbN2at6native12_GLOBAL__N_19NonZeroOpIN3c104HalfEEEPKSJ_lEEiEEEE10hipError_tPvRmT1_T2_T3_mT4_P12ihipStream_tbEUlT_E0_NS1_11comp_targetILNS1_3genE0ELNS1_11target_archE4294967295ELNS1_3gpuE0ELNS1_3repE0EEENS1_30default_config_static_selectorELNS0_4arch9wavefront6targetE0EEEvSS_,comdat
	.globl	_ZN7rocprim17ROCPRIM_400000_NS6detail17trampoline_kernelINS0_14default_configENS1_22reduce_config_selectorIiEEZNS1_11reduce_implILb1ES3_PiS7_iN6hipcub16HIPCUB_304000_NS6detail34convert_binary_result_type_wrapperINS9_3SumENS9_22TransformInputIteratorIbN2at6native12_GLOBAL__N_19NonZeroOpIN3c104HalfEEEPKSJ_lEEiEEEE10hipError_tPvRmT1_T2_T3_mT4_P12ihipStream_tbEUlT_E0_NS1_11comp_targetILNS1_3genE0ELNS1_11target_archE4294967295ELNS1_3gpuE0ELNS1_3repE0EEENS1_30default_config_static_selectorELNS0_4arch9wavefront6targetE0EEEvSS_ ; -- Begin function _ZN7rocprim17ROCPRIM_400000_NS6detail17trampoline_kernelINS0_14default_configENS1_22reduce_config_selectorIiEEZNS1_11reduce_implILb1ES3_PiS7_iN6hipcub16HIPCUB_304000_NS6detail34convert_binary_result_type_wrapperINS9_3SumENS9_22TransformInputIteratorIbN2at6native12_GLOBAL__N_19NonZeroOpIN3c104HalfEEEPKSJ_lEEiEEEE10hipError_tPvRmT1_T2_T3_mT4_P12ihipStream_tbEUlT_E0_NS1_11comp_targetILNS1_3genE0ELNS1_11target_archE4294967295ELNS1_3gpuE0ELNS1_3repE0EEENS1_30default_config_static_selectorELNS0_4arch9wavefront6targetE0EEEvSS_
	.p2align	8
	.type	_ZN7rocprim17ROCPRIM_400000_NS6detail17trampoline_kernelINS0_14default_configENS1_22reduce_config_selectorIiEEZNS1_11reduce_implILb1ES3_PiS7_iN6hipcub16HIPCUB_304000_NS6detail34convert_binary_result_type_wrapperINS9_3SumENS9_22TransformInputIteratorIbN2at6native12_GLOBAL__N_19NonZeroOpIN3c104HalfEEEPKSJ_lEEiEEEE10hipError_tPvRmT1_T2_T3_mT4_P12ihipStream_tbEUlT_E0_NS1_11comp_targetILNS1_3genE0ELNS1_11target_archE4294967295ELNS1_3gpuE0ELNS1_3repE0EEENS1_30default_config_static_selectorELNS0_4arch9wavefront6targetE0EEEvSS_,@function
_ZN7rocprim17ROCPRIM_400000_NS6detail17trampoline_kernelINS0_14default_configENS1_22reduce_config_selectorIiEEZNS1_11reduce_implILb1ES3_PiS7_iN6hipcub16HIPCUB_304000_NS6detail34convert_binary_result_type_wrapperINS9_3SumENS9_22TransformInputIteratorIbN2at6native12_GLOBAL__N_19NonZeroOpIN3c104HalfEEEPKSJ_lEEiEEEE10hipError_tPvRmT1_T2_T3_mT4_P12ihipStream_tbEUlT_E0_NS1_11comp_targetILNS1_3genE0ELNS1_11target_archE4294967295ELNS1_3gpuE0ELNS1_3repE0EEENS1_30default_config_static_selectorELNS0_4arch9wavefront6targetE0EEEvSS_: ; @_ZN7rocprim17ROCPRIM_400000_NS6detail17trampoline_kernelINS0_14default_configENS1_22reduce_config_selectorIiEEZNS1_11reduce_implILb1ES3_PiS7_iN6hipcub16HIPCUB_304000_NS6detail34convert_binary_result_type_wrapperINS9_3SumENS9_22TransformInputIteratorIbN2at6native12_GLOBAL__N_19NonZeroOpIN3c104HalfEEEPKSJ_lEEiEEEE10hipError_tPvRmT1_T2_T3_mT4_P12ihipStream_tbEUlT_E0_NS1_11comp_targetILNS1_3genE0ELNS1_11target_archE4294967295ELNS1_3gpuE0ELNS1_3repE0EEENS1_30default_config_static_selectorELNS0_4arch9wavefront6targetE0EEEvSS_
; %bb.0:
	.section	.rodata,"a",@progbits
	.p2align	6, 0x0
	.amdhsa_kernel _ZN7rocprim17ROCPRIM_400000_NS6detail17trampoline_kernelINS0_14default_configENS1_22reduce_config_selectorIiEEZNS1_11reduce_implILb1ES3_PiS7_iN6hipcub16HIPCUB_304000_NS6detail34convert_binary_result_type_wrapperINS9_3SumENS9_22TransformInputIteratorIbN2at6native12_GLOBAL__N_19NonZeroOpIN3c104HalfEEEPKSJ_lEEiEEEE10hipError_tPvRmT1_T2_T3_mT4_P12ihipStream_tbEUlT_E0_NS1_11comp_targetILNS1_3genE0ELNS1_11target_archE4294967295ELNS1_3gpuE0ELNS1_3repE0EEENS1_30default_config_static_selectorELNS0_4arch9wavefront6targetE0EEEvSS_
		.amdhsa_group_segment_fixed_size 0
		.amdhsa_private_segment_fixed_size 0
		.amdhsa_kernarg_size 56
		.amdhsa_user_sgpr_count 15
		.amdhsa_user_sgpr_dispatch_ptr 0
		.amdhsa_user_sgpr_queue_ptr 0
		.amdhsa_user_sgpr_kernarg_segment_ptr 1
		.amdhsa_user_sgpr_dispatch_id 0
		.amdhsa_user_sgpr_private_segment_size 0
		.amdhsa_wavefront_size32 1
		.amdhsa_uses_dynamic_stack 0
		.amdhsa_enable_private_segment 0
		.amdhsa_system_sgpr_workgroup_id_x 1
		.amdhsa_system_sgpr_workgroup_id_y 0
		.amdhsa_system_sgpr_workgroup_id_z 0
		.amdhsa_system_sgpr_workgroup_info 0
		.amdhsa_system_vgpr_workitem_id 0
		.amdhsa_next_free_vgpr 1
		.amdhsa_next_free_sgpr 1
		.amdhsa_reserve_vcc 0
		.amdhsa_float_round_mode_32 0
		.amdhsa_float_round_mode_16_64 0
		.amdhsa_float_denorm_mode_32 3
		.amdhsa_float_denorm_mode_16_64 3
		.amdhsa_dx10_clamp 1
		.amdhsa_ieee_mode 1
		.amdhsa_fp16_overflow 0
		.amdhsa_workgroup_processor_mode 1
		.amdhsa_memory_ordered 1
		.amdhsa_forward_progress 0
		.amdhsa_shared_vgpr_count 0
		.amdhsa_exception_fp_ieee_invalid_op 0
		.amdhsa_exception_fp_denorm_src 0
		.amdhsa_exception_fp_ieee_div_zero 0
		.amdhsa_exception_fp_ieee_overflow 0
		.amdhsa_exception_fp_ieee_underflow 0
		.amdhsa_exception_fp_ieee_inexact 0
		.amdhsa_exception_int_div_zero 0
	.end_amdhsa_kernel
	.section	.text._ZN7rocprim17ROCPRIM_400000_NS6detail17trampoline_kernelINS0_14default_configENS1_22reduce_config_selectorIiEEZNS1_11reduce_implILb1ES3_PiS7_iN6hipcub16HIPCUB_304000_NS6detail34convert_binary_result_type_wrapperINS9_3SumENS9_22TransformInputIteratorIbN2at6native12_GLOBAL__N_19NonZeroOpIN3c104HalfEEEPKSJ_lEEiEEEE10hipError_tPvRmT1_T2_T3_mT4_P12ihipStream_tbEUlT_E0_NS1_11comp_targetILNS1_3genE0ELNS1_11target_archE4294967295ELNS1_3gpuE0ELNS1_3repE0EEENS1_30default_config_static_selectorELNS0_4arch9wavefront6targetE0EEEvSS_,"axG",@progbits,_ZN7rocprim17ROCPRIM_400000_NS6detail17trampoline_kernelINS0_14default_configENS1_22reduce_config_selectorIiEEZNS1_11reduce_implILb1ES3_PiS7_iN6hipcub16HIPCUB_304000_NS6detail34convert_binary_result_type_wrapperINS9_3SumENS9_22TransformInputIteratorIbN2at6native12_GLOBAL__N_19NonZeroOpIN3c104HalfEEEPKSJ_lEEiEEEE10hipError_tPvRmT1_T2_T3_mT4_P12ihipStream_tbEUlT_E0_NS1_11comp_targetILNS1_3genE0ELNS1_11target_archE4294967295ELNS1_3gpuE0ELNS1_3repE0EEENS1_30default_config_static_selectorELNS0_4arch9wavefront6targetE0EEEvSS_,comdat
.Lfunc_end830:
	.size	_ZN7rocprim17ROCPRIM_400000_NS6detail17trampoline_kernelINS0_14default_configENS1_22reduce_config_selectorIiEEZNS1_11reduce_implILb1ES3_PiS7_iN6hipcub16HIPCUB_304000_NS6detail34convert_binary_result_type_wrapperINS9_3SumENS9_22TransformInputIteratorIbN2at6native12_GLOBAL__N_19NonZeroOpIN3c104HalfEEEPKSJ_lEEiEEEE10hipError_tPvRmT1_T2_T3_mT4_P12ihipStream_tbEUlT_E0_NS1_11comp_targetILNS1_3genE0ELNS1_11target_archE4294967295ELNS1_3gpuE0ELNS1_3repE0EEENS1_30default_config_static_selectorELNS0_4arch9wavefront6targetE0EEEvSS_, .Lfunc_end830-_ZN7rocprim17ROCPRIM_400000_NS6detail17trampoline_kernelINS0_14default_configENS1_22reduce_config_selectorIiEEZNS1_11reduce_implILb1ES3_PiS7_iN6hipcub16HIPCUB_304000_NS6detail34convert_binary_result_type_wrapperINS9_3SumENS9_22TransformInputIteratorIbN2at6native12_GLOBAL__N_19NonZeroOpIN3c104HalfEEEPKSJ_lEEiEEEE10hipError_tPvRmT1_T2_T3_mT4_P12ihipStream_tbEUlT_E0_NS1_11comp_targetILNS1_3genE0ELNS1_11target_archE4294967295ELNS1_3gpuE0ELNS1_3repE0EEENS1_30default_config_static_selectorELNS0_4arch9wavefront6targetE0EEEvSS_
                                        ; -- End function
	.section	.AMDGPU.csdata,"",@progbits
; Kernel info:
; codeLenInByte = 0
; NumSgprs: 0
; NumVgprs: 0
; ScratchSize: 0
; MemoryBound: 0
; FloatMode: 240
; IeeeMode: 1
; LDSByteSize: 0 bytes/workgroup (compile time only)
; SGPRBlocks: 0
; VGPRBlocks: 0
; NumSGPRsForWavesPerEU: 1
; NumVGPRsForWavesPerEU: 1
; Occupancy: 16
; WaveLimiterHint : 0
; COMPUTE_PGM_RSRC2:SCRATCH_EN: 0
; COMPUTE_PGM_RSRC2:USER_SGPR: 15
; COMPUTE_PGM_RSRC2:TRAP_HANDLER: 0
; COMPUTE_PGM_RSRC2:TGID_X_EN: 1
; COMPUTE_PGM_RSRC2:TGID_Y_EN: 0
; COMPUTE_PGM_RSRC2:TGID_Z_EN: 0
; COMPUTE_PGM_RSRC2:TIDIG_COMP_CNT: 0
	.section	.text._ZN7rocprim17ROCPRIM_400000_NS6detail17trampoline_kernelINS0_14default_configENS1_22reduce_config_selectorIiEEZNS1_11reduce_implILb1ES3_PiS7_iN6hipcub16HIPCUB_304000_NS6detail34convert_binary_result_type_wrapperINS9_3SumENS9_22TransformInputIteratorIbN2at6native12_GLOBAL__N_19NonZeroOpIN3c104HalfEEEPKSJ_lEEiEEEE10hipError_tPvRmT1_T2_T3_mT4_P12ihipStream_tbEUlT_E0_NS1_11comp_targetILNS1_3genE5ELNS1_11target_archE942ELNS1_3gpuE9ELNS1_3repE0EEENS1_30default_config_static_selectorELNS0_4arch9wavefront6targetE0EEEvSS_,"axG",@progbits,_ZN7rocprim17ROCPRIM_400000_NS6detail17trampoline_kernelINS0_14default_configENS1_22reduce_config_selectorIiEEZNS1_11reduce_implILb1ES3_PiS7_iN6hipcub16HIPCUB_304000_NS6detail34convert_binary_result_type_wrapperINS9_3SumENS9_22TransformInputIteratorIbN2at6native12_GLOBAL__N_19NonZeroOpIN3c104HalfEEEPKSJ_lEEiEEEE10hipError_tPvRmT1_T2_T3_mT4_P12ihipStream_tbEUlT_E0_NS1_11comp_targetILNS1_3genE5ELNS1_11target_archE942ELNS1_3gpuE9ELNS1_3repE0EEENS1_30default_config_static_selectorELNS0_4arch9wavefront6targetE0EEEvSS_,comdat
	.globl	_ZN7rocprim17ROCPRIM_400000_NS6detail17trampoline_kernelINS0_14default_configENS1_22reduce_config_selectorIiEEZNS1_11reduce_implILb1ES3_PiS7_iN6hipcub16HIPCUB_304000_NS6detail34convert_binary_result_type_wrapperINS9_3SumENS9_22TransformInputIteratorIbN2at6native12_GLOBAL__N_19NonZeroOpIN3c104HalfEEEPKSJ_lEEiEEEE10hipError_tPvRmT1_T2_T3_mT4_P12ihipStream_tbEUlT_E0_NS1_11comp_targetILNS1_3genE5ELNS1_11target_archE942ELNS1_3gpuE9ELNS1_3repE0EEENS1_30default_config_static_selectorELNS0_4arch9wavefront6targetE0EEEvSS_ ; -- Begin function _ZN7rocprim17ROCPRIM_400000_NS6detail17trampoline_kernelINS0_14default_configENS1_22reduce_config_selectorIiEEZNS1_11reduce_implILb1ES3_PiS7_iN6hipcub16HIPCUB_304000_NS6detail34convert_binary_result_type_wrapperINS9_3SumENS9_22TransformInputIteratorIbN2at6native12_GLOBAL__N_19NonZeroOpIN3c104HalfEEEPKSJ_lEEiEEEE10hipError_tPvRmT1_T2_T3_mT4_P12ihipStream_tbEUlT_E0_NS1_11comp_targetILNS1_3genE5ELNS1_11target_archE942ELNS1_3gpuE9ELNS1_3repE0EEENS1_30default_config_static_selectorELNS0_4arch9wavefront6targetE0EEEvSS_
	.p2align	8
	.type	_ZN7rocprim17ROCPRIM_400000_NS6detail17trampoline_kernelINS0_14default_configENS1_22reduce_config_selectorIiEEZNS1_11reduce_implILb1ES3_PiS7_iN6hipcub16HIPCUB_304000_NS6detail34convert_binary_result_type_wrapperINS9_3SumENS9_22TransformInputIteratorIbN2at6native12_GLOBAL__N_19NonZeroOpIN3c104HalfEEEPKSJ_lEEiEEEE10hipError_tPvRmT1_T2_T3_mT4_P12ihipStream_tbEUlT_E0_NS1_11comp_targetILNS1_3genE5ELNS1_11target_archE942ELNS1_3gpuE9ELNS1_3repE0EEENS1_30default_config_static_selectorELNS0_4arch9wavefront6targetE0EEEvSS_,@function
_ZN7rocprim17ROCPRIM_400000_NS6detail17trampoline_kernelINS0_14default_configENS1_22reduce_config_selectorIiEEZNS1_11reduce_implILb1ES3_PiS7_iN6hipcub16HIPCUB_304000_NS6detail34convert_binary_result_type_wrapperINS9_3SumENS9_22TransformInputIteratorIbN2at6native12_GLOBAL__N_19NonZeroOpIN3c104HalfEEEPKSJ_lEEiEEEE10hipError_tPvRmT1_T2_T3_mT4_P12ihipStream_tbEUlT_E0_NS1_11comp_targetILNS1_3genE5ELNS1_11target_archE942ELNS1_3gpuE9ELNS1_3repE0EEENS1_30default_config_static_selectorELNS0_4arch9wavefront6targetE0EEEvSS_: ; @_ZN7rocprim17ROCPRIM_400000_NS6detail17trampoline_kernelINS0_14default_configENS1_22reduce_config_selectorIiEEZNS1_11reduce_implILb1ES3_PiS7_iN6hipcub16HIPCUB_304000_NS6detail34convert_binary_result_type_wrapperINS9_3SumENS9_22TransformInputIteratorIbN2at6native12_GLOBAL__N_19NonZeroOpIN3c104HalfEEEPKSJ_lEEiEEEE10hipError_tPvRmT1_T2_T3_mT4_P12ihipStream_tbEUlT_E0_NS1_11comp_targetILNS1_3genE5ELNS1_11target_archE942ELNS1_3gpuE9ELNS1_3repE0EEENS1_30default_config_static_selectorELNS0_4arch9wavefront6targetE0EEEvSS_
; %bb.0:
	.section	.rodata,"a",@progbits
	.p2align	6, 0x0
	.amdhsa_kernel _ZN7rocprim17ROCPRIM_400000_NS6detail17trampoline_kernelINS0_14default_configENS1_22reduce_config_selectorIiEEZNS1_11reduce_implILb1ES3_PiS7_iN6hipcub16HIPCUB_304000_NS6detail34convert_binary_result_type_wrapperINS9_3SumENS9_22TransformInputIteratorIbN2at6native12_GLOBAL__N_19NonZeroOpIN3c104HalfEEEPKSJ_lEEiEEEE10hipError_tPvRmT1_T2_T3_mT4_P12ihipStream_tbEUlT_E0_NS1_11comp_targetILNS1_3genE5ELNS1_11target_archE942ELNS1_3gpuE9ELNS1_3repE0EEENS1_30default_config_static_selectorELNS0_4arch9wavefront6targetE0EEEvSS_
		.amdhsa_group_segment_fixed_size 0
		.amdhsa_private_segment_fixed_size 0
		.amdhsa_kernarg_size 56
		.amdhsa_user_sgpr_count 15
		.amdhsa_user_sgpr_dispatch_ptr 0
		.amdhsa_user_sgpr_queue_ptr 0
		.amdhsa_user_sgpr_kernarg_segment_ptr 1
		.amdhsa_user_sgpr_dispatch_id 0
		.amdhsa_user_sgpr_private_segment_size 0
		.amdhsa_wavefront_size32 1
		.amdhsa_uses_dynamic_stack 0
		.amdhsa_enable_private_segment 0
		.amdhsa_system_sgpr_workgroup_id_x 1
		.amdhsa_system_sgpr_workgroup_id_y 0
		.amdhsa_system_sgpr_workgroup_id_z 0
		.amdhsa_system_sgpr_workgroup_info 0
		.amdhsa_system_vgpr_workitem_id 0
		.amdhsa_next_free_vgpr 1
		.amdhsa_next_free_sgpr 1
		.amdhsa_reserve_vcc 0
		.amdhsa_float_round_mode_32 0
		.amdhsa_float_round_mode_16_64 0
		.amdhsa_float_denorm_mode_32 3
		.amdhsa_float_denorm_mode_16_64 3
		.amdhsa_dx10_clamp 1
		.amdhsa_ieee_mode 1
		.amdhsa_fp16_overflow 0
		.amdhsa_workgroup_processor_mode 1
		.amdhsa_memory_ordered 1
		.amdhsa_forward_progress 0
		.amdhsa_shared_vgpr_count 0
		.amdhsa_exception_fp_ieee_invalid_op 0
		.amdhsa_exception_fp_denorm_src 0
		.amdhsa_exception_fp_ieee_div_zero 0
		.amdhsa_exception_fp_ieee_overflow 0
		.amdhsa_exception_fp_ieee_underflow 0
		.amdhsa_exception_fp_ieee_inexact 0
		.amdhsa_exception_int_div_zero 0
	.end_amdhsa_kernel
	.section	.text._ZN7rocprim17ROCPRIM_400000_NS6detail17trampoline_kernelINS0_14default_configENS1_22reduce_config_selectorIiEEZNS1_11reduce_implILb1ES3_PiS7_iN6hipcub16HIPCUB_304000_NS6detail34convert_binary_result_type_wrapperINS9_3SumENS9_22TransformInputIteratorIbN2at6native12_GLOBAL__N_19NonZeroOpIN3c104HalfEEEPKSJ_lEEiEEEE10hipError_tPvRmT1_T2_T3_mT4_P12ihipStream_tbEUlT_E0_NS1_11comp_targetILNS1_3genE5ELNS1_11target_archE942ELNS1_3gpuE9ELNS1_3repE0EEENS1_30default_config_static_selectorELNS0_4arch9wavefront6targetE0EEEvSS_,"axG",@progbits,_ZN7rocprim17ROCPRIM_400000_NS6detail17trampoline_kernelINS0_14default_configENS1_22reduce_config_selectorIiEEZNS1_11reduce_implILb1ES3_PiS7_iN6hipcub16HIPCUB_304000_NS6detail34convert_binary_result_type_wrapperINS9_3SumENS9_22TransformInputIteratorIbN2at6native12_GLOBAL__N_19NonZeroOpIN3c104HalfEEEPKSJ_lEEiEEEE10hipError_tPvRmT1_T2_T3_mT4_P12ihipStream_tbEUlT_E0_NS1_11comp_targetILNS1_3genE5ELNS1_11target_archE942ELNS1_3gpuE9ELNS1_3repE0EEENS1_30default_config_static_selectorELNS0_4arch9wavefront6targetE0EEEvSS_,comdat
.Lfunc_end831:
	.size	_ZN7rocprim17ROCPRIM_400000_NS6detail17trampoline_kernelINS0_14default_configENS1_22reduce_config_selectorIiEEZNS1_11reduce_implILb1ES3_PiS7_iN6hipcub16HIPCUB_304000_NS6detail34convert_binary_result_type_wrapperINS9_3SumENS9_22TransformInputIteratorIbN2at6native12_GLOBAL__N_19NonZeroOpIN3c104HalfEEEPKSJ_lEEiEEEE10hipError_tPvRmT1_T2_T3_mT4_P12ihipStream_tbEUlT_E0_NS1_11comp_targetILNS1_3genE5ELNS1_11target_archE942ELNS1_3gpuE9ELNS1_3repE0EEENS1_30default_config_static_selectorELNS0_4arch9wavefront6targetE0EEEvSS_, .Lfunc_end831-_ZN7rocprim17ROCPRIM_400000_NS6detail17trampoline_kernelINS0_14default_configENS1_22reduce_config_selectorIiEEZNS1_11reduce_implILb1ES3_PiS7_iN6hipcub16HIPCUB_304000_NS6detail34convert_binary_result_type_wrapperINS9_3SumENS9_22TransformInputIteratorIbN2at6native12_GLOBAL__N_19NonZeroOpIN3c104HalfEEEPKSJ_lEEiEEEE10hipError_tPvRmT1_T2_T3_mT4_P12ihipStream_tbEUlT_E0_NS1_11comp_targetILNS1_3genE5ELNS1_11target_archE942ELNS1_3gpuE9ELNS1_3repE0EEENS1_30default_config_static_selectorELNS0_4arch9wavefront6targetE0EEEvSS_
                                        ; -- End function
	.section	.AMDGPU.csdata,"",@progbits
; Kernel info:
; codeLenInByte = 0
; NumSgprs: 0
; NumVgprs: 0
; ScratchSize: 0
; MemoryBound: 0
; FloatMode: 240
; IeeeMode: 1
; LDSByteSize: 0 bytes/workgroup (compile time only)
; SGPRBlocks: 0
; VGPRBlocks: 0
; NumSGPRsForWavesPerEU: 1
; NumVGPRsForWavesPerEU: 1
; Occupancy: 16
; WaveLimiterHint : 0
; COMPUTE_PGM_RSRC2:SCRATCH_EN: 0
; COMPUTE_PGM_RSRC2:USER_SGPR: 15
; COMPUTE_PGM_RSRC2:TRAP_HANDLER: 0
; COMPUTE_PGM_RSRC2:TGID_X_EN: 1
; COMPUTE_PGM_RSRC2:TGID_Y_EN: 0
; COMPUTE_PGM_RSRC2:TGID_Z_EN: 0
; COMPUTE_PGM_RSRC2:TIDIG_COMP_CNT: 0
	.section	.text._ZN7rocprim17ROCPRIM_400000_NS6detail17trampoline_kernelINS0_14default_configENS1_22reduce_config_selectorIiEEZNS1_11reduce_implILb1ES3_PiS7_iN6hipcub16HIPCUB_304000_NS6detail34convert_binary_result_type_wrapperINS9_3SumENS9_22TransformInputIteratorIbN2at6native12_GLOBAL__N_19NonZeroOpIN3c104HalfEEEPKSJ_lEEiEEEE10hipError_tPvRmT1_T2_T3_mT4_P12ihipStream_tbEUlT_E0_NS1_11comp_targetILNS1_3genE4ELNS1_11target_archE910ELNS1_3gpuE8ELNS1_3repE0EEENS1_30default_config_static_selectorELNS0_4arch9wavefront6targetE0EEEvSS_,"axG",@progbits,_ZN7rocprim17ROCPRIM_400000_NS6detail17trampoline_kernelINS0_14default_configENS1_22reduce_config_selectorIiEEZNS1_11reduce_implILb1ES3_PiS7_iN6hipcub16HIPCUB_304000_NS6detail34convert_binary_result_type_wrapperINS9_3SumENS9_22TransformInputIteratorIbN2at6native12_GLOBAL__N_19NonZeroOpIN3c104HalfEEEPKSJ_lEEiEEEE10hipError_tPvRmT1_T2_T3_mT4_P12ihipStream_tbEUlT_E0_NS1_11comp_targetILNS1_3genE4ELNS1_11target_archE910ELNS1_3gpuE8ELNS1_3repE0EEENS1_30default_config_static_selectorELNS0_4arch9wavefront6targetE0EEEvSS_,comdat
	.globl	_ZN7rocprim17ROCPRIM_400000_NS6detail17trampoline_kernelINS0_14default_configENS1_22reduce_config_selectorIiEEZNS1_11reduce_implILb1ES3_PiS7_iN6hipcub16HIPCUB_304000_NS6detail34convert_binary_result_type_wrapperINS9_3SumENS9_22TransformInputIteratorIbN2at6native12_GLOBAL__N_19NonZeroOpIN3c104HalfEEEPKSJ_lEEiEEEE10hipError_tPvRmT1_T2_T3_mT4_P12ihipStream_tbEUlT_E0_NS1_11comp_targetILNS1_3genE4ELNS1_11target_archE910ELNS1_3gpuE8ELNS1_3repE0EEENS1_30default_config_static_selectorELNS0_4arch9wavefront6targetE0EEEvSS_ ; -- Begin function _ZN7rocprim17ROCPRIM_400000_NS6detail17trampoline_kernelINS0_14default_configENS1_22reduce_config_selectorIiEEZNS1_11reduce_implILb1ES3_PiS7_iN6hipcub16HIPCUB_304000_NS6detail34convert_binary_result_type_wrapperINS9_3SumENS9_22TransformInputIteratorIbN2at6native12_GLOBAL__N_19NonZeroOpIN3c104HalfEEEPKSJ_lEEiEEEE10hipError_tPvRmT1_T2_T3_mT4_P12ihipStream_tbEUlT_E0_NS1_11comp_targetILNS1_3genE4ELNS1_11target_archE910ELNS1_3gpuE8ELNS1_3repE0EEENS1_30default_config_static_selectorELNS0_4arch9wavefront6targetE0EEEvSS_
	.p2align	8
	.type	_ZN7rocprim17ROCPRIM_400000_NS6detail17trampoline_kernelINS0_14default_configENS1_22reduce_config_selectorIiEEZNS1_11reduce_implILb1ES3_PiS7_iN6hipcub16HIPCUB_304000_NS6detail34convert_binary_result_type_wrapperINS9_3SumENS9_22TransformInputIteratorIbN2at6native12_GLOBAL__N_19NonZeroOpIN3c104HalfEEEPKSJ_lEEiEEEE10hipError_tPvRmT1_T2_T3_mT4_P12ihipStream_tbEUlT_E0_NS1_11comp_targetILNS1_3genE4ELNS1_11target_archE910ELNS1_3gpuE8ELNS1_3repE0EEENS1_30default_config_static_selectorELNS0_4arch9wavefront6targetE0EEEvSS_,@function
_ZN7rocprim17ROCPRIM_400000_NS6detail17trampoline_kernelINS0_14default_configENS1_22reduce_config_selectorIiEEZNS1_11reduce_implILb1ES3_PiS7_iN6hipcub16HIPCUB_304000_NS6detail34convert_binary_result_type_wrapperINS9_3SumENS9_22TransformInputIteratorIbN2at6native12_GLOBAL__N_19NonZeroOpIN3c104HalfEEEPKSJ_lEEiEEEE10hipError_tPvRmT1_T2_T3_mT4_P12ihipStream_tbEUlT_E0_NS1_11comp_targetILNS1_3genE4ELNS1_11target_archE910ELNS1_3gpuE8ELNS1_3repE0EEENS1_30default_config_static_selectorELNS0_4arch9wavefront6targetE0EEEvSS_: ; @_ZN7rocprim17ROCPRIM_400000_NS6detail17trampoline_kernelINS0_14default_configENS1_22reduce_config_selectorIiEEZNS1_11reduce_implILb1ES3_PiS7_iN6hipcub16HIPCUB_304000_NS6detail34convert_binary_result_type_wrapperINS9_3SumENS9_22TransformInputIteratorIbN2at6native12_GLOBAL__N_19NonZeroOpIN3c104HalfEEEPKSJ_lEEiEEEE10hipError_tPvRmT1_T2_T3_mT4_P12ihipStream_tbEUlT_E0_NS1_11comp_targetILNS1_3genE4ELNS1_11target_archE910ELNS1_3gpuE8ELNS1_3repE0EEENS1_30default_config_static_selectorELNS0_4arch9wavefront6targetE0EEEvSS_
; %bb.0:
	.section	.rodata,"a",@progbits
	.p2align	6, 0x0
	.amdhsa_kernel _ZN7rocprim17ROCPRIM_400000_NS6detail17trampoline_kernelINS0_14default_configENS1_22reduce_config_selectorIiEEZNS1_11reduce_implILb1ES3_PiS7_iN6hipcub16HIPCUB_304000_NS6detail34convert_binary_result_type_wrapperINS9_3SumENS9_22TransformInputIteratorIbN2at6native12_GLOBAL__N_19NonZeroOpIN3c104HalfEEEPKSJ_lEEiEEEE10hipError_tPvRmT1_T2_T3_mT4_P12ihipStream_tbEUlT_E0_NS1_11comp_targetILNS1_3genE4ELNS1_11target_archE910ELNS1_3gpuE8ELNS1_3repE0EEENS1_30default_config_static_selectorELNS0_4arch9wavefront6targetE0EEEvSS_
		.amdhsa_group_segment_fixed_size 0
		.amdhsa_private_segment_fixed_size 0
		.amdhsa_kernarg_size 56
		.amdhsa_user_sgpr_count 15
		.amdhsa_user_sgpr_dispatch_ptr 0
		.amdhsa_user_sgpr_queue_ptr 0
		.amdhsa_user_sgpr_kernarg_segment_ptr 1
		.amdhsa_user_sgpr_dispatch_id 0
		.amdhsa_user_sgpr_private_segment_size 0
		.amdhsa_wavefront_size32 1
		.amdhsa_uses_dynamic_stack 0
		.amdhsa_enable_private_segment 0
		.amdhsa_system_sgpr_workgroup_id_x 1
		.amdhsa_system_sgpr_workgroup_id_y 0
		.amdhsa_system_sgpr_workgroup_id_z 0
		.amdhsa_system_sgpr_workgroup_info 0
		.amdhsa_system_vgpr_workitem_id 0
		.amdhsa_next_free_vgpr 1
		.amdhsa_next_free_sgpr 1
		.amdhsa_reserve_vcc 0
		.amdhsa_float_round_mode_32 0
		.amdhsa_float_round_mode_16_64 0
		.amdhsa_float_denorm_mode_32 3
		.amdhsa_float_denorm_mode_16_64 3
		.amdhsa_dx10_clamp 1
		.amdhsa_ieee_mode 1
		.amdhsa_fp16_overflow 0
		.amdhsa_workgroup_processor_mode 1
		.amdhsa_memory_ordered 1
		.amdhsa_forward_progress 0
		.amdhsa_shared_vgpr_count 0
		.amdhsa_exception_fp_ieee_invalid_op 0
		.amdhsa_exception_fp_denorm_src 0
		.amdhsa_exception_fp_ieee_div_zero 0
		.amdhsa_exception_fp_ieee_overflow 0
		.amdhsa_exception_fp_ieee_underflow 0
		.amdhsa_exception_fp_ieee_inexact 0
		.amdhsa_exception_int_div_zero 0
	.end_amdhsa_kernel
	.section	.text._ZN7rocprim17ROCPRIM_400000_NS6detail17trampoline_kernelINS0_14default_configENS1_22reduce_config_selectorIiEEZNS1_11reduce_implILb1ES3_PiS7_iN6hipcub16HIPCUB_304000_NS6detail34convert_binary_result_type_wrapperINS9_3SumENS9_22TransformInputIteratorIbN2at6native12_GLOBAL__N_19NonZeroOpIN3c104HalfEEEPKSJ_lEEiEEEE10hipError_tPvRmT1_T2_T3_mT4_P12ihipStream_tbEUlT_E0_NS1_11comp_targetILNS1_3genE4ELNS1_11target_archE910ELNS1_3gpuE8ELNS1_3repE0EEENS1_30default_config_static_selectorELNS0_4arch9wavefront6targetE0EEEvSS_,"axG",@progbits,_ZN7rocprim17ROCPRIM_400000_NS6detail17trampoline_kernelINS0_14default_configENS1_22reduce_config_selectorIiEEZNS1_11reduce_implILb1ES3_PiS7_iN6hipcub16HIPCUB_304000_NS6detail34convert_binary_result_type_wrapperINS9_3SumENS9_22TransformInputIteratorIbN2at6native12_GLOBAL__N_19NonZeroOpIN3c104HalfEEEPKSJ_lEEiEEEE10hipError_tPvRmT1_T2_T3_mT4_P12ihipStream_tbEUlT_E0_NS1_11comp_targetILNS1_3genE4ELNS1_11target_archE910ELNS1_3gpuE8ELNS1_3repE0EEENS1_30default_config_static_selectorELNS0_4arch9wavefront6targetE0EEEvSS_,comdat
.Lfunc_end832:
	.size	_ZN7rocprim17ROCPRIM_400000_NS6detail17trampoline_kernelINS0_14default_configENS1_22reduce_config_selectorIiEEZNS1_11reduce_implILb1ES3_PiS7_iN6hipcub16HIPCUB_304000_NS6detail34convert_binary_result_type_wrapperINS9_3SumENS9_22TransformInputIteratorIbN2at6native12_GLOBAL__N_19NonZeroOpIN3c104HalfEEEPKSJ_lEEiEEEE10hipError_tPvRmT1_T2_T3_mT4_P12ihipStream_tbEUlT_E0_NS1_11comp_targetILNS1_3genE4ELNS1_11target_archE910ELNS1_3gpuE8ELNS1_3repE0EEENS1_30default_config_static_selectorELNS0_4arch9wavefront6targetE0EEEvSS_, .Lfunc_end832-_ZN7rocprim17ROCPRIM_400000_NS6detail17trampoline_kernelINS0_14default_configENS1_22reduce_config_selectorIiEEZNS1_11reduce_implILb1ES3_PiS7_iN6hipcub16HIPCUB_304000_NS6detail34convert_binary_result_type_wrapperINS9_3SumENS9_22TransformInputIteratorIbN2at6native12_GLOBAL__N_19NonZeroOpIN3c104HalfEEEPKSJ_lEEiEEEE10hipError_tPvRmT1_T2_T3_mT4_P12ihipStream_tbEUlT_E0_NS1_11comp_targetILNS1_3genE4ELNS1_11target_archE910ELNS1_3gpuE8ELNS1_3repE0EEENS1_30default_config_static_selectorELNS0_4arch9wavefront6targetE0EEEvSS_
                                        ; -- End function
	.section	.AMDGPU.csdata,"",@progbits
; Kernel info:
; codeLenInByte = 0
; NumSgprs: 0
; NumVgprs: 0
; ScratchSize: 0
; MemoryBound: 0
; FloatMode: 240
; IeeeMode: 1
; LDSByteSize: 0 bytes/workgroup (compile time only)
; SGPRBlocks: 0
; VGPRBlocks: 0
; NumSGPRsForWavesPerEU: 1
; NumVGPRsForWavesPerEU: 1
; Occupancy: 16
; WaveLimiterHint : 0
; COMPUTE_PGM_RSRC2:SCRATCH_EN: 0
; COMPUTE_PGM_RSRC2:USER_SGPR: 15
; COMPUTE_PGM_RSRC2:TRAP_HANDLER: 0
; COMPUTE_PGM_RSRC2:TGID_X_EN: 1
; COMPUTE_PGM_RSRC2:TGID_Y_EN: 0
; COMPUTE_PGM_RSRC2:TGID_Z_EN: 0
; COMPUTE_PGM_RSRC2:TIDIG_COMP_CNT: 0
	.section	.text._ZN7rocprim17ROCPRIM_400000_NS6detail17trampoline_kernelINS0_14default_configENS1_22reduce_config_selectorIiEEZNS1_11reduce_implILb1ES3_PiS7_iN6hipcub16HIPCUB_304000_NS6detail34convert_binary_result_type_wrapperINS9_3SumENS9_22TransformInputIteratorIbN2at6native12_GLOBAL__N_19NonZeroOpIN3c104HalfEEEPKSJ_lEEiEEEE10hipError_tPvRmT1_T2_T3_mT4_P12ihipStream_tbEUlT_E0_NS1_11comp_targetILNS1_3genE3ELNS1_11target_archE908ELNS1_3gpuE7ELNS1_3repE0EEENS1_30default_config_static_selectorELNS0_4arch9wavefront6targetE0EEEvSS_,"axG",@progbits,_ZN7rocprim17ROCPRIM_400000_NS6detail17trampoline_kernelINS0_14default_configENS1_22reduce_config_selectorIiEEZNS1_11reduce_implILb1ES3_PiS7_iN6hipcub16HIPCUB_304000_NS6detail34convert_binary_result_type_wrapperINS9_3SumENS9_22TransformInputIteratorIbN2at6native12_GLOBAL__N_19NonZeroOpIN3c104HalfEEEPKSJ_lEEiEEEE10hipError_tPvRmT1_T2_T3_mT4_P12ihipStream_tbEUlT_E0_NS1_11comp_targetILNS1_3genE3ELNS1_11target_archE908ELNS1_3gpuE7ELNS1_3repE0EEENS1_30default_config_static_selectorELNS0_4arch9wavefront6targetE0EEEvSS_,comdat
	.globl	_ZN7rocprim17ROCPRIM_400000_NS6detail17trampoline_kernelINS0_14default_configENS1_22reduce_config_selectorIiEEZNS1_11reduce_implILb1ES3_PiS7_iN6hipcub16HIPCUB_304000_NS6detail34convert_binary_result_type_wrapperINS9_3SumENS9_22TransformInputIteratorIbN2at6native12_GLOBAL__N_19NonZeroOpIN3c104HalfEEEPKSJ_lEEiEEEE10hipError_tPvRmT1_T2_T3_mT4_P12ihipStream_tbEUlT_E0_NS1_11comp_targetILNS1_3genE3ELNS1_11target_archE908ELNS1_3gpuE7ELNS1_3repE0EEENS1_30default_config_static_selectorELNS0_4arch9wavefront6targetE0EEEvSS_ ; -- Begin function _ZN7rocprim17ROCPRIM_400000_NS6detail17trampoline_kernelINS0_14default_configENS1_22reduce_config_selectorIiEEZNS1_11reduce_implILb1ES3_PiS7_iN6hipcub16HIPCUB_304000_NS6detail34convert_binary_result_type_wrapperINS9_3SumENS9_22TransformInputIteratorIbN2at6native12_GLOBAL__N_19NonZeroOpIN3c104HalfEEEPKSJ_lEEiEEEE10hipError_tPvRmT1_T2_T3_mT4_P12ihipStream_tbEUlT_E0_NS1_11comp_targetILNS1_3genE3ELNS1_11target_archE908ELNS1_3gpuE7ELNS1_3repE0EEENS1_30default_config_static_selectorELNS0_4arch9wavefront6targetE0EEEvSS_
	.p2align	8
	.type	_ZN7rocprim17ROCPRIM_400000_NS6detail17trampoline_kernelINS0_14default_configENS1_22reduce_config_selectorIiEEZNS1_11reduce_implILb1ES3_PiS7_iN6hipcub16HIPCUB_304000_NS6detail34convert_binary_result_type_wrapperINS9_3SumENS9_22TransformInputIteratorIbN2at6native12_GLOBAL__N_19NonZeroOpIN3c104HalfEEEPKSJ_lEEiEEEE10hipError_tPvRmT1_T2_T3_mT4_P12ihipStream_tbEUlT_E0_NS1_11comp_targetILNS1_3genE3ELNS1_11target_archE908ELNS1_3gpuE7ELNS1_3repE0EEENS1_30default_config_static_selectorELNS0_4arch9wavefront6targetE0EEEvSS_,@function
_ZN7rocprim17ROCPRIM_400000_NS6detail17trampoline_kernelINS0_14default_configENS1_22reduce_config_selectorIiEEZNS1_11reduce_implILb1ES3_PiS7_iN6hipcub16HIPCUB_304000_NS6detail34convert_binary_result_type_wrapperINS9_3SumENS9_22TransformInputIteratorIbN2at6native12_GLOBAL__N_19NonZeroOpIN3c104HalfEEEPKSJ_lEEiEEEE10hipError_tPvRmT1_T2_T3_mT4_P12ihipStream_tbEUlT_E0_NS1_11comp_targetILNS1_3genE3ELNS1_11target_archE908ELNS1_3gpuE7ELNS1_3repE0EEENS1_30default_config_static_selectorELNS0_4arch9wavefront6targetE0EEEvSS_: ; @_ZN7rocprim17ROCPRIM_400000_NS6detail17trampoline_kernelINS0_14default_configENS1_22reduce_config_selectorIiEEZNS1_11reduce_implILb1ES3_PiS7_iN6hipcub16HIPCUB_304000_NS6detail34convert_binary_result_type_wrapperINS9_3SumENS9_22TransformInputIteratorIbN2at6native12_GLOBAL__N_19NonZeroOpIN3c104HalfEEEPKSJ_lEEiEEEE10hipError_tPvRmT1_T2_T3_mT4_P12ihipStream_tbEUlT_E0_NS1_11comp_targetILNS1_3genE3ELNS1_11target_archE908ELNS1_3gpuE7ELNS1_3repE0EEENS1_30default_config_static_selectorELNS0_4arch9wavefront6targetE0EEEvSS_
; %bb.0:
	.section	.rodata,"a",@progbits
	.p2align	6, 0x0
	.amdhsa_kernel _ZN7rocprim17ROCPRIM_400000_NS6detail17trampoline_kernelINS0_14default_configENS1_22reduce_config_selectorIiEEZNS1_11reduce_implILb1ES3_PiS7_iN6hipcub16HIPCUB_304000_NS6detail34convert_binary_result_type_wrapperINS9_3SumENS9_22TransformInputIteratorIbN2at6native12_GLOBAL__N_19NonZeroOpIN3c104HalfEEEPKSJ_lEEiEEEE10hipError_tPvRmT1_T2_T3_mT4_P12ihipStream_tbEUlT_E0_NS1_11comp_targetILNS1_3genE3ELNS1_11target_archE908ELNS1_3gpuE7ELNS1_3repE0EEENS1_30default_config_static_selectorELNS0_4arch9wavefront6targetE0EEEvSS_
		.amdhsa_group_segment_fixed_size 0
		.amdhsa_private_segment_fixed_size 0
		.amdhsa_kernarg_size 56
		.amdhsa_user_sgpr_count 15
		.amdhsa_user_sgpr_dispatch_ptr 0
		.amdhsa_user_sgpr_queue_ptr 0
		.amdhsa_user_sgpr_kernarg_segment_ptr 1
		.amdhsa_user_sgpr_dispatch_id 0
		.amdhsa_user_sgpr_private_segment_size 0
		.amdhsa_wavefront_size32 1
		.amdhsa_uses_dynamic_stack 0
		.amdhsa_enable_private_segment 0
		.amdhsa_system_sgpr_workgroup_id_x 1
		.amdhsa_system_sgpr_workgroup_id_y 0
		.amdhsa_system_sgpr_workgroup_id_z 0
		.amdhsa_system_sgpr_workgroup_info 0
		.amdhsa_system_vgpr_workitem_id 0
		.amdhsa_next_free_vgpr 1
		.amdhsa_next_free_sgpr 1
		.amdhsa_reserve_vcc 0
		.amdhsa_float_round_mode_32 0
		.amdhsa_float_round_mode_16_64 0
		.amdhsa_float_denorm_mode_32 3
		.amdhsa_float_denorm_mode_16_64 3
		.amdhsa_dx10_clamp 1
		.amdhsa_ieee_mode 1
		.amdhsa_fp16_overflow 0
		.amdhsa_workgroup_processor_mode 1
		.amdhsa_memory_ordered 1
		.amdhsa_forward_progress 0
		.amdhsa_shared_vgpr_count 0
		.amdhsa_exception_fp_ieee_invalid_op 0
		.amdhsa_exception_fp_denorm_src 0
		.amdhsa_exception_fp_ieee_div_zero 0
		.amdhsa_exception_fp_ieee_overflow 0
		.amdhsa_exception_fp_ieee_underflow 0
		.amdhsa_exception_fp_ieee_inexact 0
		.amdhsa_exception_int_div_zero 0
	.end_amdhsa_kernel
	.section	.text._ZN7rocprim17ROCPRIM_400000_NS6detail17trampoline_kernelINS0_14default_configENS1_22reduce_config_selectorIiEEZNS1_11reduce_implILb1ES3_PiS7_iN6hipcub16HIPCUB_304000_NS6detail34convert_binary_result_type_wrapperINS9_3SumENS9_22TransformInputIteratorIbN2at6native12_GLOBAL__N_19NonZeroOpIN3c104HalfEEEPKSJ_lEEiEEEE10hipError_tPvRmT1_T2_T3_mT4_P12ihipStream_tbEUlT_E0_NS1_11comp_targetILNS1_3genE3ELNS1_11target_archE908ELNS1_3gpuE7ELNS1_3repE0EEENS1_30default_config_static_selectorELNS0_4arch9wavefront6targetE0EEEvSS_,"axG",@progbits,_ZN7rocprim17ROCPRIM_400000_NS6detail17trampoline_kernelINS0_14default_configENS1_22reduce_config_selectorIiEEZNS1_11reduce_implILb1ES3_PiS7_iN6hipcub16HIPCUB_304000_NS6detail34convert_binary_result_type_wrapperINS9_3SumENS9_22TransformInputIteratorIbN2at6native12_GLOBAL__N_19NonZeroOpIN3c104HalfEEEPKSJ_lEEiEEEE10hipError_tPvRmT1_T2_T3_mT4_P12ihipStream_tbEUlT_E0_NS1_11comp_targetILNS1_3genE3ELNS1_11target_archE908ELNS1_3gpuE7ELNS1_3repE0EEENS1_30default_config_static_selectorELNS0_4arch9wavefront6targetE0EEEvSS_,comdat
.Lfunc_end833:
	.size	_ZN7rocprim17ROCPRIM_400000_NS6detail17trampoline_kernelINS0_14default_configENS1_22reduce_config_selectorIiEEZNS1_11reduce_implILb1ES3_PiS7_iN6hipcub16HIPCUB_304000_NS6detail34convert_binary_result_type_wrapperINS9_3SumENS9_22TransformInputIteratorIbN2at6native12_GLOBAL__N_19NonZeroOpIN3c104HalfEEEPKSJ_lEEiEEEE10hipError_tPvRmT1_T2_T3_mT4_P12ihipStream_tbEUlT_E0_NS1_11comp_targetILNS1_3genE3ELNS1_11target_archE908ELNS1_3gpuE7ELNS1_3repE0EEENS1_30default_config_static_selectorELNS0_4arch9wavefront6targetE0EEEvSS_, .Lfunc_end833-_ZN7rocprim17ROCPRIM_400000_NS6detail17trampoline_kernelINS0_14default_configENS1_22reduce_config_selectorIiEEZNS1_11reduce_implILb1ES3_PiS7_iN6hipcub16HIPCUB_304000_NS6detail34convert_binary_result_type_wrapperINS9_3SumENS9_22TransformInputIteratorIbN2at6native12_GLOBAL__N_19NonZeroOpIN3c104HalfEEEPKSJ_lEEiEEEE10hipError_tPvRmT1_T2_T3_mT4_P12ihipStream_tbEUlT_E0_NS1_11comp_targetILNS1_3genE3ELNS1_11target_archE908ELNS1_3gpuE7ELNS1_3repE0EEENS1_30default_config_static_selectorELNS0_4arch9wavefront6targetE0EEEvSS_
                                        ; -- End function
	.section	.AMDGPU.csdata,"",@progbits
; Kernel info:
; codeLenInByte = 0
; NumSgprs: 0
; NumVgprs: 0
; ScratchSize: 0
; MemoryBound: 0
; FloatMode: 240
; IeeeMode: 1
; LDSByteSize: 0 bytes/workgroup (compile time only)
; SGPRBlocks: 0
; VGPRBlocks: 0
; NumSGPRsForWavesPerEU: 1
; NumVGPRsForWavesPerEU: 1
; Occupancy: 16
; WaveLimiterHint : 0
; COMPUTE_PGM_RSRC2:SCRATCH_EN: 0
; COMPUTE_PGM_RSRC2:USER_SGPR: 15
; COMPUTE_PGM_RSRC2:TRAP_HANDLER: 0
; COMPUTE_PGM_RSRC2:TGID_X_EN: 1
; COMPUTE_PGM_RSRC2:TGID_Y_EN: 0
; COMPUTE_PGM_RSRC2:TGID_Z_EN: 0
; COMPUTE_PGM_RSRC2:TIDIG_COMP_CNT: 0
	.section	.text._ZN7rocprim17ROCPRIM_400000_NS6detail17trampoline_kernelINS0_14default_configENS1_22reduce_config_selectorIiEEZNS1_11reduce_implILb1ES3_PiS7_iN6hipcub16HIPCUB_304000_NS6detail34convert_binary_result_type_wrapperINS9_3SumENS9_22TransformInputIteratorIbN2at6native12_GLOBAL__N_19NonZeroOpIN3c104HalfEEEPKSJ_lEEiEEEE10hipError_tPvRmT1_T2_T3_mT4_P12ihipStream_tbEUlT_E0_NS1_11comp_targetILNS1_3genE2ELNS1_11target_archE906ELNS1_3gpuE6ELNS1_3repE0EEENS1_30default_config_static_selectorELNS0_4arch9wavefront6targetE0EEEvSS_,"axG",@progbits,_ZN7rocprim17ROCPRIM_400000_NS6detail17trampoline_kernelINS0_14default_configENS1_22reduce_config_selectorIiEEZNS1_11reduce_implILb1ES3_PiS7_iN6hipcub16HIPCUB_304000_NS6detail34convert_binary_result_type_wrapperINS9_3SumENS9_22TransformInputIteratorIbN2at6native12_GLOBAL__N_19NonZeroOpIN3c104HalfEEEPKSJ_lEEiEEEE10hipError_tPvRmT1_T2_T3_mT4_P12ihipStream_tbEUlT_E0_NS1_11comp_targetILNS1_3genE2ELNS1_11target_archE906ELNS1_3gpuE6ELNS1_3repE0EEENS1_30default_config_static_selectorELNS0_4arch9wavefront6targetE0EEEvSS_,comdat
	.globl	_ZN7rocprim17ROCPRIM_400000_NS6detail17trampoline_kernelINS0_14default_configENS1_22reduce_config_selectorIiEEZNS1_11reduce_implILb1ES3_PiS7_iN6hipcub16HIPCUB_304000_NS6detail34convert_binary_result_type_wrapperINS9_3SumENS9_22TransformInputIteratorIbN2at6native12_GLOBAL__N_19NonZeroOpIN3c104HalfEEEPKSJ_lEEiEEEE10hipError_tPvRmT1_T2_T3_mT4_P12ihipStream_tbEUlT_E0_NS1_11comp_targetILNS1_3genE2ELNS1_11target_archE906ELNS1_3gpuE6ELNS1_3repE0EEENS1_30default_config_static_selectorELNS0_4arch9wavefront6targetE0EEEvSS_ ; -- Begin function _ZN7rocprim17ROCPRIM_400000_NS6detail17trampoline_kernelINS0_14default_configENS1_22reduce_config_selectorIiEEZNS1_11reduce_implILb1ES3_PiS7_iN6hipcub16HIPCUB_304000_NS6detail34convert_binary_result_type_wrapperINS9_3SumENS9_22TransformInputIteratorIbN2at6native12_GLOBAL__N_19NonZeroOpIN3c104HalfEEEPKSJ_lEEiEEEE10hipError_tPvRmT1_T2_T3_mT4_P12ihipStream_tbEUlT_E0_NS1_11comp_targetILNS1_3genE2ELNS1_11target_archE906ELNS1_3gpuE6ELNS1_3repE0EEENS1_30default_config_static_selectorELNS0_4arch9wavefront6targetE0EEEvSS_
	.p2align	8
	.type	_ZN7rocprim17ROCPRIM_400000_NS6detail17trampoline_kernelINS0_14default_configENS1_22reduce_config_selectorIiEEZNS1_11reduce_implILb1ES3_PiS7_iN6hipcub16HIPCUB_304000_NS6detail34convert_binary_result_type_wrapperINS9_3SumENS9_22TransformInputIteratorIbN2at6native12_GLOBAL__N_19NonZeroOpIN3c104HalfEEEPKSJ_lEEiEEEE10hipError_tPvRmT1_T2_T3_mT4_P12ihipStream_tbEUlT_E0_NS1_11comp_targetILNS1_3genE2ELNS1_11target_archE906ELNS1_3gpuE6ELNS1_3repE0EEENS1_30default_config_static_selectorELNS0_4arch9wavefront6targetE0EEEvSS_,@function
_ZN7rocprim17ROCPRIM_400000_NS6detail17trampoline_kernelINS0_14default_configENS1_22reduce_config_selectorIiEEZNS1_11reduce_implILb1ES3_PiS7_iN6hipcub16HIPCUB_304000_NS6detail34convert_binary_result_type_wrapperINS9_3SumENS9_22TransformInputIteratorIbN2at6native12_GLOBAL__N_19NonZeroOpIN3c104HalfEEEPKSJ_lEEiEEEE10hipError_tPvRmT1_T2_T3_mT4_P12ihipStream_tbEUlT_E0_NS1_11comp_targetILNS1_3genE2ELNS1_11target_archE906ELNS1_3gpuE6ELNS1_3repE0EEENS1_30default_config_static_selectorELNS0_4arch9wavefront6targetE0EEEvSS_: ; @_ZN7rocprim17ROCPRIM_400000_NS6detail17trampoline_kernelINS0_14default_configENS1_22reduce_config_selectorIiEEZNS1_11reduce_implILb1ES3_PiS7_iN6hipcub16HIPCUB_304000_NS6detail34convert_binary_result_type_wrapperINS9_3SumENS9_22TransformInputIteratorIbN2at6native12_GLOBAL__N_19NonZeroOpIN3c104HalfEEEPKSJ_lEEiEEEE10hipError_tPvRmT1_T2_T3_mT4_P12ihipStream_tbEUlT_E0_NS1_11comp_targetILNS1_3genE2ELNS1_11target_archE906ELNS1_3gpuE6ELNS1_3repE0EEENS1_30default_config_static_selectorELNS0_4arch9wavefront6targetE0EEEvSS_
; %bb.0:
	.section	.rodata,"a",@progbits
	.p2align	6, 0x0
	.amdhsa_kernel _ZN7rocprim17ROCPRIM_400000_NS6detail17trampoline_kernelINS0_14default_configENS1_22reduce_config_selectorIiEEZNS1_11reduce_implILb1ES3_PiS7_iN6hipcub16HIPCUB_304000_NS6detail34convert_binary_result_type_wrapperINS9_3SumENS9_22TransformInputIteratorIbN2at6native12_GLOBAL__N_19NonZeroOpIN3c104HalfEEEPKSJ_lEEiEEEE10hipError_tPvRmT1_T2_T3_mT4_P12ihipStream_tbEUlT_E0_NS1_11comp_targetILNS1_3genE2ELNS1_11target_archE906ELNS1_3gpuE6ELNS1_3repE0EEENS1_30default_config_static_selectorELNS0_4arch9wavefront6targetE0EEEvSS_
		.amdhsa_group_segment_fixed_size 0
		.amdhsa_private_segment_fixed_size 0
		.amdhsa_kernarg_size 56
		.amdhsa_user_sgpr_count 15
		.amdhsa_user_sgpr_dispatch_ptr 0
		.amdhsa_user_sgpr_queue_ptr 0
		.amdhsa_user_sgpr_kernarg_segment_ptr 1
		.amdhsa_user_sgpr_dispatch_id 0
		.amdhsa_user_sgpr_private_segment_size 0
		.amdhsa_wavefront_size32 1
		.amdhsa_uses_dynamic_stack 0
		.amdhsa_enable_private_segment 0
		.amdhsa_system_sgpr_workgroup_id_x 1
		.amdhsa_system_sgpr_workgroup_id_y 0
		.amdhsa_system_sgpr_workgroup_id_z 0
		.amdhsa_system_sgpr_workgroup_info 0
		.amdhsa_system_vgpr_workitem_id 0
		.amdhsa_next_free_vgpr 1
		.amdhsa_next_free_sgpr 1
		.amdhsa_reserve_vcc 0
		.amdhsa_float_round_mode_32 0
		.amdhsa_float_round_mode_16_64 0
		.amdhsa_float_denorm_mode_32 3
		.amdhsa_float_denorm_mode_16_64 3
		.amdhsa_dx10_clamp 1
		.amdhsa_ieee_mode 1
		.amdhsa_fp16_overflow 0
		.amdhsa_workgroup_processor_mode 1
		.amdhsa_memory_ordered 1
		.amdhsa_forward_progress 0
		.amdhsa_shared_vgpr_count 0
		.amdhsa_exception_fp_ieee_invalid_op 0
		.amdhsa_exception_fp_denorm_src 0
		.amdhsa_exception_fp_ieee_div_zero 0
		.amdhsa_exception_fp_ieee_overflow 0
		.amdhsa_exception_fp_ieee_underflow 0
		.amdhsa_exception_fp_ieee_inexact 0
		.amdhsa_exception_int_div_zero 0
	.end_amdhsa_kernel
	.section	.text._ZN7rocprim17ROCPRIM_400000_NS6detail17trampoline_kernelINS0_14default_configENS1_22reduce_config_selectorIiEEZNS1_11reduce_implILb1ES3_PiS7_iN6hipcub16HIPCUB_304000_NS6detail34convert_binary_result_type_wrapperINS9_3SumENS9_22TransformInputIteratorIbN2at6native12_GLOBAL__N_19NonZeroOpIN3c104HalfEEEPKSJ_lEEiEEEE10hipError_tPvRmT1_T2_T3_mT4_P12ihipStream_tbEUlT_E0_NS1_11comp_targetILNS1_3genE2ELNS1_11target_archE906ELNS1_3gpuE6ELNS1_3repE0EEENS1_30default_config_static_selectorELNS0_4arch9wavefront6targetE0EEEvSS_,"axG",@progbits,_ZN7rocprim17ROCPRIM_400000_NS6detail17trampoline_kernelINS0_14default_configENS1_22reduce_config_selectorIiEEZNS1_11reduce_implILb1ES3_PiS7_iN6hipcub16HIPCUB_304000_NS6detail34convert_binary_result_type_wrapperINS9_3SumENS9_22TransformInputIteratorIbN2at6native12_GLOBAL__N_19NonZeroOpIN3c104HalfEEEPKSJ_lEEiEEEE10hipError_tPvRmT1_T2_T3_mT4_P12ihipStream_tbEUlT_E0_NS1_11comp_targetILNS1_3genE2ELNS1_11target_archE906ELNS1_3gpuE6ELNS1_3repE0EEENS1_30default_config_static_selectorELNS0_4arch9wavefront6targetE0EEEvSS_,comdat
.Lfunc_end834:
	.size	_ZN7rocprim17ROCPRIM_400000_NS6detail17trampoline_kernelINS0_14default_configENS1_22reduce_config_selectorIiEEZNS1_11reduce_implILb1ES3_PiS7_iN6hipcub16HIPCUB_304000_NS6detail34convert_binary_result_type_wrapperINS9_3SumENS9_22TransformInputIteratorIbN2at6native12_GLOBAL__N_19NonZeroOpIN3c104HalfEEEPKSJ_lEEiEEEE10hipError_tPvRmT1_T2_T3_mT4_P12ihipStream_tbEUlT_E0_NS1_11comp_targetILNS1_3genE2ELNS1_11target_archE906ELNS1_3gpuE6ELNS1_3repE0EEENS1_30default_config_static_selectorELNS0_4arch9wavefront6targetE0EEEvSS_, .Lfunc_end834-_ZN7rocprim17ROCPRIM_400000_NS6detail17trampoline_kernelINS0_14default_configENS1_22reduce_config_selectorIiEEZNS1_11reduce_implILb1ES3_PiS7_iN6hipcub16HIPCUB_304000_NS6detail34convert_binary_result_type_wrapperINS9_3SumENS9_22TransformInputIteratorIbN2at6native12_GLOBAL__N_19NonZeroOpIN3c104HalfEEEPKSJ_lEEiEEEE10hipError_tPvRmT1_T2_T3_mT4_P12ihipStream_tbEUlT_E0_NS1_11comp_targetILNS1_3genE2ELNS1_11target_archE906ELNS1_3gpuE6ELNS1_3repE0EEENS1_30default_config_static_selectorELNS0_4arch9wavefront6targetE0EEEvSS_
                                        ; -- End function
	.section	.AMDGPU.csdata,"",@progbits
; Kernel info:
; codeLenInByte = 0
; NumSgprs: 0
; NumVgprs: 0
; ScratchSize: 0
; MemoryBound: 0
; FloatMode: 240
; IeeeMode: 1
; LDSByteSize: 0 bytes/workgroup (compile time only)
; SGPRBlocks: 0
; VGPRBlocks: 0
; NumSGPRsForWavesPerEU: 1
; NumVGPRsForWavesPerEU: 1
; Occupancy: 16
; WaveLimiterHint : 0
; COMPUTE_PGM_RSRC2:SCRATCH_EN: 0
; COMPUTE_PGM_RSRC2:USER_SGPR: 15
; COMPUTE_PGM_RSRC2:TRAP_HANDLER: 0
; COMPUTE_PGM_RSRC2:TGID_X_EN: 1
; COMPUTE_PGM_RSRC2:TGID_Y_EN: 0
; COMPUTE_PGM_RSRC2:TGID_Z_EN: 0
; COMPUTE_PGM_RSRC2:TIDIG_COMP_CNT: 0
	.section	.text._ZN7rocprim17ROCPRIM_400000_NS6detail17trampoline_kernelINS0_14default_configENS1_22reduce_config_selectorIiEEZNS1_11reduce_implILb1ES3_PiS7_iN6hipcub16HIPCUB_304000_NS6detail34convert_binary_result_type_wrapperINS9_3SumENS9_22TransformInputIteratorIbN2at6native12_GLOBAL__N_19NonZeroOpIN3c104HalfEEEPKSJ_lEEiEEEE10hipError_tPvRmT1_T2_T3_mT4_P12ihipStream_tbEUlT_E0_NS1_11comp_targetILNS1_3genE10ELNS1_11target_archE1201ELNS1_3gpuE5ELNS1_3repE0EEENS1_30default_config_static_selectorELNS0_4arch9wavefront6targetE0EEEvSS_,"axG",@progbits,_ZN7rocprim17ROCPRIM_400000_NS6detail17trampoline_kernelINS0_14default_configENS1_22reduce_config_selectorIiEEZNS1_11reduce_implILb1ES3_PiS7_iN6hipcub16HIPCUB_304000_NS6detail34convert_binary_result_type_wrapperINS9_3SumENS9_22TransformInputIteratorIbN2at6native12_GLOBAL__N_19NonZeroOpIN3c104HalfEEEPKSJ_lEEiEEEE10hipError_tPvRmT1_T2_T3_mT4_P12ihipStream_tbEUlT_E0_NS1_11comp_targetILNS1_3genE10ELNS1_11target_archE1201ELNS1_3gpuE5ELNS1_3repE0EEENS1_30default_config_static_selectorELNS0_4arch9wavefront6targetE0EEEvSS_,comdat
	.globl	_ZN7rocprim17ROCPRIM_400000_NS6detail17trampoline_kernelINS0_14default_configENS1_22reduce_config_selectorIiEEZNS1_11reduce_implILb1ES3_PiS7_iN6hipcub16HIPCUB_304000_NS6detail34convert_binary_result_type_wrapperINS9_3SumENS9_22TransformInputIteratorIbN2at6native12_GLOBAL__N_19NonZeroOpIN3c104HalfEEEPKSJ_lEEiEEEE10hipError_tPvRmT1_T2_T3_mT4_P12ihipStream_tbEUlT_E0_NS1_11comp_targetILNS1_3genE10ELNS1_11target_archE1201ELNS1_3gpuE5ELNS1_3repE0EEENS1_30default_config_static_selectorELNS0_4arch9wavefront6targetE0EEEvSS_ ; -- Begin function _ZN7rocprim17ROCPRIM_400000_NS6detail17trampoline_kernelINS0_14default_configENS1_22reduce_config_selectorIiEEZNS1_11reduce_implILb1ES3_PiS7_iN6hipcub16HIPCUB_304000_NS6detail34convert_binary_result_type_wrapperINS9_3SumENS9_22TransformInputIteratorIbN2at6native12_GLOBAL__N_19NonZeroOpIN3c104HalfEEEPKSJ_lEEiEEEE10hipError_tPvRmT1_T2_T3_mT4_P12ihipStream_tbEUlT_E0_NS1_11comp_targetILNS1_3genE10ELNS1_11target_archE1201ELNS1_3gpuE5ELNS1_3repE0EEENS1_30default_config_static_selectorELNS0_4arch9wavefront6targetE0EEEvSS_
	.p2align	8
	.type	_ZN7rocprim17ROCPRIM_400000_NS6detail17trampoline_kernelINS0_14default_configENS1_22reduce_config_selectorIiEEZNS1_11reduce_implILb1ES3_PiS7_iN6hipcub16HIPCUB_304000_NS6detail34convert_binary_result_type_wrapperINS9_3SumENS9_22TransformInputIteratorIbN2at6native12_GLOBAL__N_19NonZeroOpIN3c104HalfEEEPKSJ_lEEiEEEE10hipError_tPvRmT1_T2_T3_mT4_P12ihipStream_tbEUlT_E0_NS1_11comp_targetILNS1_3genE10ELNS1_11target_archE1201ELNS1_3gpuE5ELNS1_3repE0EEENS1_30default_config_static_selectorELNS0_4arch9wavefront6targetE0EEEvSS_,@function
_ZN7rocprim17ROCPRIM_400000_NS6detail17trampoline_kernelINS0_14default_configENS1_22reduce_config_selectorIiEEZNS1_11reduce_implILb1ES3_PiS7_iN6hipcub16HIPCUB_304000_NS6detail34convert_binary_result_type_wrapperINS9_3SumENS9_22TransformInputIteratorIbN2at6native12_GLOBAL__N_19NonZeroOpIN3c104HalfEEEPKSJ_lEEiEEEE10hipError_tPvRmT1_T2_T3_mT4_P12ihipStream_tbEUlT_E0_NS1_11comp_targetILNS1_3genE10ELNS1_11target_archE1201ELNS1_3gpuE5ELNS1_3repE0EEENS1_30default_config_static_selectorELNS0_4arch9wavefront6targetE0EEEvSS_: ; @_ZN7rocprim17ROCPRIM_400000_NS6detail17trampoline_kernelINS0_14default_configENS1_22reduce_config_selectorIiEEZNS1_11reduce_implILb1ES3_PiS7_iN6hipcub16HIPCUB_304000_NS6detail34convert_binary_result_type_wrapperINS9_3SumENS9_22TransformInputIteratorIbN2at6native12_GLOBAL__N_19NonZeroOpIN3c104HalfEEEPKSJ_lEEiEEEE10hipError_tPvRmT1_T2_T3_mT4_P12ihipStream_tbEUlT_E0_NS1_11comp_targetILNS1_3genE10ELNS1_11target_archE1201ELNS1_3gpuE5ELNS1_3repE0EEENS1_30default_config_static_selectorELNS0_4arch9wavefront6targetE0EEEvSS_
; %bb.0:
	.section	.rodata,"a",@progbits
	.p2align	6, 0x0
	.amdhsa_kernel _ZN7rocprim17ROCPRIM_400000_NS6detail17trampoline_kernelINS0_14default_configENS1_22reduce_config_selectorIiEEZNS1_11reduce_implILb1ES3_PiS7_iN6hipcub16HIPCUB_304000_NS6detail34convert_binary_result_type_wrapperINS9_3SumENS9_22TransformInputIteratorIbN2at6native12_GLOBAL__N_19NonZeroOpIN3c104HalfEEEPKSJ_lEEiEEEE10hipError_tPvRmT1_T2_T3_mT4_P12ihipStream_tbEUlT_E0_NS1_11comp_targetILNS1_3genE10ELNS1_11target_archE1201ELNS1_3gpuE5ELNS1_3repE0EEENS1_30default_config_static_selectorELNS0_4arch9wavefront6targetE0EEEvSS_
		.amdhsa_group_segment_fixed_size 0
		.amdhsa_private_segment_fixed_size 0
		.amdhsa_kernarg_size 56
		.amdhsa_user_sgpr_count 15
		.amdhsa_user_sgpr_dispatch_ptr 0
		.amdhsa_user_sgpr_queue_ptr 0
		.amdhsa_user_sgpr_kernarg_segment_ptr 1
		.amdhsa_user_sgpr_dispatch_id 0
		.amdhsa_user_sgpr_private_segment_size 0
		.amdhsa_wavefront_size32 1
		.amdhsa_uses_dynamic_stack 0
		.amdhsa_enable_private_segment 0
		.amdhsa_system_sgpr_workgroup_id_x 1
		.amdhsa_system_sgpr_workgroup_id_y 0
		.amdhsa_system_sgpr_workgroup_id_z 0
		.amdhsa_system_sgpr_workgroup_info 0
		.amdhsa_system_vgpr_workitem_id 0
		.amdhsa_next_free_vgpr 1
		.amdhsa_next_free_sgpr 1
		.amdhsa_reserve_vcc 0
		.amdhsa_float_round_mode_32 0
		.amdhsa_float_round_mode_16_64 0
		.amdhsa_float_denorm_mode_32 3
		.amdhsa_float_denorm_mode_16_64 3
		.amdhsa_dx10_clamp 1
		.amdhsa_ieee_mode 1
		.amdhsa_fp16_overflow 0
		.amdhsa_workgroup_processor_mode 1
		.amdhsa_memory_ordered 1
		.amdhsa_forward_progress 0
		.amdhsa_shared_vgpr_count 0
		.amdhsa_exception_fp_ieee_invalid_op 0
		.amdhsa_exception_fp_denorm_src 0
		.amdhsa_exception_fp_ieee_div_zero 0
		.amdhsa_exception_fp_ieee_overflow 0
		.amdhsa_exception_fp_ieee_underflow 0
		.amdhsa_exception_fp_ieee_inexact 0
		.amdhsa_exception_int_div_zero 0
	.end_amdhsa_kernel
	.section	.text._ZN7rocprim17ROCPRIM_400000_NS6detail17trampoline_kernelINS0_14default_configENS1_22reduce_config_selectorIiEEZNS1_11reduce_implILb1ES3_PiS7_iN6hipcub16HIPCUB_304000_NS6detail34convert_binary_result_type_wrapperINS9_3SumENS9_22TransformInputIteratorIbN2at6native12_GLOBAL__N_19NonZeroOpIN3c104HalfEEEPKSJ_lEEiEEEE10hipError_tPvRmT1_T2_T3_mT4_P12ihipStream_tbEUlT_E0_NS1_11comp_targetILNS1_3genE10ELNS1_11target_archE1201ELNS1_3gpuE5ELNS1_3repE0EEENS1_30default_config_static_selectorELNS0_4arch9wavefront6targetE0EEEvSS_,"axG",@progbits,_ZN7rocprim17ROCPRIM_400000_NS6detail17trampoline_kernelINS0_14default_configENS1_22reduce_config_selectorIiEEZNS1_11reduce_implILb1ES3_PiS7_iN6hipcub16HIPCUB_304000_NS6detail34convert_binary_result_type_wrapperINS9_3SumENS9_22TransformInputIteratorIbN2at6native12_GLOBAL__N_19NonZeroOpIN3c104HalfEEEPKSJ_lEEiEEEE10hipError_tPvRmT1_T2_T3_mT4_P12ihipStream_tbEUlT_E0_NS1_11comp_targetILNS1_3genE10ELNS1_11target_archE1201ELNS1_3gpuE5ELNS1_3repE0EEENS1_30default_config_static_selectorELNS0_4arch9wavefront6targetE0EEEvSS_,comdat
.Lfunc_end835:
	.size	_ZN7rocprim17ROCPRIM_400000_NS6detail17trampoline_kernelINS0_14default_configENS1_22reduce_config_selectorIiEEZNS1_11reduce_implILb1ES3_PiS7_iN6hipcub16HIPCUB_304000_NS6detail34convert_binary_result_type_wrapperINS9_3SumENS9_22TransformInputIteratorIbN2at6native12_GLOBAL__N_19NonZeroOpIN3c104HalfEEEPKSJ_lEEiEEEE10hipError_tPvRmT1_T2_T3_mT4_P12ihipStream_tbEUlT_E0_NS1_11comp_targetILNS1_3genE10ELNS1_11target_archE1201ELNS1_3gpuE5ELNS1_3repE0EEENS1_30default_config_static_selectorELNS0_4arch9wavefront6targetE0EEEvSS_, .Lfunc_end835-_ZN7rocprim17ROCPRIM_400000_NS6detail17trampoline_kernelINS0_14default_configENS1_22reduce_config_selectorIiEEZNS1_11reduce_implILb1ES3_PiS7_iN6hipcub16HIPCUB_304000_NS6detail34convert_binary_result_type_wrapperINS9_3SumENS9_22TransformInputIteratorIbN2at6native12_GLOBAL__N_19NonZeroOpIN3c104HalfEEEPKSJ_lEEiEEEE10hipError_tPvRmT1_T2_T3_mT4_P12ihipStream_tbEUlT_E0_NS1_11comp_targetILNS1_3genE10ELNS1_11target_archE1201ELNS1_3gpuE5ELNS1_3repE0EEENS1_30default_config_static_selectorELNS0_4arch9wavefront6targetE0EEEvSS_
                                        ; -- End function
	.section	.AMDGPU.csdata,"",@progbits
; Kernel info:
; codeLenInByte = 0
; NumSgprs: 0
; NumVgprs: 0
; ScratchSize: 0
; MemoryBound: 0
; FloatMode: 240
; IeeeMode: 1
; LDSByteSize: 0 bytes/workgroup (compile time only)
; SGPRBlocks: 0
; VGPRBlocks: 0
; NumSGPRsForWavesPerEU: 1
; NumVGPRsForWavesPerEU: 1
; Occupancy: 16
; WaveLimiterHint : 0
; COMPUTE_PGM_RSRC2:SCRATCH_EN: 0
; COMPUTE_PGM_RSRC2:USER_SGPR: 15
; COMPUTE_PGM_RSRC2:TRAP_HANDLER: 0
; COMPUTE_PGM_RSRC2:TGID_X_EN: 1
; COMPUTE_PGM_RSRC2:TGID_Y_EN: 0
; COMPUTE_PGM_RSRC2:TGID_Z_EN: 0
; COMPUTE_PGM_RSRC2:TIDIG_COMP_CNT: 0
	.section	.text._ZN7rocprim17ROCPRIM_400000_NS6detail17trampoline_kernelINS0_14default_configENS1_22reduce_config_selectorIiEEZNS1_11reduce_implILb1ES3_PiS7_iN6hipcub16HIPCUB_304000_NS6detail34convert_binary_result_type_wrapperINS9_3SumENS9_22TransformInputIteratorIbN2at6native12_GLOBAL__N_19NonZeroOpIN3c104HalfEEEPKSJ_lEEiEEEE10hipError_tPvRmT1_T2_T3_mT4_P12ihipStream_tbEUlT_E0_NS1_11comp_targetILNS1_3genE10ELNS1_11target_archE1200ELNS1_3gpuE4ELNS1_3repE0EEENS1_30default_config_static_selectorELNS0_4arch9wavefront6targetE0EEEvSS_,"axG",@progbits,_ZN7rocprim17ROCPRIM_400000_NS6detail17trampoline_kernelINS0_14default_configENS1_22reduce_config_selectorIiEEZNS1_11reduce_implILb1ES3_PiS7_iN6hipcub16HIPCUB_304000_NS6detail34convert_binary_result_type_wrapperINS9_3SumENS9_22TransformInputIteratorIbN2at6native12_GLOBAL__N_19NonZeroOpIN3c104HalfEEEPKSJ_lEEiEEEE10hipError_tPvRmT1_T2_T3_mT4_P12ihipStream_tbEUlT_E0_NS1_11comp_targetILNS1_3genE10ELNS1_11target_archE1200ELNS1_3gpuE4ELNS1_3repE0EEENS1_30default_config_static_selectorELNS0_4arch9wavefront6targetE0EEEvSS_,comdat
	.globl	_ZN7rocprim17ROCPRIM_400000_NS6detail17trampoline_kernelINS0_14default_configENS1_22reduce_config_selectorIiEEZNS1_11reduce_implILb1ES3_PiS7_iN6hipcub16HIPCUB_304000_NS6detail34convert_binary_result_type_wrapperINS9_3SumENS9_22TransformInputIteratorIbN2at6native12_GLOBAL__N_19NonZeroOpIN3c104HalfEEEPKSJ_lEEiEEEE10hipError_tPvRmT1_T2_T3_mT4_P12ihipStream_tbEUlT_E0_NS1_11comp_targetILNS1_3genE10ELNS1_11target_archE1200ELNS1_3gpuE4ELNS1_3repE0EEENS1_30default_config_static_selectorELNS0_4arch9wavefront6targetE0EEEvSS_ ; -- Begin function _ZN7rocprim17ROCPRIM_400000_NS6detail17trampoline_kernelINS0_14default_configENS1_22reduce_config_selectorIiEEZNS1_11reduce_implILb1ES3_PiS7_iN6hipcub16HIPCUB_304000_NS6detail34convert_binary_result_type_wrapperINS9_3SumENS9_22TransformInputIteratorIbN2at6native12_GLOBAL__N_19NonZeroOpIN3c104HalfEEEPKSJ_lEEiEEEE10hipError_tPvRmT1_T2_T3_mT4_P12ihipStream_tbEUlT_E0_NS1_11comp_targetILNS1_3genE10ELNS1_11target_archE1200ELNS1_3gpuE4ELNS1_3repE0EEENS1_30default_config_static_selectorELNS0_4arch9wavefront6targetE0EEEvSS_
	.p2align	8
	.type	_ZN7rocprim17ROCPRIM_400000_NS6detail17trampoline_kernelINS0_14default_configENS1_22reduce_config_selectorIiEEZNS1_11reduce_implILb1ES3_PiS7_iN6hipcub16HIPCUB_304000_NS6detail34convert_binary_result_type_wrapperINS9_3SumENS9_22TransformInputIteratorIbN2at6native12_GLOBAL__N_19NonZeroOpIN3c104HalfEEEPKSJ_lEEiEEEE10hipError_tPvRmT1_T2_T3_mT4_P12ihipStream_tbEUlT_E0_NS1_11comp_targetILNS1_3genE10ELNS1_11target_archE1200ELNS1_3gpuE4ELNS1_3repE0EEENS1_30default_config_static_selectorELNS0_4arch9wavefront6targetE0EEEvSS_,@function
_ZN7rocprim17ROCPRIM_400000_NS6detail17trampoline_kernelINS0_14default_configENS1_22reduce_config_selectorIiEEZNS1_11reduce_implILb1ES3_PiS7_iN6hipcub16HIPCUB_304000_NS6detail34convert_binary_result_type_wrapperINS9_3SumENS9_22TransformInputIteratorIbN2at6native12_GLOBAL__N_19NonZeroOpIN3c104HalfEEEPKSJ_lEEiEEEE10hipError_tPvRmT1_T2_T3_mT4_P12ihipStream_tbEUlT_E0_NS1_11comp_targetILNS1_3genE10ELNS1_11target_archE1200ELNS1_3gpuE4ELNS1_3repE0EEENS1_30default_config_static_selectorELNS0_4arch9wavefront6targetE0EEEvSS_: ; @_ZN7rocprim17ROCPRIM_400000_NS6detail17trampoline_kernelINS0_14default_configENS1_22reduce_config_selectorIiEEZNS1_11reduce_implILb1ES3_PiS7_iN6hipcub16HIPCUB_304000_NS6detail34convert_binary_result_type_wrapperINS9_3SumENS9_22TransformInputIteratorIbN2at6native12_GLOBAL__N_19NonZeroOpIN3c104HalfEEEPKSJ_lEEiEEEE10hipError_tPvRmT1_T2_T3_mT4_P12ihipStream_tbEUlT_E0_NS1_11comp_targetILNS1_3genE10ELNS1_11target_archE1200ELNS1_3gpuE4ELNS1_3repE0EEENS1_30default_config_static_selectorELNS0_4arch9wavefront6targetE0EEEvSS_
; %bb.0:
	.section	.rodata,"a",@progbits
	.p2align	6, 0x0
	.amdhsa_kernel _ZN7rocprim17ROCPRIM_400000_NS6detail17trampoline_kernelINS0_14default_configENS1_22reduce_config_selectorIiEEZNS1_11reduce_implILb1ES3_PiS7_iN6hipcub16HIPCUB_304000_NS6detail34convert_binary_result_type_wrapperINS9_3SumENS9_22TransformInputIteratorIbN2at6native12_GLOBAL__N_19NonZeroOpIN3c104HalfEEEPKSJ_lEEiEEEE10hipError_tPvRmT1_T2_T3_mT4_P12ihipStream_tbEUlT_E0_NS1_11comp_targetILNS1_3genE10ELNS1_11target_archE1200ELNS1_3gpuE4ELNS1_3repE0EEENS1_30default_config_static_selectorELNS0_4arch9wavefront6targetE0EEEvSS_
		.amdhsa_group_segment_fixed_size 0
		.amdhsa_private_segment_fixed_size 0
		.amdhsa_kernarg_size 56
		.amdhsa_user_sgpr_count 15
		.amdhsa_user_sgpr_dispatch_ptr 0
		.amdhsa_user_sgpr_queue_ptr 0
		.amdhsa_user_sgpr_kernarg_segment_ptr 1
		.amdhsa_user_sgpr_dispatch_id 0
		.amdhsa_user_sgpr_private_segment_size 0
		.amdhsa_wavefront_size32 1
		.amdhsa_uses_dynamic_stack 0
		.amdhsa_enable_private_segment 0
		.amdhsa_system_sgpr_workgroup_id_x 1
		.amdhsa_system_sgpr_workgroup_id_y 0
		.amdhsa_system_sgpr_workgroup_id_z 0
		.amdhsa_system_sgpr_workgroup_info 0
		.amdhsa_system_vgpr_workitem_id 0
		.amdhsa_next_free_vgpr 1
		.amdhsa_next_free_sgpr 1
		.amdhsa_reserve_vcc 0
		.amdhsa_float_round_mode_32 0
		.amdhsa_float_round_mode_16_64 0
		.amdhsa_float_denorm_mode_32 3
		.amdhsa_float_denorm_mode_16_64 3
		.amdhsa_dx10_clamp 1
		.amdhsa_ieee_mode 1
		.amdhsa_fp16_overflow 0
		.amdhsa_workgroup_processor_mode 1
		.amdhsa_memory_ordered 1
		.amdhsa_forward_progress 0
		.amdhsa_shared_vgpr_count 0
		.amdhsa_exception_fp_ieee_invalid_op 0
		.amdhsa_exception_fp_denorm_src 0
		.amdhsa_exception_fp_ieee_div_zero 0
		.amdhsa_exception_fp_ieee_overflow 0
		.amdhsa_exception_fp_ieee_underflow 0
		.amdhsa_exception_fp_ieee_inexact 0
		.amdhsa_exception_int_div_zero 0
	.end_amdhsa_kernel
	.section	.text._ZN7rocprim17ROCPRIM_400000_NS6detail17trampoline_kernelINS0_14default_configENS1_22reduce_config_selectorIiEEZNS1_11reduce_implILb1ES3_PiS7_iN6hipcub16HIPCUB_304000_NS6detail34convert_binary_result_type_wrapperINS9_3SumENS9_22TransformInputIteratorIbN2at6native12_GLOBAL__N_19NonZeroOpIN3c104HalfEEEPKSJ_lEEiEEEE10hipError_tPvRmT1_T2_T3_mT4_P12ihipStream_tbEUlT_E0_NS1_11comp_targetILNS1_3genE10ELNS1_11target_archE1200ELNS1_3gpuE4ELNS1_3repE0EEENS1_30default_config_static_selectorELNS0_4arch9wavefront6targetE0EEEvSS_,"axG",@progbits,_ZN7rocprim17ROCPRIM_400000_NS6detail17trampoline_kernelINS0_14default_configENS1_22reduce_config_selectorIiEEZNS1_11reduce_implILb1ES3_PiS7_iN6hipcub16HIPCUB_304000_NS6detail34convert_binary_result_type_wrapperINS9_3SumENS9_22TransformInputIteratorIbN2at6native12_GLOBAL__N_19NonZeroOpIN3c104HalfEEEPKSJ_lEEiEEEE10hipError_tPvRmT1_T2_T3_mT4_P12ihipStream_tbEUlT_E0_NS1_11comp_targetILNS1_3genE10ELNS1_11target_archE1200ELNS1_3gpuE4ELNS1_3repE0EEENS1_30default_config_static_selectorELNS0_4arch9wavefront6targetE0EEEvSS_,comdat
.Lfunc_end836:
	.size	_ZN7rocprim17ROCPRIM_400000_NS6detail17trampoline_kernelINS0_14default_configENS1_22reduce_config_selectorIiEEZNS1_11reduce_implILb1ES3_PiS7_iN6hipcub16HIPCUB_304000_NS6detail34convert_binary_result_type_wrapperINS9_3SumENS9_22TransformInputIteratorIbN2at6native12_GLOBAL__N_19NonZeroOpIN3c104HalfEEEPKSJ_lEEiEEEE10hipError_tPvRmT1_T2_T3_mT4_P12ihipStream_tbEUlT_E0_NS1_11comp_targetILNS1_3genE10ELNS1_11target_archE1200ELNS1_3gpuE4ELNS1_3repE0EEENS1_30default_config_static_selectorELNS0_4arch9wavefront6targetE0EEEvSS_, .Lfunc_end836-_ZN7rocprim17ROCPRIM_400000_NS6detail17trampoline_kernelINS0_14default_configENS1_22reduce_config_selectorIiEEZNS1_11reduce_implILb1ES3_PiS7_iN6hipcub16HIPCUB_304000_NS6detail34convert_binary_result_type_wrapperINS9_3SumENS9_22TransformInputIteratorIbN2at6native12_GLOBAL__N_19NonZeroOpIN3c104HalfEEEPKSJ_lEEiEEEE10hipError_tPvRmT1_T2_T3_mT4_P12ihipStream_tbEUlT_E0_NS1_11comp_targetILNS1_3genE10ELNS1_11target_archE1200ELNS1_3gpuE4ELNS1_3repE0EEENS1_30default_config_static_selectorELNS0_4arch9wavefront6targetE0EEEvSS_
                                        ; -- End function
	.section	.AMDGPU.csdata,"",@progbits
; Kernel info:
; codeLenInByte = 0
; NumSgprs: 0
; NumVgprs: 0
; ScratchSize: 0
; MemoryBound: 0
; FloatMode: 240
; IeeeMode: 1
; LDSByteSize: 0 bytes/workgroup (compile time only)
; SGPRBlocks: 0
; VGPRBlocks: 0
; NumSGPRsForWavesPerEU: 1
; NumVGPRsForWavesPerEU: 1
; Occupancy: 16
; WaveLimiterHint : 0
; COMPUTE_PGM_RSRC2:SCRATCH_EN: 0
; COMPUTE_PGM_RSRC2:USER_SGPR: 15
; COMPUTE_PGM_RSRC2:TRAP_HANDLER: 0
; COMPUTE_PGM_RSRC2:TGID_X_EN: 1
; COMPUTE_PGM_RSRC2:TGID_Y_EN: 0
; COMPUTE_PGM_RSRC2:TGID_Z_EN: 0
; COMPUTE_PGM_RSRC2:TIDIG_COMP_CNT: 0
	.section	.text._ZN7rocprim17ROCPRIM_400000_NS6detail17trampoline_kernelINS0_14default_configENS1_22reduce_config_selectorIiEEZNS1_11reduce_implILb1ES3_PiS7_iN6hipcub16HIPCUB_304000_NS6detail34convert_binary_result_type_wrapperINS9_3SumENS9_22TransformInputIteratorIbN2at6native12_GLOBAL__N_19NonZeroOpIN3c104HalfEEEPKSJ_lEEiEEEE10hipError_tPvRmT1_T2_T3_mT4_P12ihipStream_tbEUlT_E0_NS1_11comp_targetILNS1_3genE9ELNS1_11target_archE1100ELNS1_3gpuE3ELNS1_3repE0EEENS1_30default_config_static_selectorELNS0_4arch9wavefront6targetE0EEEvSS_,"axG",@progbits,_ZN7rocprim17ROCPRIM_400000_NS6detail17trampoline_kernelINS0_14default_configENS1_22reduce_config_selectorIiEEZNS1_11reduce_implILb1ES3_PiS7_iN6hipcub16HIPCUB_304000_NS6detail34convert_binary_result_type_wrapperINS9_3SumENS9_22TransformInputIteratorIbN2at6native12_GLOBAL__N_19NonZeroOpIN3c104HalfEEEPKSJ_lEEiEEEE10hipError_tPvRmT1_T2_T3_mT4_P12ihipStream_tbEUlT_E0_NS1_11comp_targetILNS1_3genE9ELNS1_11target_archE1100ELNS1_3gpuE3ELNS1_3repE0EEENS1_30default_config_static_selectorELNS0_4arch9wavefront6targetE0EEEvSS_,comdat
	.globl	_ZN7rocprim17ROCPRIM_400000_NS6detail17trampoline_kernelINS0_14default_configENS1_22reduce_config_selectorIiEEZNS1_11reduce_implILb1ES3_PiS7_iN6hipcub16HIPCUB_304000_NS6detail34convert_binary_result_type_wrapperINS9_3SumENS9_22TransformInputIteratorIbN2at6native12_GLOBAL__N_19NonZeroOpIN3c104HalfEEEPKSJ_lEEiEEEE10hipError_tPvRmT1_T2_T3_mT4_P12ihipStream_tbEUlT_E0_NS1_11comp_targetILNS1_3genE9ELNS1_11target_archE1100ELNS1_3gpuE3ELNS1_3repE0EEENS1_30default_config_static_selectorELNS0_4arch9wavefront6targetE0EEEvSS_ ; -- Begin function _ZN7rocprim17ROCPRIM_400000_NS6detail17trampoline_kernelINS0_14default_configENS1_22reduce_config_selectorIiEEZNS1_11reduce_implILb1ES3_PiS7_iN6hipcub16HIPCUB_304000_NS6detail34convert_binary_result_type_wrapperINS9_3SumENS9_22TransformInputIteratorIbN2at6native12_GLOBAL__N_19NonZeroOpIN3c104HalfEEEPKSJ_lEEiEEEE10hipError_tPvRmT1_T2_T3_mT4_P12ihipStream_tbEUlT_E0_NS1_11comp_targetILNS1_3genE9ELNS1_11target_archE1100ELNS1_3gpuE3ELNS1_3repE0EEENS1_30default_config_static_selectorELNS0_4arch9wavefront6targetE0EEEvSS_
	.p2align	8
	.type	_ZN7rocprim17ROCPRIM_400000_NS6detail17trampoline_kernelINS0_14default_configENS1_22reduce_config_selectorIiEEZNS1_11reduce_implILb1ES3_PiS7_iN6hipcub16HIPCUB_304000_NS6detail34convert_binary_result_type_wrapperINS9_3SumENS9_22TransformInputIteratorIbN2at6native12_GLOBAL__N_19NonZeroOpIN3c104HalfEEEPKSJ_lEEiEEEE10hipError_tPvRmT1_T2_T3_mT4_P12ihipStream_tbEUlT_E0_NS1_11comp_targetILNS1_3genE9ELNS1_11target_archE1100ELNS1_3gpuE3ELNS1_3repE0EEENS1_30default_config_static_selectorELNS0_4arch9wavefront6targetE0EEEvSS_,@function
_ZN7rocprim17ROCPRIM_400000_NS6detail17trampoline_kernelINS0_14default_configENS1_22reduce_config_selectorIiEEZNS1_11reduce_implILb1ES3_PiS7_iN6hipcub16HIPCUB_304000_NS6detail34convert_binary_result_type_wrapperINS9_3SumENS9_22TransformInputIteratorIbN2at6native12_GLOBAL__N_19NonZeroOpIN3c104HalfEEEPKSJ_lEEiEEEE10hipError_tPvRmT1_T2_T3_mT4_P12ihipStream_tbEUlT_E0_NS1_11comp_targetILNS1_3genE9ELNS1_11target_archE1100ELNS1_3gpuE3ELNS1_3repE0EEENS1_30default_config_static_selectorELNS0_4arch9wavefront6targetE0EEEvSS_: ; @_ZN7rocprim17ROCPRIM_400000_NS6detail17trampoline_kernelINS0_14default_configENS1_22reduce_config_selectorIiEEZNS1_11reduce_implILb1ES3_PiS7_iN6hipcub16HIPCUB_304000_NS6detail34convert_binary_result_type_wrapperINS9_3SumENS9_22TransformInputIteratorIbN2at6native12_GLOBAL__N_19NonZeroOpIN3c104HalfEEEPKSJ_lEEiEEEE10hipError_tPvRmT1_T2_T3_mT4_P12ihipStream_tbEUlT_E0_NS1_11comp_targetILNS1_3genE9ELNS1_11target_archE1100ELNS1_3gpuE3ELNS1_3repE0EEENS1_30default_config_static_selectorELNS0_4arch9wavefront6targetE0EEEvSS_
; %bb.0:
	s_mov_b32 s16, s15
	s_clause 0x1
	s_load_b256 s[4:11], s[0:1], 0x0
	s_load_b128 s[12:15], s[0:1], 0x20
	s_mov_b32 s3, 0
	v_lshlrev_b32_e32 v10, 2, v0
	v_mbcnt_lo_u32_b32 v9, -1, 0
	s_mov_b32 s17, s3
	s_waitcnt lgkmcnt(0)
	s_lshl_b64 s[6:7], s[6:7], 2
	s_delay_alu instid0(SALU_CYCLE_1) | instskip(SKIP_4) | instid1(SALU_CYCLE_1)
	s_add_u32 s18, s4, s6
	s_addc_u32 s19, s5, s7
	s_lshl_b32 s2, s16, 11
	s_lshr_b64 s[6:7], s[8:9], 11
	s_lshl_b64 s[4:5], s[2:3], 2
	s_add_u32 s18, s18, s4
	s_addc_u32 s19, s19, s5
	s_cmp_lg_u64 s[6:7], s[16:17]
	s_cbranch_scc0 .LBB837_6
; %bb.1:
	v_add_co_u32 v1, s3, s18, v10
	s_clause 0x1
	global_load_b32 v3, v10, s[18:19]
	global_load_b32 v4, v10, s[18:19] offset:1024
	v_add_co_ci_u32_e64 v2, null, s19, 0, s3
	v_add_co_u32 v1, vcc_lo, 0x1000, v1
	s_mov_b32 s3, exec_lo
	s_delay_alu instid0(VALU_DEP_2)
	v_add_co_ci_u32_e32 v2, vcc_lo, 0, v2, vcc_lo
	s_clause 0x5
	global_load_b32 v5, v10, s[18:19] offset:2048
	global_load_b32 v6, v10, s[18:19] offset:3072
	global_load_b32 v7, v[1:2], off
	global_load_b32 v8, v[1:2], off offset:1024
	global_load_b32 v11, v[1:2], off offset:2048
	;; [unrolled: 1-line block ×3, first 2 shown]
	s_waitcnt vmcnt(6)
	v_dual_mov_b32 v3, 0 :: v_dual_add_nc_u32 v2, v4, v3
	s_waitcnt vmcnt(4)
	s_delay_alu instid0(VALU_DEP_1) | instskip(SKIP_1) | instid1(VALU_DEP_1)
	v_add3_u32 v2, v2, v5, v6
	s_waitcnt vmcnt(2)
	v_add3_u32 v2, v2, v7, v8
	s_waitcnt vmcnt(0)
	s_delay_alu instid0(VALU_DEP_1) | instskip(NEXT) | instid1(VALU_DEP_1)
	v_add3_u32 v1, v2, v11, v1
	v_mov_b32_dpp v2, v1 quad_perm:[1,0,3,2] row_mask:0xf bank_mask:0xf
	s_delay_alu instid0(VALU_DEP_1) | instskip(NEXT) | instid1(VALU_DEP_1)
	v_add_nc_u32_e32 v1, v2, v1
	v_mov_b32_dpp v2, v1 quad_perm:[2,3,0,1] row_mask:0xf bank_mask:0xf
	s_delay_alu instid0(VALU_DEP_1) | instskip(NEXT) | instid1(VALU_DEP_1)
	v_add_nc_u32_e32 v1, v1, v2
	v_mov_b32_dpp v2, v1 row_ror:4 row_mask:0xf bank_mask:0xf
	s_delay_alu instid0(VALU_DEP_1) | instskip(NEXT) | instid1(VALU_DEP_1)
	v_add_nc_u32_e32 v1, v1, v2
	v_mov_b32_dpp v2, v1 row_ror:8 row_mask:0xf bank_mask:0xf
	s_delay_alu instid0(VALU_DEP_1)
	v_add_nc_u32_e32 v1, v1, v2
	ds_swizzle_b32 v2, v1 offset:swizzle(BROADCAST,32,15)
	s_waitcnt lgkmcnt(0)
	v_add_nc_u32_e32 v1, v1, v2
	ds_bpermute_b32 v1, v3, v1 offset:124
	v_cmpx_eq_u32_e32 0, v9
	s_cbranch_execz .LBB837_3
; %bb.2:
	v_lshrrev_b32_e32 v2, 3, v0
	s_delay_alu instid0(VALU_DEP_1)
	v_and_b32_e32 v2, 28, v2
	s_waitcnt lgkmcnt(0)
	ds_store_b32 v2, v1
.LBB837_3:
	s_or_b32 exec_lo, exec_lo, s3
	s_delay_alu instid0(SALU_CYCLE_1)
	s_mov_b32 s3, exec_lo
	s_waitcnt lgkmcnt(0)
	s_barrier
	buffer_gl0_inv
	v_cmpx_gt_u32_e32 32, v0
	s_cbranch_execz .LBB837_5
; %bb.4:
	v_and_b32_e32 v1, 7, v9
	s_delay_alu instid0(VALU_DEP_1) | instskip(SKIP_4) | instid1(VALU_DEP_2)
	v_lshlrev_b32_e32 v2, 2, v1
	v_cmp_ne_u32_e32 vcc_lo, 7, v1
	ds_load_b32 v2, v2
	v_add_co_ci_u32_e32 v3, vcc_lo, 0, v9, vcc_lo
	v_cmp_gt_u32_e32 vcc_lo, 6, v1
	v_lshlrev_b32_e32 v3, 2, v3
	v_cndmask_b32_e64 v4, 0, 1, vcc_lo
	v_cmp_gt_u32_e32 vcc_lo, 4, v1
	s_delay_alu instid0(VALU_DEP_2) | instskip(SKIP_1) | instid1(VALU_DEP_2)
	v_lshlrev_b32_e32 v4, 1, v4
	v_cndmask_b32_e64 v1, 0, 1, vcc_lo
	v_add_lshl_u32 v4, v4, v9, 2
	s_delay_alu instid0(VALU_DEP_2)
	v_lshlrev_b32_e32 v1, 2, v1
	s_waitcnt lgkmcnt(0)
	ds_bpermute_b32 v3, v3, v2
	v_add_lshl_u32 v1, v1, v9, 2
	s_waitcnt lgkmcnt(0)
	v_add_nc_u32_e32 v2, v3, v2
	ds_bpermute_b32 v3, v4, v2
	s_waitcnt lgkmcnt(0)
	v_add_nc_u32_e32 v2, v3, v2
	ds_bpermute_b32 v1, v1, v2
	s_waitcnt lgkmcnt(0)
	v_add_nc_u32_e32 v1, v1, v2
.LBB837_5:
	s_or_b32 exec_lo, exec_lo, s3
	s_branch .LBB837_28
.LBB837_6:
                                        ; implicit-def: $vgpr1
	s_cbranch_execz .LBB837_28
; %bb.7:
	s_sub_i32 s20, s8, s2
	s_mov_b32 s2, exec_lo
                                        ; implicit-def: $vgpr1_vgpr2_vgpr3_vgpr4_vgpr5_vgpr6_vgpr7_vgpr8
	v_cmpx_gt_u32_e64 s20, v0
	s_cbranch_execz .LBB837_9
; %bb.8:
	global_load_b32 v1, v10, s[18:19]
.LBB837_9:
	s_or_b32 exec_lo, exec_lo, s2
	v_or_b32_e32 v11, 0x100, v0
	s_delay_alu instid0(VALU_DEP_1)
	v_cmp_gt_u32_e32 vcc_lo, s20, v11
	s_and_saveexec_b32 s2, vcc_lo
	s_cbranch_execz .LBB837_11
; %bb.10:
	global_load_b32 v2, v10, s[18:19] offset:1024
.LBB837_11:
	s_or_b32 exec_lo, exec_lo, s2
	v_or_b32_e32 v11, 0x200, v0
	s_delay_alu instid0(VALU_DEP_1) | instskip(NEXT) | instid1(VALU_DEP_1)
	v_cmp_gt_u32_e64 s2, s20, v11
	s_and_saveexec_b32 s3, s2
	s_cbranch_execz .LBB837_13
; %bb.12:
	global_load_b32 v3, v10, s[18:19] offset:2048
.LBB837_13:
	s_or_b32 exec_lo, exec_lo, s3
	v_or_b32_e32 v11, 0x300, v0
	s_delay_alu instid0(VALU_DEP_1) | instskip(NEXT) | instid1(VALU_DEP_1)
	v_cmp_gt_u32_e64 s3, s20, v11
	s_and_saveexec_b32 s4, s3
	;; [unrolled: 9-line block ×3, first 2 shown]
	s_cbranch_execz .LBB837_17
; %bb.16:
	v_lshlrev_b32_e32 v5, 2, v10
	global_load_b32 v5, v5, s[18:19]
.LBB837_17:
	s_or_b32 exec_lo, exec_lo, s5
	v_or_b32_e32 v10, 0x500, v0
	s_delay_alu instid0(VALU_DEP_1) | instskip(NEXT) | instid1(VALU_DEP_1)
	v_cmp_gt_u32_e64 s5, s20, v10
	s_and_saveexec_b32 s6, s5
	s_cbranch_execz .LBB837_19
; %bb.18:
	v_lshlrev_b32_e32 v6, 2, v10
	global_load_b32 v6, v6, s[18:19]
.LBB837_19:
	s_or_b32 exec_lo, exec_lo, s6
	v_or_b32_e32 v10, 0x600, v0
	s_delay_alu instid0(VALU_DEP_1) | instskip(NEXT) | instid1(VALU_DEP_1)
	v_cmp_gt_u32_e64 s6, s20, v10
	s_and_saveexec_b32 s7, s6
	;; [unrolled: 10-line block ×3, first 2 shown]
	s_cbranch_execz .LBB837_23
; %bb.22:
	v_lshlrev_b32_e32 v8, 2, v10
	global_load_b32 v8, v8, s[18:19]
.LBB837_23:
	s_or_b32 exec_lo, exec_lo, s21
	s_waitcnt vmcnt(0)
	v_cndmask_b32_e32 v2, 0, v2, vcc_lo
	v_cndmask_b32_e64 v3, 0, v3, s2
	v_cndmask_b32_e64 v4, 0, v4, s3
	v_cmp_ne_u32_e32 vcc_lo, 31, v9
	s_min_u32 s2, s20, 0x100
	v_add_nc_u32_e32 v1, v2, v1
	v_cndmask_b32_e64 v2, 0, v5, s4
	v_cndmask_b32_e64 v5, 0, v6, s5
	;; [unrolled: 1-line block ×3, first 2 shown]
	s_mov_b32 s3, exec_lo
	v_add3_u32 v1, v1, v3, v4
	v_cndmask_b32_e64 v3, 0, v8, s7
	v_add_co_ci_u32_e32 v4, vcc_lo, 0, v9, vcc_lo
	v_cmp_gt_u32_e32 vcc_lo, 30, v9
	s_delay_alu instid0(VALU_DEP_4) | instskip(NEXT) | instid1(VALU_DEP_3)
	v_add3_u32 v1, v1, v2, v5
	v_lshlrev_b32_e32 v2, 2, v4
	v_add_nc_u32_e32 v4, 1, v9
	v_cndmask_b32_e64 v5, 0, 1, vcc_lo
	s_delay_alu instid0(VALU_DEP_4) | instskip(SKIP_1) | instid1(VALU_DEP_3)
	v_add3_u32 v1, v1, v6, v3
	v_and_b32_e32 v3, 0xe0, v0
	v_lshlrev_b32_e32 v5, 1, v5
	ds_bpermute_b32 v2, v2, v1
	v_sub_nc_u32_e64 v3, s2, v3 clamp
	s_delay_alu instid0(VALU_DEP_1) | instskip(SKIP_4) | instid1(VALU_DEP_2)
	v_cmp_lt_u32_e32 vcc_lo, v4, v3
	v_add_lshl_u32 v4, v5, v9, 2
	s_waitcnt lgkmcnt(0)
	v_dual_cndmask_b32 v2, 0, v2 :: v_dual_add_nc_u32 v5, 2, v9
	v_cmp_gt_u32_e32 vcc_lo, 28, v9
	v_add_nc_u32_e32 v1, v1, v2
	ds_bpermute_b32 v2, v4, v1
	v_cndmask_b32_e64 v4, 0, 1, vcc_lo
	v_cmp_lt_u32_e32 vcc_lo, v5, v3
	v_add_nc_u32_e32 v5, 4, v9
	s_delay_alu instid0(VALU_DEP_3) | instskip(NEXT) | instid1(VALU_DEP_1)
	v_lshlrev_b32_e32 v4, 2, v4
	v_add_lshl_u32 v4, v4, v9, 2
	s_waitcnt lgkmcnt(0)
	v_cndmask_b32_e32 v2, 0, v2, vcc_lo
	v_cmp_gt_u32_e32 vcc_lo, 24, v9
	s_delay_alu instid0(VALU_DEP_2) | instskip(SKIP_4) | instid1(VALU_DEP_3)
	v_add_nc_u32_e32 v1, v1, v2
	ds_bpermute_b32 v2, v4, v1
	v_cndmask_b32_e64 v4, 0, 1, vcc_lo
	v_cmp_lt_u32_e32 vcc_lo, v5, v3
	v_add_nc_u32_e32 v5, 8, v9
	v_lshlrev_b32_e32 v4, 3, v4
	s_delay_alu instid0(VALU_DEP_1) | instskip(SKIP_3) | instid1(VALU_DEP_2)
	v_add_lshl_u32 v4, v4, v9, 2
	s_waitcnt lgkmcnt(0)
	v_cndmask_b32_e32 v2, 0, v2, vcc_lo
	v_cmp_gt_u32_e32 vcc_lo, 16, v9
	v_add_nc_u32_e32 v1, v1, v2
	ds_bpermute_b32 v2, v4, v1
	v_cndmask_b32_e64 v4, 0, 1, vcc_lo
	v_cmp_lt_u32_e32 vcc_lo, v5, v3
	s_delay_alu instid0(VALU_DEP_2) | instskip(NEXT) | instid1(VALU_DEP_1)
	v_lshlrev_b32_e32 v4, 4, v4
	v_add_lshl_u32 v4, v4, v9, 2
	s_waitcnt lgkmcnt(0)
	v_cndmask_b32_e32 v2, 0, v2, vcc_lo
	s_delay_alu instid0(VALU_DEP_1) | instskip(SKIP_2) | instid1(VALU_DEP_1)
	v_add_nc_u32_e32 v1, v1, v2
	ds_bpermute_b32 v2, v4, v1
	v_add_nc_u32_e32 v4, 16, v9
	v_cmp_lt_u32_e32 vcc_lo, v4, v3
	s_waitcnt lgkmcnt(0)
	v_cndmask_b32_e32 v2, 0, v2, vcc_lo
	s_delay_alu instid0(VALU_DEP_1)
	v_add_nc_u32_e32 v1, v1, v2
	v_cmpx_eq_u32_e32 0, v9
	s_cbranch_execz .LBB837_25
; %bb.24:
	v_lshrrev_b32_e32 v2, 3, v0
	s_delay_alu instid0(VALU_DEP_1)
	v_and_b32_e32 v2, 28, v2
	ds_store_b32 v2, v1 offset:32
.LBB837_25:
	s_or_b32 exec_lo, exec_lo, s3
	s_delay_alu instid0(SALU_CYCLE_1)
	s_mov_b32 s3, exec_lo
	s_waitcnt lgkmcnt(0)
	s_barrier
	buffer_gl0_inv
	v_cmpx_gt_u32_e32 8, v0
	s_cbranch_execz .LBB837_27
; %bb.26:
	v_lshlrev_b32_e32 v1, 2, v9
	v_and_b32_e32 v2, 7, v9
	s_add_i32 s2, s2, 31
	s_delay_alu instid0(SALU_CYCLE_1)
	s_lshr_b32 s2, s2, 5
	ds_load_b32 v1, v1 offset:32
	v_cmp_ne_u32_e32 vcc_lo, 7, v2
	v_add_nc_u32_e32 v5, 1, v2
	v_add_co_ci_u32_e32 v3, vcc_lo, 0, v9, vcc_lo
	v_cmp_gt_u32_e32 vcc_lo, 6, v2
	s_delay_alu instid0(VALU_DEP_2) | instskip(SKIP_2) | instid1(VALU_DEP_2)
	v_lshlrev_b32_e32 v3, 2, v3
	v_cndmask_b32_e64 v4, 0, 1, vcc_lo
	v_cmp_gt_u32_e32 vcc_lo, s2, v5
	v_lshlrev_b32_e32 v4, 1, v4
	s_waitcnt lgkmcnt(0)
	ds_bpermute_b32 v3, v3, v1
	v_add_lshl_u32 v4, v4, v9, 2
	s_waitcnt lgkmcnt(0)
	v_cndmask_b32_e32 v3, 0, v3, vcc_lo
	v_cmp_gt_u32_e32 vcc_lo, 4, v2
	s_delay_alu instid0(VALU_DEP_2) | instskip(SKIP_4) | instid1(VALU_DEP_2)
	v_add_nc_u32_e32 v1, v3, v1
	v_cndmask_b32_e64 v5, 0, 1, vcc_lo
	ds_bpermute_b32 v3, v4, v1
	v_add_nc_u32_e32 v4, 2, v2
	v_add_nc_u32_e32 v2, 4, v2
	v_cmp_gt_u32_e32 vcc_lo, s2, v4
	s_waitcnt lgkmcnt(0)
	v_dual_cndmask_b32 v3, 0, v3 :: v_dual_lshlrev_b32 v4, 2, v5
	s_delay_alu instid0(VALU_DEP_3) | instskip(NEXT) | instid1(VALU_DEP_2)
	v_cmp_gt_u32_e32 vcc_lo, s2, v2
	v_add_nc_u32_e32 v1, v1, v3
	s_delay_alu instid0(VALU_DEP_3) | instskip(SKIP_3) | instid1(VALU_DEP_1)
	v_add_lshl_u32 v3, v4, v9, 2
	ds_bpermute_b32 v3, v3, v1
	s_waitcnt lgkmcnt(0)
	v_cndmask_b32_e32 v2, 0, v3, vcc_lo
	v_add_nc_u32_e32 v1, v1, v2
.LBB837_27:
	s_or_b32 exec_lo, exec_lo, s3
.LBB837_28:
	s_load_b32 s0, s[0:1], 0x30
	s_mov_b32 s1, exec_lo
	v_cmpx_eq_u32_e32 0, v0
	s_cbranch_execz .LBB837_30
; %bb.29:
	s_mul_i32 s1, s14, s13
	s_mul_hi_u32 s2, s14, s12
	s_mul_i32 s3, s15, s12
	s_add_i32 s1, s2, s1
	s_mul_i32 s2, s14, s12
	s_add_i32 s3, s1, s3
	s_delay_alu instid0(SALU_CYCLE_1) | instskip(NEXT) | instid1(SALU_CYCLE_1)
	s_lshl_b64 s[2:3], s[2:3], 2
	s_add_u32 s2, s10, s2
	s_addc_u32 s3, s11, s3
	s_cmp_eq_u64 s[8:9], 0
	s_cselect_b32 s1, -1, 0
	s_waitcnt lgkmcnt(0)
	v_cndmask_b32_e64 v0, v1, s0, s1
	s_lshl_b64 s[0:1], s[16:17], 2
	v_mov_b32_e32 v1, 0
	s_add_u32 s0, s2, s0
	s_addc_u32 s1, s3, s1
	global_store_b32 v1, v0, s[0:1]
.LBB837_30:
	s_nop 0
	s_sendmsg sendmsg(MSG_DEALLOC_VGPRS)
	s_endpgm
	.section	.rodata,"a",@progbits
	.p2align	6, 0x0
	.amdhsa_kernel _ZN7rocprim17ROCPRIM_400000_NS6detail17trampoline_kernelINS0_14default_configENS1_22reduce_config_selectorIiEEZNS1_11reduce_implILb1ES3_PiS7_iN6hipcub16HIPCUB_304000_NS6detail34convert_binary_result_type_wrapperINS9_3SumENS9_22TransformInputIteratorIbN2at6native12_GLOBAL__N_19NonZeroOpIN3c104HalfEEEPKSJ_lEEiEEEE10hipError_tPvRmT1_T2_T3_mT4_P12ihipStream_tbEUlT_E0_NS1_11comp_targetILNS1_3genE9ELNS1_11target_archE1100ELNS1_3gpuE3ELNS1_3repE0EEENS1_30default_config_static_selectorELNS0_4arch9wavefront6targetE0EEEvSS_
		.amdhsa_group_segment_fixed_size 64
		.amdhsa_private_segment_fixed_size 0
		.amdhsa_kernarg_size 56
		.amdhsa_user_sgpr_count 15
		.amdhsa_user_sgpr_dispatch_ptr 0
		.amdhsa_user_sgpr_queue_ptr 0
		.amdhsa_user_sgpr_kernarg_segment_ptr 1
		.amdhsa_user_sgpr_dispatch_id 0
		.amdhsa_user_sgpr_private_segment_size 0
		.amdhsa_wavefront_size32 1
		.amdhsa_uses_dynamic_stack 0
		.amdhsa_enable_private_segment 0
		.amdhsa_system_sgpr_workgroup_id_x 1
		.amdhsa_system_sgpr_workgroup_id_y 0
		.amdhsa_system_sgpr_workgroup_id_z 0
		.amdhsa_system_sgpr_workgroup_info 0
		.amdhsa_system_vgpr_workitem_id 0
		.amdhsa_next_free_vgpr 12
		.amdhsa_next_free_sgpr 22
		.amdhsa_reserve_vcc 1
		.amdhsa_float_round_mode_32 0
		.amdhsa_float_round_mode_16_64 0
		.amdhsa_float_denorm_mode_32 3
		.amdhsa_float_denorm_mode_16_64 3
		.amdhsa_dx10_clamp 1
		.amdhsa_ieee_mode 1
		.amdhsa_fp16_overflow 0
		.amdhsa_workgroup_processor_mode 1
		.amdhsa_memory_ordered 1
		.amdhsa_forward_progress 0
		.amdhsa_shared_vgpr_count 0
		.amdhsa_exception_fp_ieee_invalid_op 0
		.amdhsa_exception_fp_denorm_src 0
		.amdhsa_exception_fp_ieee_div_zero 0
		.amdhsa_exception_fp_ieee_overflow 0
		.amdhsa_exception_fp_ieee_underflow 0
		.amdhsa_exception_fp_ieee_inexact 0
		.amdhsa_exception_int_div_zero 0
	.end_amdhsa_kernel
	.section	.text._ZN7rocprim17ROCPRIM_400000_NS6detail17trampoline_kernelINS0_14default_configENS1_22reduce_config_selectorIiEEZNS1_11reduce_implILb1ES3_PiS7_iN6hipcub16HIPCUB_304000_NS6detail34convert_binary_result_type_wrapperINS9_3SumENS9_22TransformInputIteratorIbN2at6native12_GLOBAL__N_19NonZeroOpIN3c104HalfEEEPKSJ_lEEiEEEE10hipError_tPvRmT1_T2_T3_mT4_P12ihipStream_tbEUlT_E0_NS1_11comp_targetILNS1_3genE9ELNS1_11target_archE1100ELNS1_3gpuE3ELNS1_3repE0EEENS1_30default_config_static_selectorELNS0_4arch9wavefront6targetE0EEEvSS_,"axG",@progbits,_ZN7rocprim17ROCPRIM_400000_NS6detail17trampoline_kernelINS0_14default_configENS1_22reduce_config_selectorIiEEZNS1_11reduce_implILb1ES3_PiS7_iN6hipcub16HIPCUB_304000_NS6detail34convert_binary_result_type_wrapperINS9_3SumENS9_22TransformInputIteratorIbN2at6native12_GLOBAL__N_19NonZeroOpIN3c104HalfEEEPKSJ_lEEiEEEE10hipError_tPvRmT1_T2_T3_mT4_P12ihipStream_tbEUlT_E0_NS1_11comp_targetILNS1_3genE9ELNS1_11target_archE1100ELNS1_3gpuE3ELNS1_3repE0EEENS1_30default_config_static_selectorELNS0_4arch9wavefront6targetE0EEEvSS_,comdat
.Lfunc_end837:
	.size	_ZN7rocprim17ROCPRIM_400000_NS6detail17trampoline_kernelINS0_14default_configENS1_22reduce_config_selectorIiEEZNS1_11reduce_implILb1ES3_PiS7_iN6hipcub16HIPCUB_304000_NS6detail34convert_binary_result_type_wrapperINS9_3SumENS9_22TransformInputIteratorIbN2at6native12_GLOBAL__N_19NonZeroOpIN3c104HalfEEEPKSJ_lEEiEEEE10hipError_tPvRmT1_T2_T3_mT4_P12ihipStream_tbEUlT_E0_NS1_11comp_targetILNS1_3genE9ELNS1_11target_archE1100ELNS1_3gpuE3ELNS1_3repE0EEENS1_30default_config_static_selectorELNS0_4arch9wavefront6targetE0EEEvSS_, .Lfunc_end837-_ZN7rocprim17ROCPRIM_400000_NS6detail17trampoline_kernelINS0_14default_configENS1_22reduce_config_selectorIiEEZNS1_11reduce_implILb1ES3_PiS7_iN6hipcub16HIPCUB_304000_NS6detail34convert_binary_result_type_wrapperINS9_3SumENS9_22TransformInputIteratorIbN2at6native12_GLOBAL__N_19NonZeroOpIN3c104HalfEEEPKSJ_lEEiEEEE10hipError_tPvRmT1_T2_T3_mT4_P12ihipStream_tbEUlT_E0_NS1_11comp_targetILNS1_3genE9ELNS1_11target_archE1100ELNS1_3gpuE3ELNS1_3repE0EEENS1_30default_config_static_selectorELNS0_4arch9wavefront6targetE0EEEvSS_
                                        ; -- End function
	.section	.AMDGPU.csdata,"",@progbits
; Kernel info:
; codeLenInByte = 1664
; NumSgprs: 24
; NumVgprs: 12
; ScratchSize: 0
; MemoryBound: 0
; FloatMode: 240
; IeeeMode: 1
; LDSByteSize: 64 bytes/workgroup (compile time only)
; SGPRBlocks: 2
; VGPRBlocks: 1
; NumSGPRsForWavesPerEU: 24
; NumVGPRsForWavesPerEU: 12
; Occupancy: 16
; WaveLimiterHint : 1
; COMPUTE_PGM_RSRC2:SCRATCH_EN: 0
; COMPUTE_PGM_RSRC2:USER_SGPR: 15
; COMPUTE_PGM_RSRC2:TRAP_HANDLER: 0
; COMPUTE_PGM_RSRC2:TGID_X_EN: 1
; COMPUTE_PGM_RSRC2:TGID_Y_EN: 0
; COMPUTE_PGM_RSRC2:TGID_Z_EN: 0
; COMPUTE_PGM_RSRC2:TIDIG_COMP_CNT: 0
	.section	.text._ZN7rocprim17ROCPRIM_400000_NS6detail17trampoline_kernelINS0_14default_configENS1_22reduce_config_selectorIiEEZNS1_11reduce_implILb1ES3_PiS7_iN6hipcub16HIPCUB_304000_NS6detail34convert_binary_result_type_wrapperINS9_3SumENS9_22TransformInputIteratorIbN2at6native12_GLOBAL__N_19NonZeroOpIN3c104HalfEEEPKSJ_lEEiEEEE10hipError_tPvRmT1_T2_T3_mT4_P12ihipStream_tbEUlT_E0_NS1_11comp_targetILNS1_3genE8ELNS1_11target_archE1030ELNS1_3gpuE2ELNS1_3repE0EEENS1_30default_config_static_selectorELNS0_4arch9wavefront6targetE0EEEvSS_,"axG",@progbits,_ZN7rocprim17ROCPRIM_400000_NS6detail17trampoline_kernelINS0_14default_configENS1_22reduce_config_selectorIiEEZNS1_11reduce_implILb1ES3_PiS7_iN6hipcub16HIPCUB_304000_NS6detail34convert_binary_result_type_wrapperINS9_3SumENS9_22TransformInputIteratorIbN2at6native12_GLOBAL__N_19NonZeroOpIN3c104HalfEEEPKSJ_lEEiEEEE10hipError_tPvRmT1_T2_T3_mT4_P12ihipStream_tbEUlT_E0_NS1_11comp_targetILNS1_3genE8ELNS1_11target_archE1030ELNS1_3gpuE2ELNS1_3repE0EEENS1_30default_config_static_selectorELNS0_4arch9wavefront6targetE0EEEvSS_,comdat
	.globl	_ZN7rocprim17ROCPRIM_400000_NS6detail17trampoline_kernelINS0_14default_configENS1_22reduce_config_selectorIiEEZNS1_11reduce_implILb1ES3_PiS7_iN6hipcub16HIPCUB_304000_NS6detail34convert_binary_result_type_wrapperINS9_3SumENS9_22TransformInputIteratorIbN2at6native12_GLOBAL__N_19NonZeroOpIN3c104HalfEEEPKSJ_lEEiEEEE10hipError_tPvRmT1_T2_T3_mT4_P12ihipStream_tbEUlT_E0_NS1_11comp_targetILNS1_3genE8ELNS1_11target_archE1030ELNS1_3gpuE2ELNS1_3repE0EEENS1_30default_config_static_selectorELNS0_4arch9wavefront6targetE0EEEvSS_ ; -- Begin function _ZN7rocprim17ROCPRIM_400000_NS6detail17trampoline_kernelINS0_14default_configENS1_22reduce_config_selectorIiEEZNS1_11reduce_implILb1ES3_PiS7_iN6hipcub16HIPCUB_304000_NS6detail34convert_binary_result_type_wrapperINS9_3SumENS9_22TransformInputIteratorIbN2at6native12_GLOBAL__N_19NonZeroOpIN3c104HalfEEEPKSJ_lEEiEEEE10hipError_tPvRmT1_T2_T3_mT4_P12ihipStream_tbEUlT_E0_NS1_11comp_targetILNS1_3genE8ELNS1_11target_archE1030ELNS1_3gpuE2ELNS1_3repE0EEENS1_30default_config_static_selectorELNS0_4arch9wavefront6targetE0EEEvSS_
	.p2align	8
	.type	_ZN7rocprim17ROCPRIM_400000_NS6detail17trampoline_kernelINS0_14default_configENS1_22reduce_config_selectorIiEEZNS1_11reduce_implILb1ES3_PiS7_iN6hipcub16HIPCUB_304000_NS6detail34convert_binary_result_type_wrapperINS9_3SumENS9_22TransformInputIteratorIbN2at6native12_GLOBAL__N_19NonZeroOpIN3c104HalfEEEPKSJ_lEEiEEEE10hipError_tPvRmT1_T2_T3_mT4_P12ihipStream_tbEUlT_E0_NS1_11comp_targetILNS1_3genE8ELNS1_11target_archE1030ELNS1_3gpuE2ELNS1_3repE0EEENS1_30default_config_static_selectorELNS0_4arch9wavefront6targetE0EEEvSS_,@function
_ZN7rocprim17ROCPRIM_400000_NS6detail17trampoline_kernelINS0_14default_configENS1_22reduce_config_selectorIiEEZNS1_11reduce_implILb1ES3_PiS7_iN6hipcub16HIPCUB_304000_NS6detail34convert_binary_result_type_wrapperINS9_3SumENS9_22TransformInputIteratorIbN2at6native12_GLOBAL__N_19NonZeroOpIN3c104HalfEEEPKSJ_lEEiEEEE10hipError_tPvRmT1_T2_T3_mT4_P12ihipStream_tbEUlT_E0_NS1_11comp_targetILNS1_3genE8ELNS1_11target_archE1030ELNS1_3gpuE2ELNS1_3repE0EEENS1_30default_config_static_selectorELNS0_4arch9wavefront6targetE0EEEvSS_: ; @_ZN7rocprim17ROCPRIM_400000_NS6detail17trampoline_kernelINS0_14default_configENS1_22reduce_config_selectorIiEEZNS1_11reduce_implILb1ES3_PiS7_iN6hipcub16HIPCUB_304000_NS6detail34convert_binary_result_type_wrapperINS9_3SumENS9_22TransformInputIteratorIbN2at6native12_GLOBAL__N_19NonZeroOpIN3c104HalfEEEPKSJ_lEEiEEEE10hipError_tPvRmT1_T2_T3_mT4_P12ihipStream_tbEUlT_E0_NS1_11comp_targetILNS1_3genE8ELNS1_11target_archE1030ELNS1_3gpuE2ELNS1_3repE0EEENS1_30default_config_static_selectorELNS0_4arch9wavefront6targetE0EEEvSS_
; %bb.0:
	.section	.rodata,"a",@progbits
	.p2align	6, 0x0
	.amdhsa_kernel _ZN7rocprim17ROCPRIM_400000_NS6detail17trampoline_kernelINS0_14default_configENS1_22reduce_config_selectorIiEEZNS1_11reduce_implILb1ES3_PiS7_iN6hipcub16HIPCUB_304000_NS6detail34convert_binary_result_type_wrapperINS9_3SumENS9_22TransformInputIteratorIbN2at6native12_GLOBAL__N_19NonZeroOpIN3c104HalfEEEPKSJ_lEEiEEEE10hipError_tPvRmT1_T2_T3_mT4_P12ihipStream_tbEUlT_E0_NS1_11comp_targetILNS1_3genE8ELNS1_11target_archE1030ELNS1_3gpuE2ELNS1_3repE0EEENS1_30default_config_static_selectorELNS0_4arch9wavefront6targetE0EEEvSS_
		.amdhsa_group_segment_fixed_size 0
		.amdhsa_private_segment_fixed_size 0
		.amdhsa_kernarg_size 56
		.amdhsa_user_sgpr_count 15
		.amdhsa_user_sgpr_dispatch_ptr 0
		.amdhsa_user_sgpr_queue_ptr 0
		.amdhsa_user_sgpr_kernarg_segment_ptr 1
		.amdhsa_user_sgpr_dispatch_id 0
		.amdhsa_user_sgpr_private_segment_size 0
		.amdhsa_wavefront_size32 1
		.amdhsa_uses_dynamic_stack 0
		.amdhsa_enable_private_segment 0
		.amdhsa_system_sgpr_workgroup_id_x 1
		.amdhsa_system_sgpr_workgroup_id_y 0
		.amdhsa_system_sgpr_workgroup_id_z 0
		.amdhsa_system_sgpr_workgroup_info 0
		.amdhsa_system_vgpr_workitem_id 0
		.amdhsa_next_free_vgpr 1
		.amdhsa_next_free_sgpr 1
		.amdhsa_reserve_vcc 0
		.amdhsa_float_round_mode_32 0
		.amdhsa_float_round_mode_16_64 0
		.amdhsa_float_denorm_mode_32 3
		.amdhsa_float_denorm_mode_16_64 3
		.amdhsa_dx10_clamp 1
		.amdhsa_ieee_mode 1
		.amdhsa_fp16_overflow 0
		.amdhsa_workgroup_processor_mode 1
		.amdhsa_memory_ordered 1
		.amdhsa_forward_progress 0
		.amdhsa_shared_vgpr_count 0
		.amdhsa_exception_fp_ieee_invalid_op 0
		.amdhsa_exception_fp_denorm_src 0
		.amdhsa_exception_fp_ieee_div_zero 0
		.amdhsa_exception_fp_ieee_overflow 0
		.amdhsa_exception_fp_ieee_underflow 0
		.amdhsa_exception_fp_ieee_inexact 0
		.amdhsa_exception_int_div_zero 0
	.end_amdhsa_kernel
	.section	.text._ZN7rocprim17ROCPRIM_400000_NS6detail17trampoline_kernelINS0_14default_configENS1_22reduce_config_selectorIiEEZNS1_11reduce_implILb1ES3_PiS7_iN6hipcub16HIPCUB_304000_NS6detail34convert_binary_result_type_wrapperINS9_3SumENS9_22TransformInputIteratorIbN2at6native12_GLOBAL__N_19NonZeroOpIN3c104HalfEEEPKSJ_lEEiEEEE10hipError_tPvRmT1_T2_T3_mT4_P12ihipStream_tbEUlT_E0_NS1_11comp_targetILNS1_3genE8ELNS1_11target_archE1030ELNS1_3gpuE2ELNS1_3repE0EEENS1_30default_config_static_selectorELNS0_4arch9wavefront6targetE0EEEvSS_,"axG",@progbits,_ZN7rocprim17ROCPRIM_400000_NS6detail17trampoline_kernelINS0_14default_configENS1_22reduce_config_selectorIiEEZNS1_11reduce_implILb1ES3_PiS7_iN6hipcub16HIPCUB_304000_NS6detail34convert_binary_result_type_wrapperINS9_3SumENS9_22TransformInputIteratorIbN2at6native12_GLOBAL__N_19NonZeroOpIN3c104HalfEEEPKSJ_lEEiEEEE10hipError_tPvRmT1_T2_T3_mT4_P12ihipStream_tbEUlT_E0_NS1_11comp_targetILNS1_3genE8ELNS1_11target_archE1030ELNS1_3gpuE2ELNS1_3repE0EEENS1_30default_config_static_selectorELNS0_4arch9wavefront6targetE0EEEvSS_,comdat
.Lfunc_end838:
	.size	_ZN7rocprim17ROCPRIM_400000_NS6detail17trampoline_kernelINS0_14default_configENS1_22reduce_config_selectorIiEEZNS1_11reduce_implILb1ES3_PiS7_iN6hipcub16HIPCUB_304000_NS6detail34convert_binary_result_type_wrapperINS9_3SumENS9_22TransformInputIteratorIbN2at6native12_GLOBAL__N_19NonZeroOpIN3c104HalfEEEPKSJ_lEEiEEEE10hipError_tPvRmT1_T2_T3_mT4_P12ihipStream_tbEUlT_E0_NS1_11comp_targetILNS1_3genE8ELNS1_11target_archE1030ELNS1_3gpuE2ELNS1_3repE0EEENS1_30default_config_static_selectorELNS0_4arch9wavefront6targetE0EEEvSS_, .Lfunc_end838-_ZN7rocprim17ROCPRIM_400000_NS6detail17trampoline_kernelINS0_14default_configENS1_22reduce_config_selectorIiEEZNS1_11reduce_implILb1ES3_PiS7_iN6hipcub16HIPCUB_304000_NS6detail34convert_binary_result_type_wrapperINS9_3SumENS9_22TransformInputIteratorIbN2at6native12_GLOBAL__N_19NonZeroOpIN3c104HalfEEEPKSJ_lEEiEEEE10hipError_tPvRmT1_T2_T3_mT4_P12ihipStream_tbEUlT_E0_NS1_11comp_targetILNS1_3genE8ELNS1_11target_archE1030ELNS1_3gpuE2ELNS1_3repE0EEENS1_30default_config_static_selectorELNS0_4arch9wavefront6targetE0EEEvSS_
                                        ; -- End function
	.section	.AMDGPU.csdata,"",@progbits
; Kernel info:
; codeLenInByte = 0
; NumSgprs: 0
; NumVgprs: 0
; ScratchSize: 0
; MemoryBound: 0
; FloatMode: 240
; IeeeMode: 1
; LDSByteSize: 0 bytes/workgroup (compile time only)
; SGPRBlocks: 0
; VGPRBlocks: 0
; NumSGPRsForWavesPerEU: 1
; NumVGPRsForWavesPerEU: 1
; Occupancy: 16
; WaveLimiterHint : 0
; COMPUTE_PGM_RSRC2:SCRATCH_EN: 0
; COMPUTE_PGM_RSRC2:USER_SGPR: 15
; COMPUTE_PGM_RSRC2:TRAP_HANDLER: 0
; COMPUTE_PGM_RSRC2:TGID_X_EN: 1
; COMPUTE_PGM_RSRC2:TGID_Y_EN: 0
; COMPUTE_PGM_RSRC2:TGID_Z_EN: 0
; COMPUTE_PGM_RSRC2:TIDIG_COMP_CNT: 0
	.section	.text._ZN7rocprim17ROCPRIM_400000_NS6detail17trampoline_kernelINS0_14default_configENS1_22reduce_config_selectorIiEEZNS1_11reduce_implILb1ES3_PiS7_iN6hipcub16HIPCUB_304000_NS6detail34convert_binary_result_type_wrapperINS9_3SumENS9_22TransformInputIteratorIbN2at6native12_GLOBAL__N_19NonZeroOpIN3c104HalfEEEPKSJ_lEEiEEEE10hipError_tPvRmT1_T2_T3_mT4_P12ihipStream_tbEUlT_E1_NS1_11comp_targetILNS1_3genE0ELNS1_11target_archE4294967295ELNS1_3gpuE0ELNS1_3repE0EEENS1_30default_config_static_selectorELNS0_4arch9wavefront6targetE0EEEvSS_,"axG",@progbits,_ZN7rocprim17ROCPRIM_400000_NS6detail17trampoline_kernelINS0_14default_configENS1_22reduce_config_selectorIiEEZNS1_11reduce_implILb1ES3_PiS7_iN6hipcub16HIPCUB_304000_NS6detail34convert_binary_result_type_wrapperINS9_3SumENS9_22TransformInputIteratorIbN2at6native12_GLOBAL__N_19NonZeroOpIN3c104HalfEEEPKSJ_lEEiEEEE10hipError_tPvRmT1_T2_T3_mT4_P12ihipStream_tbEUlT_E1_NS1_11comp_targetILNS1_3genE0ELNS1_11target_archE4294967295ELNS1_3gpuE0ELNS1_3repE0EEENS1_30default_config_static_selectorELNS0_4arch9wavefront6targetE0EEEvSS_,comdat
	.globl	_ZN7rocprim17ROCPRIM_400000_NS6detail17trampoline_kernelINS0_14default_configENS1_22reduce_config_selectorIiEEZNS1_11reduce_implILb1ES3_PiS7_iN6hipcub16HIPCUB_304000_NS6detail34convert_binary_result_type_wrapperINS9_3SumENS9_22TransformInputIteratorIbN2at6native12_GLOBAL__N_19NonZeroOpIN3c104HalfEEEPKSJ_lEEiEEEE10hipError_tPvRmT1_T2_T3_mT4_P12ihipStream_tbEUlT_E1_NS1_11comp_targetILNS1_3genE0ELNS1_11target_archE4294967295ELNS1_3gpuE0ELNS1_3repE0EEENS1_30default_config_static_selectorELNS0_4arch9wavefront6targetE0EEEvSS_ ; -- Begin function _ZN7rocprim17ROCPRIM_400000_NS6detail17trampoline_kernelINS0_14default_configENS1_22reduce_config_selectorIiEEZNS1_11reduce_implILb1ES3_PiS7_iN6hipcub16HIPCUB_304000_NS6detail34convert_binary_result_type_wrapperINS9_3SumENS9_22TransformInputIteratorIbN2at6native12_GLOBAL__N_19NonZeroOpIN3c104HalfEEEPKSJ_lEEiEEEE10hipError_tPvRmT1_T2_T3_mT4_P12ihipStream_tbEUlT_E1_NS1_11comp_targetILNS1_3genE0ELNS1_11target_archE4294967295ELNS1_3gpuE0ELNS1_3repE0EEENS1_30default_config_static_selectorELNS0_4arch9wavefront6targetE0EEEvSS_
	.p2align	8
	.type	_ZN7rocprim17ROCPRIM_400000_NS6detail17trampoline_kernelINS0_14default_configENS1_22reduce_config_selectorIiEEZNS1_11reduce_implILb1ES3_PiS7_iN6hipcub16HIPCUB_304000_NS6detail34convert_binary_result_type_wrapperINS9_3SumENS9_22TransformInputIteratorIbN2at6native12_GLOBAL__N_19NonZeroOpIN3c104HalfEEEPKSJ_lEEiEEEE10hipError_tPvRmT1_T2_T3_mT4_P12ihipStream_tbEUlT_E1_NS1_11comp_targetILNS1_3genE0ELNS1_11target_archE4294967295ELNS1_3gpuE0ELNS1_3repE0EEENS1_30default_config_static_selectorELNS0_4arch9wavefront6targetE0EEEvSS_,@function
_ZN7rocprim17ROCPRIM_400000_NS6detail17trampoline_kernelINS0_14default_configENS1_22reduce_config_selectorIiEEZNS1_11reduce_implILb1ES3_PiS7_iN6hipcub16HIPCUB_304000_NS6detail34convert_binary_result_type_wrapperINS9_3SumENS9_22TransformInputIteratorIbN2at6native12_GLOBAL__N_19NonZeroOpIN3c104HalfEEEPKSJ_lEEiEEEE10hipError_tPvRmT1_T2_T3_mT4_P12ihipStream_tbEUlT_E1_NS1_11comp_targetILNS1_3genE0ELNS1_11target_archE4294967295ELNS1_3gpuE0ELNS1_3repE0EEENS1_30default_config_static_selectorELNS0_4arch9wavefront6targetE0EEEvSS_: ; @_ZN7rocprim17ROCPRIM_400000_NS6detail17trampoline_kernelINS0_14default_configENS1_22reduce_config_selectorIiEEZNS1_11reduce_implILb1ES3_PiS7_iN6hipcub16HIPCUB_304000_NS6detail34convert_binary_result_type_wrapperINS9_3SumENS9_22TransformInputIteratorIbN2at6native12_GLOBAL__N_19NonZeroOpIN3c104HalfEEEPKSJ_lEEiEEEE10hipError_tPvRmT1_T2_T3_mT4_P12ihipStream_tbEUlT_E1_NS1_11comp_targetILNS1_3genE0ELNS1_11target_archE4294967295ELNS1_3gpuE0ELNS1_3repE0EEENS1_30default_config_static_selectorELNS0_4arch9wavefront6targetE0EEEvSS_
; %bb.0:
	.section	.rodata,"a",@progbits
	.p2align	6, 0x0
	.amdhsa_kernel _ZN7rocprim17ROCPRIM_400000_NS6detail17trampoline_kernelINS0_14default_configENS1_22reduce_config_selectorIiEEZNS1_11reduce_implILb1ES3_PiS7_iN6hipcub16HIPCUB_304000_NS6detail34convert_binary_result_type_wrapperINS9_3SumENS9_22TransformInputIteratorIbN2at6native12_GLOBAL__N_19NonZeroOpIN3c104HalfEEEPKSJ_lEEiEEEE10hipError_tPvRmT1_T2_T3_mT4_P12ihipStream_tbEUlT_E1_NS1_11comp_targetILNS1_3genE0ELNS1_11target_archE4294967295ELNS1_3gpuE0ELNS1_3repE0EEENS1_30default_config_static_selectorELNS0_4arch9wavefront6targetE0EEEvSS_
		.amdhsa_group_segment_fixed_size 0
		.amdhsa_private_segment_fixed_size 0
		.amdhsa_kernarg_size 40
		.amdhsa_user_sgpr_count 15
		.amdhsa_user_sgpr_dispatch_ptr 0
		.amdhsa_user_sgpr_queue_ptr 0
		.amdhsa_user_sgpr_kernarg_segment_ptr 1
		.amdhsa_user_sgpr_dispatch_id 0
		.amdhsa_user_sgpr_private_segment_size 0
		.amdhsa_wavefront_size32 1
		.amdhsa_uses_dynamic_stack 0
		.amdhsa_enable_private_segment 0
		.amdhsa_system_sgpr_workgroup_id_x 1
		.amdhsa_system_sgpr_workgroup_id_y 0
		.amdhsa_system_sgpr_workgroup_id_z 0
		.amdhsa_system_sgpr_workgroup_info 0
		.amdhsa_system_vgpr_workitem_id 0
		.amdhsa_next_free_vgpr 1
		.amdhsa_next_free_sgpr 1
		.amdhsa_reserve_vcc 0
		.amdhsa_float_round_mode_32 0
		.amdhsa_float_round_mode_16_64 0
		.amdhsa_float_denorm_mode_32 3
		.amdhsa_float_denorm_mode_16_64 3
		.amdhsa_dx10_clamp 1
		.amdhsa_ieee_mode 1
		.amdhsa_fp16_overflow 0
		.amdhsa_workgroup_processor_mode 1
		.amdhsa_memory_ordered 1
		.amdhsa_forward_progress 0
		.amdhsa_shared_vgpr_count 0
		.amdhsa_exception_fp_ieee_invalid_op 0
		.amdhsa_exception_fp_denorm_src 0
		.amdhsa_exception_fp_ieee_div_zero 0
		.amdhsa_exception_fp_ieee_overflow 0
		.amdhsa_exception_fp_ieee_underflow 0
		.amdhsa_exception_fp_ieee_inexact 0
		.amdhsa_exception_int_div_zero 0
	.end_amdhsa_kernel
	.section	.text._ZN7rocprim17ROCPRIM_400000_NS6detail17trampoline_kernelINS0_14default_configENS1_22reduce_config_selectorIiEEZNS1_11reduce_implILb1ES3_PiS7_iN6hipcub16HIPCUB_304000_NS6detail34convert_binary_result_type_wrapperINS9_3SumENS9_22TransformInputIteratorIbN2at6native12_GLOBAL__N_19NonZeroOpIN3c104HalfEEEPKSJ_lEEiEEEE10hipError_tPvRmT1_T2_T3_mT4_P12ihipStream_tbEUlT_E1_NS1_11comp_targetILNS1_3genE0ELNS1_11target_archE4294967295ELNS1_3gpuE0ELNS1_3repE0EEENS1_30default_config_static_selectorELNS0_4arch9wavefront6targetE0EEEvSS_,"axG",@progbits,_ZN7rocprim17ROCPRIM_400000_NS6detail17trampoline_kernelINS0_14default_configENS1_22reduce_config_selectorIiEEZNS1_11reduce_implILb1ES3_PiS7_iN6hipcub16HIPCUB_304000_NS6detail34convert_binary_result_type_wrapperINS9_3SumENS9_22TransformInputIteratorIbN2at6native12_GLOBAL__N_19NonZeroOpIN3c104HalfEEEPKSJ_lEEiEEEE10hipError_tPvRmT1_T2_T3_mT4_P12ihipStream_tbEUlT_E1_NS1_11comp_targetILNS1_3genE0ELNS1_11target_archE4294967295ELNS1_3gpuE0ELNS1_3repE0EEENS1_30default_config_static_selectorELNS0_4arch9wavefront6targetE0EEEvSS_,comdat
.Lfunc_end839:
	.size	_ZN7rocprim17ROCPRIM_400000_NS6detail17trampoline_kernelINS0_14default_configENS1_22reduce_config_selectorIiEEZNS1_11reduce_implILb1ES3_PiS7_iN6hipcub16HIPCUB_304000_NS6detail34convert_binary_result_type_wrapperINS9_3SumENS9_22TransformInputIteratorIbN2at6native12_GLOBAL__N_19NonZeroOpIN3c104HalfEEEPKSJ_lEEiEEEE10hipError_tPvRmT1_T2_T3_mT4_P12ihipStream_tbEUlT_E1_NS1_11comp_targetILNS1_3genE0ELNS1_11target_archE4294967295ELNS1_3gpuE0ELNS1_3repE0EEENS1_30default_config_static_selectorELNS0_4arch9wavefront6targetE0EEEvSS_, .Lfunc_end839-_ZN7rocprim17ROCPRIM_400000_NS6detail17trampoline_kernelINS0_14default_configENS1_22reduce_config_selectorIiEEZNS1_11reduce_implILb1ES3_PiS7_iN6hipcub16HIPCUB_304000_NS6detail34convert_binary_result_type_wrapperINS9_3SumENS9_22TransformInputIteratorIbN2at6native12_GLOBAL__N_19NonZeroOpIN3c104HalfEEEPKSJ_lEEiEEEE10hipError_tPvRmT1_T2_T3_mT4_P12ihipStream_tbEUlT_E1_NS1_11comp_targetILNS1_3genE0ELNS1_11target_archE4294967295ELNS1_3gpuE0ELNS1_3repE0EEENS1_30default_config_static_selectorELNS0_4arch9wavefront6targetE0EEEvSS_
                                        ; -- End function
	.section	.AMDGPU.csdata,"",@progbits
; Kernel info:
; codeLenInByte = 0
; NumSgprs: 0
; NumVgprs: 0
; ScratchSize: 0
; MemoryBound: 0
; FloatMode: 240
; IeeeMode: 1
; LDSByteSize: 0 bytes/workgroup (compile time only)
; SGPRBlocks: 0
; VGPRBlocks: 0
; NumSGPRsForWavesPerEU: 1
; NumVGPRsForWavesPerEU: 1
; Occupancy: 16
; WaveLimiterHint : 0
; COMPUTE_PGM_RSRC2:SCRATCH_EN: 0
; COMPUTE_PGM_RSRC2:USER_SGPR: 15
; COMPUTE_PGM_RSRC2:TRAP_HANDLER: 0
; COMPUTE_PGM_RSRC2:TGID_X_EN: 1
; COMPUTE_PGM_RSRC2:TGID_Y_EN: 0
; COMPUTE_PGM_RSRC2:TGID_Z_EN: 0
; COMPUTE_PGM_RSRC2:TIDIG_COMP_CNT: 0
	.section	.text._ZN7rocprim17ROCPRIM_400000_NS6detail17trampoline_kernelINS0_14default_configENS1_22reduce_config_selectorIiEEZNS1_11reduce_implILb1ES3_PiS7_iN6hipcub16HIPCUB_304000_NS6detail34convert_binary_result_type_wrapperINS9_3SumENS9_22TransformInputIteratorIbN2at6native12_GLOBAL__N_19NonZeroOpIN3c104HalfEEEPKSJ_lEEiEEEE10hipError_tPvRmT1_T2_T3_mT4_P12ihipStream_tbEUlT_E1_NS1_11comp_targetILNS1_3genE5ELNS1_11target_archE942ELNS1_3gpuE9ELNS1_3repE0EEENS1_30default_config_static_selectorELNS0_4arch9wavefront6targetE0EEEvSS_,"axG",@progbits,_ZN7rocprim17ROCPRIM_400000_NS6detail17trampoline_kernelINS0_14default_configENS1_22reduce_config_selectorIiEEZNS1_11reduce_implILb1ES3_PiS7_iN6hipcub16HIPCUB_304000_NS6detail34convert_binary_result_type_wrapperINS9_3SumENS9_22TransformInputIteratorIbN2at6native12_GLOBAL__N_19NonZeroOpIN3c104HalfEEEPKSJ_lEEiEEEE10hipError_tPvRmT1_T2_T3_mT4_P12ihipStream_tbEUlT_E1_NS1_11comp_targetILNS1_3genE5ELNS1_11target_archE942ELNS1_3gpuE9ELNS1_3repE0EEENS1_30default_config_static_selectorELNS0_4arch9wavefront6targetE0EEEvSS_,comdat
	.globl	_ZN7rocprim17ROCPRIM_400000_NS6detail17trampoline_kernelINS0_14default_configENS1_22reduce_config_selectorIiEEZNS1_11reduce_implILb1ES3_PiS7_iN6hipcub16HIPCUB_304000_NS6detail34convert_binary_result_type_wrapperINS9_3SumENS9_22TransformInputIteratorIbN2at6native12_GLOBAL__N_19NonZeroOpIN3c104HalfEEEPKSJ_lEEiEEEE10hipError_tPvRmT1_T2_T3_mT4_P12ihipStream_tbEUlT_E1_NS1_11comp_targetILNS1_3genE5ELNS1_11target_archE942ELNS1_3gpuE9ELNS1_3repE0EEENS1_30default_config_static_selectorELNS0_4arch9wavefront6targetE0EEEvSS_ ; -- Begin function _ZN7rocprim17ROCPRIM_400000_NS6detail17trampoline_kernelINS0_14default_configENS1_22reduce_config_selectorIiEEZNS1_11reduce_implILb1ES3_PiS7_iN6hipcub16HIPCUB_304000_NS6detail34convert_binary_result_type_wrapperINS9_3SumENS9_22TransformInputIteratorIbN2at6native12_GLOBAL__N_19NonZeroOpIN3c104HalfEEEPKSJ_lEEiEEEE10hipError_tPvRmT1_T2_T3_mT4_P12ihipStream_tbEUlT_E1_NS1_11comp_targetILNS1_3genE5ELNS1_11target_archE942ELNS1_3gpuE9ELNS1_3repE0EEENS1_30default_config_static_selectorELNS0_4arch9wavefront6targetE0EEEvSS_
	.p2align	8
	.type	_ZN7rocprim17ROCPRIM_400000_NS6detail17trampoline_kernelINS0_14default_configENS1_22reduce_config_selectorIiEEZNS1_11reduce_implILb1ES3_PiS7_iN6hipcub16HIPCUB_304000_NS6detail34convert_binary_result_type_wrapperINS9_3SumENS9_22TransformInputIteratorIbN2at6native12_GLOBAL__N_19NonZeroOpIN3c104HalfEEEPKSJ_lEEiEEEE10hipError_tPvRmT1_T2_T3_mT4_P12ihipStream_tbEUlT_E1_NS1_11comp_targetILNS1_3genE5ELNS1_11target_archE942ELNS1_3gpuE9ELNS1_3repE0EEENS1_30default_config_static_selectorELNS0_4arch9wavefront6targetE0EEEvSS_,@function
_ZN7rocprim17ROCPRIM_400000_NS6detail17trampoline_kernelINS0_14default_configENS1_22reduce_config_selectorIiEEZNS1_11reduce_implILb1ES3_PiS7_iN6hipcub16HIPCUB_304000_NS6detail34convert_binary_result_type_wrapperINS9_3SumENS9_22TransformInputIteratorIbN2at6native12_GLOBAL__N_19NonZeroOpIN3c104HalfEEEPKSJ_lEEiEEEE10hipError_tPvRmT1_T2_T3_mT4_P12ihipStream_tbEUlT_E1_NS1_11comp_targetILNS1_3genE5ELNS1_11target_archE942ELNS1_3gpuE9ELNS1_3repE0EEENS1_30default_config_static_selectorELNS0_4arch9wavefront6targetE0EEEvSS_: ; @_ZN7rocprim17ROCPRIM_400000_NS6detail17trampoline_kernelINS0_14default_configENS1_22reduce_config_selectorIiEEZNS1_11reduce_implILb1ES3_PiS7_iN6hipcub16HIPCUB_304000_NS6detail34convert_binary_result_type_wrapperINS9_3SumENS9_22TransformInputIteratorIbN2at6native12_GLOBAL__N_19NonZeroOpIN3c104HalfEEEPKSJ_lEEiEEEE10hipError_tPvRmT1_T2_T3_mT4_P12ihipStream_tbEUlT_E1_NS1_11comp_targetILNS1_3genE5ELNS1_11target_archE942ELNS1_3gpuE9ELNS1_3repE0EEENS1_30default_config_static_selectorELNS0_4arch9wavefront6targetE0EEEvSS_
; %bb.0:
	.section	.rodata,"a",@progbits
	.p2align	6, 0x0
	.amdhsa_kernel _ZN7rocprim17ROCPRIM_400000_NS6detail17trampoline_kernelINS0_14default_configENS1_22reduce_config_selectorIiEEZNS1_11reduce_implILb1ES3_PiS7_iN6hipcub16HIPCUB_304000_NS6detail34convert_binary_result_type_wrapperINS9_3SumENS9_22TransformInputIteratorIbN2at6native12_GLOBAL__N_19NonZeroOpIN3c104HalfEEEPKSJ_lEEiEEEE10hipError_tPvRmT1_T2_T3_mT4_P12ihipStream_tbEUlT_E1_NS1_11comp_targetILNS1_3genE5ELNS1_11target_archE942ELNS1_3gpuE9ELNS1_3repE0EEENS1_30default_config_static_selectorELNS0_4arch9wavefront6targetE0EEEvSS_
		.amdhsa_group_segment_fixed_size 0
		.amdhsa_private_segment_fixed_size 0
		.amdhsa_kernarg_size 40
		.amdhsa_user_sgpr_count 15
		.amdhsa_user_sgpr_dispatch_ptr 0
		.amdhsa_user_sgpr_queue_ptr 0
		.amdhsa_user_sgpr_kernarg_segment_ptr 1
		.amdhsa_user_sgpr_dispatch_id 0
		.amdhsa_user_sgpr_private_segment_size 0
		.amdhsa_wavefront_size32 1
		.amdhsa_uses_dynamic_stack 0
		.amdhsa_enable_private_segment 0
		.amdhsa_system_sgpr_workgroup_id_x 1
		.amdhsa_system_sgpr_workgroup_id_y 0
		.amdhsa_system_sgpr_workgroup_id_z 0
		.amdhsa_system_sgpr_workgroup_info 0
		.amdhsa_system_vgpr_workitem_id 0
		.amdhsa_next_free_vgpr 1
		.amdhsa_next_free_sgpr 1
		.amdhsa_reserve_vcc 0
		.amdhsa_float_round_mode_32 0
		.amdhsa_float_round_mode_16_64 0
		.amdhsa_float_denorm_mode_32 3
		.amdhsa_float_denorm_mode_16_64 3
		.amdhsa_dx10_clamp 1
		.amdhsa_ieee_mode 1
		.amdhsa_fp16_overflow 0
		.amdhsa_workgroup_processor_mode 1
		.amdhsa_memory_ordered 1
		.amdhsa_forward_progress 0
		.amdhsa_shared_vgpr_count 0
		.amdhsa_exception_fp_ieee_invalid_op 0
		.amdhsa_exception_fp_denorm_src 0
		.amdhsa_exception_fp_ieee_div_zero 0
		.amdhsa_exception_fp_ieee_overflow 0
		.amdhsa_exception_fp_ieee_underflow 0
		.amdhsa_exception_fp_ieee_inexact 0
		.amdhsa_exception_int_div_zero 0
	.end_amdhsa_kernel
	.section	.text._ZN7rocprim17ROCPRIM_400000_NS6detail17trampoline_kernelINS0_14default_configENS1_22reduce_config_selectorIiEEZNS1_11reduce_implILb1ES3_PiS7_iN6hipcub16HIPCUB_304000_NS6detail34convert_binary_result_type_wrapperINS9_3SumENS9_22TransformInputIteratorIbN2at6native12_GLOBAL__N_19NonZeroOpIN3c104HalfEEEPKSJ_lEEiEEEE10hipError_tPvRmT1_T2_T3_mT4_P12ihipStream_tbEUlT_E1_NS1_11comp_targetILNS1_3genE5ELNS1_11target_archE942ELNS1_3gpuE9ELNS1_3repE0EEENS1_30default_config_static_selectorELNS0_4arch9wavefront6targetE0EEEvSS_,"axG",@progbits,_ZN7rocprim17ROCPRIM_400000_NS6detail17trampoline_kernelINS0_14default_configENS1_22reduce_config_selectorIiEEZNS1_11reduce_implILb1ES3_PiS7_iN6hipcub16HIPCUB_304000_NS6detail34convert_binary_result_type_wrapperINS9_3SumENS9_22TransformInputIteratorIbN2at6native12_GLOBAL__N_19NonZeroOpIN3c104HalfEEEPKSJ_lEEiEEEE10hipError_tPvRmT1_T2_T3_mT4_P12ihipStream_tbEUlT_E1_NS1_11comp_targetILNS1_3genE5ELNS1_11target_archE942ELNS1_3gpuE9ELNS1_3repE0EEENS1_30default_config_static_selectorELNS0_4arch9wavefront6targetE0EEEvSS_,comdat
.Lfunc_end840:
	.size	_ZN7rocprim17ROCPRIM_400000_NS6detail17trampoline_kernelINS0_14default_configENS1_22reduce_config_selectorIiEEZNS1_11reduce_implILb1ES3_PiS7_iN6hipcub16HIPCUB_304000_NS6detail34convert_binary_result_type_wrapperINS9_3SumENS9_22TransformInputIteratorIbN2at6native12_GLOBAL__N_19NonZeroOpIN3c104HalfEEEPKSJ_lEEiEEEE10hipError_tPvRmT1_T2_T3_mT4_P12ihipStream_tbEUlT_E1_NS1_11comp_targetILNS1_3genE5ELNS1_11target_archE942ELNS1_3gpuE9ELNS1_3repE0EEENS1_30default_config_static_selectorELNS0_4arch9wavefront6targetE0EEEvSS_, .Lfunc_end840-_ZN7rocprim17ROCPRIM_400000_NS6detail17trampoline_kernelINS0_14default_configENS1_22reduce_config_selectorIiEEZNS1_11reduce_implILb1ES3_PiS7_iN6hipcub16HIPCUB_304000_NS6detail34convert_binary_result_type_wrapperINS9_3SumENS9_22TransformInputIteratorIbN2at6native12_GLOBAL__N_19NonZeroOpIN3c104HalfEEEPKSJ_lEEiEEEE10hipError_tPvRmT1_T2_T3_mT4_P12ihipStream_tbEUlT_E1_NS1_11comp_targetILNS1_3genE5ELNS1_11target_archE942ELNS1_3gpuE9ELNS1_3repE0EEENS1_30default_config_static_selectorELNS0_4arch9wavefront6targetE0EEEvSS_
                                        ; -- End function
	.section	.AMDGPU.csdata,"",@progbits
; Kernel info:
; codeLenInByte = 0
; NumSgprs: 0
; NumVgprs: 0
; ScratchSize: 0
; MemoryBound: 0
; FloatMode: 240
; IeeeMode: 1
; LDSByteSize: 0 bytes/workgroup (compile time only)
; SGPRBlocks: 0
; VGPRBlocks: 0
; NumSGPRsForWavesPerEU: 1
; NumVGPRsForWavesPerEU: 1
; Occupancy: 16
; WaveLimiterHint : 0
; COMPUTE_PGM_RSRC2:SCRATCH_EN: 0
; COMPUTE_PGM_RSRC2:USER_SGPR: 15
; COMPUTE_PGM_RSRC2:TRAP_HANDLER: 0
; COMPUTE_PGM_RSRC2:TGID_X_EN: 1
; COMPUTE_PGM_RSRC2:TGID_Y_EN: 0
; COMPUTE_PGM_RSRC2:TGID_Z_EN: 0
; COMPUTE_PGM_RSRC2:TIDIG_COMP_CNT: 0
	.section	.text._ZN7rocprim17ROCPRIM_400000_NS6detail17trampoline_kernelINS0_14default_configENS1_22reduce_config_selectorIiEEZNS1_11reduce_implILb1ES3_PiS7_iN6hipcub16HIPCUB_304000_NS6detail34convert_binary_result_type_wrapperINS9_3SumENS9_22TransformInputIteratorIbN2at6native12_GLOBAL__N_19NonZeroOpIN3c104HalfEEEPKSJ_lEEiEEEE10hipError_tPvRmT1_T2_T3_mT4_P12ihipStream_tbEUlT_E1_NS1_11comp_targetILNS1_3genE4ELNS1_11target_archE910ELNS1_3gpuE8ELNS1_3repE0EEENS1_30default_config_static_selectorELNS0_4arch9wavefront6targetE0EEEvSS_,"axG",@progbits,_ZN7rocprim17ROCPRIM_400000_NS6detail17trampoline_kernelINS0_14default_configENS1_22reduce_config_selectorIiEEZNS1_11reduce_implILb1ES3_PiS7_iN6hipcub16HIPCUB_304000_NS6detail34convert_binary_result_type_wrapperINS9_3SumENS9_22TransformInputIteratorIbN2at6native12_GLOBAL__N_19NonZeroOpIN3c104HalfEEEPKSJ_lEEiEEEE10hipError_tPvRmT1_T2_T3_mT4_P12ihipStream_tbEUlT_E1_NS1_11comp_targetILNS1_3genE4ELNS1_11target_archE910ELNS1_3gpuE8ELNS1_3repE0EEENS1_30default_config_static_selectorELNS0_4arch9wavefront6targetE0EEEvSS_,comdat
	.globl	_ZN7rocprim17ROCPRIM_400000_NS6detail17trampoline_kernelINS0_14default_configENS1_22reduce_config_selectorIiEEZNS1_11reduce_implILb1ES3_PiS7_iN6hipcub16HIPCUB_304000_NS6detail34convert_binary_result_type_wrapperINS9_3SumENS9_22TransformInputIteratorIbN2at6native12_GLOBAL__N_19NonZeroOpIN3c104HalfEEEPKSJ_lEEiEEEE10hipError_tPvRmT1_T2_T3_mT4_P12ihipStream_tbEUlT_E1_NS1_11comp_targetILNS1_3genE4ELNS1_11target_archE910ELNS1_3gpuE8ELNS1_3repE0EEENS1_30default_config_static_selectorELNS0_4arch9wavefront6targetE0EEEvSS_ ; -- Begin function _ZN7rocprim17ROCPRIM_400000_NS6detail17trampoline_kernelINS0_14default_configENS1_22reduce_config_selectorIiEEZNS1_11reduce_implILb1ES3_PiS7_iN6hipcub16HIPCUB_304000_NS6detail34convert_binary_result_type_wrapperINS9_3SumENS9_22TransformInputIteratorIbN2at6native12_GLOBAL__N_19NonZeroOpIN3c104HalfEEEPKSJ_lEEiEEEE10hipError_tPvRmT1_T2_T3_mT4_P12ihipStream_tbEUlT_E1_NS1_11comp_targetILNS1_3genE4ELNS1_11target_archE910ELNS1_3gpuE8ELNS1_3repE0EEENS1_30default_config_static_selectorELNS0_4arch9wavefront6targetE0EEEvSS_
	.p2align	8
	.type	_ZN7rocprim17ROCPRIM_400000_NS6detail17trampoline_kernelINS0_14default_configENS1_22reduce_config_selectorIiEEZNS1_11reduce_implILb1ES3_PiS7_iN6hipcub16HIPCUB_304000_NS6detail34convert_binary_result_type_wrapperINS9_3SumENS9_22TransformInputIteratorIbN2at6native12_GLOBAL__N_19NonZeroOpIN3c104HalfEEEPKSJ_lEEiEEEE10hipError_tPvRmT1_T2_T3_mT4_P12ihipStream_tbEUlT_E1_NS1_11comp_targetILNS1_3genE4ELNS1_11target_archE910ELNS1_3gpuE8ELNS1_3repE0EEENS1_30default_config_static_selectorELNS0_4arch9wavefront6targetE0EEEvSS_,@function
_ZN7rocprim17ROCPRIM_400000_NS6detail17trampoline_kernelINS0_14default_configENS1_22reduce_config_selectorIiEEZNS1_11reduce_implILb1ES3_PiS7_iN6hipcub16HIPCUB_304000_NS6detail34convert_binary_result_type_wrapperINS9_3SumENS9_22TransformInputIteratorIbN2at6native12_GLOBAL__N_19NonZeroOpIN3c104HalfEEEPKSJ_lEEiEEEE10hipError_tPvRmT1_T2_T3_mT4_P12ihipStream_tbEUlT_E1_NS1_11comp_targetILNS1_3genE4ELNS1_11target_archE910ELNS1_3gpuE8ELNS1_3repE0EEENS1_30default_config_static_selectorELNS0_4arch9wavefront6targetE0EEEvSS_: ; @_ZN7rocprim17ROCPRIM_400000_NS6detail17trampoline_kernelINS0_14default_configENS1_22reduce_config_selectorIiEEZNS1_11reduce_implILb1ES3_PiS7_iN6hipcub16HIPCUB_304000_NS6detail34convert_binary_result_type_wrapperINS9_3SumENS9_22TransformInputIteratorIbN2at6native12_GLOBAL__N_19NonZeroOpIN3c104HalfEEEPKSJ_lEEiEEEE10hipError_tPvRmT1_T2_T3_mT4_P12ihipStream_tbEUlT_E1_NS1_11comp_targetILNS1_3genE4ELNS1_11target_archE910ELNS1_3gpuE8ELNS1_3repE0EEENS1_30default_config_static_selectorELNS0_4arch9wavefront6targetE0EEEvSS_
; %bb.0:
	.section	.rodata,"a",@progbits
	.p2align	6, 0x0
	.amdhsa_kernel _ZN7rocprim17ROCPRIM_400000_NS6detail17trampoline_kernelINS0_14default_configENS1_22reduce_config_selectorIiEEZNS1_11reduce_implILb1ES3_PiS7_iN6hipcub16HIPCUB_304000_NS6detail34convert_binary_result_type_wrapperINS9_3SumENS9_22TransformInputIteratorIbN2at6native12_GLOBAL__N_19NonZeroOpIN3c104HalfEEEPKSJ_lEEiEEEE10hipError_tPvRmT1_T2_T3_mT4_P12ihipStream_tbEUlT_E1_NS1_11comp_targetILNS1_3genE4ELNS1_11target_archE910ELNS1_3gpuE8ELNS1_3repE0EEENS1_30default_config_static_selectorELNS0_4arch9wavefront6targetE0EEEvSS_
		.amdhsa_group_segment_fixed_size 0
		.amdhsa_private_segment_fixed_size 0
		.amdhsa_kernarg_size 40
		.amdhsa_user_sgpr_count 15
		.amdhsa_user_sgpr_dispatch_ptr 0
		.amdhsa_user_sgpr_queue_ptr 0
		.amdhsa_user_sgpr_kernarg_segment_ptr 1
		.amdhsa_user_sgpr_dispatch_id 0
		.amdhsa_user_sgpr_private_segment_size 0
		.amdhsa_wavefront_size32 1
		.amdhsa_uses_dynamic_stack 0
		.amdhsa_enable_private_segment 0
		.amdhsa_system_sgpr_workgroup_id_x 1
		.amdhsa_system_sgpr_workgroup_id_y 0
		.amdhsa_system_sgpr_workgroup_id_z 0
		.amdhsa_system_sgpr_workgroup_info 0
		.amdhsa_system_vgpr_workitem_id 0
		.amdhsa_next_free_vgpr 1
		.amdhsa_next_free_sgpr 1
		.amdhsa_reserve_vcc 0
		.amdhsa_float_round_mode_32 0
		.amdhsa_float_round_mode_16_64 0
		.amdhsa_float_denorm_mode_32 3
		.amdhsa_float_denorm_mode_16_64 3
		.amdhsa_dx10_clamp 1
		.amdhsa_ieee_mode 1
		.amdhsa_fp16_overflow 0
		.amdhsa_workgroup_processor_mode 1
		.amdhsa_memory_ordered 1
		.amdhsa_forward_progress 0
		.amdhsa_shared_vgpr_count 0
		.amdhsa_exception_fp_ieee_invalid_op 0
		.amdhsa_exception_fp_denorm_src 0
		.amdhsa_exception_fp_ieee_div_zero 0
		.amdhsa_exception_fp_ieee_overflow 0
		.amdhsa_exception_fp_ieee_underflow 0
		.amdhsa_exception_fp_ieee_inexact 0
		.amdhsa_exception_int_div_zero 0
	.end_amdhsa_kernel
	.section	.text._ZN7rocprim17ROCPRIM_400000_NS6detail17trampoline_kernelINS0_14default_configENS1_22reduce_config_selectorIiEEZNS1_11reduce_implILb1ES3_PiS7_iN6hipcub16HIPCUB_304000_NS6detail34convert_binary_result_type_wrapperINS9_3SumENS9_22TransformInputIteratorIbN2at6native12_GLOBAL__N_19NonZeroOpIN3c104HalfEEEPKSJ_lEEiEEEE10hipError_tPvRmT1_T2_T3_mT4_P12ihipStream_tbEUlT_E1_NS1_11comp_targetILNS1_3genE4ELNS1_11target_archE910ELNS1_3gpuE8ELNS1_3repE0EEENS1_30default_config_static_selectorELNS0_4arch9wavefront6targetE0EEEvSS_,"axG",@progbits,_ZN7rocprim17ROCPRIM_400000_NS6detail17trampoline_kernelINS0_14default_configENS1_22reduce_config_selectorIiEEZNS1_11reduce_implILb1ES3_PiS7_iN6hipcub16HIPCUB_304000_NS6detail34convert_binary_result_type_wrapperINS9_3SumENS9_22TransformInputIteratorIbN2at6native12_GLOBAL__N_19NonZeroOpIN3c104HalfEEEPKSJ_lEEiEEEE10hipError_tPvRmT1_T2_T3_mT4_P12ihipStream_tbEUlT_E1_NS1_11comp_targetILNS1_3genE4ELNS1_11target_archE910ELNS1_3gpuE8ELNS1_3repE0EEENS1_30default_config_static_selectorELNS0_4arch9wavefront6targetE0EEEvSS_,comdat
.Lfunc_end841:
	.size	_ZN7rocprim17ROCPRIM_400000_NS6detail17trampoline_kernelINS0_14default_configENS1_22reduce_config_selectorIiEEZNS1_11reduce_implILb1ES3_PiS7_iN6hipcub16HIPCUB_304000_NS6detail34convert_binary_result_type_wrapperINS9_3SumENS9_22TransformInputIteratorIbN2at6native12_GLOBAL__N_19NonZeroOpIN3c104HalfEEEPKSJ_lEEiEEEE10hipError_tPvRmT1_T2_T3_mT4_P12ihipStream_tbEUlT_E1_NS1_11comp_targetILNS1_3genE4ELNS1_11target_archE910ELNS1_3gpuE8ELNS1_3repE0EEENS1_30default_config_static_selectorELNS0_4arch9wavefront6targetE0EEEvSS_, .Lfunc_end841-_ZN7rocprim17ROCPRIM_400000_NS6detail17trampoline_kernelINS0_14default_configENS1_22reduce_config_selectorIiEEZNS1_11reduce_implILb1ES3_PiS7_iN6hipcub16HIPCUB_304000_NS6detail34convert_binary_result_type_wrapperINS9_3SumENS9_22TransformInputIteratorIbN2at6native12_GLOBAL__N_19NonZeroOpIN3c104HalfEEEPKSJ_lEEiEEEE10hipError_tPvRmT1_T2_T3_mT4_P12ihipStream_tbEUlT_E1_NS1_11comp_targetILNS1_3genE4ELNS1_11target_archE910ELNS1_3gpuE8ELNS1_3repE0EEENS1_30default_config_static_selectorELNS0_4arch9wavefront6targetE0EEEvSS_
                                        ; -- End function
	.section	.AMDGPU.csdata,"",@progbits
; Kernel info:
; codeLenInByte = 0
; NumSgprs: 0
; NumVgprs: 0
; ScratchSize: 0
; MemoryBound: 0
; FloatMode: 240
; IeeeMode: 1
; LDSByteSize: 0 bytes/workgroup (compile time only)
; SGPRBlocks: 0
; VGPRBlocks: 0
; NumSGPRsForWavesPerEU: 1
; NumVGPRsForWavesPerEU: 1
; Occupancy: 16
; WaveLimiterHint : 0
; COMPUTE_PGM_RSRC2:SCRATCH_EN: 0
; COMPUTE_PGM_RSRC2:USER_SGPR: 15
; COMPUTE_PGM_RSRC2:TRAP_HANDLER: 0
; COMPUTE_PGM_RSRC2:TGID_X_EN: 1
; COMPUTE_PGM_RSRC2:TGID_Y_EN: 0
; COMPUTE_PGM_RSRC2:TGID_Z_EN: 0
; COMPUTE_PGM_RSRC2:TIDIG_COMP_CNT: 0
	.section	.text._ZN7rocprim17ROCPRIM_400000_NS6detail17trampoline_kernelINS0_14default_configENS1_22reduce_config_selectorIiEEZNS1_11reduce_implILb1ES3_PiS7_iN6hipcub16HIPCUB_304000_NS6detail34convert_binary_result_type_wrapperINS9_3SumENS9_22TransformInputIteratorIbN2at6native12_GLOBAL__N_19NonZeroOpIN3c104HalfEEEPKSJ_lEEiEEEE10hipError_tPvRmT1_T2_T3_mT4_P12ihipStream_tbEUlT_E1_NS1_11comp_targetILNS1_3genE3ELNS1_11target_archE908ELNS1_3gpuE7ELNS1_3repE0EEENS1_30default_config_static_selectorELNS0_4arch9wavefront6targetE0EEEvSS_,"axG",@progbits,_ZN7rocprim17ROCPRIM_400000_NS6detail17trampoline_kernelINS0_14default_configENS1_22reduce_config_selectorIiEEZNS1_11reduce_implILb1ES3_PiS7_iN6hipcub16HIPCUB_304000_NS6detail34convert_binary_result_type_wrapperINS9_3SumENS9_22TransformInputIteratorIbN2at6native12_GLOBAL__N_19NonZeroOpIN3c104HalfEEEPKSJ_lEEiEEEE10hipError_tPvRmT1_T2_T3_mT4_P12ihipStream_tbEUlT_E1_NS1_11comp_targetILNS1_3genE3ELNS1_11target_archE908ELNS1_3gpuE7ELNS1_3repE0EEENS1_30default_config_static_selectorELNS0_4arch9wavefront6targetE0EEEvSS_,comdat
	.globl	_ZN7rocprim17ROCPRIM_400000_NS6detail17trampoline_kernelINS0_14default_configENS1_22reduce_config_selectorIiEEZNS1_11reduce_implILb1ES3_PiS7_iN6hipcub16HIPCUB_304000_NS6detail34convert_binary_result_type_wrapperINS9_3SumENS9_22TransformInputIteratorIbN2at6native12_GLOBAL__N_19NonZeroOpIN3c104HalfEEEPKSJ_lEEiEEEE10hipError_tPvRmT1_T2_T3_mT4_P12ihipStream_tbEUlT_E1_NS1_11comp_targetILNS1_3genE3ELNS1_11target_archE908ELNS1_3gpuE7ELNS1_3repE0EEENS1_30default_config_static_selectorELNS0_4arch9wavefront6targetE0EEEvSS_ ; -- Begin function _ZN7rocprim17ROCPRIM_400000_NS6detail17trampoline_kernelINS0_14default_configENS1_22reduce_config_selectorIiEEZNS1_11reduce_implILb1ES3_PiS7_iN6hipcub16HIPCUB_304000_NS6detail34convert_binary_result_type_wrapperINS9_3SumENS9_22TransformInputIteratorIbN2at6native12_GLOBAL__N_19NonZeroOpIN3c104HalfEEEPKSJ_lEEiEEEE10hipError_tPvRmT1_T2_T3_mT4_P12ihipStream_tbEUlT_E1_NS1_11comp_targetILNS1_3genE3ELNS1_11target_archE908ELNS1_3gpuE7ELNS1_3repE0EEENS1_30default_config_static_selectorELNS0_4arch9wavefront6targetE0EEEvSS_
	.p2align	8
	.type	_ZN7rocprim17ROCPRIM_400000_NS6detail17trampoline_kernelINS0_14default_configENS1_22reduce_config_selectorIiEEZNS1_11reduce_implILb1ES3_PiS7_iN6hipcub16HIPCUB_304000_NS6detail34convert_binary_result_type_wrapperINS9_3SumENS9_22TransformInputIteratorIbN2at6native12_GLOBAL__N_19NonZeroOpIN3c104HalfEEEPKSJ_lEEiEEEE10hipError_tPvRmT1_T2_T3_mT4_P12ihipStream_tbEUlT_E1_NS1_11comp_targetILNS1_3genE3ELNS1_11target_archE908ELNS1_3gpuE7ELNS1_3repE0EEENS1_30default_config_static_selectorELNS0_4arch9wavefront6targetE0EEEvSS_,@function
_ZN7rocprim17ROCPRIM_400000_NS6detail17trampoline_kernelINS0_14default_configENS1_22reduce_config_selectorIiEEZNS1_11reduce_implILb1ES3_PiS7_iN6hipcub16HIPCUB_304000_NS6detail34convert_binary_result_type_wrapperINS9_3SumENS9_22TransformInputIteratorIbN2at6native12_GLOBAL__N_19NonZeroOpIN3c104HalfEEEPKSJ_lEEiEEEE10hipError_tPvRmT1_T2_T3_mT4_P12ihipStream_tbEUlT_E1_NS1_11comp_targetILNS1_3genE3ELNS1_11target_archE908ELNS1_3gpuE7ELNS1_3repE0EEENS1_30default_config_static_selectorELNS0_4arch9wavefront6targetE0EEEvSS_: ; @_ZN7rocprim17ROCPRIM_400000_NS6detail17trampoline_kernelINS0_14default_configENS1_22reduce_config_selectorIiEEZNS1_11reduce_implILb1ES3_PiS7_iN6hipcub16HIPCUB_304000_NS6detail34convert_binary_result_type_wrapperINS9_3SumENS9_22TransformInputIteratorIbN2at6native12_GLOBAL__N_19NonZeroOpIN3c104HalfEEEPKSJ_lEEiEEEE10hipError_tPvRmT1_T2_T3_mT4_P12ihipStream_tbEUlT_E1_NS1_11comp_targetILNS1_3genE3ELNS1_11target_archE908ELNS1_3gpuE7ELNS1_3repE0EEENS1_30default_config_static_selectorELNS0_4arch9wavefront6targetE0EEEvSS_
; %bb.0:
	.section	.rodata,"a",@progbits
	.p2align	6, 0x0
	.amdhsa_kernel _ZN7rocprim17ROCPRIM_400000_NS6detail17trampoline_kernelINS0_14default_configENS1_22reduce_config_selectorIiEEZNS1_11reduce_implILb1ES3_PiS7_iN6hipcub16HIPCUB_304000_NS6detail34convert_binary_result_type_wrapperINS9_3SumENS9_22TransformInputIteratorIbN2at6native12_GLOBAL__N_19NonZeroOpIN3c104HalfEEEPKSJ_lEEiEEEE10hipError_tPvRmT1_T2_T3_mT4_P12ihipStream_tbEUlT_E1_NS1_11comp_targetILNS1_3genE3ELNS1_11target_archE908ELNS1_3gpuE7ELNS1_3repE0EEENS1_30default_config_static_selectorELNS0_4arch9wavefront6targetE0EEEvSS_
		.amdhsa_group_segment_fixed_size 0
		.amdhsa_private_segment_fixed_size 0
		.amdhsa_kernarg_size 40
		.amdhsa_user_sgpr_count 15
		.amdhsa_user_sgpr_dispatch_ptr 0
		.amdhsa_user_sgpr_queue_ptr 0
		.amdhsa_user_sgpr_kernarg_segment_ptr 1
		.amdhsa_user_sgpr_dispatch_id 0
		.amdhsa_user_sgpr_private_segment_size 0
		.amdhsa_wavefront_size32 1
		.amdhsa_uses_dynamic_stack 0
		.amdhsa_enable_private_segment 0
		.amdhsa_system_sgpr_workgroup_id_x 1
		.amdhsa_system_sgpr_workgroup_id_y 0
		.amdhsa_system_sgpr_workgroup_id_z 0
		.amdhsa_system_sgpr_workgroup_info 0
		.amdhsa_system_vgpr_workitem_id 0
		.amdhsa_next_free_vgpr 1
		.amdhsa_next_free_sgpr 1
		.amdhsa_reserve_vcc 0
		.amdhsa_float_round_mode_32 0
		.amdhsa_float_round_mode_16_64 0
		.amdhsa_float_denorm_mode_32 3
		.amdhsa_float_denorm_mode_16_64 3
		.amdhsa_dx10_clamp 1
		.amdhsa_ieee_mode 1
		.amdhsa_fp16_overflow 0
		.amdhsa_workgroup_processor_mode 1
		.amdhsa_memory_ordered 1
		.amdhsa_forward_progress 0
		.amdhsa_shared_vgpr_count 0
		.amdhsa_exception_fp_ieee_invalid_op 0
		.amdhsa_exception_fp_denorm_src 0
		.amdhsa_exception_fp_ieee_div_zero 0
		.amdhsa_exception_fp_ieee_overflow 0
		.amdhsa_exception_fp_ieee_underflow 0
		.amdhsa_exception_fp_ieee_inexact 0
		.amdhsa_exception_int_div_zero 0
	.end_amdhsa_kernel
	.section	.text._ZN7rocprim17ROCPRIM_400000_NS6detail17trampoline_kernelINS0_14default_configENS1_22reduce_config_selectorIiEEZNS1_11reduce_implILb1ES3_PiS7_iN6hipcub16HIPCUB_304000_NS6detail34convert_binary_result_type_wrapperINS9_3SumENS9_22TransformInputIteratorIbN2at6native12_GLOBAL__N_19NonZeroOpIN3c104HalfEEEPKSJ_lEEiEEEE10hipError_tPvRmT1_T2_T3_mT4_P12ihipStream_tbEUlT_E1_NS1_11comp_targetILNS1_3genE3ELNS1_11target_archE908ELNS1_3gpuE7ELNS1_3repE0EEENS1_30default_config_static_selectorELNS0_4arch9wavefront6targetE0EEEvSS_,"axG",@progbits,_ZN7rocprim17ROCPRIM_400000_NS6detail17trampoline_kernelINS0_14default_configENS1_22reduce_config_selectorIiEEZNS1_11reduce_implILb1ES3_PiS7_iN6hipcub16HIPCUB_304000_NS6detail34convert_binary_result_type_wrapperINS9_3SumENS9_22TransformInputIteratorIbN2at6native12_GLOBAL__N_19NonZeroOpIN3c104HalfEEEPKSJ_lEEiEEEE10hipError_tPvRmT1_T2_T3_mT4_P12ihipStream_tbEUlT_E1_NS1_11comp_targetILNS1_3genE3ELNS1_11target_archE908ELNS1_3gpuE7ELNS1_3repE0EEENS1_30default_config_static_selectorELNS0_4arch9wavefront6targetE0EEEvSS_,comdat
.Lfunc_end842:
	.size	_ZN7rocprim17ROCPRIM_400000_NS6detail17trampoline_kernelINS0_14default_configENS1_22reduce_config_selectorIiEEZNS1_11reduce_implILb1ES3_PiS7_iN6hipcub16HIPCUB_304000_NS6detail34convert_binary_result_type_wrapperINS9_3SumENS9_22TransformInputIteratorIbN2at6native12_GLOBAL__N_19NonZeroOpIN3c104HalfEEEPKSJ_lEEiEEEE10hipError_tPvRmT1_T2_T3_mT4_P12ihipStream_tbEUlT_E1_NS1_11comp_targetILNS1_3genE3ELNS1_11target_archE908ELNS1_3gpuE7ELNS1_3repE0EEENS1_30default_config_static_selectorELNS0_4arch9wavefront6targetE0EEEvSS_, .Lfunc_end842-_ZN7rocprim17ROCPRIM_400000_NS6detail17trampoline_kernelINS0_14default_configENS1_22reduce_config_selectorIiEEZNS1_11reduce_implILb1ES3_PiS7_iN6hipcub16HIPCUB_304000_NS6detail34convert_binary_result_type_wrapperINS9_3SumENS9_22TransformInputIteratorIbN2at6native12_GLOBAL__N_19NonZeroOpIN3c104HalfEEEPKSJ_lEEiEEEE10hipError_tPvRmT1_T2_T3_mT4_P12ihipStream_tbEUlT_E1_NS1_11comp_targetILNS1_3genE3ELNS1_11target_archE908ELNS1_3gpuE7ELNS1_3repE0EEENS1_30default_config_static_selectorELNS0_4arch9wavefront6targetE0EEEvSS_
                                        ; -- End function
	.section	.AMDGPU.csdata,"",@progbits
; Kernel info:
; codeLenInByte = 0
; NumSgprs: 0
; NumVgprs: 0
; ScratchSize: 0
; MemoryBound: 0
; FloatMode: 240
; IeeeMode: 1
; LDSByteSize: 0 bytes/workgroup (compile time only)
; SGPRBlocks: 0
; VGPRBlocks: 0
; NumSGPRsForWavesPerEU: 1
; NumVGPRsForWavesPerEU: 1
; Occupancy: 16
; WaveLimiterHint : 0
; COMPUTE_PGM_RSRC2:SCRATCH_EN: 0
; COMPUTE_PGM_RSRC2:USER_SGPR: 15
; COMPUTE_PGM_RSRC2:TRAP_HANDLER: 0
; COMPUTE_PGM_RSRC2:TGID_X_EN: 1
; COMPUTE_PGM_RSRC2:TGID_Y_EN: 0
; COMPUTE_PGM_RSRC2:TGID_Z_EN: 0
; COMPUTE_PGM_RSRC2:TIDIG_COMP_CNT: 0
	.section	.text._ZN7rocprim17ROCPRIM_400000_NS6detail17trampoline_kernelINS0_14default_configENS1_22reduce_config_selectorIiEEZNS1_11reduce_implILb1ES3_PiS7_iN6hipcub16HIPCUB_304000_NS6detail34convert_binary_result_type_wrapperINS9_3SumENS9_22TransformInputIteratorIbN2at6native12_GLOBAL__N_19NonZeroOpIN3c104HalfEEEPKSJ_lEEiEEEE10hipError_tPvRmT1_T2_T3_mT4_P12ihipStream_tbEUlT_E1_NS1_11comp_targetILNS1_3genE2ELNS1_11target_archE906ELNS1_3gpuE6ELNS1_3repE0EEENS1_30default_config_static_selectorELNS0_4arch9wavefront6targetE0EEEvSS_,"axG",@progbits,_ZN7rocprim17ROCPRIM_400000_NS6detail17trampoline_kernelINS0_14default_configENS1_22reduce_config_selectorIiEEZNS1_11reduce_implILb1ES3_PiS7_iN6hipcub16HIPCUB_304000_NS6detail34convert_binary_result_type_wrapperINS9_3SumENS9_22TransformInputIteratorIbN2at6native12_GLOBAL__N_19NonZeroOpIN3c104HalfEEEPKSJ_lEEiEEEE10hipError_tPvRmT1_T2_T3_mT4_P12ihipStream_tbEUlT_E1_NS1_11comp_targetILNS1_3genE2ELNS1_11target_archE906ELNS1_3gpuE6ELNS1_3repE0EEENS1_30default_config_static_selectorELNS0_4arch9wavefront6targetE0EEEvSS_,comdat
	.globl	_ZN7rocprim17ROCPRIM_400000_NS6detail17trampoline_kernelINS0_14default_configENS1_22reduce_config_selectorIiEEZNS1_11reduce_implILb1ES3_PiS7_iN6hipcub16HIPCUB_304000_NS6detail34convert_binary_result_type_wrapperINS9_3SumENS9_22TransformInputIteratorIbN2at6native12_GLOBAL__N_19NonZeroOpIN3c104HalfEEEPKSJ_lEEiEEEE10hipError_tPvRmT1_T2_T3_mT4_P12ihipStream_tbEUlT_E1_NS1_11comp_targetILNS1_3genE2ELNS1_11target_archE906ELNS1_3gpuE6ELNS1_3repE0EEENS1_30default_config_static_selectorELNS0_4arch9wavefront6targetE0EEEvSS_ ; -- Begin function _ZN7rocprim17ROCPRIM_400000_NS6detail17trampoline_kernelINS0_14default_configENS1_22reduce_config_selectorIiEEZNS1_11reduce_implILb1ES3_PiS7_iN6hipcub16HIPCUB_304000_NS6detail34convert_binary_result_type_wrapperINS9_3SumENS9_22TransformInputIteratorIbN2at6native12_GLOBAL__N_19NonZeroOpIN3c104HalfEEEPKSJ_lEEiEEEE10hipError_tPvRmT1_T2_T3_mT4_P12ihipStream_tbEUlT_E1_NS1_11comp_targetILNS1_3genE2ELNS1_11target_archE906ELNS1_3gpuE6ELNS1_3repE0EEENS1_30default_config_static_selectorELNS0_4arch9wavefront6targetE0EEEvSS_
	.p2align	8
	.type	_ZN7rocprim17ROCPRIM_400000_NS6detail17trampoline_kernelINS0_14default_configENS1_22reduce_config_selectorIiEEZNS1_11reduce_implILb1ES3_PiS7_iN6hipcub16HIPCUB_304000_NS6detail34convert_binary_result_type_wrapperINS9_3SumENS9_22TransformInputIteratorIbN2at6native12_GLOBAL__N_19NonZeroOpIN3c104HalfEEEPKSJ_lEEiEEEE10hipError_tPvRmT1_T2_T3_mT4_P12ihipStream_tbEUlT_E1_NS1_11comp_targetILNS1_3genE2ELNS1_11target_archE906ELNS1_3gpuE6ELNS1_3repE0EEENS1_30default_config_static_selectorELNS0_4arch9wavefront6targetE0EEEvSS_,@function
_ZN7rocprim17ROCPRIM_400000_NS6detail17trampoline_kernelINS0_14default_configENS1_22reduce_config_selectorIiEEZNS1_11reduce_implILb1ES3_PiS7_iN6hipcub16HIPCUB_304000_NS6detail34convert_binary_result_type_wrapperINS9_3SumENS9_22TransformInputIteratorIbN2at6native12_GLOBAL__N_19NonZeroOpIN3c104HalfEEEPKSJ_lEEiEEEE10hipError_tPvRmT1_T2_T3_mT4_P12ihipStream_tbEUlT_E1_NS1_11comp_targetILNS1_3genE2ELNS1_11target_archE906ELNS1_3gpuE6ELNS1_3repE0EEENS1_30default_config_static_selectorELNS0_4arch9wavefront6targetE0EEEvSS_: ; @_ZN7rocprim17ROCPRIM_400000_NS6detail17trampoline_kernelINS0_14default_configENS1_22reduce_config_selectorIiEEZNS1_11reduce_implILb1ES3_PiS7_iN6hipcub16HIPCUB_304000_NS6detail34convert_binary_result_type_wrapperINS9_3SumENS9_22TransformInputIteratorIbN2at6native12_GLOBAL__N_19NonZeroOpIN3c104HalfEEEPKSJ_lEEiEEEE10hipError_tPvRmT1_T2_T3_mT4_P12ihipStream_tbEUlT_E1_NS1_11comp_targetILNS1_3genE2ELNS1_11target_archE906ELNS1_3gpuE6ELNS1_3repE0EEENS1_30default_config_static_selectorELNS0_4arch9wavefront6targetE0EEEvSS_
; %bb.0:
	.section	.rodata,"a",@progbits
	.p2align	6, 0x0
	.amdhsa_kernel _ZN7rocprim17ROCPRIM_400000_NS6detail17trampoline_kernelINS0_14default_configENS1_22reduce_config_selectorIiEEZNS1_11reduce_implILb1ES3_PiS7_iN6hipcub16HIPCUB_304000_NS6detail34convert_binary_result_type_wrapperINS9_3SumENS9_22TransformInputIteratorIbN2at6native12_GLOBAL__N_19NonZeroOpIN3c104HalfEEEPKSJ_lEEiEEEE10hipError_tPvRmT1_T2_T3_mT4_P12ihipStream_tbEUlT_E1_NS1_11comp_targetILNS1_3genE2ELNS1_11target_archE906ELNS1_3gpuE6ELNS1_3repE0EEENS1_30default_config_static_selectorELNS0_4arch9wavefront6targetE0EEEvSS_
		.amdhsa_group_segment_fixed_size 0
		.amdhsa_private_segment_fixed_size 0
		.amdhsa_kernarg_size 40
		.amdhsa_user_sgpr_count 15
		.amdhsa_user_sgpr_dispatch_ptr 0
		.amdhsa_user_sgpr_queue_ptr 0
		.amdhsa_user_sgpr_kernarg_segment_ptr 1
		.amdhsa_user_sgpr_dispatch_id 0
		.amdhsa_user_sgpr_private_segment_size 0
		.amdhsa_wavefront_size32 1
		.amdhsa_uses_dynamic_stack 0
		.amdhsa_enable_private_segment 0
		.amdhsa_system_sgpr_workgroup_id_x 1
		.amdhsa_system_sgpr_workgroup_id_y 0
		.amdhsa_system_sgpr_workgroup_id_z 0
		.amdhsa_system_sgpr_workgroup_info 0
		.amdhsa_system_vgpr_workitem_id 0
		.amdhsa_next_free_vgpr 1
		.amdhsa_next_free_sgpr 1
		.amdhsa_reserve_vcc 0
		.amdhsa_float_round_mode_32 0
		.amdhsa_float_round_mode_16_64 0
		.amdhsa_float_denorm_mode_32 3
		.amdhsa_float_denorm_mode_16_64 3
		.amdhsa_dx10_clamp 1
		.amdhsa_ieee_mode 1
		.amdhsa_fp16_overflow 0
		.amdhsa_workgroup_processor_mode 1
		.amdhsa_memory_ordered 1
		.amdhsa_forward_progress 0
		.amdhsa_shared_vgpr_count 0
		.amdhsa_exception_fp_ieee_invalid_op 0
		.amdhsa_exception_fp_denorm_src 0
		.amdhsa_exception_fp_ieee_div_zero 0
		.amdhsa_exception_fp_ieee_overflow 0
		.amdhsa_exception_fp_ieee_underflow 0
		.amdhsa_exception_fp_ieee_inexact 0
		.amdhsa_exception_int_div_zero 0
	.end_amdhsa_kernel
	.section	.text._ZN7rocprim17ROCPRIM_400000_NS6detail17trampoline_kernelINS0_14default_configENS1_22reduce_config_selectorIiEEZNS1_11reduce_implILb1ES3_PiS7_iN6hipcub16HIPCUB_304000_NS6detail34convert_binary_result_type_wrapperINS9_3SumENS9_22TransformInputIteratorIbN2at6native12_GLOBAL__N_19NonZeroOpIN3c104HalfEEEPKSJ_lEEiEEEE10hipError_tPvRmT1_T2_T3_mT4_P12ihipStream_tbEUlT_E1_NS1_11comp_targetILNS1_3genE2ELNS1_11target_archE906ELNS1_3gpuE6ELNS1_3repE0EEENS1_30default_config_static_selectorELNS0_4arch9wavefront6targetE0EEEvSS_,"axG",@progbits,_ZN7rocprim17ROCPRIM_400000_NS6detail17trampoline_kernelINS0_14default_configENS1_22reduce_config_selectorIiEEZNS1_11reduce_implILb1ES3_PiS7_iN6hipcub16HIPCUB_304000_NS6detail34convert_binary_result_type_wrapperINS9_3SumENS9_22TransformInputIteratorIbN2at6native12_GLOBAL__N_19NonZeroOpIN3c104HalfEEEPKSJ_lEEiEEEE10hipError_tPvRmT1_T2_T3_mT4_P12ihipStream_tbEUlT_E1_NS1_11comp_targetILNS1_3genE2ELNS1_11target_archE906ELNS1_3gpuE6ELNS1_3repE0EEENS1_30default_config_static_selectorELNS0_4arch9wavefront6targetE0EEEvSS_,comdat
.Lfunc_end843:
	.size	_ZN7rocprim17ROCPRIM_400000_NS6detail17trampoline_kernelINS0_14default_configENS1_22reduce_config_selectorIiEEZNS1_11reduce_implILb1ES3_PiS7_iN6hipcub16HIPCUB_304000_NS6detail34convert_binary_result_type_wrapperINS9_3SumENS9_22TransformInputIteratorIbN2at6native12_GLOBAL__N_19NonZeroOpIN3c104HalfEEEPKSJ_lEEiEEEE10hipError_tPvRmT1_T2_T3_mT4_P12ihipStream_tbEUlT_E1_NS1_11comp_targetILNS1_3genE2ELNS1_11target_archE906ELNS1_3gpuE6ELNS1_3repE0EEENS1_30default_config_static_selectorELNS0_4arch9wavefront6targetE0EEEvSS_, .Lfunc_end843-_ZN7rocprim17ROCPRIM_400000_NS6detail17trampoline_kernelINS0_14default_configENS1_22reduce_config_selectorIiEEZNS1_11reduce_implILb1ES3_PiS7_iN6hipcub16HIPCUB_304000_NS6detail34convert_binary_result_type_wrapperINS9_3SumENS9_22TransformInputIteratorIbN2at6native12_GLOBAL__N_19NonZeroOpIN3c104HalfEEEPKSJ_lEEiEEEE10hipError_tPvRmT1_T2_T3_mT4_P12ihipStream_tbEUlT_E1_NS1_11comp_targetILNS1_3genE2ELNS1_11target_archE906ELNS1_3gpuE6ELNS1_3repE0EEENS1_30default_config_static_selectorELNS0_4arch9wavefront6targetE0EEEvSS_
                                        ; -- End function
	.section	.AMDGPU.csdata,"",@progbits
; Kernel info:
; codeLenInByte = 0
; NumSgprs: 0
; NumVgprs: 0
; ScratchSize: 0
; MemoryBound: 0
; FloatMode: 240
; IeeeMode: 1
; LDSByteSize: 0 bytes/workgroup (compile time only)
; SGPRBlocks: 0
; VGPRBlocks: 0
; NumSGPRsForWavesPerEU: 1
; NumVGPRsForWavesPerEU: 1
; Occupancy: 16
; WaveLimiterHint : 0
; COMPUTE_PGM_RSRC2:SCRATCH_EN: 0
; COMPUTE_PGM_RSRC2:USER_SGPR: 15
; COMPUTE_PGM_RSRC2:TRAP_HANDLER: 0
; COMPUTE_PGM_RSRC2:TGID_X_EN: 1
; COMPUTE_PGM_RSRC2:TGID_Y_EN: 0
; COMPUTE_PGM_RSRC2:TGID_Z_EN: 0
; COMPUTE_PGM_RSRC2:TIDIG_COMP_CNT: 0
	.section	.text._ZN7rocprim17ROCPRIM_400000_NS6detail17trampoline_kernelINS0_14default_configENS1_22reduce_config_selectorIiEEZNS1_11reduce_implILb1ES3_PiS7_iN6hipcub16HIPCUB_304000_NS6detail34convert_binary_result_type_wrapperINS9_3SumENS9_22TransformInputIteratorIbN2at6native12_GLOBAL__N_19NonZeroOpIN3c104HalfEEEPKSJ_lEEiEEEE10hipError_tPvRmT1_T2_T3_mT4_P12ihipStream_tbEUlT_E1_NS1_11comp_targetILNS1_3genE10ELNS1_11target_archE1201ELNS1_3gpuE5ELNS1_3repE0EEENS1_30default_config_static_selectorELNS0_4arch9wavefront6targetE0EEEvSS_,"axG",@progbits,_ZN7rocprim17ROCPRIM_400000_NS6detail17trampoline_kernelINS0_14default_configENS1_22reduce_config_selectorIiEEZNS1_11reduce_implILb1ES3_PiS7_iN6hipcub16HIPCUB_304000_NS6detail34convert_binary_result_type_wrapperINS9_3SumENS9_22TransformInputIteratorIbN2at6native12_GLOBAL__N_19NonZeroOpIN3c104HalfEEEPKSJ_lEEiEEEE10hipError_tPvRmT1_T2_T3_mT4_P12ihipStream_tbEUlT_E1_NS1_11comp_targetILNS1_3genE10ELNS1_11target_archE1201ELNS1_3gpuE5ELNS1_3repE0EEENS1_30default_config_static_selectorELNS0_4arch9wavefront6targetE0EEEvSS_,comdat
	.globl	_ZN7rocprim17ROCPRIM_400000_NS6detail17trampoline_kernelINS0_14default_configENS1_22reduce_config_selectorIiEEZNS1_11reduce_implILb1ES3_PiS7_iN6hipcub16HIPCUB_304000_NS6detail34convert_binary_result_type_wrapperINS9_3SumENS9_22TransformInputIteratorIbN2at6native12_GLOBAL__N_19NonZeroOpIN3c104HalfEEEPKSJ_lEEiEEEE10hipError_tPvRmT1_T2_T3_mT4_P12ihipStream_tbEUlT_E1_NS1_11comp_targetILNS1_3genE10ELNS1_11target_archE1201ELNS1_3gpuE5ELNS1_3repE0EEENS1_30default_config_static_selectorELNS0_4arch9wavefront6targetE0EEEvSS_ ; -- Begin function _ZN7rocprim17ROCPRIM_400000_NS6detail17trampoline_kernelINS0_14default_configENS1_22reduce_config_selectorIiEEZNS1_11reduce_implILb1ES3_PiS7_iN6hipcub16HIPCUB_304000_NS6detail34convert_binary_result_type_wrapperINS9_3SumENS9_22TransformInputIteratorIbN2at6native12_GLOBAL__N_19NonZeroOpIN3c104HalfEEEPKSJ_lEEiEEEE10hipError_tPvRmT1_T2_T3_mT4_P12ihipStream_tbEUlT_E1_NS1_11comp_targetILNS1_3genE10ELNS1_11target_archE1201ELNS1_3gpuE5ELNS1_3repE0EEENS1_30default_config_static_selectorELNS0_4arch9wavefront6targetE0EEEvSS_
	.p2align	8
	.type	_ZN7rocprim17ROCPRIM_400000_NS6detail17trampoline_kernelINS0_14default_configENS1_22reduce_config_selectorIiEEZNS1_11reduce_implILb1ES3_PiS7_iN6hipcub16HIPCUB_304000_NS6detail34convert_binary_result_type_wrapperINS9_3SumENS9_22TransformInputIteratorIbN2at6native12_GLOBAL__N_19NonZeroOpIN3c104HalfEEEPKSJ_lEEiEEEE10hipError_tPvRmT1_T2_T3_mT4_P12ihipStream_tbEUlT_E1_NS1_11comp_targetILNS1_3genE10ELNS1_11target_archE1201ELNS1_3gpuE5ELNS1_3repE0EEENS1_30default_config_static_selectorELNS0_4arch9wavefront6targetE0EEEvSS_,@function
_ZN7rocprim17ROCPRIM_400000_NS6detail17trampoline_kernelINS0_14default_configENS1_22reduce_config_selectorIiEEZNS1_11reduce_implILb1ES3_PiS7_iN6hipcub16HIPCUB_304000_NS6detail34convert_binary_result_type_wrapperINS9_3SumENS9_22TransformInputIteratorIbN2at6native12_GLOBAL__N_19NonZeroOpIN3c104HalfEEEPKSJ_lEEiEEEE10hipError_tPvRmT1_T2_T3_mT4_P12ihipStream_tbEUlT_E1_NS1_11comp_targetILNS1_3genE10ELNS1_11target_archE1201ELNS1_3gpuE5ELNS1_3repE0EEENS1_30default_config_static_selectorELNS0_4arch9wavefront6targetE0EEEvSS_: ; @_ZN7rocprim17ROCPRIM_400000_NS6detail17trampoline_kernelINS0_14default_configENS1_22reduce_config_selectorIiEEZNS1_11reduce_implILb1ES3_PiS7_iN6hipcub16HIPCUB_304000_NS6detail34convert_binary_result_type_wrapperINS9_3SumENS9_22TransformInputIteratorIbN2at6native12_GLOBAL__N_19NonZeroOpIN3c104HalfEEEPKSJ_lEEiEEEE10hipError_tPvRmT1_T2_T3_mT4_P12ihipStream_tbEUlT_E1_NS1_11comp_targetILNS1_3genE10ELNS1_11target_archE1201ELNS1_3gpuE5ELNS1_3repE0EEENS1_30default_config_static_selectorELNS0_4arch9wavefront6targetE0EEEvSS_
; %bb.0:
	.section	.rodata,"a",@progbits
	.p2align	6, 0x0
	.amdhsa_kernel _ZN7rocprim17ROCPRIM_400000_NS6detail17trampoline_kernelINS0_14default_configENS1_22reduce_config_selectorIiEEZNS1_11reduce_implILb1ES3_PiS7_iN6hipcub16HIPCUB_304000_NS6detail34convert_binary_result_type_wrapperINS9_3SumENS9_22TransformInputIteratorIbN2at6native12_GLOBAL__N_19NonZeroOpIN3c104HalfEEEPKSJ_lEEiEEEE10hipError_tPvRmT1_T2_T3_mT4_P12ihipStream_tbEUlT_E1_NS1_11comp_targetILNS1_3genE10ELNS1_11target_archE1201ELNS1_3gpuE5ELNS1_3repE0EEENS1_30default_config_static_selectorELNS0_4arch9wavefront6targetE0EEEvSS_
		.amdhsa_group_segment_fixed_size 0
		.amdhsa_private_segment_fixed_size 0
		.amdhsa_kernarg_size 40
		.amdhsa_user_sgpr_count 15
		.amdhsa_user_sgpr_dispatch_ptr 0
		.amdhsa_user_sgpr_queue_ptr 0
		.amdhsa_user_sgpr_kernarg_segment_ptr 1
		.amdhsa_user_sgpr_dispatch_id 0
		.amdhsa_user_sgpr_private_segment_size 0
		.amdhsa_wavefront_size32 1
		.amdhsa_uses_dynamic_stack 0
		.amdhsa_enable_private_segment 0
		.amdhsa_system_sgpr_workgroup_id_x 1
		.amdhsa_system_sgpr_workgroup_id_y 0
		.amdhsa_system_sgpr_workgroup_id_z 0
		.amdhsa_system_sgpr_workgroup_info 0
		.amdhsa_system_vgpr_workitem_id 0
		.amdhsa_next_free_vgpr 1
		.amdhsa_next_free_sgpr 1
		.amdhsa_reserve_vcc 0
		.amdhsa_float_round_mode_32 0
		.amdhsa_float_round_mode_16_64 0
		.amdhsa_float_denorm_mode_32 3
		.amdhsa_float_denorm_mode_16_64 3
		.amdhsa_dx10_clamp 1
		.amdhsa_ieee_mode 1
		.amdhsa_fp16_overflow 0
		.amdhsa_workgroup_processor_mode 1
		.amdhsa_memory_ordered 1
		.amdhsa_forward_progress 0
		.amdhsa_shared_vgpr_count 0
		.amdhsa_exception_fp_ieee_invalid_op 0
		.amdhsa_exception_fp_denorm_src 0
		.amdhsa_exception_fp_ieee_div_zero 0
		.amdhsa_exception_fp_ieee_overflow 0
		.amdhsa_exception_fp_ieee_underflow 0
		.amdhsa_exception_fp_ieee_inexact 0
		.amdhsa_exception_int_div_zero 0
	.end_amdhsa_kernel
	.section	.text._ZN7rocprim17ROCPRIM_400000_NS6detail17trampoline_kernelINS0_14default_configENS1_22reduce_config_selectorIiEEZNS1_11reduce_implILb1ES3_PiS7_iN6hipcub16HIPCUB_304000_NS6detail34convert_binary_result_type_wrapperINS9_3SumENS9_22TransformInputIteratorIbN2at6native12_GLOBAL__N_19NonZeroOpIN3c104HalfEEEPKSJ_lEEiEEEE10hipError_tPvRmT1_T2_T3_mT4_P12ihipStream_tbEUlT_E1_NS1_11comp_targetILNS1_3genE10ELNS1_11target_archE1201ELNS1_3gpuE5ELNS1_3repE0EEENS1_30default_config_static_selectorELNS0_4arch9wavefront6targetE0EEEvSS_,"axG",@progbits,_ZN7rocprim17ROCPRIM_400000_NS6detail17trampoline_kernelINS0_14default_configENS1_22reduce_config_selectorIiEEZNS1_11reduce_implILb1ES3_PiS7_iN6hipcub16HIPCUB_304000_NS6detail34convert_binary_result_type_wrapperINS9_3SumENS9_22TransformInputIteratorIbN2at6native12_GLOBAL__N_19NonZeroOpIN3c104HalfEEEPKSJ_lEEiEEEE10hipError_tPvRmT1_T2_T3_mT4_P12ihipStream_tbEUlT_E1_NS1_11comp_targetILNS1_3genE10ELNS1_11target_archE1201ELNS1_3gpuE5ELNS1_3repE0EEENS1_30default_config_static_selectorELNS0_4arch9wavefront6targetE0EEEvSS_,comdat
.Lfunc_end844:
	.size	_ZN7rocprim17ROCPRIM_400000_NS6detail17trampoline_kernelINS0_14default_configENS1_22reduce_config_selectorIiEEZNS1_11reduce_implILb1ES3_PiS7_iN6hipcub16HIPCUB_304000_NS6detail34convert_binary_result_type_wrapperINS9_3SumENS9_22TransformInputIteratorIbN2at6native12_GLOBAL__N_19NonZeroOpIN3c104HalfEEEPKSJ_lEEiEEEE10hipError_tPvRmT1_T2_T3_mT4_P12ihipStream_tbEUlT_E1_NS1_11comp_targetILNS1_3genE10ELNS1_11target_archE1201ELNS1_3gpuE5ELNS1_3repE0EEENS1_30default_config_static_selectorELNS0_4arch9wavefront6targetE0EEEvSS_, .Lfunc_end844-_ZN7rocprim17ROCPRIM_400000_NS6detail17trampoline_kernelINS0_14default_configENS1_22reduce_config_selectorIiEEZNS1_11reduce_implILb1ES3_PiS7_iN6hipcub16HIPCUB_304000_NS6detail34convert_binary_result_type_wrapperINS9_3SumENS9_22TransformInputIteratorIbN2at6native12_GLOBAL__N_19NonZeroOpIN3c104HalfEEEPKSJ_lEEiEEEE10hipError_tPvRmT1_T2_T3_mT4_P12ihipStream_tbEUlT_E1_NS1_11comp_targetILNS1_3genE10ELNS1_11target_archE1201ELNS1_3gpuE5ELNS1_3repE0EEENS1_30default_config_static_selectorELNS0_4arch9wavefront6targetE0EEEvSS_
                                        ; -- End function
	.section	.AMDGPU.csdata,"",@progbits
; Kernel info:
; codeLenInByte = 0
; NumSgprs: 0
; NumVgprs: 0
; ScratchSize: 0
; MemoryBound: 0
; FloatMode: 240
; IeeeMode: 1
; LDSByteSize: 0 bytes/workgroup (compile time only)
; SGPRBlocks: 0
; VGPRBlocks: 0
; NumSGPRsForWavesPerEU: 1
; NumVGPRsForWavesPerEU: 1
; Occupancy: 16
; WaveLimiterHint : 0
; COMPUTE_PGM_RSRC2:SCRATCH_EN: 0
; COMPUTE_PGM_RSRC2:USER_SGPR: 15
; COMPUTE_PGM_RSRC2:TRAP_HANDLER: 0
; COMPUTE_PGM_RSRC2:TGID_X_EN: 1
; COMPUTE_PGM_RSRC2:TGID_Y_EN: 0
; COMPUTE_PGM_RSRC2:TGID_Z_EN: 0
; COMPUTE_PGM_RSRC2:TIDIG_COMP_CNT: 0
	.section	.text._ZN7rocprim17ROCPRIM_400000_NS6detail17trampoline_kernelINS0_14default_configENS1_22reduce_config_selectorIiEEZNS1_11reduce_implILb1ES3_PiS7_iN6hipcub16HIPCUB_304000_NS6detail34convert_binary_result_type_wrapperINS9_3SumENS9_22TransformInputIteratorIbN2at6native12_GLOBAL__N_19NonZeroOpIN3c104HalfEEEPKSJ_lEEiEEEE10hipError_tPvRmT1_T2_T3_mT4_P12ihipStream_tbEUlT_E1_NS1_11comp_targetILNS1_3genE10ELNS1_11target_archE1200ELNS1_3gpuE4ELNS1_3repE0EEENS1_30default_config_static_selectorELNS0_4arch9wavefront6targetE0EEEvSS_,"axG",@progbits,_ZN7rocprim17ROCPRIM_400000_NS6detail17trampoline_kernelINS0_14default_configENS1_22reduce_config_selectorIiEEZNS1_11reduce_implILb1ES3_PiS7_iN6hipcub16HIPCUB_304000_NS6detail34convert_binary_result_type_wrapperINS9_3SumENS9_22TransformInputIteratorIbN2at6native12_GLOBAL__N_19NonZeroOpIN3c104HalfEEEPKSJ_lEEiEEEE10hipError_tPvRmT1_T2_T3_mT4_P12ihipStream_tbEUlT_E1_NS1_11comp_targetILNS1_3genE10ELNS1_11target_archE1200ELNS1_3gpuE4ELNS1_3repE0EEENS1_30default_config_static_selectorELNS0_4arch9wavefront6targetE0EEEvSS_,comdat
	.globl	_ZN7rocprim17ROCPRIM_400000_NS6detail17trampoline_kernelINS0_14default_configENS1_22reduce_config_selectorIiEEZNS1_11reduce_implILb1ES3_PiS7_iN6hipcub16HIPCUB_304000_NS6detail34convert_binary_result_type_wrapperINS9_3SumENS9_22TransformInputIteratorIbN2at6native12_GLOBAL__N_19NonZeroOpIN3c104HalfEEEPKSJ_lEEiEEEE10hipError_tPvRmT1_T2_T3_mT4_P12ihipStream_tbEUlT_E1_NS1_11comp_targetILNS1_3genE10ELNS1_11target_archE1200ELNS1_3gpuE4ELNS1_3repE0EEENS1_30default_config_static_selectorELNS0_4arch9wavefront6targetE0EEEvSS_ ; -- Begin function _ZN7rocprim17ROCPRIM_400000_NS6detail17trampoline_kernelINS0_14default_configENS1_22reduce_config_selectorIiEEZNS1_11reduce_implILb1ES3_PiS7_iN6hipcub16HIPCUB_304000_NS6detail34convert_binary_result_type_wrapperINS9_3SumENS9_22TransformInputIteratorIbN2at6native12_GLOBAL__N_19NonZeroOpIN3c104HalfEEEPKSJ_lEEiEEEE10hipError_tPvRmT1_T2_T3_mT4_P12ihipStream_tbEUlT_E1_NS1_11comp_targetILNS1_3genE10ELNS1_11target_archE1200ELNS1_3gpuE4ELNS1_3repE0EEENS1_30default_config_static_selectorELNS0_4arch9wavefront6targetE0EEEvSS_
	.p2align	8
	.type	_ZN7rocprim17ROCPRIM_400000_NS6detail17trampoline_kernelINS0_14default_configENS1_22reduce_config_selectorIiEEZNS1_11reduce_implILb1ES3_PiS7_iN6hipcub16HIPCUB_304000_NS6detail34convert_binary_result_type_wrapperINS9_3SumENS9_22TransformInputIteratorIbN2at6native12_GLOBAL__N_19NonZeroOpIN3c104HalfEEEPKSJ_lEEiEEEE10hipError_tPvRmT1_T2_T3_mT4_P12ihipStream_tbEUlT_E1_NS1_11comp_targetILNS1_3genE10ELNS1_11target_archE1200ELNS1_3gpuE4ELNS1_3repE0EEENS1_30default_config_static_selectorELNS0_4arch9wavefront6targetE0EEEvSS_,@function
_ZN7rocprim17ROCPRIM_400000_NS6detail17trampoline_kernelINS0_14default_configENS1_22reduce_config_selectorIiEEZNS1_11reduce_implILb1ES3_PiS7_iN6hipcub16HIPCUB_304000_NS6detail34convert_binary_result_type_wrapperINS9_3SumENS9_22TransformInputIteratorIbN2at6native12_GLOBAL__N_19NonZeroOpIN3c104HalfEEEPKSJ_lEEiEEEE10hipError_tPvRmT1_T2_T3_mT4_P12ihipStream_tbEUlT_E1_NS1_11comp_targetILNS1_3genE10ELNS1_11target_archE1200ELNS1_3gpuE4ELNS1_3repE0EEENS1_30default_config_static_selectorELNS0_4arch9wavefront6targetE0EEEvSS_: ; @_ZN7rocprim17ROCPRIM_400000_NS6detail17trampoline_kernelINS0_14default_configENS1_22reduce_config_selectorIiEEZNS1_11reduce_implILb1ES3_PiS7_iN6hipcub16HIPCUB_304000_NS6detail34convert_binary_result_type_wrapperINS9_3SumENS9_22TransformInputIteratorIbN2at6native12_GLOBAL__N_19NonZeroOpIN3c104HalfEEEPKSJ_lEEiEEEE10hipError_tPvRmT1_T2_T3_mT4_P12ihipStream_tbEUlT_E1_NS1_11comp_targetILNS1_3genE10ELNS1_11target_archE1200ELNS1_3gpuE4ELNS1_3repE0EEENS1_30default_config_static_selectorELNS0_4arch9wavefront6targetE0EEEvSS_
; %bb.0:
	.section	.rodata,"a",@progbits
	.p2align	6, 0x0
	.amdhsa_kernel _ZN7rocprim17ROCPRIM_400000_NS6detail17trampoline_kernelINS0_14default_configENS1_22reduce_config_selectorIiEEZNS1_11reduce_implILb1ES3_PiS7_iN6hipcub16HIPCUB_304000_NS6detail34convert_binary_result_type_wrapperINS9_3SumENS9_22TransformInputIteratorIbN2at6native12_GLOBAL__N_19NonZeroOpIN3c104HalfEEEPKSJ_lEEiEEEE10hipError_tPvRmT1_T2_T3_mT4_P12ihipStream_tbEUlT_E1_NS1_11comp_targetILNS1_3genE10ELNS1_11target_archE1200ELNS1_3gpuE4ELNS1_3repE0EEENS1_30default_config_static_selectorELNS0_4arch9wavefront6targetE0EEEvSS_
		.amdhsa_group_segment_fixed_size 0
		.amdhsa_private_segment_fixed_size 0
		.amdhsa_kernarg_size 40
		.amdhsa_user_sgpr_count 15
		.amdhsa_user_sgpr_dispatch_ptr 0
		.amdhsa_user_sgpr_queue_ptr 0
		.amdhsa_user_sgpr_kernarg_segment_ptr 1
		.amdhsa_user_sgpr_dispatch_id 0
		.amdhsa_user_sgpr_private_segment_size 0
		.amdhsa_wavefront_size32 1
		.amdhsa_uses_dynamic_stack 0
		.amdhsa_enable_private_segment 0
		.amdhsa_system_sgpr_workgroup_id_x 1
		.amdhsa_system_sgpr_workgroup_id_y 0
		.amdhsa_system_sgpr_workgroup_id_z 0
		.amdhsa_system_sgpr_workgroup_info 0
		.amdhsa_system_vgpr_workitem_id 0
		.amdhsa_next_free_vgpr 1
		.amdhsa_next_free_sgpr 1
		.amdhsa_reserve_vcc 0
		.amdhsa_float_round_mode_32 0
		.amdhsa_float_round_mode_16_64 0
		.amdhsa_float_denorm_mode_32 3
		.amdhsa_float_denorm_mode_16_64 3
		.amdhsa_dx10_clamp 1
		.amdhsa_ieee_mode 1
		.amdhsa_fp16_overflow 0
		.amdhsa_workgroup_processor_mode 1
		.amdhsa_memory_ordered 1
		.amdhsa_forward_progress 0
		.amdhsa_shared_vgpr_count 0
		.amdhsa_exception_fp_ieee_invalid_op 0
		.amdhsa_exception_fp_denorm_src 0
		.amdhsa_exception_fp_ieee_div_zero 0
		.amdhsa_exception_fp_ieee_overflow 0
		.amdhsa_exception_fp_ieee_underflow 0
		.amdhsa_exception_fp_ieee_inexact 0
		.amdhsa_exception_int_div_zero 0
	.end_amdhsa_kernel
	.section	.text._ZN7rocprim17ROCPRIM_400000_NS6detail17trampoline_kernelINS0_14default_configENS1_22reduce_config_selectorIiEEZNS1_11reduce_implILb1ES3_PiS7_iN6hipcub16HIPCUB_304000_NS6detail34convert_binary_result_type_wrapperINS9_3SumENS9_22TransformInputIteratorIbN2at6native12_GLOBAL__N_19NonZeroOpIN3c104HalfEEEPKSJ_lEEiEEEE10hipError_tPvRmT1_T2_T3_mT4_P12ihipStream_tbEUlT_E1_NS1_11comp_targetILNS1_3genE10ELNS1_11target_archE1200ELNS1_3gpuE4ELNS1_3repE0EEENS1_30default_config_static_selectorELNS0_4arch9wavefront6targetE0EEEvSS_,"axG",@progbits,_ZN7rocprim17ROCPRIM_400000_NS6detail17trampoline_kernelINS0_14default_configENS1_22reduce_config_selectorIiEEZNS1_11reduce_implILb1ES3_PiS7_iN6hipcub16HIPCUB_304000_NS6detail34convert_binary_result_type_wrapperINS9_3SumENS9_22TransformInputIteratorIbN2at6native12_GLOBAL__N_19NonZeroOpIN3c104HalfEEEPKSJ_lEEiEEEE10hipError_tPvRmT1_T2_T3_mT4_P12ihipStream_tbEUlT_E1_NS1_11comp_targetILNS1_3genE10ELNS1_11target_archE1200ELNS1_3gpuE4ELNS1_3repE0EEENS1_30default_config_static_selectorELNS0_4arch9wavefront6targetE0EEEvSS_,comdat
.Lfunc_end845:
	.size	_ZN7rocprim17ROCPRIM_400000_NS6detail17trampoline_kernelINS0_14default_configENS1_22reduce_config_selectorIiEEZNS1_11reduce_implILb1ES3_PiS7_iN6hipcub16HIPCUB_304000_NS6detail34convert_binary_result_type_wrapperINS9_3SumENS9_22TransformInputIteratorIbN2at6native12_GLOBAL__N_19NonZeroOpIN3c104HalfEEEPKSJ_lEEiEEEE10hipError_tPvRmT1_T2_T3_mT4_P12ihipStream_tbEUlT_E1_NS1_11comp_targetILNS1_3genE10ELNS1_11target_archE1200ELNS1_3gpuE4ELNS1_3repE0EEENS1_30default_config_static_selectorELNS0_4arch9wavefront6targetE0EEEvSS_, .Lfunc_end845-_ZN7rocprim17ROCPRIM_400000_NS6detail17trampoline_kernelINS0_14default_configENS1_22reduce_config_selectorIiEEZNS1_11reduce_implILb1ES3_PiS7_iN6hipcub16HIPCUB_304000_NS6detail34convert_binary_result_type_wrapperINS9_3SumENS9_22TransformInputIteratorIbN2at6native12_GLOBAL__N_19NonZeroOpIN3c104HalfEEEPKSJ_lEEiEEEE10hipError_tPvRmT1_T2_T3_mT4_P12ihipStream_tbEUlT_E1_NS1_11comp_targetILNS1_3genE10ELNS1_11target_archE1200ELNS1_3gpuE4ELNS1_3repE0EEENS1_30default_config_static_selectorELNS0_4arch9wavefront6targetE0EEEvSS_
                                        ; -- End function
	.section	.AMDGPU.csdata,"",@progbits
; Kernel info:
; codeLenInByte = 0
; NumSgprs: 0
; NumVgprs: 0
; ScratchSize: 0
; MemoryBound: 0
; FloatMode: 240
; IeeeMode: 1
; LDSByteSize: 0 bytes/workgroup (compile time only)
; SGPRBlocks: 0
; VGPRBlocks: 0
; NumSGPRsForWavesPerEU: 1
; NumVGPRsForWavesPerEU: 1
; Occupancy: 16
; WaveLimiterHint : 0
; COMPUTE_PGM_RSRC2:SCRATCH_EN: 0
; COMPUTE_PGM_RSRC2:USER_SGPR: 15
; COMPUTE_PGM_RSRC2:TRAP_HANDLER: 0
; COMPUTE_PGM_RSRC2:TGID_X_EN: 1
; COMPUTE_PGM_RSRC2:TGID_Y_EN: 0
; COMPUTE_PGM_RSRC2:TGID_Z_EN: 0
; COMPUTE_PGM_RSRC2:TIDIG_COMP_CNT: 0
	.section	.text._ZN7rocprim17ROCPRIM_400000_NS6detail17trampoline_kernelINS0_14default_configENS1_22reduce_config_selectorIiEEZNS1_11reduce_implILb1ES3_PiS7_iN6hipcub16HIPCUB_304000_NS6detail34convert_binary_result_type_wrapperINS9_3SumENS9_22TransformInputIteratorIbN2at6native12_GLOBAL__N_19NonZeroOpIN3c104HalfEEEPKSJ_lEEiEEEE10hipError_tPvRmT1_T2_T3_mT4_P12ihipStream_tbEUlT_E1_NS1_11comp_targetILNS1_3genE9ELNS1_11target_archE1100ELNS1_3gpuE3ELNS1_3repE0EEENS1_30default_config_static_selectorELNS0_4arch9wavefront6targetE0EEEvSS_,"axG",@progbits,_ZN7rocprim17ROCPRIM_400000_NS6detail17trampoline_kernelINS0_14default_configENS1_22reduce_config_selectorIiEEZNS1_11reduce_implILb1ES3_PiS7_iN6hipcub16HIPCUB_304000_NS6detail34convert_binary_result_type_wrapperINS9_3SumENS9_22TransformInputIteratorIbN2at6native12_GLOBAL__N_19NonZeroOpIN3c104HalfEEEPKSJ_lEEiEEEE10hipError_tPvRmT1_T2_T3_mT4_P12ihipStream_tbEUlT_E1_NS1_11comp_targetILNS1_3genE9ELNS1_11target_archE1100ELNS1_3gpuE3ELNS1_3repE0EEENS1_30default_config_static_selectorELNS0_4arch9wavefront6targetE0EEEvSS_,comdat
	.globl	_ZN7rocprim17ROCPRIM_400000_NS6detail17trampoline_kernelINS0_14default_configENS1_22reduce_config_selectorIiEEZNS1_11reduce_implILb1ES3_PiS7_iN6hipcub16HIPCUB_304000_NS6detail34convert_binary_result_type_wrapperINS9_3SumENS9_22TransformInputIteratorIbN2at6native12_GLOBAL__N_19NonZeroOpIN3c104HalfEEEPKSJ_lEEiEEEE10hipError_tPvRmT1_T2_T3_mT4_P12ihipStream_tbEUlT_E1_NS1_11comp_targetILNS1_3genE9ELNS1_11target_archE1100ELNS1_3gpuE3ELNS1_3repE0EEENS1_30default_config_static_selectorELNS0_4arch9wavefront6targetE0EEEvSS_ ; -- Begin function _ZN7rocprim17ROCPRIM_400000_NS6detail17trampoline_kernelINS0_14default_configENS1_22reduce_config_selectorIiEEZNS1_11reduce_implILb1ES3_PiS7_iN6hipcub16HIPCUB_304000_NS6detail34convert_binary_result_type_wrapperINS9_3SumENS9_22TransformInputIteratorIbN2at6native12_GLOBAL__N_19NonZeroOpIN3c104HalfEEEPKSJ_lEEiEEEE10hipError_tPvRmT1_T2_T3_mT4_P12ihipStream_tbEUlT_E1_NS1_11comp_targetILNS1_3genE9ELNS1_11target_archE1100ELNS1_3gpuE3ELNS1_3repE0EEENS1_30default_config_static_selectorELNS0_4arch9wavefront6targetE0EEEvSS_
	.p2align	8
	.type	_ZN7rocprim17ROCPRIM_400000_NS6detail17trampoline_kernelINS0_14default_configENS1_22reduce_config_selectorIiEEZNS1_11reduce_implILb1ES3_PiS7_iN6hipcub16HIPCUB_304000_NS6detail34convert_binary_result_type_wrapperINS9_3SumENS9_22TransformInputIteratorIbN2at6native12_GLOBAL__N_19NonZeroOpIN3c104HalfEEEPKSJ_lEEiEEEE10hipError_tPvRmT1_T2_T3_mT4_P12ihipStream_tbEUlT_E1_NS1_11comp_targetILNS1_3genE9ELNS1_11target_archE1100ELNS1_3gpuE3ELNS1_3repE0EEENS1_30default_config_static_selectorELNS0_4arch9wavefront6targetE0EEEvSS_,@function
_ZN7rocprim17ROCPRIM_400000_NS6detail17trampoline_kernelINS0_14default_configENS1_22reduce_config_selectorIiEEZNS1_11reduce_implILb1ES3_PiS7_iN6hipcub16HIPCUB_304000_NS6detail34convert_binary_result_type_wrapperINS9_3SumENS9_22TransformInputIteratorIbN2at6native12_GLOBAL__N_19NonZeroOpIN3c104HalfEEEPKSJ_lEEiEEEE10hipError_tPvRmT1_T2_T3_mT4_P12ihipStream_tbEUlT_E1_NS1_11comp_targetILNS1_3genE9ELNS1_11target_archE1100ELNS1_3gpuE3ELNS1_3repE0EEENS1_30default_config_static_selectorELNS0_4arch9wavefront6targetE0EEEvSS_: ; @_ZN7rocprim17ROCPRIM_400000_NS6detail17trampoline_kernelINS0_14default_configENS1_22reduce_config_selectorIiEEZNS1_11reduce_implILb1ES3_PiS7_iN6hipcub16HIPCUB_304000_NS6detail34convert_binary_result_type_wrapperINS9_3SumENS9_22TransformInputIteratorIbN2at6native12_GLOBAL__N_19NonZeroOpIN3c104HalfEEEPKSJ_lEEiEEEE10hipError_tPvRmT1_T2_T3_mT4_P12ihipStream_tbEUlT_E1_NS1_11comp_targetILNS1_3genE9ELNS1_11target_archE1100ELNS1_3gpuE3ELNS1_3repE0EEENS1_30default_config_static_selectorELNS0_4arch9wavefront6targetE0EEEvSS_
; %bb.0:
	s_clause 0x1
	s_load_b32 s24, s[0:1], 0x4
	s_load_b128 s[16:19], s[0:1], 0x8
	s_mov_b32 s20, s15
	s_waitcnt lgkmcnt(0)
	s_cmp_lt_i32 s24, 8
	s_cbranch_scc1 .LBB846_11
; %bb.1:
	s_cmp_gt_i32 s24, 15
	s_cbranch_scc0 .LBB846_12
; %bb.2:
	s_cmp_gt_i32 s24, 31
	s_cbranch_scc0 .LBB846_13
; %bb.3:
	s_cmp_eq_u32 s24, 32
	s_mov_b32 s6, 0
	s_cbranch_scc0 .LBB846_14
; %bb.4:
	s_mov_b32 s21, 0
	s_lshl_b32 s4, s20, 13
	s_mov_b32 s5, s21
	s_lshr_b64 s[8:9], s[18:19], 13
	s_lshl_b64 s[2:3], s[4:5], 2
	s_delay_alu instid0(SALU_CYCLE_1)
	s_add_u32 s2, s16, s2
	s_addc_u32 s3, s17, s3
	s_cmp_lg_u64 s[8:9], s[20:21]
	s_cbranch_scc0 .LBB846_23
; %bb.5:
	v_lshlrev_b32_e32 v5, 2, v0
	s_clause 0x1
	global_load_b32 v9, v5, s[2:3]
	global_load_b32 v10, v5, s[2:3] offset:1024
	v_add_co_u32 v7, s5, s2, v5
	s_delay_alu instid0(VALU_DEP_1) | instskip(SKIP_1) | instid1(VALU_DEP_2)
	v_add_co_ci_u32_e64 v8, null, s3, 0, s5
	s_mov_b32 s5, exec_lo
	v_add_co_u32 v1, vcc_lo, 0x1000, v7
	s_delay_alu instid0(VALU_DEP_2)
	v_add_co_ci_u32_e32 v2, vcc_lo, 0, v8, vcc_lo
	s_clause 0x2
	global_load_b32 v11, v5, s[2:3] offset:2048
	global_load_b32 v12, v5, s[2:3] offset:3072
	global_load_b32 v13, v[1:2], off offset:1024
	v_add_co_u32 v3, vcc_lo, v7, 0x2000
	v_add_co_ci_u32_e32 v4, vcc_lo, 0, v8, vcc_lo
	v_add_co_u32 v5, vcc_lo, 0x2000, v7
	v_add_co_ci_u32_e32 v6, vcc_lo, 0, v8, vcc_lo
	s_clause 0x4
	global_load_b32 v14, v[3:4], off offset:-4096
	global_load_b32 v15, v[3:4], off
	global_load_b32 v16, v[1:2], off offset:2048
	global_load_b32 v17, v[1:2], off offset:3072
	;; [unrolled: 1-line block ×3, first 2 shown]
	v_add_co_u32 v1, vcc_lo, 0x3000, v7
	v_add_co_ci_u32_e32 v2, vcc_lo, 0, v8, vcc_lo
	s_clause 0x2
	global_load_b32 v19, v[5:6], off offset:2048
	global_load_b32 v20, v[5:6], off offset:3072
	;; [unrolled: 1-line block ×3, first 2 shown]
	v_add_co_u32 v3, vcc_lo, v7, 0x4000
	v_add_co_ci_u32_e32 v4, vcc_lo, 0, v8, vcc_lo
	v_add_co_u32 v5, vcc_lo, 0x4000, v7
	v_add_co_ci_u32_e32 v6, vcc_lo, 0, v8, vcc_lo
	s_clause 0x4
	global_load_b32 v22, v[3:4], off offset:-4096
	global_load_b32 v23, v[3:4], off
	global_load_b32 v24, v[1:2], off offset:2048
	global_load_b32 v25, v[1:2], off offset:3072
	;; [unrolled: 1-line block ×3, first 2 shown]
	v_add_co_u32 v1, vcc_lo, 0x5000, v7
	v_add_co_ci_u32_e32 v2, vcc_lo, 0, v8, vcc_lo
	v_add_co_u32 v3, vcc_lo, v7, 0x6000
	v_add_co_ci_u32_e32 v4, vcc_lo, 0, v8, vcc_lo
	s_clause 0x3
	global_load_b32 v27, v[5:6], off offset:2048
	global_load_b32 v28, v[5:6], off offset:3072
	global_load_b32 v29, v[3:4], off offset:-4096
	global_load_b32 v30, v[1:2], off offset:1024
	v_add_co_u32 v5, vcc_lo, 0x6000, v7
	v_add_co_ci_u32_e32 v6, vcc_lo, 0, v8, vcc_lo
	s_clause 0x3
	global_load_b32 v31, v[1:2], off offset:2048
	global_load_b32 v32, v[1:2], off offset:3072
	global_load_b32 v3, v[3:4], off
	global_load_b32 v4, v[5:6], off offset:1024
	v_add_co_u32 v1, vcc_lo, 0x7000, v7
	v_add_co_ci_u32_e32 v2, vcc_lo, 0, v8, vcc_lo
	s_clause 0x5
	global_load_b32 v7, v[5:6], off offset:2048
	global_load_b32 v5, v[5:6], off offset:3072
	global_load_b32 v6, v[1:2], off
	global_load_b32 v8, v[1:2], off offset:1024
	global_load_b32 v33, v[1:2], off offset:2048
	global_load_b32 v1, v[1:2], off offset:3072
	s_waitcnt vmcnt(30)
	v_add_nc_u32_e32 v2, v10, v9
	s_waitcnt vmcnt(28)
	s_delay_alu instid0(VALU_DEP_1) | instskip(SKIP_1) | instid1(VALU_DEP_1)
	v_add3_u32 v2, v2, v11, v12
	s_waitcnt vmcnt(26)
	v_add3_u32 v2, v2, v14, v13
	s_waitcnt vmcnt(23)
	s_delay_alu instid0(VALU_DEP_1) | instskip(SKIP_1) | instid1(VALU_DEP_1)
	v_add3_u32 v2, v2, v16, v17
	s_waitcnt vmcnt(22)
	v_add3_u32 v2, v2, v15, v18
	;; [unrolled: 5-line block ×6, first 2 shown]
	v_mov_b32_e32 v3, 0
	s_waitcnt vmcnt(4)
	s_delay_alu instid0(VALU_DEP_2) | instskip(SKIP_1) | instid1(VALU_DEP_1)
	v_add3_u32 v2, v2, v7, v5
	s_waitcnt vmcnt(2)
	v_add3_u32 v2, v2, v6, v8
	s_waitcnt vmcnt(0)
	s_delay_alu instid0(VALU_DEP_1) | instskip(NEXT) | instid1(VALU_DEP_1)
	v_add3_u32 v1, v2, v33, v1
	v_mov_b32_dpp v2, v1 quad_perm:[1,0,3,2] row_mask:0xf bank_mask:0xf
	s_delay_alu instid0(VALU_DEP_1) | instskip(NEXT) | instid1(VALU_DEP_1)
	v_add_nc_u32_e32 v1, v2, v1
	v_mov_b32_dpp v2, v1 quad_perm:[2,3,0,1] row_mask:0xf bank_mask:0xf
	s_delay_alu instid0(VALU_DEP_1) | instskip(NEXT) | instid1(VALU_DEP_1)
	v_add_nc_u32_e32 v1, v1, v2
	v_mov_b32_dpp v2, v1 row_ror:4 row_mask:0xf bank_mask:0xf
	s_delay_alu instid0(VALU_DEP_1) | instskip(NEXT) | instid1(VALU_DEP_1)
	v_add_nc_u32_e32 v1, v1, v2
	v_mov_b32_dpp v2, v1 row_ror:8 row_mask:0xf bank_mask:0xf
	s_delay_alu instid0(VALU_DEP_1)
	v_add_nc_u32_e32 v1, v1, v2
	ds_swizzle_b32 v2, v1 offset:swizzle(BROADCAST,32,15)
	s_waitcnt lgkmcnt(0)
	v_add_nc_u32_e32 v1, v1, v2
	v_mbcnt_lo_u32_b32 v2, -1, 0
	ds_bpermute_b32 v1, v3, v1 offset:124
	v_cmpx_eq_u32_e32 0, v2
	s_cbranch_execz .LBB846_7
; %bb.6:
	v_lshrrev_b32_e32 v3, 3, v0
	s_delay_alu instid0(VALU_DEP_1)
	v_and_b32_e32 v3, 28, v3
	s_waitcnt lgkmcnt(0)
	ds_store_b32 v3, v1 offset:96
.LBB846_7:
	s_or_b32 exec_lo, exec_lo, s5
	s_delay_alu instid0(SALU_CYCLE_1)
	s_mov_b32 s5, exec_lo
	s_waitcnt lgkmcnt(0)
	s_barrier
	buffer_gl0_inv
	v_cmpx_gt_u32_e32 32, v0
	s_cbranch_execz .LBB846_9
; %bb.8:
	v_lshl_or_b32 v1, v2, 2, 0x60
	v_and_b32_e32 v3, 7, v2
	ds_load_b32 v1, v1
	v_cmp_ne_u32_e32 vcc_lo, 7, v3
	v_add_co_ci_u32_e32 v4, vcc_lo, 0, v2, vcc_lo
	v_cmp_gt_u32_e32 vcc_lo, 6, v3
	s_delay_alu instid0(VALU_DEP_2) | instskip(SKIP_2) | instid1(VALU_DEP_2)
	v_lshlrev_b32_e32 v4, 2, v4
	v_cndmask_b32_e64 v5, 0, 1, vcc_lo
	v_cmp_gt_u32_e32 vcc_lo, 4, v3
	v_lshlrev_b32_e32 v5, 1, v5
	v_cndmask_b32_e64 v3, 0, 1, vcc_lo
	s_waitcnt lgkmcnt(0)
	ds_bpermute_b32 v4, v4, v1
	v_add_lshl_u32 v5, v5, v2, 2
	v_lshlrev_b32_e32 v3, 2, v3
	s_delay_alu instid0(VALU_DEP_1)
	v_add_lshl_u32 v2, v3, v2, 2
	s_waitcnt lgkmcnt(0)
	v_add_nc_u32_e32 v1, v4, v1
	ds_bpermute_b32 v4, v5, v1
	s_waitcnt lgkmcnt(0)
	v_add_nc_u32_e32 v1, v4, v1
	ds_bpermute_b32 v2, v2, v1
	s_waitcnt lgkmcnt(0)
	v_add_nc_u32_e32 v1, v2, v1
.LBB846_9:
	s_or_b32 exec_lo, exec_lo, s5
.LBB846_10:
	v_cmp_eq_u32_e64 s2, 0, v0
	s_and_b32 vcc_lo, exec_lo, s6
	s_cbranch_vccnz .LBB846_15
	s_branch .LBB846_93
.LBB846_11:
	s_mov_b32 s2, 0
                                        ; implicit-def: $vgpr1
	s_cbranch_execnz .LBB846_166
	s_branch .LBB846_224
.LBB846_12:
	s_mov_b32 s2, 0
                                        ; implicit-def: $vgpr1
	s_cbranch_execnz .LBB846_134
	s_branch .LBB846_142
.LBB846_13:
	s_mov_b32 s6, -1
.LBB846_14:
	s_mov_b32 s2, 0
                                        ; implicit-def: $vgpr1
	s_and_b32 vcc_lo, exec_lo, s6
	s_cbranch_vccz .LBB846_93
.LBB846_15:
	s_cmp_eq_u32 s24, 16
	s_cbranch_scc0 .LBB846_22
; %bb.16:
	s_mov_b32 s21, 0
	s_lshl_b32 s2, s20, 12
	s_mov_b32 s3, s21
	s_lshr_b64 s[6:7], s[18:19], 12
	s_lshl_b64 s[4:5], s[2:3], 2
	s_delay_alu instid0(SALU_CYCLE_1)
	s_add_u32 s22, s16, s4
	s_addc_u32 s23, s17, s5
	s_cmp_lg_u64 s[6:7], s[20:21]
	s_cbranch_scc0 .LBB846_94
; %bb.17:
	v_lshlrev_b32_e32 v5, 2, v0
	s_clause 0x1
	global_load_b32 v9, v5, s[22:23]
	global_load_b32 v10, v5, s[22:23] offset:1024
	v_add_co_u32 v7, s3, s22, v5
	s_delay_alu instid0(VALU_DEP_1) | instskip(SKIP_1) | instid1(VALU_DEP_2)
	v_add_co_ci_u32_e64 v8, null, s23, 0, s3
	s_mov_b32 s3, exec_lo
	v_add_co_u32 v1, vcc_lo, 0x1000, v7
	s_delay_alu instid0(VALU_DEP_2)
	v_add_co_ci_u32_e32 v2, vcc_lo, 0, v8, vcc_lo
	v_add_co_u32 v3, vcc_lo, v7, 0x2000
	v_add_co_ci_u32_e32 v4, vcc_lo, 0, v8, vcc_lo
	s_clause 0x3
	global_load_b32 v11, v5, s[22:23] offset:2048
	global_load_b32 v12, v5, s[22:23] offset:3072
	global_load_b32 v13, v[3:4], off offset:-4096
	global_load_b32 v14, v[1:2], off offset:1024
	v_add_co_u32 v5, vcc_lo, 0x2000, v7
	v_add_co_ci_u32_e32 v6, vcc_lo, 0, v8, vcc_lo
	s_clause 0x3
	global_load_b32 v15, v[1:2], off offset:2048
	global_load_b32 v16, v[1:2], off offset:3072
	global_load_b32 v3, v[3:4], off
	global_load_b32 v4, v[5:6], off offset:1024
	v_add_co_u32 v1, vcc_lo, 0x3000, v7
	v_add_co_ci_u32_e32 v2, vcc_lo, 0, v8, vcc_lo
	s_clause 0x5
	global_load_b32 v7, v[5:6], off offset:2048
	global_load_b32 v5, v[5:6], off offset:3072
	global_load_b32 v6, v[1:2], off
	global_load_b32 v8, v[1:2], off offset:1024
	global_load_b32 v17, v[1:2], off offset:2048
	;; [unrolled: 1-line block ×3, first 2 shown]
	s_waitcnt vmcnt(14)
	v_add_nc_u32_e32 v2, v10, v9
	s_waitcnt vmcnt(12)
	s_delay_alu instid0(VALU_DEP_1) | instskip(SKIP_1) | instid1(VALU_DEP_1)
	v_add3_u32 v2, v2, v11, v12
	s_waitcnt vmcnt(10)
	v_add3_u32 v2, v2, v13, v14
	s_waitcnt vmcnt(8)
	s_delay_alu instid0(VALU_DEP_1) | instskip(SKIP_1) | instid1(VALU_DEP_1)
	v_add3_u32 v2, v2, v15, v16
	s_waitcnt vmcnt(6)
	v_add3_u32 v2, v2, v3, v4
	v_mov_b32_e32 v3, 0
	s_waitcnt vmcnt(4)
	s_delay_alu instid0(VALU_DEP_2) | instskip(SKIP_1) | instid1(VALU_DEP_1)
	v_add3_u32 v2, v2, v7, v5
	s_waitcnt vmcnt(2)
	v_add3_u32 v2, v2, v6, v8
	s_waitcnt vmcnt(0)
	s_delay_alu instid0(VALU_DEP_1) | instskip(NEXT) | instid1(VALU_DEP_1)
	v_add3_u32 v1, v2, v17, v1
	v_mov_b32_dpp v2, v1 quad_perm:[1,0,3,2] row_mask:0xf bank_mask:0xf
	s_delay_alu instid0(VALU_DEP_1) | instskip(NEXT) | instid1(VALU_DEP_1)
	v_add_nc_u32_e32 v1, v2, v1
	v_mov_b32_dpp v2, v1 quad_perm:[2,3,0,1] row_mask:0xf bank_mask:0xf
	s_delay_alu instid0(VALU_DEP_1) | instskip(NEXT) | instid1(VALU_DEP_1)
	v_add_nc_u32_e32 v1, v1, v2
	v_mov_b32_dpp v2, v1 row_ror:4 row_mask:0xf bank_mask:0xf
	s_delay_alu instid0(VALU_DEP_1) | instskip(NEXT) | instid1(VALU_DEP_1)
	v_add_nc_u32_e32 v1, v1, v2
	v_mov_b32_dpp v2, v1 row_ror:8 row_mask:0xf bank_mask:0xf
	s_delay_alu instid0(VALU_DEP_1)
	v_add_nc_u32_e32 v1, v1, v2
	ds_swizzle_b32 v2, v1 offset:swizzle(BROADCAST,32,15)
	s_waitcnt lgkmcnt(0)
	v_add_nc_u32_e32 v1, v1, v2
	v_mbcnt_lo_u32_b32 v2, -1, 0
	ds_bpermute_b32 v1, v3, v1 offset:124
	v_cmpx_eq_u32_e32 0, v2
	s_cbranch_execz .LBB846_19
; %bb.18:
	v_lshrrev_b32_e32 v3, 3, v0
	s_delay_alu instid0(VALU_DEP_1)
	v_and_b32_e32 v3, 28, v3
	s_waitcnt lgkmcnt(0)
	ds_store_b32 v3, v1
.LBB846_19:
	s_or_b32 exec_lo, exec_lo, s3
	s_delay_alu instid0(SALU_CYCLE_1)
	s_mov_b32 s3, exec_lo
	s_waitcnt lgkmcnt(0)
	s_barrier
	buffer_gl0_inv
	v_cmpx_gt_u32_e32 32, v0
	s_cbranch_execz .LBB846_21
; %bb.20:
	v_and_b32_e32 v1, 7, v2
	s_delay_alu instid0(VALU_DEP_1) | instskip(SKIP_4) | instid1(VALU_DEP_2)
	v_lshlrev_b32_e32 v3, 2, v1
	v_cmp_ne_u32_e32 vcc_lo, 7, v1
	ds_load_b32 v3, v3
	v_add_co_ci_u32_e32 v4, vcc_lo, 0, v2, vcc_lo
	v_cmp_gt_u32_e32 vcc_lo, 6, v1
	v_lshlrev_b32_e32 v4, 2, v4
	v_cndmask_b32_e64 v5, 0, 1, vcc_lo
	v_cmp_gt_u32_e32 vcc_lo, 4, v1
	s_delay_alu instid0(VALU_DEP_2) | instskip(SKIP_1) | instid1(VALU_DEP_2)
	v_lshlrev_b32_e32 v5, 1, v5
	v_cndmask_b32_e64 v1, 0, 1, vcc_lo
	v_add_lshl_u32 v5, v5, v2, 2
	s_delay_alu instid0(VALU_DEP_2)
	v_lshlrev_b32_e32 v1, 2, v1
	s_waitcnt lgkmcnt(0)
	ds_bpermute_b32 v4, v4, v3
	v_add_lshl_u32 v1, v1, v2, 2
	s_waitcnt lgkmcnt(0)
	v_add_nc_u32_e32 v3, v4, v3
	ds_bpermute_b32 v4, v5, v3
	s_waitcnt lgkmcnt(0)
	v_add_nc_u32_e32 v3, v4, v3
	ds_bpermute_b32 v1, v1, v3
	s_waitcnt lgkmcnt(0)
	v_add_nc_u32_e32 v1, v1, v3
.LBB846_21:
	s_or_b32 exec_lo, exec_lo, s3
	s_mov_b32 s3, 0
	s_branch .LBB846_95
.LBB846_22:
                                        ; implicit-def: $vgpr1
	s_branch .LBB846_142
.LBB846_23:
                                        ; implicit-def: $vgpr1
	s_cbranch_execz .LBB846_10
; %bb.24:
	s_sub_i32 s4, s18, s4
	s_mov_b32 s5, exec_lo
                                        ; implicit-def: $vgpr1
	v_cmpx_gt_u32_e64 s4, v0
	s_cbranch_execz .LBB846_26
; %bb.25:
	v_lshlrev_b32_e32 v1, 2, v0
	global_load_b32 v1, v1, s[2:3]
.LBB846_26:
	s_or_b32 exec_lo, exec_lo, s5
	v_or_b32_e32 v3, 0x100, v0
	v_mov_b32_e32 v2, 0
	s_delay_alu instid0(VALU_DEP_2)
	v_cmp_gt_u32_e32 vcc_lo, s4, v3
	v_mov_b32_e32 v3, 0
	s_and_saveexec_b32 s5, vcc_lo
	s_cbranch_execz .LBB846_28
; %bb.27:
	v_lshlrev_b32_e32 v3, 2, v0
	global_load_b32 v3, v3, s[2:3] offset:1024
.LBB846_28:
	s_or_b32 exec_lo, exec_lo, s5
	v_or_b32_e32 v4, 0x200, v0
	s_mov_b32 s5, exec_lo
	s_delay_alu instid0(VALU_DEP_1)
	v_cmpx_gt_u32_e64 s4, v4
	s_cbranch_execz .LBB846_30
; %bb.29:
	v_lshlrev_b32_e32 v2, 2, v0
	global_load_b32 v2, v2, s[2:3] offset:2048
.LBB846_30:
	s_or_b32 exec_lo, exec_lo, s5
	v_or_b32_e32 v5, 0x300, v0
	v_mov_b32_e32 v4, 0
	s_delay_alu instid0(VALU_DEP_2)
	v_cmp_gt_u32_e32 vcc_lo, s4, v5
	v_mov_b32_e32 v5, 0
	s_and_saveexec_b32 s5, vcc_lo
	s_cbranch_execz .LBB846_32
; %bb.31:
	v_lshlrev_b32_e32 v5, 2, v0
	global_load_b32 v5, v5, s[2:3] offset:3072
.LBB846_32:
	s_or_b32 exec_lo, exec_lo, s5
	v_or_b32_e32 v6, 0x400, v0
	s_mov_b32 s5, exec_lo
	s_delay_alu instid0(VALU_DEP_1)
	v_cmpx_gt_u32_e64 s4, v6
	s_cbranch_execz .LBB846_34
; %bb.33:
	v_lshlrev_b32_e32 v4, 2, v6
	global_load_b32 v4, v4, s[2:3]
.LBB846_34:
	s_or_b32 exec_lo, exec_lo, s5
	v_or_b32_e32 v8, 0x500, v0
	v_dual_mov_b32 v6, 0 :: v_dual_mov_b32 v7, 0
	s_mov_b32 s5, exec_lo
	s_delay_alu instid0(VALU_DEP_2)
	v_cmpx_gt_u32_e64 s4, v8
	s_cbranch_execz .LBB846_36
; %bb.35:
	v_lshlrev_b32_e32 v7, 2, v8
	global_load_b32 v7, v7, s[2:3]
.LBB846_36:
	s_or_b32 exec_lo, exec_lo, s5
	v_or_b32_e32 v8, 0x600, v0
	s_mov_b32 s5, exec_lo
	s_delay_alu instid0(VALU_DEP_1)
	v_cmpx_gt_u32_e64 s4, v8
	s_cbranch_execz .LBB846_38
; %bb.37:
	v_lshlrev_b32_e32 v6, 2, v8
	global_load_b32 v6, v6, s[2:3]
.LBB846_38:
	s_or_b32 exec_lo, exec_lo, s5
	v_or_b32_e32 v10, 0x700, v0
	v_dual_mov_b32 v8, 0 :: v_dual_mov_b32 v9, 0
	s_mov_b32 s5, exec_lo
	s_delay_alu instid0(VALU_DEP_2)
	v_cmpx_gt_u32_e64 s4, v10
	s_cbranch_execz .LBB846_40
; %bb.39:
	v_lshlrev_b32_e32 v9, 2, v10
	global_load_b32 v9, v9, s[2:3]
.LBB846_40:
	s_or_b32 exec_lo, exec_lo, s5
	v_or_b32_e32 v10, 0x800, v0
	s_mov_b32 s5, exec_lo
	s_delay_alu instid0(VALU_DEP_1)
	v_cmpx_gt_u32_e64 s4, v10
	s_cbranch_execz .LBB846_42
; %bb.41:
	v_lshlrev_b32_e32 v8, 2, v10
	global_load_b32 v8, v8, s[2:3]
.LBB846_42:
	s_or_b32 exec_lo, exec_lo, s5
	v_or_b32_e32 v12, 0x900, v0
	v_dual_mov_b32 v10, 0 :: v_dual_mov_b32 v11, 0
	s_mov_b32 s5, exec_lo
	s_delay_alu instid0(VALU_DEP_2)
	v_cmpx_gt_u32_e64 s4, v12
	s_cbranch_execz .LBB846_44
; %bb.43:
	v_lshlrev_b32_e32 v11, 2, v12
	global_load_b32 v11, v11, s[2:3]
.LBB846_44:
	s_or_b32 exec_lo, exec_lo, s5
	v_or_b32_e32 v12, 0xa00, v0
	s_mov_b32 s5, exec_lo
	s_delay_alu instid0(VALU_DEP_1)
	v_cmpx_gt_u32_e64 s4, v12
	s_cbranch_execz .LBB846_46
; %bb.45:
	v_lshlrev_b32_e32 v10, 2, v12
	global_load_b32 v10, v10, s[2:3]
.LBB846_46:
	s_or_b32 exec_lo, exec_lo, s5
	v_or_b32_e32 v14, 0xb00, v0
	v_dual_mov_b32 v12, 0 :: v_dual_mov_b32 v13, 0
	s_mov_b32 s5, exec_lo
	s_delay_alu instid0(VALU_DEP_2)
	v_cmpx_gt_u32_e64 s4, v14
	s_cbranch_execz .LBB846_48
; %bb.47:
	v_lshlrev_b32_e32 v13, 2, v14
	global_load_b32 v13, v13, s[2:3]
.LBB846_48:
	s_or_b32 exec_lo, exec_lo, s5
	v_or_b32_e32 v14, 0xc00, v0
	s_mov_b32 s5, exec_lo
	s_delay_alu instid0(VALU_DEP_1)
	v_cmpx_gt_u32_e64 s4, v14
	s_cbranch_execz .LBB846_50
; %bb.49:
	v_lshlrev_b32_e32 v12, 2, v14
	global_load_b32 v12, v12, s[2:3]
.LBB846_50:
	s_or_b32 exec_lo, exec_lo, s5
	v_or_b32_e32 v16, 0xd00, v0
	v_dual_mov_b32 v14, 0 :: v_dual_mov_b32 v15, 0
	s_mov_b32 s5, exec_lo
	s_delay_alu instid0(VALU_DEP_2)
	v_cmpx_gt_u32_e64 s4, v16
	s_cbranch_execz .LBB846_52
; %bb.51:
	v_lshlrev_b32_e32 v15, 2, v16
	global_load_b32 v15, v15, s[2:3]
.LBB846_52:
	s_or_b32 exec_lo, exec_lo, s5
	v_or_b32_e32 v16, 0xe00, v0
	s_mov_b32 s5, exec_lo
	s_delay_alu instid0(VALU_DEP_1)
	v_cmpx_gt_u32_e64 s4, v16
	s_cbranch_execz .LBB846_54
; %bb.53:
	v_lshlrev_b32_e32 v14, 2, v16
	global_load_b32 v14, v14, s[2:3]
.LBB846_54:
	s_or_b32 exec_lo, exec_lo, s5
	v_or_b32_e32 v18, 0xf00, v0
	v_dual_mov_b32 v16, 0 :: v_dual_mov_b32 v17, 0
	s_mov_b32 s5, exec_lo
	s_delay_alu instid0(VALU_DEP_2)
	v_cmpx_gt_u32_e64 s4, v18
	s_cbranch_execz .LBB846_56
; %bb.55:
	v_lshlrev_b32_e32 v17, 2, v18
	global_load_b32 v17, v17, s[2:3]
.LBB846_56:
	s_or_b32 exec_lo, exec_lo, s5
	v_or_b32_e32 v18, 0x1000, v0
	s_mov_b32 s5, exec_lo
	s_delay_alu instid0(VALU_DEP_1)
	v_cmpx_gt_u32_e64 s4, v18
	s_cbranch_execz .LBB846_58
; %bb.57:
	v_lshlrev_b32_e32 v16, 2, v18
	global_load_b32 v16, v16, s[2:3]
.LBB846_58:
	s_or_b32 exec_lo, exec_lo, s5
	v_or_b32_e32 v20, 0x1100, v0
	v_dual_mov_b32 v18, 0 :: v_dual_mov_b32 v19, 0
	s_mov_b32 s5, exec_lo
	s_delay_alu instid0(VALU_DEP_2)
	v_cmpx_gt_u32_e64 s4, v20
	s_cbranch_execz .LBB846_60
; %bb.59:
	v_lshlrev_b32_e32 v19, 2, v20
	global_load_b32 v19, v19, s[2:3]
.LBB846_60:
	s_or_b32 exec_lo, exec_lo, s5
	v_or_b32_e32 v20, 0x1200, v0
	s_mov_b32 s5, exec_lo
	s_delay_alu instid0(VALU_DEP_1)
	v_cmpx_gt_u32_e64 s4, v20
	s_cbranch_execz .LBB846_62
; %bb.61:
	v_lshlrev_b32_e32 v18, 2, v20
	global_load_b32 v18, v18, s[2:3]
.LBB846_62:
	s_or_b32 exec_lo, exec_lo, s5
	v_or_b32_e32 v22, 0x1300, v0
	v_dual_mov_b32 v20, 0 :: v_dual_mov_b32 v21, 0
	s_mov_b32 s5, exec_lo
	s_delay_alu instid0(VALU_DEP_2)
	v_cmpx_gt_u32_e64 s4, v22
	s_cbranch_execz .LBB846_64
; %bb.63:
	v_lshlrev_b32_e32 v21, 2, v22
	global_load_b32 v21, v21, s[2:3]
.LBB846_64:
	s_or_b32 exec_lo, exec_lo, s5
	v_or_b32_e32 v22, 0x1400, v0
	s_mov_b32 s5, exec_lo
	s_delay_alu instid0(VALU_DEP_1)
	v_cmpx_gt_u32_e64 s4, v22
	s_cbranch_execz .LBB846_66
; %bb.65:
	v_lshlrev_b32_e32 v20, 2, v22
	global_load_b32 v20, v20, s[2:3]
.LBB846_66:
	s_or_b32 exec_lo, exec_lo, s5
	v_or_b32_e32 v24, 0x1500, v0
	v_dual_mov_b32 v22, 0 :: v_dual_mov_b32 v23, 0
	s_mov_b32 s5, exec_lo
	s_delay_alu instid0(VALU_DEP_2)
	v_cmpx_gt_u32_e64 s4, v24
	s_cbranch_execz .LBB846_68
; %bb.67:
	v_lshlrev_b32_e32 v23, 2, v24
	global_load_b32 v23, v23, s[2:3]
.LBB846_68:
	s_or_b32 exec_lo, exec_lo, s5
	v_or_b32_e32 v24, 0x1600, v0
	s_mov_b32 s5, exec_lo
	s_delay_alu instid0(VALU_DEP_1)
	v_cmpx_gt_u32_e64 s4, v24
	s_cbranch_execz .LBB846_70
; %bb.69:
	v_lshlrev_b32_e32 v22, 2, v24
	global_load_b32 v22, v22, s[2:3]
.LBB846_70:
	s_or_b32 exec_lo, exec_lo, s5
	v_or_b32_e32 v26, 0x1700, v0
	v_dual_mov_b32 v24, 0 :: v_dual_mov_b32 v25, 0
	s_mov_b32 s5, exec_lo
	s_delay_alu instid0(VALU_DEP_2)
	v_cmpx_gt_u32_e64 s4, v26
	s_cbranch_execz .LBB846_72
; %bb.71:
	v_lshlrev_b32_e32 v25, 2, v26
	global_load_b32 v25, v25, s[2:3]
.LBB846_72:
	s_or_b32 exec_lo, exec_lo, s5
	v_or_b32_e32 v26, 0x1800, v0
	s_mov_b32 s5, exec_lo
	s_delay_alu instid0(VALU_DEP_1)
	v_cmpx_gt_u32_e64 s4, v26
	s_cbranch_execz .LBB846_74
; %bb.73:
	v_lshlrev_b32_e32 v24, 2, v26
	global_load_b32 v24, v24, s[2:3]
.LBB846_74:
	s_or_b32 exec_lo, exec_lo, s5
	v_or_b32_e32 v28, 0x1900, v0
	v_dual_mov_b32 v26, 0 :: v_dual_mov_b32 v27, 0
	s_mov_b32 s5, exec_lo
	s_delay_alu instid0(VALU_DEP_2)
	v_cmpx_gt_u32_e64 s4, v28
	s_cbranch_execz .LBB846_76
; %bb.75:
	v_lshlrev_b32_e32 v27, 2, v28
	global_load_b32 v27, v27, s[2:3]
.LBB846_76:
	s_or_b32 exec_lo, exec_lo, s5
	v_or_b32_e32 v28, 0x1a00, v0
	s_mov_b32 s5, exec_lo
	s_delay_alu instid0(VALU_DEP_1)
	v_cmpx_gt_u32_e64 s4, v28
	s_cbranch_execz .LBB846_78
; %bb.77:
	v_lshlrev_b32_e32 v26, 2, v28
	global_load_b32 v26, v26, s[2:3]
.LBB846_78:
	s_or_b32 exec_lo, exec_lo, s5
	v_or_b32_e32 v30, 0x1b00, v0
	v_dual_mov_b32 v28, 0 :: v_dual_mov_b32 v29, 0
	s_mov_b32 s5, exec_lo
	s_delay_alu instid0(VALU_DEP_2)
	v_cmpx_gt_u32_e64 s4, v30
	s_cbranch_execz .LBB846_80
; %bb.79:
	v_lshlrev_b32_e32 v29, 2, v30
	global_load_b32 v29, v29, s[2:3]
.LBB846_80:
	s_or_b32 exec_lo, exec_lo, s5
	v_or_b32_e32 v30, 0x1c00, v0
	s_mov_b32 s5, exec_lo
	s_delay_alu instid0(VALU_DEP_1)
	v_cmpx_gt_u32_e64 s4, v30
	s_cbranch_execz .LBB846_82
; %bb.81:
	v_lshlrev_b32_e32 v28, 2, v30
	global_load_b32 v28, v28, s[2:3]
.LBB846_82:
	s_or_b32 exec_lo, exec_lo, s5
	v_or_b32_e32 v32, 0x1d00, v0
	v_dual_mov_b32 v30, 0 :: v_dual_mov_b32 v31, 0
	s_mov_b32 s5, exec_lo
	s_delay_alu instid0(VALU_DEP_2)
	v_cmpx_gt_u32_e64 s4, v32
	s_cbranch_execz .LBB846_84
; %bb.83:
	v_lshlrev_b32_e32 v31, 2, v32
	global_load_b32 v31, v31, s[2:3]
.LBB846_84:
	s_or_b32 exec_lo, exec_lo, s5
	v_or_b32_e32 v32, 0x1e00, v0
	s_mov_b32 s5, exec_lo
	s_delay_alu instid0(VALU_DEP_1)
	v_cmpx_gt_u32_e64 s4, v32
	s_cbranch_execz .LBB846_86
; %bb.85:
	v_lshlrev_b32_e32 v30, 2, v32
	global_load_b32 v30, v30, s[2:3]
.LBB846_86:
	s_or_b32 exec_lo, exec_lo, s5
	v_or_b32_e32 v33, 0x1f00, v0
	v_mov_b32_e32 v32, 0
	s_mov_b32 s5, exec_lo
	s_delay_alu instid0(VALU_DEP_2)
	v_cmpx_gt_u32_e64 s4, v33
	s_cbranch_execz .LBB846_88
; %bb.87:
	v_lshlrev_b32_e32 v32, 2, v33
	global_load_b32 v32, v32, s[2:3]
.LBB846_88:
	s_or_b32 exec_lo, exec_lo, s5
	s_waitcnt vmcnt(0)
	v_add_nc_u32_e32 v1, v3, v1
	s_min_u32 s2, s4, 0x100
	s_mov_b32 s3, exec_lo
	s_delay_alu instid0(VALU_DEP_1) | instskip(SKIP_1) | instid1(VALU_DEP_2)
	v_add3_u32 v1, v1, v2, v5
	v_mbcnt_lo_u32_b32 v2, -1, 0
	v_add3_u32 v1, v1, v4, v7
	s_delay_alu instid0(VALU_DEP_2) | instskip(NEXT) | instid1(VALU_DEP_2)
	v_cmp_ne_u32_e32 vcc_lo, 31, v2
	v_add3_u32 v1, v1, v6, v9
	v_add_co_ci_u32_e32 v3, vcc_lo, 0, v2, vcc_lo
	v_cmp_gt_u32_e32 vcc_lo, 30, v2
	v_add_nc_u32_e32 v6, 1, v2
	s_delay_alu instid0(VALU_DEP_4) | instskip(NEXT) | instid1(VALU_DEP_4)
	v_add3_u32 v1, v1, v8, v11
	v_lshlrev_b32_e32 v3, 2, v3
	v_cndmask_b32_e64 v5, 0, 1, vcc_lo
	s_delay_alu instid0(VALU_DEP_3) | instskip(NEXT) | instid1(VALU_DEP_2)
	v_add3_u32 v1, v1, v10, v13
	v_lshlrev_b32_e32 v5, 1, v5
	s_delay_alu instid0(VALU_DEP_2) | instskip(NEXT) | instid1(VALU_DEP_2)
	v_add3_u32 v1, v1, v12, v15
	v_add_lshl_u32 v5, v5, v2, 2
	s_delay_alu instid0(VALU_DEP_2) | instskip(NEXT) | instid1(VALU_DEP_1)
	v_add3_u32 v1, v1, v14, v17
	v_add3_u32 v1, v1, v16, v19
	s_delay_alu instid0(VALU_DEP_1) | instskip(NEXT) | instid1(VALU_DEP_1)
	v_add3_u32 v1, v1, v18, v21
	v_add3_u32 v1, v1, v20, v23
	s_delay_alu instid0(VALU_DEP_1) | instskip(NEXT) | instid1(VALU_DEP_1)
	;; [unrolled: 3-line block ×3, first 2 shown]
	v_add3_u32 v1, v1, v26, v29
	v_add3_u32 v1, v1, v28, v31
	s_delay_alu instid0(VALU_DEP_1) | instskip(SKIP_2) | instid1(VALU_DEP_1)
	v_add3_u32 v1, v1, v30, v32
	ds_bpermute_b32 v3, v3, v1
	v_and_b32_e32 v4, 0xe0, v0
	v_sub_nc_u32_e64 v4, s2, v4 clamp
	s_delay_alu instid0(VALU_DEP_1) | instskip(SKIP_3) | instid1(VALU_DEP_2)
	v_cmp_lt_u32_e32 vcc_lo, v6, v4
	s_waitcnt lgkmcnt(0)
	v_dual_cndmask_b32 v3, 0, v3 :: v_dual_add_nc_u32 v6, 2, v2
	v_cmp_gt_u32_e32 vcc_lo, 28, v2
	v_add_nc_u32_e32 v1, v3, v1
	ds_bpermute_b32 v3, v5, v1
	v_cndmask_b32_e64 v5, 0, 1, vcc_lo
	v_cmp_lt_u32_e32 vcc_lo, v6, v4
	v_add_nc_u32_e32 v6, 4, v2
	s_delay_alu instid0(VALU_DEP_3) | instskip(NEXT) | instid1(VALU_DEP_1)
	v_lshlrev_b32_e32 v5, 2, v5
	v_add_lshl_u32 v5, v5, v2, 2
	s_waitcnt lgkmcnt(0)
	v_cndmask_b32_e32 v3, 0, v3, vcc_lo
	v_cmp_gt_u32_e32 vcc_lo, 24, v2
	s_delay_alu instid0(VALU_DEP_2) | instskip(SKIP_4) | instid1(VALU_DEP_3)
	v_add_nc_u32_e32 v1, v1, v3
	ds_bpermute_b32 v3, v5, v1
	v_cndmask_b32_e64 v5, 0, 1, vcc_lo
	v_cmp_lt_u32_e32 vcc_lo, v6, v4
	v_add_nc_u32_e32 v6, 8, v2
	v_lshlrev_b32_e32 v5, 3, v5
	s_delay_alu instid0(VALU_DEP_1) | instskip(SKIP_3) | instid1(VALU_DEP_2)
	v_add_lshl_u32 v5, v5, v2, 2
	s_waitcnt lgkmcnt(0)
	v_cndmask_b32_e32 v3, 0, v3, vcc_lo
	v_cmp_gt_u32_e32 vcc_lo, 16, v2
	v_add_nc_u32_e32 v1, v1, v3
	ds_bpermute_b32 v3, v5, v1
	v_cndmask_b32_e64 v5, 0, 1, vcc_lo
	v_cmp_lt_u32_e32 vcc_lo, v6, v4
	s_delay_alu instid0(VALU_DEP_2) | instskip(NEXT) | instid1(VALU_DEP_1)
	v_lshlrev_b32_e32 v5, 4, v5
	v_add_lshl_u32 v5, v5, v2, 2
	s_waitcnt lgkmcnt(0)
	v_cndmask_b32_e32 v3, 0, v3, vcc_lo
	s_delay_alu instid0(VALU_DEP_1) | instskip(SKIP_2) | instid1(VALU_DEP_1)
	v_add_nc_u32_e32 v1, v1, v3
	ds_bpermute_b32 v3, v5, v1
	v_add_nc_u32_e32 v5, 16, v2
	v_cmp_lt_u32_e32 vcc_lo, v5, v4
	s_waitcnt lgkmcnt(0)
	v_cndmask_b32_e32 v3, 0, v3, vcc_lo
	s_delay_alu instid0(VALU_DEP_1)
	v_add_nc_u32_e32 v1, v1, v3
	v_cmpx_eq_u32_e32 0, v2
	s_cbranch_execz .LBB846_90
; %bb.89:
	v_lshrrev_b32_e32 v3, 3, v0
	s_delay_alu instid0(VALU_DEP_1)
	v_and_b32_e32 v3, 28, v3
	ds_store_b32 v3, v1 offset:192
.LBB846_90:
	s_or_b32 exec_lo, exec_lo, s3
	s_delay_alu instid0(SALU_CYCLE_1)
	s_mov_b32 s3, exec_lo
	s_waitcnt lgkmcnt(0)
	s_barrier
	buffer_gl0_inv
	v_cmpx_gt_u32_e32 8, v0
	s_cbranch_execz .LBB846_92
; %bb.91:
	v_and_b32_e32 v3, 7, v2
	s_add_i32 s2, s2, 31
	s_delay_alu instid0(SALU_CYCLE_1) | instskip(NEXT) | instid1(VALU_DEP_1)
	s_lshr_b32 s2, s2, 5
	v_cmp_ne_u32_e32 vcc_lo, 7, v3
	v_add_nc_u32_e32 v6, 1, v3
	v_add_co_ci_u32_e32 v4, vcc_lo, 0, v2, vcc_lo
	v_cmp_gt_u32_e32 vcc_lo, 6, v3
	s_delay_alu instid0(VALU_DEP_2) | instskip(SKIP_3) | instid1(VALU_DEP_3)
	v_lshlrev_b32_e32 v4, 2, v4
	v_cndmask_b32_e64 v5, 0, 1, vcc_lo
	v_cmp_gt_u32_e32 vcc_lo, s2, v6
	v_lshlrev_b32_e32 v1, 2, v2
	v_lshlrev_b32_e32 v5, 1, v5
	ds_load_b32 v1, v1 offset:192
	v_add_lshl_u32 v5, v5, v2, 2
	s_waitcnt lgkmcnt(0)
	ds_bpermute_b32 v4, v4, v1
	s_waitcnt lgkmcnt(0)
	v_cndmask_b32_e32 v4, 0, v4, vcc_lo
	v_cmp_gt_u32_e32 vcc_lo, 4, v3
	s_delay_alu instid0(VALU_DEP_2) | instskip(SKIP_3) | instid1(VALU_DEP_1)
	v_add_nc_u32_e32 v1, v4, v1
	v_cndmask_b32_e64 v6, 0, 1, vcc_lo
	ds_bpermute_b32 v4, v5, v1
	v_add_nc_u32_e32 v5, 2, v3
	v_cmp_gt_u32_e32 vcc_lo, s2, v5
	v_lshlrev_b32_e32 v5, 2, v6
	s_delay_alu instid0(VALU_DEP_1) | instskip(SKIP_2) | instid1(VALU_DEP_1)
	v_add_lshl_u32 v2, v5, v2, 2
	s_waitcnt lgkmcnt(0)
	v_dual_cndmask_b32 v4, 0, v4 :: v_dual_add_nc_u32 v3, 4, v3
	v_add_nc_u32_e32 v1, v1, v4
	s_delay_alu instid0(VALU_DEP_2) | instskip(SKIP_3) | instid1(VALU_DEP_1)
	v_cmp_gt_u32_e32 vcc_lo, s2, v3
	ds_bpermute_b32 v2, v2, v1
	s_waitcnt lgkmcnt(0)
	v_cndmask_b32_e32 v2, 0, v2, vcc_lo
	v_add_nc_u32_e32 v1, v1, v2
.LBB846_92:
	s_or_b32 exec_lo, exec_lo, s3
	v_cmp_eq_u32_e64 s2, 0, v0
	s_and_b32 vcc_lo, exec_lo, s6
	s_cbranch_vccnz .LBB846_15
.LBB846_93:
	s_branch .LBB846_142
.LBB846_94:
	s_mov_b32 s3, -1
                                        ; implicit-def: $vgpr1
.LBB846_95:
	s_delay_alu instid0(SALU_CYCLE_1)
	s_and_b32 vcc_lo, exec_lo, s3
	s_cbranch_vccz .LBB846_133
; %bb.96:
	s_sub_i32 s25, s18, s2
	s_mov_b32 s2, exec_lo
                                        ; implicit-def: $vgpr1_vgpr2_vgpr3_vgpr4_vgpr5_vgpr6_vgpr7_vgpr8_vgpr9_vgpr10_vgpr11_vgpr12_vgpr13_vgpr14_vgpr15_vgpr16
	v_cmpx_gt_u32_e64 s25, v0
	s_cbranch_execz .LBB846_98
; %bb.97:
	v_lshlrev_b32_e32 v1, 2, v0
	global_load_b32 v1, v1, s[22:23]
.LBB846_98:
	s_or_b32 exec_lo, exec_lo, s2
	v_or_b32_e32 v17, 0x100, v0
	s_delay_alu instid0(VALU_DEP_1)
	v_cmp_gt_u32_e32 vcc_lo, s25, v17
	s_and_saveexec_b32 s2, vcc_lo
	s_cbranch_execz .LBB846_100
; %bb.99:
	v_lshlrev_b32_e32 v2, 2, v0
	global_load_b32 v2, v2, s[22:23] offset:1024
.LBB846_100:
	s_or_b32 exec_lo, exec_lo, s2
	v_or_b32_e32 v17, 0x200, v0
	s_delay_alu instid0(VALU_DEP_1) | instskip(NEXT) | instid1(VALU_DEP_1)
	v_cmp_gt_u32_e64 s2, s25, v17
	s_and_saveexec_b32 s3, s2
	s_cbranch_execz .LBB846_102
; %bb.101:
	v_lshlrev_b32_e32 v3, 2, v0
	global_load_b32 v3, v3, s[22:23] offset:2048
.LBB846_102:
	s_or_b32 exec_lo, exec_lo, s3
	v_or_b32_e32 v17, 0x300, v0
	s_delay_alu instid0(VALU_DEP_1) | instskip(NEXT) | instid1(VALU_DEP_1)
	v_cmp_gt_u32_e64 s3, s25, v17
	s_and_saveexec_b32 s4, s3
	;; [unrolled: 10-line block ×3, first 2 shown]
	s_cbranch_execz .LBB846_106
; %bb.105:
	v_lshlrev_b32_e32 v5, 2, v17
	global_load_b32 v5, v5, s[22:23]
.LBB846_106:
	s_or_b32 exec_lo, exec_lo, s5
	v_or_b32_e32 v17, 0x500, v0
	s_delay_alu instid0(VALU_DEP_1) | instskip(NEXT) | instid1(VALU_DEP_1)
	v_cmp_gt_u32_e64 s5, s25, v17
	s_and_saveexec_b32 s6, s5
	s_cbranch_execz .LBB846_108
; %bb.107:
	v_lshlrev_b32_e32 v6, 2, v17
	global_load_b32 v6, v6, s[22:23]
.LBB846_108:
	s_or_b32 exec_lo, exec_lo, s6
	v_or_b32_e32 v17, 0x600, v0
	s_delay_alu instid0(VALU_DEP_1) | instskip(NEXT) | instid1(VALU_DEP_1)
	v_cmp_gt_u32_e64 s6, s25, v17
	s_and_saveexec_b32 s7, s6
	;; [unrolled: 10-line block ×11, first 2 shown]
	s_cbranch_execz .LBB846_128
; %bb.127:
	v_lshlrev_b32_e32 v16, 2, v17
	global_load_b32 v16, v16, s[22:23]
.LBB846_128:
	s_or_b32 exec_lo, exec_lo, s26
	s_waitcnt vmcnt(0)
	v_cndmask_b32_e32 v2, 0, v2, vcc_lo
	v_cndmask_b32_e64 v3, 0, v3, s2
	v_cndmask_b32_e64 v4, 0, v4, s3
	s_min_u32 s2, s25, 0x100
	s_mov_b32 s3, exec_lo
	v_add_nc_u32_e32 v1, v2, v1
	v_cndmask_b32_e64 v2, 0, v5, s4
	v_cndmask_b32_e64 v5, 0, v6, s5
	;; [unrolled: 1-line block ×3, first 2 shown]
	s_delay_alu instid0(VALU_DEP_4) | instskip(SKIP_3) | instid1(VALU_DEP_4)
	v_add3_u32 v1, v1, v3, v4
	v_cndmask_b32_e64 v3, 0, v7, s6
	v_cndmask_b32_e64 v4, 0, v8, s7
	;; [unrolled: 1-line block ×3, first 2 shown]
	v_add3_u32 v1, v1, v2, v5
	v_cndmask_b32_e64 v2, 0, v9, s8
	v_cndmask_b32_e64 v5, 0, v10, s9
	s_delay_alu instid0(VALU_DEP_3) | instskip(SKIP_2) | instid1(VALU_DEP_3)
	v_add3_u32 v1, v1, v3, v4
	v_cndmask_b32_e64 v3, 0, v11, s10
	v_cndmask_b32_e64 v4, 0, v12, s11
	v_add3_u32 v1, v1, v2, v5
	v_mbcnt_lo_u32_b32 v2, -1, 0
	v_cndmask_b32_e64 v5, 0, v13, s12
	s_delay_alu instid0(VALU_DEP_3) | instskip(NEXT) | instid1(VALU_DEP_3)
	v_add3_u32 v1, v1, v3, v4
	v_cmp_ne_u32_e32 vcc_lo, 31, v2
	v_cndmask_b32_e64 v3, 0, v16, s15
	s_delay_alu instid0(VALU_DEP_3) | instskip(SKIP_3) | instid1(VALU_DEP_4)
	v_add3_u32 v1, v1, v5, v6
	v_add_co_ci_u32_e32 v4, vcc_lo, 0, v2, vcc_lo
	v_cmp_gt_u32_e32 vcc_lo, 30, v2
	v_add_nc_u32_e32 v6, 1, v2
	v_add3_u32 v1, v1, v7, v3
	s_delay_alu instid0(VALU_DEP_4) | instskip(SKIP_4) | instid1(VALU_DEP_2)
	v_lshlrev_b32_e32 v4, 2, v4
	v_cndmask_b32_e64 v5, 0, 1, vcc_lo
	ds_bpermute_b32 v3, v4, v1
	v_and_b32_e32 v4, 0xe0, v0
	v_lshlrev_b32_e32 v5, 1, v5
	v_sub_nc_u32_e64 v4, s2, v4 clamp
	s_delay_alu instid0(VALU_DEP_2) | instskip(NEXT) | instid1(VALU_DEP_2)
	v_add_lshl_u32 v5, v5, v2, 2
	v_cmp_lt_u32_e32 vcc_lo, v6, v4
	s_waitcnt lgkmcnt(0)
	v_dual_cndmask_b32 v3, 0, v3 :: v_dual_add_nc_u32 v6, 2, v2
	v_cmp_gt_u32_e32 vcc_lo, 28, v2
	s_delay_alu instid0(VALU_DEP_2) | instskip(SKIP_4) | instid1(VALU_DEP_3)
	v_add_nc_u32_e32 v1, v1, v3
	ds_bpermute_b32 v3, v5, v1
	v_cndmask_b32_e64 v5, 0, 1, vcc_lo
	v_cmp_lt_u32_e32 vcc_lo, v6, v4
	v_add_nc_u32_e32 v6, 4, v2
	v_lshlrev_b32_e32 v5, 2, v5
	s_delay_alu instid0(VALU_DEP_1) | instskip(SKIP_3) | instid1(VALU_DEP_2)
	v_add_lshl_u32 v5, v5, v2, 2
	s_waitcnt lgkmcnt(0)
	v_cndmask_b32_e32 v3, 0, v3, vcc_lo
	v_cmp_gt_u32_e32 vcc_lo, 24, v2
	v_add_nc_u32_e32 v1, v1, v3
	ds_bpermute_b32 v3, v5, v1
	v_cndmask_b32_e64 v5, 0, 1, vcc_lo
	v_cmp_lt_u32_e32 vcc_lo, v6, v4
	v_add_nc_u32_e32 v6, 8, v2
	s_delay_alu instid0(VALU_DEP_3) | instskip(NEXT) | instid1(VALU_DEP_1)
	v_lshlrev_b32_e32 v5, 3, v5
	v_add_lshl_u32 v5, v5, v2, 2
	s_waitcnt lgkmcnt(0)
	v_cndmask_b32_e32 v3, 0, v3, vcc_lo
	v_cmp_gt_u32_e32 vcc_lo, 16, v2
	s_delay_alu instid0(VALU_DEP_2) | instskip(SKIP_3) | instid1(VALU_DEP_2)
	v_add_nc_u32_e32 v1, v1, v3
	ds_bpermute_b32 v3, v5, v1
	v_cndmask_b32_e64 v5, 0, 1, vcc_lo
	v_cmp_lt_u32_e32 vcc_lo, v6, v4
	v_lshlrev_b32_e32 v5, 4, v5
	s_delay_alu instid0(VALU_DEP_1) | instskip(SKIP_2) | instid1(VALU_DEP_1)
	v_add_lshl_u32 v5, v5, v2, 2
	s_waitcnt lgkmcnt(0)
	v_cndmask_b32_e32 v3, 0, v3, vcc_lo
	v_add_nc_u32_e32 v1, v1, v3
	ds_bpermute_b32 v3, v5, v1
	v_add_nc_u32_e32 v5, 16, v2
	s_delay_alu instid0(VALU_DEP_1) | instskip(SKIP_2) | instid1(VALU_DEP_1)
	v_cmp_lt_u32_e32 vcc_lo, v5, v4
	s_waitcnt lgkmcnt(0)
	v_cndmask_b32_e32 v3, 0, v3, vcc_lo
	v_add_nc_u32_e32 v1, v1, v3
	v_cmpx_eq_u32_e32 0, v2
	s_cbranch_execz .LBB846_130
; %bb.129:
	v_lshrrev_b32_e32 v3, 3, v0
	s_delay_alu instid0(VALU_DEP_1)
	v_and_b32_e32 v3, 28, v3
	ds_store_b32 v3, v1 offset:192
.LBB846_130:
	s_or_b32 exec_lo, exec_lo, s3
	s_delay_alu instid0(SALU_CYCLE_1)
	s_mov_b32 s3, exec_lo
	s_waitcnt lgkmcnt(0)
	s_barrier
	buffer_gl0_inv
	v_cmpx_gt_u32_e32 8, v0
	s_cbranch_execz .LBB846_132
; %bb.131:
	v_and_b32_e32 v3, 7, v2
	s_add_i32 s2, s2, 31
	s_delay_alu instid0(SALU_CYCLE_1) | instskip(NEXT) | instid1(VALU_DEP_1)
	s_lshr_b32 s2, s2, 5
	v_cmp_ne_u32_e32 vcc_lo, 7, v3
	v_add_nc_u32_e32 v6, 1, v3
	v_add_co_ci_u32_e32 v4, vcc_lo, 0, v2, vcc_lo
	v_cmp_gt_u32_e32 vcc_lo, 6, v3
	s_delay_alu instid0(VALU_DEP_2) | instskip(SKIP_3) | instid1(VALU_DEP_3)
	v_lshlrev_b32_e32 v4, 2, v4
	v_cndmask_b32_e64 v5, 0, 1, vcc_lo
	v_cmp_gt_u32_e32 vcc_lo, s2, v6
	v_lshlrev_b32_e32 v1, 2, v2
	v_lshlrev_b32_e32 v5, 1, v5
	ds_load_b32 v1, v1 offset:192
	v_add_lshl_u32 v5, v5, v2, 2
	s_waitcnt lgkmcnt(0)
	ds_bpermute_b32 v4, v4, v1
	s_waitcnt lgkmcnt(0)
	v_cndmask_b32_e32 v4, 0, v4, vcc_lo
	v_cmp_gt_u32_e32 vcc_lo, 4, v3
	s_delay_alu instid0(VALU_DEP_2) | instskip(SKIP_3) | instid1(VALU_DEP_1)
	v_add_nc_u32_e32 v1, v4, v1
	v_cndmask_b32_e64 v6, 0, 1, vcc_lo
	ds_bpermute_b32 v4, v5, v1
	v_add_nc_u32_e32 v5, 2, v3
	v_cmp_gt_u32_e32 vcc_lo, s2, v5
	v_lshlrev_b32_e32 v5, 2, v6
	s_delay_alu instid0(VALU_DEP_1) | instskip(SKIP_2) | instid1(VALU_DEP_1)
	v_add_lshl_u32 v2, v5, v2, 2
	s_waitcnt lgkmcnt(0)
	v_dual_cndmask_b32 v4, 0, v4 :: v_dual_add_nc_u32 v3, 4, v3
	v_add_nc_u32_e32 v1, v1, v4
	s_delay_alu instid0(VALU_DEP_2) | instskip(SKIP_3) | instid1(VALU_DEP_1)
	v_cmp_gt_u32_e32 vcc_lo, s2, v3
	ds_bpermute_b32 v2, v2, v1
	s_waitcnt lgkmcnt(0)
	v_cndmask_b32_e32 v2, 0, v2, vcc_lo
	v_add_nc_u32_e32 v1, v1, v2
.LBB846_132:
	s_or_b32 exec_lo, exec_lo, s3
.LBB846_133:
	v_cmp_eq_u32_e64 s2, 0, v0
	s_branch .LBB846_142
.LBB846_134:
	s_cmp_eq_u32 s24, 8
	s_cbranch_scc0 .LBB846_141
; %bb.135:
	s_mov_b32 s21, 0
	s_lshl_b32 s2, s20, 11
	s_mov_b32 s3, s21
	s_lshr_b64 s[6:7], s[18:19], 11
	s_lshl_b64 s[4:5], s[2:3], 2
	s_delay_alu instid0(SALU_CYCLE_1)
	s_add_u32 s8, s16, s4
	s_addc_u32 s9, s17, s5
	s_cmp_lg_u64 s[6:7], s[20:21]
	s_cbranch_scc0 .LBB846_143
; %bb.136:
	v_lshlrev_b32_e32 v3, 2, v0
	s_clause 0x1
	global_load_b32 v4, v3, s[8:9]
	global_load_b32 v5, v3, s[8:9] offset:1024
	v_add_co_u32 v1, s3, s8, v3
	s_delay_alu instid0(VALU_DEP_1) | instskip(SKIP_1) | instid1(VALU_DEP_2)
	v_add_co_ci_u32_e64 v2, null, s9, 0, s3
	s_mov_b32 s3, exec_lo
	v_add_co_u32 v1, vcc_lo, 0x1000, v1
	s_delay_alu instid0(VALU_DEP_2)
	v_add_co_ci_u32_e32 v2, vcc_lo, 0, v2, vcc_lo
	s_clause 0x5
	global_load_b32 v6, v3, s[8:9] offset:2048
	global_load_b32 v3, v3, s[8:9] offset:3072
	global_load_b32 v7, v[1:2], off
	global_load_b32 v8, v[1:2], off offset:1024
	global_load_b32 v9, v[1:2], off offset:2048
	;; [unrolled: 1-line block ×3, first 2 shown]
	s_waitcnt vmcnt(6)
	v_add_nc_u32_e32 v2, v5, v4
	s_waitcnt vmcnt(4)
	s_delay_alu instid0(VALU_DEP_1) | instskip(SKIP_2) | instid1(VALU_DEP_2)
	v_add3_u32 v2, v2, v6, v3
	v_mov_b32_e32 v3, 0
	s_waitcnt vmcnt(2)
	v_add3_u32 v2, v2, v7, v8
	s_waitcnt vmcnt(0)
	s_delay_alu instid0(VALU_DEP_1) | instskip(NEXT) | instid1(VALU_DEP_1)
	v_add3_u32 v1, v2, v9, v1
	v_mov_b32_dpp v2, v1 quad_perm:[1,0,3,2] row_mask:0xf bank_mask:0xf
	s_delay_alu instid0(VALU_DEP_1) | instskip(NEXT) | instid1(VALU_DEP_1)
	v_add_nc_u32_e32 v1, v2, v1
	v_mov_b32_dpp v2, v1 quad_perm:[2,3,0,1] row_mask:0xf bank_mask:0xf
	s_delay_alu instid0(VALU_DEP_1) | instskip(NEXT) | instid1(VALU_DEP_1)
	v_add_nc_u32_e32 v1, v1, v2
	v_mov_b32_dpp v2, v1 row_ror:4 row_mask:0xf bank_mask:0xf
	s_delay_alu instid0(VALU_DEP_1) | instskip(NEXT) | instid1(VALU_DEP_1)
	v_add_nc_u32_e32 v1, v1, v2
	v_mov_b32_dpp v2, v1 row_ror:8 row_mask:0xf bank_mask:0xf
	s_delay_alu instid0(VALU_DEP_1)
	v_add_nc_u32_e32 v1, v1, v2
	ds_swizzle_b32 v2, v1 offset:swizzle(BROADCAST,32,15)
	s_waitcnt lgkmcnt(0)
	v_add_nc_u32_e32 v1, v1, v2
	v_mbcnt_lo_u32_b32 v2, -1, 0
	ds_bpermute_b32 v1, v3, v1 offset:124
	v_cmpx_eq_u32_e32 0, v2
	s_cbranch_execz .LBB846_138
; %bb.137:
	v_lshrrev_b32_e32 v3, 3, v0
	s_delay_alu instid0(VALU_DEP_1)
	v_and_b32_e32 v3, 28, v3
	s_waitcnt lgkmcnt(0)
	ds_store_b32 v3, v1 offset:160
.LBB846_138:
	s_or_b32 exec_lo, exec_lo, s3
	s_delay_alu instid0(SALU_CYCLE_1)
	s_mov_b32 s3, exec_lo
	s_waitcnt lgkmcnt(0)
	s_barrier
	buffer_gl0_inv
	v_cmpx_gt_u32_e32 32, v0
	s_cbranch_execz .LBB846_140
; %bb.139:
	v_and_b32_e32 v1, 7, v2
	s_delay_alu instid0(VALU_DEP_1) | instskip(SKIP_4) | instid1(VALU_DEP_2)
	v_lshlrev_b32_e32 v3, 2, v1
	v_cmp_ne_u32_e32 vcc_lo, 7, v1
	ds_load_b32 v3, v3 offset:160
	v_add_co_ci_u32_e32 v4, vcc_lo, 0, v2, vcc_lo
	v_cmp_gt_u32_e32 vcc_lo, 6, v1
	v_lshlrev_b32_e32 v4, 2, v4
	v_cndmask_b32_e64 v5, 0, 1, vcc_lo
	v_cmp_gt_u32_e32 vcc_lo, 4, v1
	s_delay_alu instid0(VALU_DEP_2) | instskip(SKIP_1) | instid1(VALU_DEP_2)
	v_lshlrev_b32_e32 v5, 1, v5
	v_cndmask_b32_e64 v1, 0, 1, vcc_lo
	v_add_lshl_u32 v5, v5, v2, 2
	s_delay_alu instid0(VALU_DEP_2)
	v_lshlrev_b32_e32 v1, 2, v1
	s_waitcnt lgkmcnt(0)
	ds_bpermute_b32 v4, v4, v3
	v_add_lshl_u32 v1, v1, v2, 2
	s_waitcnt lgkmcnt(0)
	v_add_nc_u32_e32 v3, v4, v3
	ds_bpermute_b32 v4, v5, v3
	s_waitcnt lgkmcnt(0)
	v_add_nc_u32_e32 v3, v4, v3
	ds_bpermute_b32 v1, v1, v3
	s_waitcnt lgkmcnt(0)
	v_add_nc_u32_e32 v1, v1, v3
.LBB846_140:
	s_or_b32 exec_lo, exec_lo, s3
	s_branch .LBB846_165
.LBB846_141:
                                        ; implicit-def: $vgpr1
.LBB846_142:
	s_branch .LBB846_224
.LBB846_143:
                                        ; implicit-def: $vgpr1
	s_cbranch_execz .LBB846_165
; %bb.144:
	s_sub_i32 s10, s18, s2
	s_mov_b32 s2, exec_lo
                                        ; implicit-def: $vgpr1_vgpr2_vgpr3_vgpr4_vgpr5_vgpr6_vgpr7_vgpr8
	v_cmpx_gt_u32_e64 s10, v0
	s_cbranch_execz .LBB846_146
; %bb.145:
	v_lshlrev_b32_e32 v1, 2, v0
	global_load_b32 v1, v1, s[8:9]
.LBB846_146:
	s_or_b32 exec_lo, exec_lo, s2
	v_or_b32_e32 v9, 0x100, v0
	s_delay_alu instid0(VALU_DEP_1)
	v_cmp_gt_u32_e32 vcc_lo, s10, v9
	s_and_saveexec_b32 s2, vcc_lo
	s_cbranch_execz .LBB846_148
; %bb.147:
	v_lshlrev_b32_e32 v2, 2, v0
	global_load_b32 v2, v2, s[8:9] offset:1024
.LBB846_148:
	s_or_b32 exec_lo, exec_lo, s2
	v_or_b32_e32 v9, 0x200, v0
	s_delay_alu instid0(VALU_DEP_1) | instskip(NEXT) | instid1(VALU_DEP_1)
	v_cmp_gt_u32_e64 s2, s10, v9
	s_and_saveexec_b32 s3, s2
	s_cbranch_execz .LBB846_150
; %bb.149:
	v_lshlrev_b32_e32 v3, 2, v0
	global_load_b32 v3, v3, s[8:9] offset:2048
.LBB846_150:
	s_or_b32 exec_lo, exec_lo, s3
	v_or_b32_e32 v9, 0x300, v0
	s_delay_alu instid0(VALU_DEP_1) | instskip(NEXT) | instid1(VALU_DEP_1)
	v_cmp_gt_u32_e64 s3, s10, v9
	s_and_saveexec_b32 s4, s3
	;; [unrolled: 10-line block ×3, first 2 shown]
	s_cbranch_execz .LBB846_154
; %bb.153:
	v_lshlrev_b32_e32 v5, 2, v9
	global_load_b32 v5, v5, s[8:9]
.LBB846_154:
	s_or_b32 exec_lo, exec_lo, s5
	v_or_b32_e32 v9, 0x500, v0
	s_delay_alu instid0(VALU_DEP_1) | instskip(NEXT) | instid1(VALU_DEP_1)
	v_cmp_gt_u32_e64 s5, s10, v9
	s_and_saveexec_b32 s6, s5
	s_cbranch_execz .LBB846_156
; %bb.155:
	v_lshlrev_b32_e32 v6, 2, v9
	global_load_b32 v6, v6, s[8:9]
.LBB846_156:
	s_or_b32 exec_lo, exec_lo, s6
	v_or_b32_e32 v9, 0x600, v0
	s_delay_alu instid0(VALU_DEP_1) | instskip(NEXT) | instid1(VALU_DEP_1)
	v_cmp_gt_u32_e64 s6, s10, v9
	s_and_saveexec_b32 s7, s6
	;; [unrolled: 10-line block ×3, first 2 shown]
	s_cbranch_execz .LBB846_160
; %bb.159:
	v_lshlrev_b32_e32 v8, 2, v9
	global_load_b32 v8, v8, s[8:9]
.LBB846_160:
	s_or_b32 exec_lo, exec_lo, s11
	s_waitcnt vmcnt(0)
	v_cndmask_b32_e32 v2, 0, v2, vcc_lo
	v_cndmask_b32_e64 v3, 0, v3, s2
	v_cndmask_b32_e64 v4, 0, v4, s3
	;; [unrolled: 1-line block ×4, first 2 shown]
	v_add_nc_u32_e32 v1, v2, v1
	v_mbcnt_lo_u32_b32 v2, -1, 0
	v_cndmask_b32_e64 v7, 0, v7, s6
	s_min_u32 s2, s10, 0x100
	s_mov_b32 s3, exec_lo
	v_add3_u32 v1, v1, v3, v4
	v_cmp_ne_u32_e32 vcc_lo, 31, v2
	v_cndmask_b32_e64 v3, 0, v8, s7
	s_delay_alu instid0(VALU_DEP_3) | instskip(SKIP_3) | instid1(VALU_DEP_4)
	v_add3_u32 v1, v1, v5, v6
	v_add_co_ci_u32_e32 v4, vcc_lo, 0, v2, vcc_lo
	v_cmp_gt_u32_e32 vcc_lo, 30, v2
	v_add_nc_u32_e32 v6, 1, v2
	v_add3_u32 v1, v1, v7, v3
	s_delay_alu instid0(VALU_DEP_4) | instskip(SKIP_4) | instid1(VALU_DEP_2)
	v_lshlrev_b32_e32 v4, 2, v4
	v_cndmask_b32_e64 v5, 0, 1, vcc_lo
	ds_bpermute_b32 v3, v4, v1
	v_and_b32_e32 v4, 0xe0, v0
	v_lshlrev_b32_e32 v5, 1, v5
	v_sub_nc_u32_e64 v4, s2, v4 clamp
	s_delay_alu instid0(VALU_DEP_2) | instskip(NEXT) | instid1(VALU_DEP_2)
	v_add_lshl_u32 v5, v5, v2, 2
	v_cmp_lt_u32_e32 vcc_lo, v6, v4
	s_waitcnt lgkmcnt(0)
	v_dual_cndmask_b32 v3, 0, v3 :: v_dual_add_nc_u32 v6, 2, v2
	v_cmp_gt_u32_e32 vcc_lo, 28, v2
	s_delay_alu instid0(VALU_DEP_2) | instskip(SKIP_4) | instid1(VALU_DEP_3)
	v_add_nc_u32_e32 v1, v1, v3
	ds_bpermute_b32 v3, v5, v1
	v_cndmask_b32_e64 v5, 0, 1, vcc_lo
	v_cmp_lt_u32_e32 vcc_lo, v6, v4
	v_add_nc_u32_e32 v6, 4, v2
	v_lshlrev_b32_e32 v5, 2, v5
	s_delay_alu instid0(VALU_DEP_1) | instskip(SKIP_3) | instid1(VALU_DEP_2)
	v_add_lshl_u32 v5, v5, v2, 2
	s_waitcnt lgkmcnt(0)
	v_cndmask_b32_e32 v3, 0, v3, vcc_lo
	v_cmp_gt_u32_e32 vcc_lo, 24, v2
	v_add_nc_u32_e32 v1, v1, v3
	ds_bpermute_b32 v3, v5, v1
	v_cndmask_b32_e64 v5, 0, 1, vcc_lo
	v_cmp_lt_u32_e32 vcc_lo, v6, v4
	v_add_nc_u32_e32 v6, 8, v2
	s_delay_alu instid0(VALU_DEP_3) | instskip(NEXT) | instid1(VALU_DEP_1)
	v_lshlrev_b32_e32 v5, 3, v5
	v_add_lshl_u32 v5, v5, v2, 2
	s_waitcnt lgkmcnt(0)
	v_cndmask_b32_e32 v3, 0, v3, vcc_lo
	v_cmp_gt_u32_e32 vcc_lo, 16, v2
	s_delay_alu instid0(VALU_DEP_2) | instskip(SKIP_3) | instid1(VALU_DEP_2)
	v_add_nc_u32_e32 v1, v1, v3
	ds_bpermute_b32 v3, v5, v1
	v_cndmask_b32_e64 v5, 0, 1, vcc_lo
	v_cmp_lt_u32_e32 vcc_lo, v6, v4
	v_lshlrev_b32_e32 v5, 4, v5
	s_delay_alu instid0(VALU_DEP_1) | instskip(SKIP_2) | instid1(VALU_DEP_1)
	v_add_lshl_u32 v5, v5, v2, 2
	s_waitcnt lgkmcnt(0)
	v_cndmask_b32_e32 v3, 0, v3, vcc_lo
	v_add_nc_u32_e32 v1, v1, v3
	ds_bpermute_b32 v3, v5, v1
	v_add_nc_u32_e32 v5, 16, v2
	s_delay_alu instid0(VALU_DEP_1) | instskip(SKIP_2) | instid1(VALU_DEP_1)
	v_cmp_lt_u32_e32 vcc_lo, v5, v4
	s_waitcnt lgkmcnt(0)
	v_cndmask_b32_e32 v3, 0, v3, vcc_lo
	v_add_nc_u32_e32 v1, v1, v3
	v_cmpx_eq_u32_e32 0, v2
	s_cbranch_execz .LBB846_162
; %bb.161:
	v_lshrrev_b32_e32 v3, 3, v0
	s_delay_alu instid0(VALU_DEP_1)
	v_and_b32_e32 v3, 28, v3
	ds_store_b32 v3, v1 offset:192
.LBB846_162:
	s_or_b32 exec_lo, exec_lo, s3
	s_delay_alu instid0(SALU_CYCLE_1)
	s_mov_b32 s3, exec_lo
	s_waitcnt lgkmcnt(0)
	s_barrier
	buffer_gl0_inv
	v_cmpx_gt_u32_e32 8, v0
	s_cbranch_execz .LBB846_164
; %bb.163:
	v_and_b32_e32 v3, 7, v2
	s_add_i32 s2, s2, 31
	s_delay_alu instid0(SALU_CYCLE_1) | instskip(NEXT) | instid1(VALU_DEP_1)
	s_lshr_b32 s2, s2, 5
	v_cmp_ne_u32_e32 vcc_lo, 7, v3
	v_add_nc_u32_e32 v6, 1, v3
	v_add_co_ci_u32_e32 v4, vcc_lo, 0, v2, vcc_lo
	v_cmp_gt_u32_e32 vcc_lo, 6, v3
	s_delay_alu instid0(VALU_DEP_2) | instskip(SKIP_3) | instid1(VALU_DEP_3)
	v_lshlrev_b32_e32 v4, 2, v4
	v_cndmask_b32_e64 v5, 0, 1, vcc_lo
	v_cmp_gt_u32_e32 vcc_lo, s2, v6
	v_lshlrev_b32_e32 v1, 2, v2
	v_lshlrev_b32_e32 v5, 1, v5
	ds_load_b32 v1, v1 offset:192
	v_add_lshl_u32 v5, v5, v2, 2
	s_waitcnt lgkmcnt(0)
	ds_bpermute_b32 v4, v4, v1
	s_waitcnt lgkmcnt(0)
	v_cndmask_b32_e32 v4, 0, v4, vcc_lo
	v_cmp_gt_u32_e32 vcc_lo, 4, v3
	s_delay_alu instid0(VALU_DEP_2) | instskip(SKIP_3) | instid1(VALU_DEP_1)
	v_add_nc_u32_e32 v1, v4, v1
	v_cndmask_b32_e64 v6, 0, 1, vcc_lo
	ds_bpermute_b32 v4, v5, v1
	v_add_nc_u32_e32 v5, 2, v3
	v_cmp_gt_u32_e32 vcc_lo, s2, v5
	v_lshlrev_b32_e32 v5, 2, v6
	s_delay_alu instid0(VALU_DEP_1) | instskip(SKIP_2) | instid1(VALU_DEP_1)
	v_add_lshl_u32 v2, v5, v2, 2
	s_waitcnt lgkmcnt(0)
	v_dual_cndmask_b32 v4, 0, v4 :: v_dual_add_nc_u32 v3, 4, v3
	v_add_nc_u32_e32 v1, v1, v4
	s_delay_alu instid0(VALU_DEP_2) | instskip(SKIP_3) | instid1(VALU_DEP_1)
	v_cmp_gt_u32_e32 vcc_lo, s2, v3
	ds_bpermute_b32 v2, v2, v1
	s_waitcnt lgkmcnt(0)
	v_cndmask_b32_e32 v2, 0, v2, vcc_lo
	v_add_nc_u32_e32 v1, v1, v2
.LBB846_164:
	s_or_b32 exec_lo, exec_lo, s3
.LBB846_165:
	v_cmp_eq_u32_e64 s2, 0, v0
	s_branch .LBB846_224
.LBB846_166:
	s_cmp_gt_i32 s24, 1
	s_cbranch_scc0 .LBB846_175
; %bb.167:
	s_cmp_gt_i32 s24, 3
	s_cbranch_scc0 .LBB846_176
; %bb.168:
	s_cmp_eq_u32 s24, 4
	s_cbranch_scc0 .LBB846_177
; %bb.169:
	s_mov_b32 s21, 0
	s_lshl_b32 s2, s20, 10
	s_mov_b32 s3, s21
	s_lshr_b64 s[6:7], s[18:19], 10
	s_lshl_b64 s[4:5], s[2:3], 2
	s_delay_alu instid0(SALU_CYCLE_1)
	s_add_u32 s4, s16, s4
	s_addc_u32 s5, s17, s5
	s_cmp_lg_u64 s[6:7], s[20:21]
	s_cbranch_scc0 .LBB846_179
; %bb.170:
	v_lshlrev_b32_e32 v1, 2, v0
	s_mov_b32 s3, exec_lo
	s_clause 0x3
	global_load_b32 v2, v1, s[4:5]
	global_load_b32 v3, v1, s[4:5] offset:1024
	global_load_b32 v4, v1, s[4:5] offset:2048
	;; [unrolled: 1-line block ×3, first 2 shown]
	s_waitcnt vmcnt(2)
	v_add_nc_u32_e32 v2, v3, v2
	s_waitcnt vmcnt(0)
	s_delay_alu instid0(VALU_DEP_1) | instskip(NEXT) | instid1(VALU_DEP_1)
	v_add3_u32 v1, v2, v4, v1
	v_mov_b32_dpp v2, v1 quad_perm:[1,0,3,2] row_mask:0xf bank_mask:0xf
	s_delay_alu instid0(VALU_DEP_1) | instskip(NEXT) | instid1(VALU_DEP_1)
	v_add_nc_u32_e32 v1, v2, v1
	v_mov_b32_dpp v2, v1 quad_perm:[2,3,0,1] row_mask:0xf bank_mask:0xf
	s_delay_alu instid0(VALU_DEP_1) | instskip(NEXT) | instid1(VALU_DEP_1)
	v_add_nc_u32_e32 v1, v1, v2
	v_mov_b32_dpp v2, v1 row_ror:4 row_mask:0xf bank_mask:0xf
	s_delay_alu instid0(VALU_DEP_1) | instskip(NEXT) | instid1(VALU_DEP_1)
	v_add_nc_u32_e32 v1, v1, v2
	v_mov_b32_dpp v2, v1 row_ror:8 row_mask:0xf bank_mask:0xf
	s_delay_alu instid0(VALU_DEP_1)
	v_add_nc_u32_e32 v1, v1, v2
	ds_swizzle_b32 v2, v1 offset:swizzle(BROADCAST,32,15)
	s_waitcnt lgkmcnt(0)
	v_dual_mov_b32 v2, 0 :: v_dual_add_nc_u32 v1, v1, v2
	ds_bpermute_b32 v1, v2, v1 offset:124
	v_mbcnt_lo_u32_b32 v2, -1, 0
	s_delay_alu instid0(VALU_DEP_1)
	v_cmpx_eq_u32_e32 0, v2
	s_cbranch_execz .LBB846_172
; %bb.171:
	v_lshrrev_b32_e32 v3, 3, v0
	s_delay_alu instid0(VALU_DEP_1)
	v_and_b32_e32 v3, 28, v3
	s_waitcnt lgkmcnt(0)
	ds_store_b32 v3, v1 offset:128
.LBB846_172:
	s_or_b32 exec_lo, exec_lo, s3
	s_delay_alu instid0(SALU_CYCLE_1)
	s_mov_b32 s3, exec_lo
	s_waitcnt lgkmcnt(0)
	s_barrier
	buffer_gl0_inv
	v_cmpx_gt_u32_e32 32, v0
	s_cbranch_execz .LBB846_174
; %bb.173:
	v_and_b32_e32 v1, 7, v2
	s_delay_alu instid0(VALU_DEP_1) | instskip(SKIP_4) | instid1(VALU_DEP_2)
	v_lshlrev_b32_e32 v3, 2, v1
	v_cmp_ne_u32_e32 vcc_lo, 7, v1
	ds_load_b32 v3, v3 offset:128
	v_add_co_ci_u32_e32 v4, vcc_lo, 0, v2, vcc_lo
	v_cmp_gt_u32_e32 vcc_lo, 6, v1
	v_lshlrev_b32_e32 v4, 2, v4
	v_cndmask_b32_e64 v5, 0, 1, vcc_lo
	v_cmp_gt_u32_e32 vcc_lo, 4, v1
	s_delay_alu instid0(VALU_DEP_2) | instskip(SKIP_1) | instid1(VALU_DEP_2)
	v_lshlrev_b32_e32 v5, 1, v5
	v_cndmask_b32_e64 v1, 0, 1, vcc_lo
	v_add_lshl_u32 v5, v5, v2, 2
	s_delay_alu instid0(VALU_DEP_2)
	v_lshlrev_b32_e32 v1, 2, v1
	s_waitcnt lgkmcnt(0)
	ds_bpermute_b32 v4, v4, v3
	v_add_lshl_u32 v1, v1, v2, 2
	s_waitcnt lgkmcnt(0)
	v_add_nc_u32_e32 v3, v4, v3
	ds_bpermute_b32 v4, v5, v3
	s_waitcnt lgkmcnt(0)
	v_add_nc_u32_e32 v3, v4, v3
	ds_bpermute_b32 v1, v1, v3
	s_waitcnt lgkmcnt(0)
	v_add_nc_u32_e32 v1, v1, v3
.LBB846_174:
	s_or_b32 exec_lo, exec_lo, s3
	s_mov_b32 s3, 0
	s_branch .LBB846_180
.LBB846_175:
                                        ; implicit-def: $vgpr1
	s_cbranch_execnz .LBB846_215
	s_branch .LBB846_224
.LBB846_176:
                                        ; implicit-def: $vgpr1
	s_cbranch_execz .LBB846_178
	s_branch .LBB846_195
.LBB846_177:
                                        ; implicit-def: $vgpr1
.LBB846_178:
	s_branch .LBB846_224
.LBB846_179:
	s_mov_b32 s3, -1
                                        ; implicit-def: $vgpr1
.LBB846_180:
	s_delay_alu instid0(SALU_CYCLE_1)
	s_and_b32 vcc_lo, exec_lo, s3
	s_cbranch_vccz .LBB846_194
; %bb.181:
	s_sub_i32 s6, s18, s2
	s_mov_b32 s2, exec_lo
                                        ; implicit-def: $vgpr1_vgpr2_vgpr3_vgpr4
	v_cmpx_gt_u32_e64 s6, v0
	s_cbranch_execz .LBB846_183
; %bb.182:
	v_lshlrev_b32_e32 v1, 2, v0
	global_load_b32 v1, v1, s[4:5]
.LBB846_183:
	s_or_b32 exec_lo, exec_lo, s2
	v_or_b32_e32 v5, 0x100, v0
	s_delay_alu instid0(VALU_DEP_1)
	v_cmp_gt_u32_e32 vcc_lo, s6, v5
	s_and_saveexec_b32 s2, vcc_lo
	s_cbranch_execz .LBB846_185
; %bb.184:
	v_lshlrev_b32_e32 v2, 2, v0
	global_load_b32 v2, v2, s[4:5] offset:1024
.LBB846_185:
	s_or_b32 exec_lo, exec_lo, s2
	v_or_b32_e32 v5, 0x200, v0
	s_delay_alu instid0(VALU_DEP_1) | instskip(NEXT) | instid1(VALU_DEP_1)
	v_cmp_gt_u32_e64 s2, s6, v5
	s_and_saveexec_b32 s3, s2
	s_cbranch_execz .LBB846_187
; %bb.186:
	v_lshlrev_b32_e32 v3, 2, v0
	global_load_b32 v3, v3, s[4:5] offset:2048
.LBB846_187:
	s_or_b32 exec_lo, exec_lo, s3
	v_or_b32_e32 v5, 0x300, v0
	s_delay_alu instid0(VALU_DEP_1) | instskip(NEXT) | instid1(VALU_DEP_1)
	v_cmp_gt_u32_e64 s3, s6, v5
	s_and_saveexec_b32 s7, s3
	s_cbranch_execz .LBB846_189
; %bb.188:
	v_lshlrev_b32_e32 v4, 2, v0
	global_load_b32 v4, v4, s[4:5] offset:3072
.LBB846_189:
	s_or_b32 exec_lo, exec_lo, s7
	s_waitcnt vmcnt(0)
	v_cndmask_b32_e32 v5, 0, v2, vcc_lo
	v_mbcnt_lo_u32_b32 v2, -1, 0
	v_cndmask_b32_e64 v3, 0, v3, s2
	v_cndmask_b32_e64 v4, 0, v4, s3
	s_min_u32 s2, s6, 0x100
	v_add_nc_u32_e32 v1, v5, v1
	v_cmp_ne_u32_e32 vcc_lo, 31, v2
	s_mov_b32 s3, exec_lo
	s_delay_alu instid0(VALU_DEP_2) | instskip(SKIP_3) | instid1(VALU_DEP_3)
	v_add3_u32 v1, v1, v3, v4
	v_and_b32_e32 v4, 0xe0, v0
	v_add_co_ci_u32_e32 v5, vcc_lo, 0, v2, vcc_lo
	v_cmp_gt_u32_e32 vcc_lo, 30, v2
	v_sub_nc_u32_e64 v4, s2, v4 clamp
	s_delay_alu instid0(VALU_DEP_3) | instskip(SKIP_4) | instid1(VALU_DEP_2)
	v_lshlrev_b32_e32 v3, 2, v5
	v_cndmask_b32_e64 v5, 0, 1, vcc_lo
	ds_bpermute_b32 v3, v3, v1
	v_add_nc_u32_e32 v6, 1, v2
	v_lshlrev_b32_e32 v5, 1, v5
	v_cmp_lt_u32_e32 vcc_lo, v6, v4
	s_delay_alu instid0(VALU_DEP_2) | instskip(SKIP_3) | instid1(VALU_DEP_2)
	v_add_lshl_u32 v5, v5, v2, 2
	s_waitcnt lgkmcnt(0)
	v_cndmask_b32_e32 v3, 0, v3, vcc_lo
	v_cmp_gt_u32_e32 vcc_lo, 28, v2
	v_add_nc_u32_e32 v1, v3, v1
	ds_bpermute_b32 v3, v5, v1
	v_add_nc_u32_e32 v6, 2, v2
	v_cndmask_b32_e64 v5, 0, 1, vcc_lo
	s_delay_alu instid0(VALU_DEP_2) | instskip(NEXT) | instid1(VALU_DEP_2)
	v_cmp_lt_u32_e32 vcc_lo, v6, v4
	v_lshlrev_b32_e32 v5, 2, v5
	s_delay_alu instid0(VALU_DEP_1) | instskip(SKIP_3) | instid1(VALU_DEP_2)
	v_add_lshl_u32 v5, v5, v2, 2
	s_waitcnt lgkmcnt(0)
	v_cndmask_b32_e32 v3, 0, v3, vcc_lo
	v_cmp_gt_u32_e32 vcc_lo, 24, v2
	v_add_nc_u32_e32 v1, v1, v3
	ds_bpermute_b32 v3, v5, v1
	v_add_nc_u32_e32 v6, 4, v2
	v_cndmask_b32_e64 v5, 0, 1, vcc_lo
	s_delay_alu instid0(VALU_DEP_2) | instskip(NEXT) | instid1(VALU_DEP_2)
	v_cmp_lt_u32_e32 vcc_lo, v6, v4
	v_lshlrev_b32_e32 v5, 3, v5
	s_delay_alu instid0(VALU_DEP_1) | instskip(SKIP_3) | instid1(VALU_DEP_2)
	v_add_lshl_u32 v5, v5, v2, 2
	s_waitcnt lgkmcnt(0)
	v_cndmask_b32_e32 v3, 0, v3, vcc_lo
	v_cmp_gt_u32_e32 vcc_lo, 16, v2
	v_add_nc_u32_e32 v1, v1, v3
	ds_bpermute_b32 v3, v5, v1
	v_add_nc_u32_e32 v6, 8, v2
	v_cndmask_b32_e64 v5, 0, 1, vcc_lo
	s_delay_alu instid0(VALU_DEP_2) | instskip(NEXT) | instid1(VALU_DEP_2)
	v_cmp_lt_u32_e32 vcc_lo, v6, v4
	v_lshlrev_b32_e32 v5, 4, v5
	s_delay_alu instid0(VALU_DEP_1) | instskip(SKIP_2) | instid1(VALU_DEP_1)
	v_add_lshl_u32 v5, v5, v2, 2
	s_waitcnt lgkmcnt(0)
	v_cndmask_b32_e32 v3, 0, v3, vcc_lo
	v_add_nc_u32_e32 v1, v1, v3
	ds_bpermute_b32 v3, v5, v1
	v_add_nc_u32_e32 v5, 16, v2
	s_delay_alu instid0(VALU_DEP_1) | instskip(SKIP_2) | instid1(VALU_DEP_1)
	v_cmp_lt_u32_e32 vcc_lo, v5, v4
	s_waitcnt lgkmcnt(0)
	v_cndmask_b32_e32 v3, 0, v3, vcc_lo
	v_add_nc_u32_e32 v1, v1, v3
	v_cmpx_eq_u32_e32 0, v2
	s_cbranch_execz .LBB846_191
; %bb.190:
	v_lshrrev_b32_e32 v3, 3, v0
	s_delay_alu instid0(VALU_DEP_1)
	v_and_b32_e32 v3, 28, v3
	ds_store_b32 v3, v1 offset:192
.LBB846_191:
	s_or_b32 exec_lo, exec_lo, s3
	s_delay_alu instid0(SALU_CYCLE_1)
	s_mov_b32 s3, exec_lo
	s_waitcnt lgkmcnt(0)
	s_barrier
	buffer_gl0_inv
	v_cmpx_gt_u32_e32 8, v0
	s_cbranch_execz .LBB846_193
; %bb.192:
	v_and_b32_e32 v3, 7, v2
	s_add_i32 s2, s2, 31
	s_delay_alu instid0(SALU_CYCLE_1) | instskip(NEXT) | instid1(VALU_DEP_1)
	s_lshr_b32 s2, s2, 5
	v_cmp_ne_u32_e32 vcc_lo, 7, v3
	v_add_nc_u32_e32 v6, 1, v3
	v_add_co_ci_u32_e32 v4, vcc_lo, 0, v2, vcc_lo
	v_cmp_gt_u32_e32 vcc_lo, 6, v3
	s_delay_alu instid0(VALU_DEP_2) | instskip(SKIP_3) | instid1(VALU_DEP_3)
	v_lshlrev_b32_e32 v4, 2, v4
	v_cndmask_b32_e64 v5, 0, 1, vcc_lo
	v_cmp_gt_u32_e32 vcc_lo, s2, v6
	v_lshlrev_b32_e32 v1, 2, v2
	v_lshlrev_b32_e32 v5, 1, v5
	ds_load_b32 v1, v1 offset:192
	v_add_lshl_u32 v5, v5, v2, 2
	s_waitcnt lgkmcnt(0)
	ds_bpermute_b32 v4, v4, v1
	s_waitcnt lgkmcnt(0)
	v_cndmask_b32_e32 v4, 0, v4, vcc_lo
	v_cmp_gt_u32_e32 vcc_lo, 4, v3
	s_delay_alu instid0(VALU_DEP_2) | instskip(SKIP_3) | instid1(VALU_DEP_1)
	v_add_nc_u32_e32 v1, v4, v1
	v_cndmask_b32_e64 v6, 0, 1, vcc_lo
	ds_bpermute_b32 v4, v5, v1
	v_add_nc_u32_e32 v5, 2, v3
	v_cmp_gt_u32_e32 vcc_lo, s2, v5
	v_lshlrev_b32_e32 v5, 2, v6
	s_delay_alu instid0(VALU_DEP_1) | instskip(SKIP_2) | instid1(VALU_DEP_1)
	v_add_lshl_u32 v2, v5, v2, 2
	s_waitcnt lgkmcnt(0)
	v_dual_cndmask_b32 v4, 0, v4 :: v_dual_add_nc_u32 v3, 4, v3
	v_add_nc_u32_e32 v1, v1, v4
	s_delay_alu instid0(VALU_DEP_2) | instskip(SKIP_3) | instid1(VALU_DEP_1)
	v_cmp_gt_u32_e32 vcc_lo, s2, v3
	ds_bpermute_b32 v2, v2, v1
	s_waitcnt lgkmcnt(0)
	v_cndmask_b32_e32 v2, 0, v2, vcc_lo
	v_add_nc_u32_e32 v1, v1, v2
.LBB846_193:
	s_or_b32 exec_lo, exec_lo, s3
.LBB846_194:
	v_cmp_eq_u32_e64 s2, 0, v0
	s_branch .LBB846_178
.LBB846_195:
	s_cmp_eq_u32 s24, 2
	s_cbranch_scc0 .LBB846_202
; %bb.196:
	s_mov_b32 s21, 0
	s_lshl_b32 s4, s20, 9
	s_mov_b32 s5, s21
	s_lshr_b64 s[6:7], s[18:19], 9
	s_lshl_b64 s[2:3], s[4:5], 2
	s_delay_alu instid0(SALU_CYCLE_1)
	s_add_u32 s2, s16, s2
	s_addc_u32 s3, s17, s3
	s_cmp_lg_u64 s[6:7], s[20:21]
	s_cbranch_scc0 .LBB846_203
; %bb.197:
	v_lshlrev_b32_e32 v1, 2, v0
	s_mov_b32 s5, exec_lo
	s_clause 0x1
	global_load_b32 v2, v1, s[2:3]
	global_load_b32 v1, v1, s[2:3] offset:1024
	s_waitcnt vmcnt(0)
	v_add_nc_u32_e32 v1, v1, v2
	s_delay_alu instid0(VALU_DEP_1) | instskip(NEXT) | instid1(VALU_DEP_1)
	v_mov_b32_dpp v2, v1 quad_perm:[1,0,3,2] row_mask:0xf bank_mask:0xf
	v_add_nc_u32_e32 v1, v2, v1
	s_delay_alu instid0(VALU_DEP_1) | instskip(NEXT) | instid1(VALU_DEP_1)
	v_mov_b32_dpp v2, v1 quad_perm:[2,3,0,1] row_mask:0xf bank_mask:0xf
	v_add_nc_u32_e32 v1, v1, v2
	s_delay_alu instid0(VALU_DEP_1) | instskip(NEXT) | instid1(VALU_DEP_1)
	v_mov_b32_dpp v2, v1 row_ror:4 row_mask:0xf bank_mask:0xf
	v_add_nc_u32_e32 v1, v1, v2
	s_delay_alu instid0(VALU_DEP_1) | instskip(NEXT) | instid1(VALU_DEP_1)
	v_mov_b32_dpp v2, v1 row_ror:8 row_mask:0xf bank_mask:0xf
	v_add_nc_u32_e32 v1, v1, v2
	ds_swizzle_b32 v2, v1 offset:swizzle(BROADCAST,32,15)
	s_waitcnt lgkmcnt(0)
	v_dual_mov_b32 v2, 0 :: v_dual_add_nc_u32 v1, v1, v2
	ds_bpermute_b32 v1, v2, v1 offset:124
	v_mbcnt_lo_u32_b32 v2, -1, 0
	s_delay_alu instid0(VALU_DEP_1)
	v_cmpx_eq_u32_e32 0, v2
	s_cbranch_execz .LBB846_199
; %bb.198:
	v_lshrrev_b32_e32 v3, 3, v0
	s_delay_alu instid0(VALU_DEP_1)
	v_and_b32_e32 v3, 28, v3
	s_waitcnt lgkmcnt(0)
	ds_store_b32 v3, v1 offset:64
.LBB846_199:
	s_or_b32 exec_lo, exec_lo, s5
	s_delay_alu instid0(SALU_CYCLE_1)
	s_mov_b32 s5, exec_lo
	s_waitcnt lgkmcnt(0)
	s_barrier
	buffer_gl0_inv
	v_cmpx_gt_u32_e32 32, v0
	s_cbranch_execz .LBB846_201
; %bb.200:
	v_and_b32_e32 v1, 7, v2
	s_delay_alu instid0(VALU_DEP_1) | instskip(SKIP_4) | instid1(VALU_DEP_2)
	v_lshlrev_b32_e32 v3, 2, v1
	v_cmp_ne_u32_e32 vcc_lo, 7, v1
	ds_load_b32 v3, v3 offset:64
	v_add_co_ci_u32_e32 v4, vcc_lo, 0, v2, vcc_lo
	v_cmp_gt_u32_e32 vcc_lo, 6, v1
	v_lshlrev_b32_e32 v4, 2, v4
	v_cndmask_b32_e64 v5, 0, 1, vcc_lo
	v_cmp_gt_u32_e32 vcc_lo, 4, v1
	s_delay_alu instid0(VALU_DEP_2) | instskip(SKIP_1) | instid1(VALU_DEP_2)
	v_lshlrev_b32_e32 v5, 1, v5
	v_cndmask_b32_e64 v1, 0, 1, vcc_lo
	v_add_lshl_u32 v5, v5, v2, 2
	s_delay_alu instid0(VALU_DEP_2)
	v_lshlrev_b32_e32 v1, 2, v1
	s_waitcnt lgkmcnt(0)
	ds_bpermute_b32 v4, v4, v3
	v_add_lshl_u32 v1, v1, v2, 2
	s_waitcnt lgkmcnt(0)
	v_add_nc_u32_e32 v3, v4, v3
	ds_bpermute_b32 v4, v5, v3
	s_waitcnt lgkmcnt(0)
	v_add_nc_u32_e32 v3, v4, v3
	ds_bpermute_b32 v1, v1, v3
	s_waitcnt lgkmcnt(0)
	v_add_nc_u32_e32 v1, v1, v3
.LBB846_201:
	s_or_b32 exec_lo, exec_lo, s5
	s_mov_b32 s5, 0
	s_branch .LBB846_204
.LBB846_202:
                                        ; implicit-def: $vgpr1
	s_branch .LBB846_224
.LBB846_203:
	s_mov_b32 s5, -1
                                        ; implicit-def: $vgpr1
.LBB846_204:
	s_delay_alu instid0(SALU_CYCLE_1)
	s_and_b32 vcc_lo, exec_lo, s5
	s_cbranch_vccz .LBB846_214
; %bb.205:
	s_sub_i32 s4, s18, s4
	s_mov_b32 s5, exec_lo
                                        ; implicit-def: $vgpr1_vgpr2
	v_cmpx_gt_u32_e64 s4, v0
	s_cbranch_execz .LBB846_207
; %bb.206:
	v_lshlrev_b32_e32 v1, 2, v0
	global_load_b32 v1, v1, s[2:3]
.LBB846_207:
	s_or_b32 exec_lo, exec_lo, s5
	v_or_b32_e32 v3, 0x100, v0
	s_delay_alu instid0(VALU_DEP_1)
	v_cmp_gt_u32_e32 vcc_lo, s4, v3
	s_and_saveexec_b32 s5, vcc_lo
	s_cbranch_execz .LBB846_209
; %bb.208:
	v_lshlrev_b32_e32 v2, 2, v0
	global_load_b32 v2, v2, s[2:3] offset:1024
.LBB846_209:
	s_or_b32 exec_lo, exec_lo, s5
	v_mbcnt_lo_u32_b32 v3, -1, 0
	s_waitcnt vmcnt(0)
	v_cndmask_b32_e32 v2, 0, v2, vcc_lo
	s_min_u32 s2, s4, 0x100
	s_mov_b32 s3, exec_lo
	v_cmp_ne_u32_e32 vcc_lo, 31, v3
	v_add_nc_u32_e32 v6, 1, v3
	v_add_co_ci_u32_e32 v4, vcc_lo, 0, v3, vcc_lo
	v_cmp_gt_u32_e32 vcc_lo, 30, v3
	v_cndmask_b32_e64 v5, 0, 1, vcc_lo
	s_delay_alu instid0(VALU_DEP_1) | instskip(SKIP_3) | instid1(VALU_DEP_4)
	v_lshlrev_b32_e32 v5, 1, v5
	v_add_nc_u32_e32 v1, v2, v1
	v_lshlrev_b32_e32 v2, 2, v4
	v_and_b32_e32 v4, 0xe0, v0
	v_add_lshl_u32 v5, v5, v3, 2
	ds_bpermute_b32 v2, v2, v1
	v_sub_nc_u32_e64 v4, s2, v4 clamp
	s_delay_alu instid0(VALU_DEP_1) | instskip(SKIP_4) | instid1(VALU_DEP_2)
	v_cmp_lt_u32_e32 vcc_lo, v6, v4
	v_add_nc_u32_e32 v6, 2, v3
	s_waitcnt lgkmcnt(0)
	v_cndmask_b32_e32 v2, 0, v2, vcc_lo
	v_cmp_gt_u32_e32 vcc_lo, 28, v3
	v_add_nc_u32_e32 v1, v2, v1
	ds_bpermute_b32 v2, v5, v1
	v_cndmask_b32_e64 v5, 0, 1, vcc_lo
	v_cmp_lt_u32_e32 vcc_lo, v6, v4
	v_add_nc_u32_e32 v6, 4, v3
	s_delay_alu instid0(VALU_DEP_3) | instskip(NEXT) | instid1(VALU_DEP_1)
	v_lshlrev_b32_e32 v5, 2, v5
	v_add_lshl_u32 v5, v5, v3, 2
	s_waitcnt lgkmcnt(0)
	v_cndmask_b32_e32 v2, 0, v2, vcc_lo
	v_cmp_gt_u32_e32 vcc_lo, 24, v3
	s_delay_alu instid0(VALU_DEP_2) | instskip(SKIP_4) | instid1(VALU_DEP_3)
	v_add_nc_u32_e32 v1, v1, v2
	ds_bpermute_b32 v2, v5, v1
	v_cndmask_b32_e64 v5, 0, 1, vcc_lo
	v_cmp_lt_u32_e32 vcc_lo, v6, v4
	v_add_nc_u32_e32 v6, 8, v3
	v_lshlrev_b32_e32 v5, 3, v5
	s_delay_alu instid0(VALU_DEP_1) | instskip(SKIP_3) | instid1(VALU_DEP_2)
	v_add_lshl_u32 v5, v5, v3, 2
	s_waitcnt lgkmcnt(0)
	v_cndmask_b32_e32 v2, 0, v2, vcc_lo
	v_cmp_gt_u32_e32 vcc_lo, 16, v3
	v_add_nc_u32_e32 v1, v1, v2
	ds_bpermute_b32 v2, v5, v1
	v_cndmask_b32_e64 v5, 0, 1, vcc_lo
	v_cmp_lt_u32_e32 vcc_lo, v6, v4
	s_delay_alu instid0(VALU_DEP_2) | instskip(NEXT) | instid1(VALU_DEP_1)
	v_lshlrev_b32_e32 v5, 4, v5
	v_add_lshl_u32 v5, v5, v3, 2
	s_waitcnt lgkmcnt(0)
	v_cndmask_b32_e32 v2, 0, v2, vcc_lo
	s_delay_alu instid0(VALU_DEP_1) | instskip(SKIP_2) | instid1(VALU_DEP_1)
	v_add_nc_u32_e32 v1, v1, v2
	ds_bpermute_b32 v2, v5, v1
	v_add_nc_u32_e32 v5, 16, v3
	v_cmp_lt_u32_e32 vcc_lo, v5, v4
	s_waitcnt lgkmcnt(0)
	v_cndmask_b32_e32 v2, 0, v2, vcc_lo
	s_delay_alu instid0(VALU_DEP_1)
	v_add_nc_u32_e32 v1, v1, v2
	v_cmpx_eq_u32_e32 0, v3
	s_cbranch_execz .LBB846_211
; %bb.210:
	v_lshrrev_b32_e32 v2, 3, v0
	s_delay_alu instid0(VALU_DEP_1)
	v_and_b32_e32 v2, 28, v2
	ds_store_b32 v2, v1 offset:192
.LBB846_211:
	s_or_b32 exec_lo, exec_lo, s3
	s_delay_alu instid0(SALU_CYCLE_1)
	s_mov_b32 s3, exec_lo
	s_waitcnt lgkmcnt(0)
	s_barrier
	buffer_gl0_inv
	v_cmpx_gt_u32_e32 8, v0
	s_cbranch_execz .LBB846_213
; %bb.212:
	v_and_b32_e32 v2, 7, v3
	s_add_i32 s2, s2, 31
	s_delay_alu instid0(SALU_CYCLE_1) | instskip(NEXT) | instid1(VALU_DEP_1)
	s_lshr_b32 s2, s2, 5
	v_cmp_ne_u32_e32 vcc_lo, 7, v2
	v_add_nc_u32_e32 v6, 1, v2
	v_add_co_ci_u32_e32 v4, vcc_lo, 0, v3, vcc_lo
	v_cmp_gt_u32_e32 vcc_lo, 6, v2
	s_delay_alu instid0(VALU_DEP_2) | instskip(SKIP_3) | instid1(VALU_DEP_3)
	v_lshlrev_b32_e32 v4, 2, v4
	v_cndmask_b32_e64 v5, 0, 1, vcc_lo
	v_cmp_gt_u32_e32 vcc_lo, s2, v6
	v_lshlrev_b32_e32 v1, 2, v3
	v_lshlrev_b32_e32 v5, 1, v5
	ds_load_b32 v1, v1 offset:192
	v_add_lshl_u32 v5, v5, v3, 2
	s_waitcnt lgkmcnt(0)
	ds_bpermute_b32 v4, v4, v1
	s_waitcnt lgkmcnt(0)
	v_cndmask_b32_e32 v4, 0, v4, vcc_lo
	v_cmp_gt_u32_e32 vcc_lo, 4, v2
	s_delay_alu instid0(VALU_DEP_2) | instskip(SKIP_4) | instid1(VALU_DEP_2)
	v_add_nc_u32_e32 v1, v4, v1
	v_cndmask_b32_e64 v6, 0, 1, vcc_lo
	ds_bpermute_b32 v4, v5, v1
	v_add_nc_u32_e32 v5, 2, v2
	v_add_nc_u32_e32 v2, 4, v2
	v_cmp_gt_u32_e32 vcc_lo, s2, v5
	v_lshlrev_b32_e32 v5, 2, v6
	s_delay_alu instid0(VALU_DEP_1) | instskip(SKIP_3) | instid1(VALU_DEP_2)
	v_add_lshl_u32 v3, v5, v3, 2
	s_waitcnt lgkmcnt(0)
	v_cndmask_b32_e32 v4, 0, v4, vcc_lo
	v_cmp_gt_u32_e32 vcc_lo, s2, v2
	v_add_nc_u32_e32 v1, v1, v4
	ds_bpermute_b32 v3, v3, v1
	s_waitcnt lgkmcnt(0)
	v_cndmask_b32_e32 v2, 0, v3, vcc_lo
	s_delay_alu instid0(VALU_DEP_1)
	v_add_nc_u32_e32 v1, v1, v2
.LBB846_213:
	s_or_b32 exec_lo, exec_lo, s3
.LBB846_214:
	v_cmp_eq_u32_e64 s2, 0, v0
	s_branch .LBB846_224
.LBB846_215:
	s_cmp_eq_u32 s24, 1
	s_cbranch_scc0 .LBB846_223
; %bb.216:
	s_mov_b32 s3, 0
	v_mbcnt_lo_u32_b32 v2, -1, 0
	s_lshr_b64 s[4:5], s[18:19], 8
	s_mov_b32 s21, s3
	s_lshl_b32 s2, s20, 8
	s_cmp_lg_u64 s[4:5], s[20:21]
	s_cbranch_scc0 .LBB846_227
; %bb.217:
	s_lshl_b64 s[4:5], s[2:3], 2
	v_lshlrev_b32_e32 v1, 2, v0
	s_add_u32 s4, s16, s4
	s_addc_u32 s5, s17, s5
	global_load_b32 v1, v1, s[4:5]
	s_mov_b32 s4, exec_lo
	s_waitcnt vmcnt(0)
	v_mov_b32_dpp v3, v1 quad_perm:[1,0,3,2] row_mask:0xf bank_mask:0xf
	s_delay_alu instid0(VALU_DEP_1) | instskip(NEXT) | instid1(VALU_DEP_1)
	v_add_nc_u32_e32 v1, v3, v1
	v_mov_b32_dpp v3, v1 quad_perm:[2,3,0,1] row_mask:0xf bank_mask:0xf
	s_delay_alu instid0(VALU_DEP_1) | instskip(NEXT) | instid1(VALU_DEP_1)
	v_add_nc_u32_e32 v1, v1, v3
	v_mov_b32_dpp v3, v1 row_ror:4 row_mask:0xf bank_mask:0xf
	s_delay_alu instid0(VALU_DEP_1) | instskip(NEXT) | instid1(VALU_DEP_1)
	v_add_nc_u32_e32 v1, v1, v3
	v_mov_b32_dpp v3, v1 row_ror:8 row_mask:0xf bank_mask:0xf
	s_delay_alu instid0(VALU_DEP_1)
	v_add_nc_u32_e32 v1, v1, v3
	ds_swizzle_b32 v3, v1 offset:swizzle(BROADCAST,32,15)
	s_waitcnt lgkmcnt(0)
	v_add_nc_u32_e32 v1, v1, v3
	v_mov_b32_e32 v3, 0
	ds_bpermute_b32 v1, v3, v1 offset:124
	v_cmpx_eq_u32_e32 0, v2
	s_cbranch_execz .LBB846_219
; %bb.218:
	v_lshrrev_b32_e32 v3, 3, v0
	s_delay_alu instid0(VALU_DEP_1)
	v_and_b32_e32 v3, 28, v3
	s_waitcnt lgkmcnt(0)
	ds_store_b32 v3, v1 offset:32
.LBB846_219:
	s_or_b32 exec_lo, exec_lo, s4
	s_delay_alu instid0(SALU_CYCLE_1)
	s_mov_b32 s4, exec_lo
	s_waitcnt lgkmcnt(0)
	s_barrier
	buffer_gl0_inv
	v_cmpx_gt_u32_e32 32, v0
	s_cbranch_execz .LBB846_221
; %bb.220:
	v_and_b32_e32 v1, 7, v2
	s_delay_alu instid0(VALU_DEP_1) | instskip(SKIP_4) | instid1(VALU_DEP_2)
	v_lshlrev_b32_e32 v3, 2, v1
	v_cmp_ne_u32_e32 vcc_lo, 7, v1
	ds_load_b32 v3, v3 offset:32
	v_add_co_ci_u32_e32 v4, vcc_lo, 0, v2, vcc_lo
	v_cmp_gt_u32_e32 vcc_lo, 6, v1
	v_lshlrev_b32_e32 v4, 2, v4
	v_cndmask_b32_e64 v5, 0, 1, vcc_lo
	v_cmp_gt_u32_e32 vcc_lo, 4, v1
	s_delay_alu instid0(VALU_DEP_2) | instskip(SKIP_1) | instid1(VALU_DEP_2)
	v_lshlrev_b32_e32 v5, 1, v5
	v_cndmask_b32_e64 v1, 0, 1, vcc_lo
	v_add_lshl_u32 v5, v5, v2, 2
	s_delay_alu instid0(VALU_DEP_2)
	v_lshlrev_b32_e32 v1, 2, v1
	s_waitcnt lgkmcnt(0)
	ds_bpermute_b32 v4, v4, v3
	v_add_lshl_u32 v1, v1, v2, 2
	s_waitcnt lgkmcnt(0)
	v_add_nc_u32_e32 v3, v4, v3
	ds_bpermute_b32 v4, v5, v3
	s_waitcnt lgkmcnt(0)
	v_add_nc_u32_e32 v3, v4, v3
	ds_bpermute_b32 v1, v1, v3
	s_waitcnt lgkmcnt(0)
	v_add_nc_u32_e32 v1, v1, v3
.LBB846_221:
	s_or_b32 exec_lo, exec_lo, s4
.LBB846_222:
	v_cmp_eq_u32_e64 s2, 0, v0
	s_delay_alu instid0(VALU_DEP_1)
	s_and_saveexec_b32 s3, s2
	s_cbranch_execnz .LBB846_225
	s_branch .LBB846_226
.LBB846_223:
                                        ; implicit-def: $vgpr1
                                        ; implicit-def: $sgpr20_sgpr21
.LBB846_224:
	s_delay_alu instid0(VALU_DEP_1)
	s_and_saveexec_b32 s3, s2
	s_cbranch_execz .LBB846_226
.LBB846_225:
	s_clause 0x1
	s_load_b64 s[2:3], s[0:1], 0x18
	s_load_b32 s4, s[0:1], 0x20
	s_lshl_b64 s[0:1], s[20:21], 2
	s_waitcnt lgkmcnt(0)
	s_add_u32 s0, s2, s0
	s_addc_u32 s1, s3, s1
	s_cmp_lg_u64 s[18:19], 0
	s_cselect_b32 vcc_lo, -1, 0
	v_dual_cndmask_b32 v0, 0, v1 :: v_dual_mov_b32 v1, 0
	s_delay_alu instid0(VALU_DEP_1)
	v_add_nc_u32_e32 v0, s4, v0
	global_store_b32 v1, v0, s[0:1]
.LBB846_226:
	s_nop 0
	s_sendmsg sendmsg(MSG_DEALLOC_VGPRS)
	s_endpgm
.LBB846_227:
                                        ; implicit-def: $vgpr1
	s_cbranch_execz .LBB846_222
; %bb.228:
	s_sub_i32 s4, s18, s2
	s_mov_b32 s5, exec_lo
                                        ; implicit-def: $vgpr1
	v_cmpx_gt_u32_e64 s4, v0
	s_cbranch_execz .LBB846_230
; %bb.229:
	s_lshl_b64 s[2:3], s[2:3], 2
	v_lshlrev_b32_e32 v1, 2, v0
	s_add_u32 s2, s16, s2
	s_addc_u32 s3, s17, s3
	global_load_b32 v1, v1, s[2:3]
.LBB846_230:
	s_or_b32 exec_lo, exec_lo, s5
	v_cmp_ne_u32_e32 vcc_lo, 31, v2
	s_min_u32 s2, s4, 0x100
	v_add_nc_u32_e32 v5, 1, v2
	s_mov_b32 s3, exec_lo
	v_add_co_ci_u32_e32 v3, vcc_lo, 0, v2, vcc_lo
	v_cmp_gt_u32_e32 vcc_lo, 30, v2
	s_delay_alu instid0(VALU_DEP_2)
	v_lshlrev_b32_e32 v3, 2, v3
	v_cndmask_b32_e64 v6, 0, 1, vcc_lo
	s_waitcnt vmcnt(0)
	ds_bpermute_b32 v3, v3, v1
	v_and_b32_e32 v4, 0xe0, v0
	v_lshlrev_b32_e32 v6, 1, v6
	s_delay_alu instid0(VALU_DEP_2) | instskip(NEXT) | instid1(VALU_DEP_1)
	v_sub_nc_u32_e64 v4, s2, v4 clamp
	v_cmp_lt_u32_e32 vcc_lo, v5, v4
	s_delay_alu instid0(VALU_DEP_3) | instskip(SKIP_3) | instid1(VALU_DEP_2)
	v_add_lshl_u32 v5, v6, v2, 2
	s_waitcnt lgkmcnt(0)
	v_dual_cndmask_b32 v3, 0, v3 :: v_dual_add_nc_u32 v6, 2, v2
	v_cmp_gt_u32_e32 vcc_lo, 28, v2
	v_add_nc_u32_e32 v1, v3, v1
	ds_bpermute_b32 v3, v5, v1
	v_cndmask_b32_e64 v5, 0, 1, vcc_lo
	v_cmp_lt_u32_e32 vcc_lo, v6, v4
	v_add_nc_u32_e32 v6, 4, v2
	s_delay_alu instid0(VALU_DEP_3) | instskip(NEXT) | instid1(VALU_DEP_1)
	v_lshlrev_b32_e32 v5, 2, v5
	v_add_lshl_u32 v5, v5, v2, 2
	s_waitcnt lgkmcnt(0)
	v_cndmask_b32_e32 v3, 0, v3, vcc_lo
	v_cmp_gt_u32_e32 vcc_lo, 24, v2
	s_delay_alu instid0(VALU_DEP_2) | instskip(SKIP_4) | instid1(VALU_DEP_3)
	v_add_nc_u32_e32 v1, v1, v3
	ds_bpermute_b32 v3, v5, v1
	v_cndmask_b32_e64 v5, 0, 1, vcc_lo
	v_cmp_lt_u32_e32 vcc_lo, v6, v4
	v_add_nc_u32_e32 v6, 8, v2
	v_lshlrev_b32_e32 v5, 3, v5
	s_delay_alu instid0(VALU_DEP_1) | instskip(SKIP_3) | instid1(VALU_DEP_2)
	v_add_lshl_u32 v5, v5, v2, 2
	s_waitcnt lgkmcnt(0)
	v_cndmask_b32_e32 v3, 0, v3, vcc_lo
	v_cmp_gt_u32_e32 vcc_lo, 16, v2
	v_add_nc_u32_e32 v1, v1, v3
	ds_bpermute_b32 v3, v5, v1
	v_cndmask_b32_e64 v5, 0, 1, vcc_lo
	v_cmp_lt_u32_e32 vcc_lo, v6, v4
	s_delay_alu instid0(VALU_DEP_2) | instskip(NEXT) | instid1(VALU_DEP_1)
	v_lshlrev_b32_e32 v5, 4, v5
	v_add_lshl_u32 v5, v5, v2, 2
	s_waitcnt lgkmcnt(0)
	v_cndmask_b32_e32 v3, 0, v3, vcc_lo
	s_delay_alu instid0(VALU_DEP_1) | instskip(SKIP_2) | instid1(VALU_DEP_1)
	v_add_nc_u32_e32 v1, v1, v3
	ds_bpermute_b32 v3, v5, v1
	v_add_nc_u32_e32 v5, 16, v2
	v_cmp_lt_u32_e32 vcc_lo, v5, v4
	s_waitcnt lgkmcnt(0)
	v_cndmask_b32_e32 v3, 0, v3, vcc_lo
	s_delay_alu instid0(VALU_DEP_1)
	v_add_nc_u32_e32 v1, v1, v3
	v_cmpx_eq_u32_e32 0, v2
	s_cbranch_execz .LBB846_232
; %bb.231:
	v_lshrrev_b32_e32 v3, 3, v0
	s_delay_alu instid0(VALU_DEP_1)
	v_and_b32_e32 v3, 28, v3
	ds_store_b32 v3, v1 offset:192
.LBB846_232:
	s_or_b32 exec_lo, exec_lo, s3
	s_delay_alu instid0(SALU_CYCLE_1)
	s_mov_b32 s3, exec_lo
	s_waitcnt lgkmcnt(0)
	s_barrier
	buffer_gl0_inv
	v_cmpx_gt_u32_e32 8, v0
	s_cbranch_execz .LBB846_234
; %bb.233:
	v_and_b32_e32 v3, 7, v2
	s_add_i32 s2, s2, 31
	s_delay_alu instid0(SALU_CYCLE_1) | instskip(NEXT) | instid1(VALU_DEP_1)
	s_lshr_b32 s2, s2, 5
	v_cmp_ne_u32_e32 vcc_lo, 7, v3
	v_add_nc_u32_e32 v6, 1, v3
	v_add_co_ci_u32_e32 v4, vcc_lo, 0, v2, vcc_lo
	v_cmp_gt_u32_e32 vcc_lo, 6, v3
	s_delay_alu instid0(VALU_DEP_2) | instskip(SKIP_3) | instid1(VALU_DEP_3)
	v_lshlrev_b32_e32 v4, 2, v4
	v_cndmask_b32_e64 v5, 0, 1, vcc_lo
	v_cmp_gt_u32_e32 vcc_lo, s2, v6
	v_lshlrev_b32_e32 v1, 2, v2
	v_lshlrev_b32_e32 v5, 1, v5
	ds_load_b32 v1, v1 offset:192
	v_add_lshl_u32 v5, v5, v2, 2
	s_waitcnt lgkmcnt(0)
	ds_bpermute_b32 v4, v4, v1
	s_waitcnt lgkmcnt(0)
	v_cndmask_b32_e32 v4, 0, v4, vcc_lo
	v_cmp_gt_u32_e32 vcc_lo, 4, v3
	s_delay_alu instid0(VALU_DEP_2) | instskip(SKIP_3) | instid1(VALU_DEP_1)
	v_add_nc_u32_e32 v1, v4, v1
	v_cndmask_b32_e64 v6, 0, 1, vcc_lo
	ds_bpermute_b32 v4, v5, v1
	v_add_nc_u32_e32 v5, 2, v3
	v_cmp_gt_u32_e32 vcc_lo, s2, v5
	v_lshlrev_b32_e32 v5, 2, v6
	s_delay_alu instid0(VALU_DEP_1) | instskip(SKIP_2) | instid1(VALU_DEP_1)
	v_add_lshl_u32 v2, v5, v2, 2
	s_waitcnt lgkmcnt(0)
	v_dual_cndmask_b32 v4, 0, v4 :: v_dual_add_nc_u32 v3, 4, v3
	v_add_nc_u32_e32 v1, v1, v4
	s_delay_alu instid0(VALU_DEP_2) | instskip(SKIP_3) | instid1(VALU_DEP_1)
	v_cmp_gt_u32_e32 vcc_lo, s2, v3
	ds_bpermute_b32 v2, v2, v1
	s_waitcnt lgkmcnt(0)
	v_cndmask_b32_e32 v2, 0, v2, vcc_lo
	v_add_nc_u32_e32 v1, v1, v2
.LBB846_234:
	s_or_b32 exec_lo, exec_lo, s3
	v_cmp_eq_u32_e64 s2, 0, v0
	s_delay_alu instid0(VALU_DEP_1)
	s_and_saveexec_b32 s3, s2
	s_cbranch_execnz .LBB846_225
	s_branch .LBB846_226
	.section	.rodata,"a",@progbits
	.p2align	6, 0x0
	.amdhsa_kernel _ZN7rocprim17ROCPRIM_400000_NS6detail17trampoline_kernelINS0_14default_configENS1_22reduce_config_selectorIiEEZNS1_11reduce_implILb1ES3_PiS7_iN6hipcub16HIPCUB_304000_NS6detail34convert_binary_result_type_wrapperINS9_3SumENS9_22TransformInputIteratorIbN2at6native12_GLOBAL__N_19NonZeroOpIN3c104HalfEEEPKSJ_lEEiEEEE10hipError_tPvRmT1_T2_T3_mT4_P12ihipStream_tbEUlT_E1_NS1_11comp_targetILNS1_3genE9ELNS1_11target_archE1100ELNS1_3gpuE3ELNS1_3repE0EEENS1_30default_config_static_selectorELNS0_4arch9wavefront6targetE0EEEvSS_
		.amdhsa_group_segment_fixed_size 224
		.amdhsa_private_segment_fixed_size 0
		.amdhsa_kernarg_size 40
		.amdhsa_user_sgpr_count 15
		.amdhsa_user_sgpr_dispatch_ptr 0
		.amdhsa_user_sgpr_queue_ptr 0
		.amdhsa_user_sgpr_kernarg_segment_ptr 1
		.amdhsa_user_sgpr_dispatch_id 0
		.amdhsa_user_sgpr_private_segment_size 0
		.amdhsa_wavefront_size32 1
		.amdhsa_uses_dynamic_stack 0
		.amdhsa_enable_private_segment 0
		.amdhsa_system_sgpr_workgroup_id_x 1
		.amdhsa_system_sgpr_workgroup_id_y 0
		.amdhsa_system_sgpr_workgroup_id_z 0
		.amdhsa_system_sgpr_workgroup_info 0
		.amdhsa_system_vgpr_workitem_id 0
		.amdhsa_next_free_vgpr 34
		.amdhsa_next_free_sgpr 27
		.amdhsa_reserve_vcc 1
		.amdhsa_float_round_mode_32 0
		.amdhsa_float_round_mode_16_64 0
		.amdhsa_float_denorm_mode_32 3
		.amdhsa_float_denorm_mode_16_64 3
		.amdhsa_dx10_clamp 1
		.amdhsa_ieee_mode 1
		.amdhsa_fp16_overflow 0
		.amdhsa_workgroup_processor_mode 1
		.amdhsa_memory_ordered 1
		.amdhsa_forward_progress 0
		.amdhsa_shared_vgpr_count 0
		.amdhsa_exception_fp_ieee_invalid_op 0
		.amdhsa_exception_fp_denorm_src 0
		.amdhsa_exception_fp_ieee_div_zero 0
		.amdhsa_exception_fp_ieee_overflow 0
		.amdhsa_exception_fp_ieee_underflow 0
		.amdhsa_exception_fp_ieee_inexact 0
		.amdhsa_exception_int_div_zero 0
	.end_amdhsa_kernel
	.section	.text._ZN7rocprim17ROCPRIM_400000_NS6detail17trampoline_kernelINS0_14default_configENS1_22reduce_config_selectorIiEEZNS1_11reduce_implILb1ES3_PiS7_iN6hipcub16HIPCUB_304000_NS6detail34convert_binary_result_type_wrapperINS9_3SumENS9_22TransformInputIteratorIbN2at6native12_GLOBAL__N_19NonZeroOpIN3c104HalfEEEPKSJ_lEEiEEEE10hipError_tPvRmT1_T2_T3_mT4_P12ihipStream_tbEUlT_E1_NS1_11comp_targetILNS1_3genE9ELNS1_11target_archE1100ELNS1_3gpuE3ELNS1_3repE0EEENS1_30default_config_static_selectorELNS0_4arch9wavefront6targetE0EEEvSS_,"axG",@progbits,_ZN7rocprim17ROCPRIM_400000_NS6detail17trampoline_kernelINS0_14default_configENS1_22reduce_config_selectorIiEEZNS1_11reduce_implILb1ES3_PiS7_iN6hipcub16HIPCUB_304000_NS6detail34convert_binary_result_type_wrapperINS9_3SumENS9_22TransformInputIteratorIbN2at6native12_GLOBAL__N_19NonZeroOpIN3c104HalfEEEPKSJ_lEEiEEEE10hipError_tPvRmT1_T2_T3_mT4_P12ihipStream_tbEUlT_E1_NS1_11comp_targetILNS1_3genE9ELNS1_11target_archE1100ELNS1_3gpuE3ELNS1_3repE0EEENS1_30default_config_static_selectorELNS0_4arch9wavefront6targetE0EEEvSS_,comdat
.Lfunc_end846:
	.size	_ZN7rocprim17ROCPRIM_400000_NS6detail17trampoline_kernelINS0_14default_configENS1_22reduce_config_selectorIiEEZNS1_11reduce_implILb1ES3_PiS7_iN6hipcub16HIPCUB_304000_NS6detail34convert_binary_result_type_wrapperINS9_3SumENS9_22TransformInputIteratorIbN2at6native12_GLOBAL__N_19NonZeroOpIN3c104HalfEEEPKSJ_lEEiEEEE10hipError_tPvRmT1_T2_T3_mT4_P12ihipStream_tbEUlT_E1_NS1_11comp_targetILNS1_3genE9ELNS1_11target_archE1100ELNS1_3gpuE3ELNS1_3repE0EEENS1_30default_config_static_selectorELNS0_4arch9wavefront6targetE0EEEvSS_, .Lfunc_end846-_ZN7rocprim17ROCPRIM_400000_NS6detail17trampoline_kernelINS0_14default_configENS1_22reduce_config_selectorIiEEZNS1_11reduce_implILb1ES3_PiS7_iN6hipcub16HIPCUB_304000_NS6detail34convert_binary_result_type_wrapperINS9_3SumENS9_22TransformInputIteratorIbN2at6native12_GLOBAL__N_19NonZeroOpIN3c104HalfEEEPKSJ_lEEiEEEE10hipError_tPvRmT1_T2_T3_mT4_P12ihipStream_tbEUlT_E1_NS1_11comp_targetILNS1_3genE9ELNS1_11target_archE1100ELNS1_3gpuE3ELNS1_3repE0EEENS1_30default_config_static_selectorELNS0_4arch9wavefront6targetE0EEEvSS_
                                        ; -- End function
	.section	.AMDGPU.csdata,"",@progbits
; Kernel info:
; codeLenInByte = 10768
; NumSgprs: 29
; NumVgprs: 34
; ScratchSize: 0
; MemoryBound: 0
; FloatMode: 240
; IeeeMode: 1
; LDSByteSize: 224 bytes/workgroup (compile time only)
; SGPRBlocks: 3
; VGPRBlocks: 4
; NumSGPRsForWavesPerEU: 29
; NumVGPRsForWavesPerEU: 34
; Occupancy: 16
; WaveLimiterHint : 1
; COMPUTE_PGM_RSRC2:SCRATCH_EN: 0
; COMPUTE_PGM_RSRC2:USER_SGPR: 15
; COMPUTE_PGM_RSRC2:TRAP_HANDLER: 0
; COMPUTE_PGM_RSRC2:TGID_X_EN: 1
; COMPUTE_PGM_RSRC2:TGID_Y_EN: 0
; COMPUTE_PGM_RSRC2:TGID_Z_EN: 0
; COMPUTE_PGM_RSRC2:TIDIG_COMP_CNT: 0
	.section	.text._ZN7rocprim17ROCPRIM_400000_NS6detail17trampoline_kernelINS0_14default_configENS1_22reduce_config_selectorIiEEZNS1_11reduce_implILb1ES3_PiS7_iN6hipcub16HIPCUB_304000_NS6detail34convert_binary_result_type_wrapperINS9_3SumENS9_22TransformInputIteratorIbN2at6native12_GLOBAL__N_19NonZeroOpIN3c104HalfEEEPKSJ_lEEiEEEE10hipError_tPvRmT1_T2_T3_mT4_P12ihipStream_tbEUlT_E1_NS1_11comp_targetILNS1_3genE8ELNS1_11target_archE1030ELNS1_3gpuE2ELNS1_3repE0EEENS1_30default_config_static_selectorELNS0_4arch9wavefront6targetE0EEEvSS_,"axG",@progbits,_ZN7rocprim17ROCPRIM_400000_NS6detail17trampoline_kernelINS0_14default_configENS1_22reduce_config_selectorIiEEZNS1_11reduce_implILb1ES3_PiS7_iN6hipcub16HIPCUB_304000_NS6detail34convert_binary_result_type_wrapperINS9_3SumENS9_22TransformInputIteratorIbN2at6native12_GLOBAL__N_19NonZeroOpIN3c104HalfEEEPKSJ_lEEiEEEE10hipError_tPvRmT1_T2_T3_mT4_P12ihipStream_tbEUlT_E1_NS1_11comp_targetILNS1_3genE8ELNS1_11target_archE1030ELNS1_3gpuE2ELNS1_3repE0EEENS1_30default_config_static_selectorELNS0_4arch9wavefront6targetE0EEEvSS_,comdat
	.globl	_ZN7rocprim17ROCPRIM_400000_NS6detail17trampoline_kernelINS0_14default_configENS1_22reduce_config_selectorIiEEZNS1_11reduce_implILb1ES3_PiS7_iN6hipcub16HIPCUB_304000_NS6detail34convert_binary_result_type_wrapperINS9_3SumENS9_22TransformInputIteratorIbN2at6native12_GLOBAL__N_19NonZeroOpIN3c104HalfEEEPKSJ_lEEiEEEE10hipError_tPvRmT1_T2_T3_mT4_P12ihipStream_tbEUlT_E1_NS1_11comp_targetILNS1_3genE8ELNS1_11target_archE1030ELNS1_3gpuE2ELNS1_3repE0EEENS1_30default_config_static_selectorELNS0_4arch9wavefront6targetE0EEEvSS_ ; -- Begin function _ZN7rocprim17ROCPRIM_400000_NS6detail17trampoline_kernelINS0_14default_configENS1_22reduce_config_selectorIiEEZNS1_11reduce_implILb1ES3_PiS7_iN6hipcub16HIPCUB_304000_NS6detail34convert_binary_result_type_wrapperINS9_3SumENS9_22TransformInputIteratorIbN2at6native12_GLOBAL__N_19NonZeroOpIN3c104HalfEEEPKSJ_lEEiEEEE10hipError_tPvRmT1_T2_T3_mT4_P12ihipStream_tbEUlT_E1_NS1_11comp_targetILNS1_3genE8ELNS1_11target_archE1030ELNS1_3gpuE2ELNS1_3repE0EEENS1_30default_config_static_selectorELNS0_4arch9wavefront6targetE0EEEvSS_
	.p2align	8
	.type	_ZN7rocprim17ROCPRIM_400000_NS6detail17trampoline_kernelINS0_14default_configENS1_22reduce_config_selectorIiEEZNS1_11reduce_implILb1ES3_PiS7_iN6hipcub16HIPCUB_304000_NS6detail34convert_binary_result_type_wrapperINS9_3SumENS9_22TransformInputIteratorIbN2at6native12_GLOBAL__N_19NonZeroOpIN3c104HalfEEEPKSJ_lEEiEEEE10hipError_tPvRmT1_T2_T3_mT4_P12ihipStream_tbEUlT_E1_NS1_11comp_targetILNS1_3genE8ELNS1_11target_archE1030ELNS1_3gpuE2ELNS1_3repE0EEENS1_30default_config_static_selectorELNS0_4arch9wavefront6targetE0EEEvSS_,@function
_ZN7rocprim17ROCPRIM_400000_NS6detail17trampoline_kernelINS0_14default_configENS1_22reduce_config_selectorIiEEZNS1_11reduce_implILb1ES3_PiS7_iN6hipcub16HIPCUB_304000_NS6detail34convert_binary_result_type_wrapperINS9_3SumENS9_22TransformInputIteratorIbN2at6native12_GLOBAL__N_19NonZeroOpIN3c104HalfEEEPKSJ_lEEiEEEE10hipError_tPvRmT1_T2_T3_mT4_P12ihipStream_tbEUlT_E1_NS1_11comp_targetILNS1_3genE8ELNS1_11target_archE1030ELNS1_3gpuE2ELNS1_3repE0EEENS1_30default_config_static_selectorELNS0_4arch9wavefront6targetE0EEEvSS_: ; @_ZN7rocprim17ROCPRIM_400000_NS6detail17trampoline_kernelINS0_14default_configENS1_22reduce_config_selectorIiEEZNS1_11reduce_implILb1ES3_PiS7_iN6hipcub16HIPCUB_304000_NS6detail34convert_binary_result_type_wrapperINS9_3SumENS9_22TransformInputIteratorIbN2at6native12_GLOBAL__N_19NonZeroOpIN3c104HalfEEEPKSJ_lEEiEEEE10hipError_tPvRmT1_T2_T3_mT4_P12ihipStream_tbEUlT_E1_NS1_11comp_targetILNS1_3genE8ELNS1_11target_archE1030ELNS1_3gpuE2ELNS1_3repE0EEENS1_30default_config_static_selectorELNS0_4arch9wavefront6targetE0EEEvSS_
; %bb.0:
	.section	.rodata,"a",@progbits
	.p2align	6, 0x0
	.amdhsa_kernel _ZN7rocprim17ROCPRIM_400000_NS6detail17trampoline_kernelINS0_14default_configENS1_22reduce_config_selectorIiEEZNS1_11reduce_implILb1ES3_PiS7_iN6hipcub16HIPCUB_304000_NS6detail34convert_binary_result_type_wrapperINS9_3SumENS9_22TransformInputIteratorIbN2at6native12_GLOBAL__N_19NonZeroOpIN3c104HalfEEEPKSJ_lEEiEEEE10hipError_tPvRmT1_T2_T3_mT4_P12ihipStream_tbEUlT_E1_NS1_11comp_targetILNS1_3genE8ELNS1_11target_archE1030ELNS1_3gpuE2ELNS1_3repE0EEENS1_30default_config_static_selectorELNS0_4arch9wavefront6targetE0EEEvSS_
		.amdhsa_group_segment_fixed_size 0
		.amdhsa_private_segment_fixed_size 0
		.amdhsa_kernarg_size 40
		.amdhsa_user_sgpr_count 15
		.amdhsa_user_sgpr_dispatch_ptr 0
		.amdhsa_user_sgpr_queue_ptr 0
		.amdhsa_user_sgpr_kernarg_segment_ptr 1
		.amdhsa_user_sgpr_dispatch_id 0
		.amdhsa_user_sgpr_private_segment_size 0
		.amdhsa_wavefront_size32 1
		.amdhsa_uses_dynamic_stack 0
		.amdhsa_enable_private_segment 0
		.amdhsa_system_sgpr_workgroup_id_x 1
		.amdhsa_system_sgpr_workgroup_id_y 0
		.amdhsa_system_sgpr_workgroup_id_z 0
		.amdhsa_system_sgpr_workgroup_info 0
		.amdhsa_system_vgpr_workitem_id 0
		.amdhsa_next_free_vgpr 1
		.amdhsa_next_free_sgpr 1
		.amdhsa_reserve_vcc 0
		.amdhsa_float_round_mode_32 0
		.amdhsa_float_round_mode_16_64 0
		.amdhsa_float_denorm_mode_32 3
		.amdhsa_float_denorm_mode_16_64 3
		.amdhsa_dx10_clamp 1
		.amdhsa_ieee_mode 1
		.amdhsa_fp16_overflow 0
		.amdhsa_workgroup_processor_mode 1
		.amdhsa_memory_ordered 1
		.amdhsa_forward_progress 0
		.amdhsa_shared_vgpr_count 0
		.amdhsa_exception_fp_ieee_invalid_op 0
		.amdhsa_exception_fp_denorm_src 0
		.amdhsa_exception_fp_ieee_div_zero 0
		.amdhsa_exception_fp_ieee_overflow 0
		.amdhsa_exception_fp_ieee_underflow 0
		.amdhsa_exception_fp_ieee_inexact 0
		.amdhsa_exception_int_div_zero 0
	.end_amdhsa_kernel
	.section	.text._ZN7rocprim17ROCPRIM_400000_NS6detail17trampoline_kernelINS0_14default_configENS1_22reduce_config_selectorIiEEZNS1_11reduce_implILb1ES3_PiS7_iN6hipcub16HIPCUB_304000_NS6detail34convert_binary_result_type_wrapperINS9_3SumENS9_22TransformInputIteratorIbN2at6native12_GLOBAL__N_19NonZeroOpIN3c104HalfEEEPKSJ_lEEiEEEE10hipError_tPvRmT1_T2_T3_mT4_P12ihipStream_tbEUlT_E1_NS1_11comp_targetILNS1_3genE8ELNS1_11target_archE1030ELNS1_3gpuE2ELNS1_3repE0EEENS1_30default_config_static_selectorELNS0_4arch9wavefront6targetE0EEEvSS_,"axG",@progbits,_ZN7rocprim17ROCPRIM_400000_NS6detail17trampoline_kernelINS0_14default_configENS1_22reduce_config_selectorIiEEZNS1_11reduce_implILb1ES3_PiS7_iN6hipcub16HIPCUB_304000_NS6detail34convert_binary_result_type_wrapperINS9_3SumENS9_22TransformInputIteratorIbN2at6native12_GLOBAL__N_19NonZeroOpIN3c104HalfEEEPKSJ_lEEiEEEE10hipError_tPvRmT1_T2_T3_mT4_P12ihipStream_tbEUlT_E1_NS1_11comp_targetILNS1_3genE8ELNS1_11target_archE1030ELNS1_3gpuE2ELNS1_3repE0EEENS1_30default_config_static_selectorELNS0_4arch9wavefront6targetE0EEEvSS_,comdat
.Lfunc_end847:
	.size	_ZN7rocprim17ROCPRIM_400000_NS6detail17trampoline_kernelINS0_14default_configENS1_22reduce_config_selectorIiEEZNS1_11reduce_implILb1ES3_PiS7_iN6hipcub16HIPCUB_304000_NS6detail34convert_binary_result_type_wrapperINS9_3SumENS9_22TransformInputIteratorIbN2at6native12_GLOBAL__N_19NonZeroOpIN3c104HalfEEEPKSJ_lEEiEEEE10hipError_tPvRmT1_T2_T3_mT4_P12ihipStream_tbEUlT_E1_NS1_11comp_targetILNS1_3genE8ELNS1_11target_archE1030ELNS1_3gpuE2ELNS1_3repE0EEENS1_30default_config_static_selectorELNS0_4arch9wavefront6targetE0EEEvSS_, .Lfunc_end847-_ZN7rocprim17ROCPRIM_400000_NS6detail17trampoline_kernelINS0_14default_configENS1_22reduce_config_selectorIiEEZNS1_11reduce_implILb1ES3_PiS7_iN6hipcub16HIPCUB_304000_NS6detail34convert_binary_result_type_wrapperINS9_3SumENS9_22TransformInputIteratorIbN2at6native12_GLOBAL__N_19NonZeroOpIN3c104HalfEEEPKSJ_lEEiEEEE10hipError_tPvRmT1_T2_T3_mT4_P12ihipStream_tbEUlT_E1_NS1_11comp_targetILNS1_3genE8ELNS1_11target_archE1030ELNS1_3gpuE2ELNS1_3repE0EEENS1_30default_config_static_selectorELNS0_4arch9wavefront6targetE0EEEvSS_
                                        ; -- End function
	.section	.AMDGPU.csdata,"",@progbits
; Kernel info:
; codeLenInByte = 0
; NumSgprs: 0
; NumVgprs: 0
; ScratchSize: 0
; MemoryBound: 0
; FloatMode: 240
; IeeeMode: 1
; LDSByteSize: 0 bytes/workgroup (compile time only)
; SGPRBlocks: 0
; VGPRBlocks: 0
; NumSGPRsForWavesPerEU: 1
; NumVGPRsForWavesPerEU: 1
; Occupancy: 16
; WaveLimiterHint : 0
; COMPUTE_PGM_RSRC2:SCRATCH_EN: 0
; COMPUTE_PGM_RSRC2:USER_SGPR: 15
; COMPUTE_PGM_RSRC2:TRAP_HANDLER: 0
; COMPUTE_PGM_RSRC2:TGID_X_EN: 1
; COMPUTE_PGM_RSRC2:TGID_Y_EN: 0
; COMPUTE_PGM_RSRC2:TGID_Z_EN: 0
; COMPUTE_PGM_RSRC2:TIDIG_COMP_CNT: 0
	.section	.text._ZN7rocprim17ROCPRIM_400000_NS6detail17trampoline_kernelINS0_14default_configENS1_22reduce_config_selectorIbEEZNS1_11reduce_implILb1ES3_N6hipcub16HIPCUB_304000_NS22TransformInputIteratorIbN2at6native12_GLOBAL__N_19NonZeroOpIN3c104HalfEEEPKSF_lEEPiiNS8_6detail34convert_binary_result_type_wrapperINS8_3SumESJ_iEEEE10hipError_tPvRmT1_T2_T3_mT4_P12ihipStream_tbEUlT_E0_NS1_11comp_targetILNS1_3genE0ELNS1_11target_archE4294967295ELNS1_3gpuE0ELNS1_3repE0EEENS1_30default_config_static_selectorELNS0_4arch9wavefront6targetE0EEEvSS_,"axG",@progbits,_ZN7rocprim17ROCPRIM_400000_NS6detail17trampoline_kernelINS0_14default_configENS1_22reduce_config_selectorIbEEZNS1_11reduce_implILb1ES3_N6hipcub16HIPCUB_304000_NS22TransformInputIteratorIbN2at6native12_GLOBAL__N_19NonZeroOpIN3c104HalfEEEPKSF_lEEPiiNS8_6detail34convert_binary_result_type_wrapperINS8_3SumESJ_iEEEE10hipError_tPvRmT1_T2_T3_mT4_P12ihipStream_tbEUlT_E0_NS1_11comp_targetILNS1_3genE0ELNS1_11target_archE4294967295ELNS1_3gpuE0ELNS1_3repE0EEENS1_30default_config_static_selectorELNS0_4arch9wavefront6targetE0EEEvSS_,comdat
	.globl	_ZN7rocprim17ROCPRIM_400000_NS6detail17trampoline_kernelINS0_14default_configENS1_22reduce_config_selectorIbEEZNS1_11reduce_implILb1ES3_N6hipcub16HIPCUB_304000_NS22TransformInputIteratorIbN2at6native12_GLOBAL__N_19NonZeroOpIN3c104HalfEEEPKSF_lEEPiiNS8_6detail34convert_binary_result_type_wrapperINS8_3SumESJ_iEEEE10hipError_tPvRmT1_T2_T3_mT4_P12ihipStream_tbEUlT_E0_NS1_11comp_targetILNS1_3genE0ELNS1_11target_archE4294967295ELNS1_3gpuE0ELNS1_3repE0EEENS1_30default_config_static_selectorELNS0_4arch9wavefront6targetE0EEEvSS_ ; -- Begin function _ZN7rocprim17ROCPRIM_400000_NS6detail17trampoline_kernelINS0_14default_configENS1_22reduce_config_selectorIbEEZNS1_11reduce_implILb1ES3_N6hipcub16HIPCUB_304000_NS22TransformInputIteratorIbN2at6native12_GLOBAL__N_19NonZeroOpIN3c104HalfEEEPKSF_lEEPiiNS8_6detail34convert_binary_result_type_wrapperINS8_3SumESJ_iEEEE10hipError_tPvRmT1_T2_T3_mT4_P12ihipStream_tbEUlT_E0_NS1_11comp_targetILNS1_3genE0ELNS1_11target_archE4294967295ELNS1_3gpuE0ELNS1_3repE0EEENS1_30default_config_static_selectorELNS0_4arch9wavefront6targetE0EEEvSS_
	.p2align	8
	.type	_ZN7rocprim17ROCPRIM_400000_NS6detail17trampoline_kernelINS0_14default_configENS1_22reduce_config_selectorIbEEZNS1_11reduce_implILb1ES3_N6hipcub16HIPCUB_304000_NS22TransformInputIteratorIbN2at6native12_GLOBAL__N_19NonZeroOpIN3c104HalfEEEPKSF_lEEPiiNS8_6detail34convert_binary_result_type_wrapperINS8_3SumESJ_iEEEE10hipError_tPvRmT1_T2_T3_mT4_P12ihipStream_tbEUlT_E0_NS1_11comp_targetILNS1_3genE0ELNS1_11target_archE4294967295ELNS1_3gpuE0ELNS1_3repE0EEENS1_30default_config_static_selectorELNS0_4arch9wavefront6targetE0EEEvSS_,@function
_ZN7rocprim17ROCPRIM_400000_NS6detail17trampoline_kernelINS0_14default_configENS1_22reduce_config_selectorIbEEZNS1_11reduce_implILb1ES3_N6hipcub16HIPCUB_304000_NS22TransformInputIteratorIbN2at6native12_GLOBAL__N_19NonZeroOpIN3c104HalfEEEPKSF_lEEPiiNS8_6detail34convert_binary_result_type_wrapperINS8_3SumESJ_iEEEE10hipError_tPvRmT1_T2_T3_mT4_P12ihipStream_tbEUlT_E0_NS1_11comp_targetILNS1_3genE0ELNS1_11target_archE4294967295ELNS1_3gpuE0ELNS1_3repE0EEENS1_30default_config_static_selectorELNS0_4arch9wavefront6targetE0EEEvSS_: ; @_ZN7rocprim17ROCPRIM_400000_NS6detail17trampoline_kernelINS0_14default_configENS1_22reduce_config_selectorIbEEZNS1_11reduce_implILb1ES3_N6hipcub16HIPCUB_304000_NS22TransformInputIteratorIbN2at6native12_GLOBAL__N_19NonZeroOpIN3c104HalfEEEPKSF_lEEPiiNS8_6detail34convert_binary_result_type_wrapperINS8_3SumESJ_iEEEE10hipError_tPvRmT1_T2_T3_mT4_P12ihipStream_tbEUlT_E0_NS1_11comp_targetILNS1_3genE0ELNS1_11target_archE4294967295ELNS1_3gpuE0ELNS1_3repE0EEENS1_30default_config_static_selectorELNS0_4arch9wavefront6targetE0EEEvSS_
; %bb.0:
	.section	.rodata,"a",@progbits
	.p2align	6, 0x0
	.amdhsa_kernel _ZN7rocprim17ROCPRIM_400000_NS6detail17trampoline_kernelINS0_14default_configENS1_22reduce_config_selectorIbEEZNS1_11reduce_implILb1ES3_N6hipcub16HIPCUB_304000_NS22TransformInputIteratorIbN2at6native12_GLOBAL__N_19NonZeroOpIN3c104HalfEEEPKSF_lEEPiiNS8_6detail34convert_binary_result_type_wrapperINS8_3SumESJ_iEEEE10hipError_tPvRmT1_T2_T3_mT4_P12ihipStream_tbEUlT_E0_NS1_11comp_targetILNS1_3genE0ELNS1_11target_archE4294967295ELNS1_3gpuE0ELNS1_3repE0EEENS1_30default_config_static_selectorELNS0_4arch9wavefront6targetE0EEEvSS_
		.amdhsa_group_segment_fixed_size 0
		.amdhsa_private_segment_fixed_size 0
		.amdhsa_kernarg_size 64
		.amdhsa_user_sgpr_count 15
		.amdhsa_user_sgpr_dispatch_ptr 0
		.amdhsa_user_sgpr_queue_ptr 0
		.amdhsa_user_sgpr_kernarg_segment_ptr 1
		.amdhsa_user_sgpr_dispatch_id 0
		.amdhsa_user_sgpr_private_segment_size 0
		.amdhsa_wavefront_size32 1
		.amdhsa_uses_dynamic_stack 0
		.amdhsa_enable_private_segment 0
		.amdhsa_system_sgpr_workgroup_id_x 1
		.amdhsa_system_sgpr_workgroup_id_y 0
		.amdhsa_system_sgpr_workgroup_id_z 0
		.amdhsa_system_sgpr_workgroup_info 0
		.amdhsa_system_vgpr_workitem_id 0
		.amdhsa_next_free_vgpr 1
		.amdhsa_next_free_sgpr 1
		.amdhsa_reserve_vcc 0
		.amdhsa_float_round_mode_32 0
		.amdhsa_float_round_mode_16_64 0
		.amdhsa_float_denorm_mode_32 3
		.amdhsa_float_denorm_mode_16_64 3
		.amdhsa_dx10_clamp 1
		.amdhsa_ieee_mode 1
		.amdhsa_fp16_overflow 0
		.amdhsa_workgroup_processor_mode 1
		.amdhsa_memory_ordered 1
		.amdhsa_forward_progress 0
		.amdhsa_shared_vgpr_count 0
		.amdhsa_exception_fp_ieee_invalid_op 0
		.amdhsa_exception_fp_denorm_src 0
		.amdhsa_exception_fp_ieee_div_zero 0
		.amdhsa_exception_fp_ieee_overflow 0
		.amdhsa_exception_fp_ieee_underflow 0
		.amdhsa_exception_fp_ieee_inexact 0
		.amdhsa_exception_int_div_zero 0
	.end_amdhsa_kernel
	.section	.text._ZN7rocprim17ROCPRIM_400000_NS6detail17trampoline_kernelINS0_14default_configENS1_22reduce_config_selectorIbEEZNS1_11reduce_implILb1ES3_N6hipcub16HIPCUB_304000_NS22TransformInputIteratorIbN2at6native12_GLOBAL__N_19NonZeroOpIN3c104HalfEEEPKSF_lEEPiiNS8_6detail34convert_binary_result_type_wrapperINS8_3SumESJ_iEEEE10hipError_tPvRmT1_T2_T3_mT4_P12ihipStream_tbEUlT_E0_NS1_11comp_targetILNS1_3genE0ELNS1_11target_archE4294967295ELNS1_3gpuE0ELNS1_3repE0EEENS1_30default_config_static_selectorELNS0_4arch9wavefront6targetE0EEEvSS_,"axG",@progbits,_ZN7rocprim17ROCPRIM_400000_NS6detail17trampoline_kernelINS0_14default_configENS1_22reduce_config_selectorIbEEZNS1_11reduce_implILb1ES3_N6hipcub16HIPCUB_304000_NS22TransformInputIteratorIbN2at6native12_GLOBAL__N_19NonZeroOpIN3c104HalfEEEPKSF_lEEPiiNS8_6detail34convert_binary_result_type_wrapperINS8_3SumESJ_iEEEE10hipError_tPvRmT1_T2_T3_mT4_P12ihipStream_tbEUlT_E0_NS1_11comp_targetILNS1_3genE0ELNS1_11target_archE4294967295ELNS1_3gpuE0ELNS1_3repE0EEENS1_30default_config_static_selectorELNS0_4arch9wavefront6targetE0EEEvSS_,comdat
.Lfunc_end848:
	.size	_ZN7rocprim17ROCPRIM_400000_NS6detail17trampoline_kernelINS0_14default_configENS1_22reduce_config_selectorIbEEZNS1_11reduce_implILb1ES3_N6hipcub16HIPCUB_304000_NS22TransformInputIteratorIbN2at6native12_GLOBAL__N_19NonZeroOpIN3c104HalfEEEPKSF_lEEPiiNS8_6detail34convert_binary_result_type_wrapperINS8_3SumESJ_iEEEE10hipError_tPvRmT1_T2_T3_mT4_P12ihipStream_tbEUlT_E0_NS1_11comp_targetILNS1_3genE0ELNS1_11target_archE4294967295ELNS1_3gpuE0ELNS1_3repE0EEENS1_30default_config_static_selectorELNS0_4arch9wavefront6targetE0EEEvSS_, .Lfunc_end848-_ZN7rocprim17ROCPRIM_400000_NS6detail17trampoline_kernelINS0_14default_configENS1_22reduce_config_selectorIbEEZNS1_11reduce_implILb1ES3_N6hipcub16HIPCUB_304000_NS22TransformInputIteratorIbN2at6native12_GLOBAL__N_19NonZeroOpIN3c104HalfEEEPKSF_lEEPiiNS8_6detail34convert_binary_result_type_wrapperINS8_3SumESJ_iEEEE10hipError_tPvRmT1_T2_T3_mT4_P12ihipStream_tbEUlT_E0_NS1_11comp_targetILNS1_3genE0ELNS1_11target_archE4294967295ELNS1_3gpuE0ELNS1_3repE0EEENS1_30default_config_static_selectorELNS0_4arch9wavefront6targetE0EEEvSS_
                                        ; -- End function
	.section	.AMDGPU.csdata,"",@progbits
; Kernel info:
; codeLenInByte = 0
; NumSgprs: 0
; NumVgprs: 0
; ScratchSize: 0
; MemoryBound: 0
; FloatMode: 240
; IeeeMode: 1
; LDSByteSize: 0 bytes/workgroup (compile time only)
; SGPRBlocks: 0
; VGPRBlocks: 0
; NumSGPRsForWavesPerEU: 1
; NumVGPRsForWavesPerEU: 1
; Occupancy: 16
; WaveLimiterHint : 0
; COMPUTE_PGM_RSRC2:SCRATCH_EN: 0
; COMPUTE_PGM_RSRC2:USER_SGPR: 15
; COMPUTE_PGM_RSRC2:TRAP_HANDLER: 0
; COMPUTE_PGM_RSRC2:TGID_X_EN: 1
; COMPUTE_PGM_RSRC2:TGID_Y_EN: 0
; COMPUTE_PGM_RSRC2:TGID_Z_EN: 0
; COMPUTE_PGM_RSRC2:TIDIG_COMP_CNT: 0
	.section	.text._ZN7rocprim17ROCPRIM_400000_NS6detail17trampoline_kernelINS0_14default_configENS1_22reduce_config_selectorIbEEZNS1_11reduce_implILb1ES3_N6hipcub16HIPCUB_304000_NS22TransformInputIteratorIbN2at6native12_GLOBAL__N_19NonZeroOpIN3c104HalfEEEPKSF_lEEPiiNS8_6detail34convert_binary_result_type_wrapperINS8_3SumESJ_iEEEE10hipError_tPvRmT1_T2_T3_mT4_P12ihipStream_tbEUlT_E0_NS1_11comp_targetILNS1_3genE5ELNS1_11target_archE942ELNS1_3gpuE9ELNS1_3repE0EEENS1_30default_config_static_selectorELNS0_4arch9wavefront6targetE0EEEvSS_,"axG",@progbits,_ZN7rocprim17ROCPRIM_400000_NS6detail17trampoline_kernelINS0_14default_configENS1_22reduce_config_selectorIbEEZNS1_11reduce_implILb1ES3_N6hipcub16HIPCUB_304000_NS22TransformInputIteratorIbN2at6native12_GLOBAL__N_19NonZeroOpIN3c104HalfEEEPKSF_lEEPiiNS8_6detail34convert_binary_result_type_wrapperINS8_3SumESJ_iEEEE10hipError_tPvRmT1_T2_T3_mT4_P12ihipStream_tbEUlT_E0_NS1_11comp_targetILNS1_3genE5ELNS1_11target_archE942ELNS1_3gpuE9ELNS1_3repE0EEENS1_30default_config_static_selectorELNS0_4arch9wavefront6targetE0EEEvSS_,comdat
	.globl	_ZN7rocprim17ROCPRIM_400000_NS6detail17trampoline_kernelINS0_14default_configENS1_22reduce_config_selectorIbEEZNS1_11reduce_implILb1ES3_N6hipcub16HIPCUB_304000_NS22TransformInputIteratorIbN2at6native12_GLOBAL__N_19NonZeroOpIN3c104HalfEEEPKSF_lEEPiiNS8_6detail34convert_binary_result_type_wrapperINS8_3SumESJ_iEEEE10hipError_tPvRmT1_T2_T3_mT4_P12ihipStream_tbEUlT_E0_NS1_11comp_targetILNS1_3genE5ELNS1_11target_archE942ELNS1_3gpuE9ELNS1_3repE0EEENS1_30default_config_static_selectorELNS0_4arch9wavefront6targetE0EEEvSS_ ; -- Begin function _ZN7rocprim17ROCPRIM_400000_NS6detail17trampoline_kernelINS0_14default_configENS1_22reduce_config_selectorIbEEZNS1_11reduce_implILb1ES3_N6hipcub16HIPCUB_304000_NS22TransformInputIteratorIbN2at6native12_GLOBAL__N_19NonZeroOpIN3c104HalfEEEPKSF_lEEPiiNS8_6detail34convert_binary_result_type_wrapperINS8_3SumESJ_iEEEE10hipError_tPvRmT1_T2_T3_mT4_P12ihipStream_tbEUlT_E0_NS1_11comp_targetILNS1_3genE5ELNS1_11target_archE942ELNS1_3gpuE9ELNS1_3repE0EEENS1_30default_config_static_selectorELNS0_4arch9wavefront6targetE0EEEvSS_
	.p2align	8
	.type	_ZN7rocprim17ROCPRIM_400000_NS6detail17trampoline_kernelINS0_14default_configENS1_22reduce_config_selectorIbEEZNS1_11reduce_implILb1ES3_N6hipcub16HIPCUB_304000_NS22TransformInputIteratorIbN2at6native12_GLOBAL__N_19NonZeroOpIN3c104HalfEEEPKSF_lEEPiiNS8_6detail34convert_binary_result_type_wrapperINS8_3SumESJ_iEEEE10hipError_tPvRmT1_T2_T3_mT4_P12ihipStream_tbEUlT_E0_NS1_11comp_targetILNS1_3genE5ELNS1_11target_archE942ELNS1_3gpuE9ELNS1_3repE0EEENS1_30default_config_static_selectorELNS0_4arch9wavefront6targetE0EEEvSS_,@function
_ZN7rocprim17ROCPRIM_400000_NS6detail17trampoline_kernelINS0_14default_configENS1_22reduce_config_selectorIbEEZNS1_11reduce_implILb1ES3_N6hipcub16HIPCUB_304000_NS22TransformInputIteratorIbN2at6native12_GLOBAL__N_19NonZeroOpIN3c104HalfEEEPKSF_lEEPiiNS8_6detail34convert_binary_result_type_wrapperINS8_3SumESJ_iEEEE10hipError_tPvRmT1_T2_T3_mT4_P12ihipStream_tbEUlT_E0_NS1_11comp_targetILNS1_3genE5ELNS1_11target_archE942ELNS1_3gpuE9ELNS1_3repE0EEENS1_30default_config_static_selectorELNS0_4arch9wavefront6targetE0EEEvSS_: ; @_ZN7rocprim17ROCPRIM_400000_NS6detail17trampoline_kernelINS0_14default_configENS1_22reduce_config_selectorIbEEZNS1_11reduce_implILb1ES3_N6hipcub16HIPCUB_304000_NS22TransformInputIteratorIbN2at6native12_GLOBAL__N_19NonZeroOpIN3c104HalfEEEPKSF_lEEPiiNS8_6detail34convert_binary_result_type_wrapperINS8_3SumESJ_iEEEE10hipError_tPvRmT1_T2_T3_mT4_P12ihipStream_tbEUlT_E0_NS1_11comp_targetILNS1_3genE5ELNS1_11target_archE942ELNS1_3gpuE9ELNS1_3repE0EEENS1_30default_config_static_selectorELNS0_4arch9wavefront6targetE0EEEvSS_
; %bb.0:
	.section	.rodata,"a",@progbits
	.p2align	6, 0x0
	.amdhsa_kernel _ZN7rocprim17ROCPRIM_400000_NS6detail17trampoline_kernelINS0_14default_configENS1_22reduce_config_selectorIbEEZNS1_11reduce_implILb1ES3_N6hipcub16HIPCUB_304000_NS22TransformInputIteratorIbN2at6native12_GLOBAL__N_19NonZeroOpIN3c104HalfEEEPKSF_lEEPiiNS8_6detail34convert_binary_result_type_wrapperINS8_3SumESJ_iEEEE10hipError_tPvRmT1_T2_T3_mT4_P12ihipStream_tbEUlT_E0_NS1_11comp_targetILNS1_3genE5ELNS1_11target_archE942ELNS1_3gpuE9ELNS1_3repE0EEENS1_30default_config_static_selectorELNS0_4arch9wavefront6targetE0EEEvSS_
		.amdhsa_group_segment_fixed_size 0
		.amdhsa_private_segment_fixed_size 0
		.amdhsa_kernarg_size 64
		.amdhsa_user_sgpr_count 15
		.amdhsa_user_sgpr_dispatch_ptr 0
		.amdhsa_user_sgpr_queue_ptr 0
		.amdhsa_user_sgpr_kernarg_segment_ptr 1
		.amdhsa_user_sgpr_dispatch_id 0
		.amdhsa_user_sgpr_private_segment_size 0
		.amdhsa_wavefront_size32 1
		.amdhsa_uses_dynamic_stack 0
		.amdhsa_enable_private_segment 0
		.amdhsa_system_sgpr_workgroup_id_x 1
		.amdhsa_system_sgpr_workgroup_id_y 0
		.amdhsa_system_sgpr_workgroup_id_z 0
		.amdhsa_system_sgpr_workgroup_info 0
		.amdhsa_system_vgpr_workitem_id 0
		.amdhsa_next_free_vgpr 1
		.amdhsa_next_free_sgpr 1
		.amdhsa_reserve_vcc 0
		.amdhsa_float_round_mode_32 0
		.amdhsa_float_round_mode_16_64 0
		.amdhsa_float_denorm_mode_32 3
		.amdhsa_float_denorm_mode_16_64 3
		.amdhsa_dx10_clamp 1
		.amdhsa_ieee_mode 1
		.amdhsa_fp16_overflow 0
		.amdhsa_workgroup_processor_mode 1
		.amdhsa_memory_ordered 1
		.amdhsa_forward_progress 0
		.amdhsa_shared_vgpr_count 0
		.amdhsa_exception_fp_ieee_invalid_op 0
		.amdhsa_exception_fp_denorm_src 0
		.amdhsa_exception_fp_ieee_div_zero 0
		.amdhsa_exception_fp_ieee_overflow 0
		.amdhsa_exception_fp_ieee_underflow 0
		.amdhsa_exception_fp_ieee_inexact 0
		.amdhsa_exception_int_div_zero 0
	.end_amdhsa_kernel
	.section	.text._ZN7rocprim17ROCPRIM_400000_NS6detail17trampoline_kernelINS0_14default_configENS1_22reduce_config_selectorIbEEZNS1_11reduce_implILb1ES3_N6hipcub16HIPCUB_304000_NS22TransformInputIteratorIbN2at6native12_GLOBAL__N_19NonZeroOpIN3c104HalfEEEPKSF_lEEPiiNS8_6detail34convert_binary_result_type_wrapperINS8_3SumESJ_iEEEE10hipError_tPvRmT1_T2_T3_mT4_P12ihipStream_tbEUlT_E0_NS1_11comp_targetILNS1_3genE5ELNS1_11target_archE942ELNS1_3gpuE9ELNS1_3repE0EEENS1_30default_config_static_selectorELNS0_4arch9wavefront6targetE0EEEvSS_,"axG",@progbits,_ZN7rocprim17ROCPRIM_400000_NS6detail17trampoline_kernelINS0_14default_configENS1_22reduce_config_selectorIbEEZNS1_11reduce_implILb1ES3_N6hipcub16HIPCUB_304000_NS22TransformInputIteratorIbN2at6native12_GLOBAL__N_19NonZeroOpIN3c104HalfEEEPKSF_lEEPiiNS8_6detail34convert_binary_result_type_wrapperINS8_3SumESJ_iEEEE10hipError_tPvRmT1_T2_T3_mT4_P12ihipStream_tbEUlT_E0_NS1_11comp_targetILNS1_3genE5ELNS1_11target_archE942ELNS1_3gpuE9ELNS1_3repE0EEENS1_30default_config_static_selectorELNS0_4arch9wavefront6targetE0EEEvSS_,comdat
.Lfunc_end849:
	.size	_ZN7rocprim17ROCPRIM_400000_NS6detail17trampoline_kernelINS0_14default_configENS1_22reduce_config_selectorIbEEZNS1_11reduce_implILb1ES3_N6hipcub16HIPCUB_304000_NS22TransformInputIteratorIbN2at6native12_GLOBAL__N_19NonZeroOpIN3c104HalfEEEPKSF_lEEPiiNS8_6detail34convert_binary_result_type_wrapperINS8_3SumESJ_iEEEE10hipError_tPvRmT1_T2_T3_mT4_P12ihipStream_tbEUlT_E0_NS1_11comp_targetILNS1_3genE5ELNS1_11target_archE942ELNS1_3gpuE9ELNS1_3repE0EEENS1_30default_config_static_selectorELNS0_4arch9wavefront6targetE0EEEvSS_, .Lfunc_end849-_ZN7rocprim17ROCPRIM_400000_NS6detail17trampoline_kernelINS0_14default_configENS1_22reduce_config_selectorIbEEZNS1_11reduce_implILb1ES3_N6hipcub16HIPCUB_304000_NS22TransformInputIteratorIbN2at6native12_GLOBAL__N_19NonZeroOpIN3c104HalfEEEPKSF_lEEPiiNS8_6detail34convert_binary_result_type_wrapperINS8_3SumESJ_iEEEE10hipError_tPvRmT1_T2_T3_mT4_P12ihipStream_tbEUlT_E0_NS1_11comp_targetILNS1_3genE5ELNS1_11target_archE942ELNS1_3gpuE9ELNS1_3repE0EEENS1_30default_config_static_selectorELNS0_4arch9wavefront6targetE0EEEvSS_
                                        ; -- End function
	.section	.AMDGPU.csdata,"",@progbits
; Kernel info:
; codeLenInByte = 0
; NumSgprs: 0
; NumVgprs: 0
; ScratchSize: 0
; MemoryBound: 0
; FloatMode: 240
; IeeeMode: 1
; LDSByteSize: 0 bytes/workgroup (compile time only)
; SGPRBlocks: 0
; VGPRBlocks: 0
; NumSGPRsForWavesPerEU: 1
; NumVGPRsForWavesPerEU: 1
; Occupancy: 16
; WaveLimiterHint : 0
; COMPUTE_PGM_RSRC2:SCRATCH_EN: 0
; COMPUTE_PGM_RSRC2:USER_SGPR: 15
; COMPUTE_PGM_RSRC2:TRAP_HANDLER: 0
; COMPUTE_PGM_RSRC2:TGID_X_EN: 1
; COMPUTE_PGM_RSRC2:TGID_Y_EN: 0
; COMPUTE_PGM_RSRC2:TGID_Z_EN: 0
; COMPUTE_PGM_RSRC2:TIDIG_COMP_CNT: 0
	.section	.text._ZN7rocprim17ROCPRIM_400000_NS6detail17trampoline_kernelINS0_14default_configENS1_22reduce_config_selectorIbEEZNS1_11reduce_implILb1ES3_N6hipcub16HIPCUB_304000_NS22TransformInputIteratorIbN2at6native12_GLOBAL__N_19NonZeroOpIN3c104HalfEEEPKSF_lEEPiiNS8_6detail34convert_binary_result_type_wrapperINS8_3SumESJ_iEEEE10hipError_tPvRmT1_T2_T3_mT4_P12ihipStream_tbEUlT_E0_NS1_11comp_targetILNS1_3genE4ELNS1_11target_archE910ELNS1_3gpuE8ELNS1_3repE0EEENS1_30default_config_static_selectorELNS0_4arch9wavefront6targetE0EEEvSS_,"axG",@progbits,_ZN7rocprim17ROCPRIM_400000_NS6detail17trampoline_kernelINS0_14default_configENS1_22reduce_config_selectorIbEEZNS1_11reduce_implILb1ES3_N6hipcub16HIPCUB_304000_NS22TransformInputIteratorIbN2at6native12_GLOBAL__N_19NonZeroOpIN3c104HalfEEEPKSF_lEEPiiNS8_6detail34convert_binary_result_type_wrapperINS8_3SumESJ_iEEEE10hipError_tPvRmT1_T2_T3_mT4_P12ihipStream_tbEUlT_E0_NS1_11comp_targetILNS1_3genE4ELNS1_11target_archE910ELNS1_3gpuE8ELNS1_3repE0EEENS1_30default_config_static_selectorELNS0_4arch9wavefront6targetE0EEEvSS_,comdat
	.globl	_ZN7rocprim17ROCPRIM_400000_NS6detail17trampoline_kernelINS0_14default_configENS1_22reduce_config_selectorIbEEZNS1_11reduce_implILb1ES3_N6hipcub16HIPCUB_304000_NS22TransformInputIteratorIbN2at6native12_GLOBAL__N_19NonZeroOpIN3c104HalfEEEPKSF_lEEPiiNS8_6detail34convert_binary_result_type_wrapperINS8_3SumESJ_iEEEE10hipError_tPvRmT1_T2_T3_mT4_P12ihipStream_tbEUlT_E0_NS1_11comp_targetILNS1_3genE4ELNS1_11target_archE910ELNS1_3gpuE8ELNS1_3repE0EEENS1_30default_config_static_selectorELNS0_4arch9wavefront6targetE0EEEvSS_ ; -- Begin function _ZN7rocprim17ROCPRIM_400000_NS6detail17trampoline_kernelINS0_14default_configENS1_22reduce_config_selectorIbEEZNS1_11reduce_implILb1ES3_N6hipcub16HIPCUB_304000_NS22TransformInputIteratorIbN2at6native12_GLOBAL__N_19NonZeroOpIN3c104HalfEEEPKSF_lEEPiiNS8_6detail34convert_binary_result_type_wrapperINS8_3SumESJ_iEEEE10hipError_tPvRmT1_T2_T3_mT4_P12ihipStream_tbEUlT_E0_NS1_11comp_targetILNS1_3genE4ELNS1_11target_archE910ELNS1_3gpuE8ELNS1_3repE0EEENS1_30default_config_static_selectorELNS0_4arch9wavefront6targetE0EEEvSS_
	.p2align	8
	.type	_ZN7rocprim17ROCPRIM_400000_NS6detail17trampoline_kernelINS0_14default_configENS1_22reduce_config_selectorIbEEZNS1_11reduce_implILb1ES3_N6hipcub16HIPCUB_304000_NS22TransformInputIteratorIbN2at6native12_GLOBAL__N_19NonZeroOpIN3c104HalfEEEPKSF_lEEPiiNS8_6detail34convert_binary_result_type_wrapperINS8_3SumESJ_iEEEE10hipError_tPvRmT1_T2_T3_mT4_P12ihipStream_tbEUlT_E0_NS1_11comp_targetILNS1_3genE4ELNS1_11target_archE910ELNS1_3gpuE8ELNS1_3repE0EEENS1_30default_config_static_selectorELNS0_4arch9wavefront6targetE0EEEvSS_,@function
_ZN7rocprim17ROCPRIM_400000_NS6detail17trampoline_kernelINS0_14default_configENS1_22reduce_config_selectorIbEEZNS1_11reduce_implILb1ES3_N6hipcub16HIPCUB_304000_NS22TransformInputIteratorIbN2at6native12_GLOBAL__N_19NonZeroOpIN3c104HalfEEEPKSF_lEEPiiNS8_6detail34convert_binary_result_type_wrapperINS8_3SumESJ_iEEEE10hipError_tPvRmT1_T2_T3_mT4_P12ihipStream_tbEUlT_E0_NS1_11comp_targetILNS1_3genE4ELNS1_11target_archE910ELNS1_3gpuE8ELNS1_3repE0EEENS1_30default_config_static_selectorELNS0_4arch9wavefront6targetE0EEEvSS_: ; @_ZN7rocprim17ROCPRIM_400000_NS6detail17trampoline_kernelINS0_14default_configENS1_22reduce_config_selectorIbEEZNS1_11reduce_implILb1ES3_N6hipcub16HIPCUB_304000_NS22TransformInputIteratorIbN2at6native12_GLOBAL__N_19NonZeroOpIN3c104HalfEEEPKSF_lEEPiiNS8_6detail34convert_binary_result_type_wrapperINS8_3SumESJ_iEEEE10hipError_tPvRmT1_T2_T3_mT4_P12ihipStream_tbEUlT_E0_NS1_11comp_targetILNS1_3genE4ELNS1_11target_archE910ELNS1_3gpuE8ELNS1_3repE0EEENS1_30default_config_static_selectorELNS0_4arch9wavefront6targetE0EEEvSS_
; %bb.0:
	.section	.rodata,"a",@progbits
	.p2align	6, 0x0
	.amdhsa_kernel _ZN7rocprim17ROCPRIM_400000_NS6detail17trampoline_kernelINS0_14default_configENS1_22reduce_config_selectorIbEEZNS1_11reduce_implILb1ES3_N6hipcub16HIPCUB_304000_NS22TransformInputIteratorIbN2at6native12_GLOBAL__N_19NonZeroOpIN3c104HalfEEEPKSF_lEEPiiNS8_6detail34convert_binary_result_type_wrapperINS8_3SumESJ_iEEEE10hipError_tPvRmT1_T2_T3_mT4_P12ihipStream_tbEUlT_E0_NS1_11comp_targetILNS1_3genE4ELNS1_11target_archE910ELNS1_3gpuE8ELNS1_3repE0EEENS1_30default_config_static_selectorELNS0_4arch9wavefront6targetE0EEEvSS_
		.amdhsa_group_segment_fixed_size 0
		.amdhsa_private_segment_fixed_size 0
		.amdhsa_kernarg_size 64
		.amdhsa_user_sgpr_count 15
		.amdhsa_user_sgpr_dispatch_ptr 0
		.amdhsa_user_sgpr_queue_ptr 0
		.amdhsa_user_sgpr_kernarg_segment_ptr 1
		.amdhsa_user_sgpr_dispatch_id 0
		.amdhsa_user_sgpr_private_segment_size 0
		.amdhsa_wavefront_size32 1
		.amdhsa_uses_dynamic_stack 0
		.amdhsa_enable_private_segment 0
		.amdhsa_system_sgpr_workgroup_id_x 1
		.amdhsa_system_sgpr_workgroup_id_y 0
		.amdhsa_system_sgpr_workgroup_id_z 0
		.amdhsa_system_sgpr_workgroup_info 0
		.amdhsa_system_vgpr_workitem_id 0
		.amdhsa_next_free_vgpr 1
		.amdhsa_next_free_sgpr 1
		.amdhsa_reserve_vcc 0
		.amdhsa_float_round_mode_32 0
		.amdhsa_float_round_mode_16_64 0
		.amdhsa_float_denorm_mode_32 3
		.amdhsa_float_denorm_mode_16_64 3
		.amdhsa_dx10_clamp 1
		.amdhsa_ieee_mode 1
		.amdhsa_fp16_overflow 0
		.amdhsa_workgroup_processor_mode 1
		.amdhsa_memory_ordered 1
		.amdhsa_forward_progress 0
		.amdhsa_shared_vgpr_count 0
		.amdhsa_exception_fp_ieee_invalid_op 0
		.amdhsa_exception_fp_denorm_src 0
		.amdhsa_exception_fp_ieee_div_zero 0
		.amdhsa_exception_fp_ieee_overflow 0
		.amdhsa_exception_fp_ieee_underflow 0
		.amdhsa_exception_fp_ieee_inexact 0
		.amdhsa_exception_int_div_zero 0
	.end_amdhsa_kernel
	.section	.text._ZN7rocprim17ROCPRIM_400000_NS6detail17trampoline_kernelINS0_14default_configENS1_22reduce_config_selectorIbEEZNS1_11reduce_implILb1ES3_N6hipcub16HIPCUB_304000_NS22TransformInputIteratorIbN2at6native12_GLOBAL__N_19NonZeroOpIN3c104HalfEEEPKSF_lEEPiiNS8_6detail34convert_binary_result_type_wrapperINS8_3SumESJ_iEEEE10hipError_tPvRmT1_T2_T3_mT4_P12ihipStream_tbEUlT_E0_NS1_11comp_targetILNS1_3genE4ELNS1_11target_archE910ELNS1_3gpuE8ELNS1_3repE0EEENS1_30default_config_static_selectorELNS0_4arch9wavefront6targetE0EEEvSS_,"axG",@progbits,_ZN7rocprim17ROCPRIM_400000_NS6detail17trampoline_kernelINS0_14default_configENS1_22reduce_config_selectorIbEEZNS1_11reduce_implILb1ES3_N6hipcub16HIPCUB_304000_NS22TransformInputIteratorIbN2at6native12_GLOBAL__N_19NonZeroOpIN3c104HalfEEEPKSF_lEEPiiNS8_6detail34convert_binary_result_type_wrapperINS8_3SumESJ_iEEEE10hipError_tPvRmT1_T2_T3_mT4_P12ihipStream_tbEUlT_E0_NS1_11comp_targetILNS1_3genE4ELNS1_11target_archE910ELNS1_3gpuE8ELNS1_3repE0EEENS1_30default_config_static_selectorELNS0_4arch9wavefront6targetE0EEEvSS_,comdat
.Lfunc_end850:
	.size	_ZN7rocprim17ROCPRIM_400000_NS6detail17trampoline_kernelINS0_14default_configENS1_22reduce_config_selectorIbEEZNS1_11reduce_implILb1ES3_N6hipcub16HIPCUB_304000_NS22TransformInputIteratorIbN2at6native12_GLOBAL__N_19NonZeroOpIN3c104HalfEEEPKSF_lEEPiiNS8_6detail34convert_binary_result_type_wrapperINS8_3SumESJ_iEEEE10hipError_tPvRmT1_T2_T3_mT4_P12ihipStream_tbEUlT_E0_NS1_11comp_targetILNS1_3genE4ELNS1_11target_archE910ELNS1_3gpuE8ELNS1_3repE0EEENS1_30default_config_static_selectorELNS0_4arch9wavefront6targetE0EEEvSS_, .Lfunc_end850-_ZN7rocprim17ROCPRIM_400000_NS6detail17trampoline_kernelINS0_14default_configENS1_22reduce_config_selectorIbEEZNS1_11reduce_implILb1ES3_N6hipcub16HIPCUB_304000_NS22TransformInputIteratorIbN2at6native12_GLOBAL__N_19NonZeroOpIN3c104HalfEEEPKSF_lEEPiiNS8_6detail34convert_binary_result_type_wrapperINS8_3SumESJ_iEEEE10hipError_tPvRmT1_T2_T3_mT4_P12ihipStream_tbEUlT_E0_NS1_11comp_targetILNS1_3genE4ELNS1_11target_archE910ELNS1_3gpuE8ELNS1_3repE0EEENS1_30default_config_static_selectorELNS0_4arch9wavefront6targetE0EEEvSS_
                                        ; -- End function
	.section	.AMDGPU.csdata,"",@progbits
; Kernel info:
; codeLenInByte = 0
; NumSgprs: 0
; NumVgprs: 0
; ScratchSize: 0
; MemoryBound: 0
; FloatMode: 240
; IeeeMode: 1
; LDSByteSize: 0 bytes/workgroup (compile time only)
; SGPRBlocks: 0
; VGPRBlocks: 0
; NumSGPRsForWavesPerEU: 1
; NumVGPRsForWavesPerEU: 1
; Occupancy: 16
; WaveLimiterHint : 0
; COMPUTE_PGM_RSRC2:SCRATCH_EN: 0
; COMPUTE_PGM_RSRC2:USER_SGPR: 15
; COMPUTE_PGM_RSRC2:TRAP_HANDLER: 0
; COMPUTE_PGM_RSRC2:TGID_X_EN: 1
; COMPUTE_PGM_RSRC2:TGID_Y_EN: 0
; COMPUTE_PGM_RSRC2:TGID_Z_EN: 0
; COMPUTE_PGM_RSRC2:TIDIG_COMP_CNT: 0
	.section	.text._ZN7rocprim17ROCPRIM_400000_NS6detail17trampoline_kernelINS0_14default_configENS1_22reduce_config_selectorIbEEZNS1_11reduce_implILb1ES3_N6hipcub16HIPCUB_304000_NS22TransformInputIteratorIbN2at6native12_GLOBAL__N_19NonZeroOpIN3c104HalfEEEPKSF_lEEPiiNS8_6detail34convert_binary_result_type_wrapperINS8_3SumESJ_iEEEE10hipError_tPvRmT1_T2_T3_mT4_P12ihipStream_tbEUlT_E0_NS1_11comp_targetILNS1_3genE3ELNS1_11target_archE908ELNS1_3gpuE7ELNS1_3repE0EEENS1_30default_config_static_selectorELNS0_4arch9wavefront6targetE0EEEvSS_,"axG",@progbits,_ZN7rocprim17ROCPRIM_400000_NS6detail17trampoline_kernelINS0_14default_configENS1_22reduce_config_selectorIbEEZNS1_11reduce_implILb1ES3_N6hipcub16HIPCUB_304000_NS22TransformInputIteratorIbN2at6native12_GLOBAL__N_19NonZeroOpIN3c104HalfEEEPKSF_lEEPiiNS8_6detail34convert_binary_result_type_wrapperINS8_3SumESJ_iEEEE10hipError_tPvRmT1_T2_T3_mT4_P12ihipStream_tbEUlT_E0_NS1_11comp_targetILNS1_3genE3ELNS1_11target_archE908ELNS1_3gpuE7ELNS1_3repE0EEENS1_30default_config_static_selectorELNS0_4arch9wavefront6targetE0EEEvSS_,comdat
	.globl	_ZN7rocprim17ROCPRIM_400000_NS6detail17trampoline_kernelINS0_14default_configENS1_22reduce_config_selectorIbEEZNS1_11reduce_implILb1ES3_N6hipcub16HIPCUB_304000_NS22TransformInputIteratorIbN2at6native12_GLOBAL__N_19NonZeroOpIN3c104HalfEEEPKSF_lEEPiiNS8_6detail34convert_binary_result_type_wrapperINS8_3SumESJ_iEEEE10hipError_tPvRmT1_T2_T3_mT4_P12ihipStream_tbEUlT_E0_NS1_11comp_targetILNS1_3genE3ELNS1_11target_archE908ELNS1_3gpuE7ELNS1_3repE0EEENS1_30default_config_static_selectorELNS0_4arch9wavefront6targetE0EEEvSS_ ; -- Begin function _ZN7rocprim17ROCPRIM_400000_NS6detail17trampoline_kernelINS0_14default_configENS1_22reduce_config_selectorIbEEZNS1_11reduce_implILb1ES3_N6hipcub16HIPCUB_304000_NS22TransformInputIteratorIbN2at6native12_GLOBAL__N_19NonZeroOpIN3c104HalfEEEPKSF_lEEPiiNS8_6detail34convert_binary_result_type_wrapperINS8_3SumESJ_iEEEE10hipError_tPvRmT1_T2_T3_mT4_P12ihipStream_tbEUlT_E0_NS1_11comp_targetILNS1_3genE3ELNS1_11target_archE908ELNS1_3gpuE7ELNS1_3repE0EEENS1_30default_config_static_selectorELNS0_4arch9wavefront6targetE0EEEvSS_
	.p2align	8
	.type	_ZN7rocprim17ROCPRIM_400000_NS6detail17trampoline_kernelINS0_14default_configENS1_22reduce_config_selectorIbEEZNS1_11reduce_implILb1ES3_N6hipcub16HIPCUB_304000_NS22TransformInputIteratorIbN2at6native12_GLOBAL__N_19NonZeroOpIN3c104HalfEEEPKSF_lEEPiiNS8_6detail34convert_binary_result_type_wrapperINS8_3SumESJ_iEEEE10hipError_tPvRmT1_T2_T3_mT4_P12ihipStream_tbEUlT_E0_NS1_11comp_targetILNS1_3genE3ELNS1_11target_archE908ELNS1_3gpuE7ELNS1_3repE0EEENS1_30default_config_static_selectorELNS0_4arch9wavefront6targetE0EEEvSS_,@function
_ZN7rocprim17ROCPRIM_400000_NS6detail17trampoline_kernelINS0_14default_configENS1_22reduce_config_selectorIbEEZNS1_11reduce_implILb1ES3_N6hipcub16HIPCUB_304000_NS22TransformInputIteratorIbN2at6native12_GLOBAL__N_19NonZeroOpIN3c104HalfEEEPKSF_lEEPiiNS8_6detail34convert_binary_result_type_wrapperINS8_3SumESJ_iEEEE10hipError_tPvRmT1_T2_T3_mT4_P12ihipStream_tbEUlT_E0_NS1_11comp_targetILNS1_3genE3ELNS1_11target_archE908ELNS1_3gpuE7ELNS1_3repE0EEENS1_30default_config_static_selectorELNS0_4arch9wavefront6targetE0EEEvSS_: ; @_ZN7rocprim17ROCPRIM_400000_NS6detail17trampoline_kernelINS0_14default_configENS1_22reduce_config_selectorIbEEZNS1_11reduce_implILb1ES3_N6hipcub16HIPCUB_304000_NS22TransformInputIteratorIbN2at6native12_GLOBAL__N_19NonZeroOpIN3c104HalfEEEPKSF_lEEPiiNS8_6detail34convert_binary_result_type_wrapperINS8_3SumESJ_iEEEE10hipError_tPvRmT1_T2_T3_mT4_P12ihipStream_tbEUlT_E0_NS1_11comp_targetILNS1_3genE3ELNS1_11target_archE908ELNS1_3gpuE7ELNS1_3repE0EEENS1_30default_config_static_selectorELNS0_4arch9wavefront6targetE0EEEvSS_
; %bb.0:
	.section	.rodata,"a",@progbits
	.p2align	6, 0x0
	.amdhsa_kernel _ZN7rocprim17ROCPRIM_400000_NS6detail17trampoline_kernelINS0_14default_configENS1_22reduce_config_selectorIbEEZNS1_11reduce_implILb1ES3_N6hipcub16HIPCUB_304000_NS22TransformInputIteratorIbN2at6native12_GLOBAL__N_19NonZeroOpIN3c104HalfEEEPKSF_lEEPiiNS8_6detail34convert_binary_result_type_wrapperINS8_3SumESJ_iEEEE10hipError_tPvRmT1_T2_T3_mT4_P12ihipStream_tbEUlT_E0_NS1_11comp_targetILNS1_3genE3ELNS1_11target_archE908ELNS1_3gpuE7ELNS1_3repE0EEENS1_30default_config_static_selectorELNS0_4arch9wavefront6targetE0EEEvSS_
		.amdhsa_group_segment_fixed_size 0
		.amdhsa_private_segment_fixed_size 0
		.amdhsa_kernarg_size 64
		.amdhsa_user_sgpr_count 15
		.amdhsa_user_sgpr_dispatch_ptr 0
		.amdhsa_user_sgpr_queue_ptr 0
		.amdhsa_user_sgpr_kernarg_segment_ptr 1
		.amdhsa_user_sgpr_dispatch_id 0
		.amdhsa_user_sgpr_private_segment_size 0
		.amdhsa_wavefront_size32 1
		.amdhsa_uses_dynamic_stack 0
		.amdhsa_enable_private_segment 0
		.amdhsa_system_sgpr_workgroup_id_x 1
		.amdhsa_system_sgpr_workgroup_id_y 0
		.amdhsa_system_sgpr_workgroup_id_z 0
		.amdhsa_system_sgpr_workgroup_info 0
		.amdhsa_system_vgpr_workitem_id 0
		.amdhsa_next_free_vgpr 1
		.amdhsa_next_free_sgpr 1
		.amdhsa_reserve_vcc 0
		.amdhsa_float_round_mode_32 0
		.amdhsa_float_round_mode_16_64 0
		.amdhsa_float_denorm_mode_32 3
		.amdhsa_float_denorm_mode_16_64 3
		.amdhsa_dx10_clamp 1
		.amdhsa_ieee_mode 1
		.amdhsa_fp16_overflow 0
		.amdhsa_workgroup_processor_mode 1
		.amdhsa_memory_ordered 1
		.amdhsa_forward_progress 0
		.amdhsa_shared_vgpr_count 0
		.amdhsa_exception_fp_ieee_invalid_op 0
		.amdhsa_exception_fp_denorm_src 0
		.amdhsa_exception_fp_ieee_div_zero 0
		.amdhsa_exception_fp_ieee_overflow 0
		.amdhsa_exception_fp_ieee_underflow 0
		.amdhsa_exception_fp_ieee_inexact 0
		.amdhsa_exception_int_div_zero 0
	.end_amdhsa_kernel
	.section	.text._ZN7rocprim17ROCPRIM_400000_NS6detail17trampoline_kernelINS0_14default_configENS1_22reduce_config_selectorIbEEZNS1_11reduce_implILb1ES3_N6hipcub16HIPCUB_304000_NS22TransformInputIteratorIbN2at6native12_GLOBAL__N_19NonZeroOpIN3c104HalfEEEPKSF_lEEPiiNS8_6detail34convert_binary_result_type_wrapperINS8_3SumESJ_iEEEE10hipError_tPvRmT1_T2_T3_mT4_P12ihipStream_tbEUlT_E0_NS1_11comp_targetILNS1_3genE3ELNS1_11target_archE908ELNS1_3gpuE7ELNS1_3repE0EEENS1_30default_config_static_selectorELNS0_4arch9wavefront6targetE0EEEvSS_,"axG",@progbits,_ZN7rocprim17ROCPRIM_400000_NS6detail17trampoline_kernelINS0_14default_configENS1_22reduce_config_selectorIbEEZNS1_11reduce_implILb1ES3_N6hipcub16HIPCUB_304000_NS22TransformInputIteratorIbN2at6native12_GLOBAL__N_19NonZeroOpIN3c104HalfEEEPKSF_lEEPiiNS8_6detail34convert_binary_result_type_wrapperINS8_3SumESJ_iEEEE10hipError_tPvRmT1_T2_T3_mT4_P12ihipStream_tbEUlT_E0_NS1_11comp_targetILNS1_3genE3ELNS1_11target_archE908ELNS1_3gpuE7ELNS1_3repE0EEENS1_30default_config_static_selectorELNS0_4arch9wavefront6targetE0EEEvSS_,comdat
.Lfunc_end851:
	.size	_ZN7rocprim17ROCPRIM_400000_NS6detail17trampoline_kernelINS0_14default_configENS1_22reduce_config_selectorIbEEZNS1_11reduce_implILb1ES3_N6hipcub16HIPCUB_304000_NS22TransformInputIteratorIbN2at6native12_GLOBAL__N_19NonZeroOpIN3c104HalfEEEPKSF_lEEPiiNS8_6detail34convert_binary_result_type_wrapperINS8_3SumESJ_iEEEE10hipError_tPvRmT1_T2_T3_mT4_P12ihipStream_tbEUlT_E0_NS1_11comp_targetILNS1_3genE3ELNS1_11target_archE908ELNS1_3gpuE7ELNS1_3repE0EEENS1_30default_config_static_selectorELNS0_4arch9wavefront6targetE0EEEvSS_, .Lfunc_end851-_ZN7rocprim17ROCPRIM_400000_NS6detail17trampoline_kernelINS0_14default_configENS1_22reduce_config_selectorIbEEZNS1_11reduce_implILb1ES3_N6hipcub16HIPCUB_304000_NS22TransformInputIteratorIbN2at6native12_GLOBAL__N_19NonZeroOpIN3c104HalfEEEPKSF_lEEPiiNS8_6detail34convert_binary_result_type_wrapperINS8_3SumESJ_iEEEE10hipError_tPvRmT1_T2_T3_mT4_P12ihipStream_tbEUlT_E0_NS1_11comp_targetILNS1_3genE3ELNS1_11target_archE908ELNS1_3gpuE7ELNS1_3repE0EEENS1_30default_config_static_selectorELNS0_4arch9wavefront6targetE0EEEvSS_
                                        ; -- End function
	.section	.AMDGPU.csdata,"",@progbits
; Kernel info:
; codeLenInByte = 0
; NumSgprs: 0
; NumVgprs: 0
; ScratchSize: 0
; MemoryBound: 0
; FloatMode: 240
; IeeeMode: 1
; LDSByteSize: 0 bytes/workgroup (compile time only)
; SGPRBlocks: 0
; VGPRBlocks: 0
; NumSGPRsForWavesPerEU: 1
; NumVGPRsForWavesPerEU: 1
; Occupancy: 16
; WaveLimiterHint : 0
; COMPUTE_PGM_RSRC2:SCRATCH_EN: 0
; COMPUTE_PGM_RSRC2:USER_SGPR: 15
; COMPUTE_PGM_RSRC2:TRAP_HANDLER: 0
; COMPUTE_PGM_RSRC2:TGID_X_EN: 1
; COMPUTE_PGM_RSRC2:TGID_Y_EN: 0
; COMPUTE_PGM_RSRC2:TGID_Z_EN: 0
; COMPUTE_PGM_RSRC2:TIDIG_COMP_CNT: 0
	.section	.text._ZN7rocprim17ROCPRIM_400000_NS6detail17trampoline_kernelINS0_14default_configENS1_22reduce_config_selectorIbEEZNS1_11reduce_implILb1ES3_N6hipcub16HIPCUB_304000_NS22TransformInputIteratorIbN2at6native12_GLOBAL__N_19NonZeroOpIN3c104HalfEEEPKSF_lEEPiiNS8_6detail34convert_binary_result_type_wrapperINS8_3SumESJ_iEEEE10hipError_tPvRmT1_T2_T3_mT4_P12ihipStream_tbEUlT_E0_NS1_11comp_targetILNS1_3genE2ELNS1_11target_archE906ELNS1_3gpuE6ELNS1_3repE0EEENS1_30default_config_static_selectorELNS0_4arch9wavefront6targetE0EEEvSS_,"axG",@progbits,_ZN7rocprim17ROCPRIM_400000_NS6detail17trampoline_kernelINS0_14default_configENS1_22reduce_config_selectorIbEEZNS1_11reduce_implILb1ES3_N6hipcub16HIPCUB_304000_NS22TransformInputIteratorIbN2at6native12_GLOBAL__N_19NonZeroOpIN3c104HalfEEEPKSF_lEEPiiNS8_6detail34convert_binary_result_type_wrapperINS8_3SumESJ_iEEEE10hipError_tPvRmT1_T2_T3_mT4_P12ihipStream_tbEUlT_E0_NS1_11comp_targetILNS1_3genE2ELNS1_11target_archE906ELNS1_3gpuE6ELNS1_3repE0EEENS1_30default_config_static_selectorELNS0_4arch9wavefront6targetE0EEEvSS_,comdat
	.globl	_ZN7rocprim17ROCPRIM_400000_NS6detail17trampoline_kernelINS0_14default_configENS1_22reduce_config_selectorIbEEZNS1_11reduce_implILb1ES3_N6hipcub16HIPCUB_304000_NS22TransformInputIteratorIbN2at6native12_GLOBAL__N_19NonZeroOpIN3c104HalfEEEPKSF_lEEPiiNS8_6detail34convert_binary_result_type_wrapperINS8_3SumESJ_iEEEE10hipError_tPvRmT1_T2_T3_mT4_P12ihipStream_tbEUlT_E0_NS1_11comp_targetILNS1_3genE2ELNS1_11target_archE906ELNS1_3gpuE6ELNS1_3repE0EEENS1_30default_config_static_selectorELNS0_4arch9wavefront6targetE0EEEvSS_ ; -- Begin function _ZN7rocprim17ROCPRIM_400000_NS6detail17trampoline_kernelINS0_14default_configENS1_22reduce_config_selectorIbEEZNS1_11reduce_implILb1ES3_N6hipcub16HIPCUB_304000_NS22TransformInputIteratorIbN2at6native12_GLOBAL__N_19NonZeroOpIN3c104HalfEEEPKSF_lEEPiiNS8_6detail34convert_binary_result_type_wrapperINS8_3SumESJ_iEEEE10hipError_tPvRmT1_T2_T3_mT4_P12ihipStream_tbEUlT_E0_NS1_11comp_targetILNS1_3genE2ELNS1_11target_archE906ELNS1_3gpuE6ELNS1_3repE0EEENS1_30default_config_static_selectorELNS0_4arch9wavefront6targetE0EEEvSS_
	.p2align	8
	.type	_ZN7rocprim17ROCPRIM_400000_NS6detail17trampoline_kernelINS0_14default_configENS1_22reduce_config_selectorIbEEZNS1_11reduce_implILb1ES3_N6hipcub16HIPCUB_304000_NS22TransformInputIteratorIbN2at6native12_GLOBAL__N_19NonZeroOpIN3c104HalfEEEPKSF_lEEPiiNS8_6detail34convert_binary_result_type_wrapperINS8_3SumESJ_iEEEE10hipError_tPvRmT1_T2_T3_mT4_P12ihipStream_tbEUlT_E0_NS1_11comp_targetILNS1_3genE2ELNS1_11target_archE906ELNS1_3gpuE6ELNS1_3repE0EEENS1_30default_config_static_selectorELNS0_4arch9wavefront6targetE0EEEvSS_,@function
_ZN7rocprim17ROCPRIM_400000_NS6detail17trampoline_kernelINS0_14default_configENS1_22reduce_config_selectorIbEEZNS1_11reduce_implILb1ES3_N6hipcub16HIPCUB_304000_NS22TransformInputIteratorIbN2at6native12_GLOBAL__N_19NonZeroOpIN3c104HalfEEEPKSF_lEEPiiNS8_6detail34convert_binary_result_type_wrapperINS8_3SumESJ_iEEEE10hipError_tPvRmT1_T2_T3_mT4_P12ihipStream_tbEUlT_E0_NS1_11comp_targetILNS1_3genE2ELNS1_11target_archE906ELNS1_3gpuE6ELNS1_3repE0EEENS1_30default_config_static_selectorELNS0_4arch9wavefront6targetE0EEEvSS_: ; @_ZN7rocprim17ROCPRIM_400000_NS6detail17trampoline_kernelINS0_14default_configENS1_22reduce_config_selectorIbEEZNS1_11reduce_implILb1ES3_N6hipcub16HIPCUB_304000_NS22TransformInputIteratorIbN2at6native12_GLOBAL__N_19NonZeroOpIN3c104HalfEEEPKSF_lEEPiiNS8_6detail34convert_binary_result_type_wrapperINS8_3SumESJ_iEEEE10hipError_tPvRmT1_T2_T3_mT4_P12ihipStream_tbEUlT_E0_NS1_11comp_targetILNS1_3genE2ELNS1_11target_archE906ELNS1_3gpuE6ELNS1_3repE0EEENS1_30default_config_static_selectorELNS0_4arch9wavefront6targetE0EEEvSS_
; %bb.0:
	.section	.rodata,"a",@progbits
	.p2align	6, 0x0
	.amdhsa_kernel _ZN7rocprim17ROCPRIM_400000_NS6detail17trampoline_kernelINS0_14default_configENS1_22reduce_config_selectorIbEEZNS1_11reduce_implILb1ES3_N6hipcub16HIPCUB_304000_NS22TransformInputIteratorIbN2at6native12_GLOBAL__N_19NonZeroOpIN3c104HalfEEEPKSF_lEEPiiNS8_6detail34convert_binary_result_type_wrapperINS8_3SumESJ_iEEEE10hipError_tPvRmT1_T2_T3_mT4_P12ihipStream_tbEUlT_E0_NS1_11comp_targetILNS1_3genE2ELNS1_11target_archE906ELNS1_3gpuE6ELNS1_3repE0EEENS1_30default_config_static_selectorELNS0_4arch9wavefront6targetE0EEEvSS_
		.amdhsa_group_segment_fixed_size 0
		.amdhsa_private_segment_fixed_size 0
		.amdhsa_kernarg_size 64
		.amdhsa_user_sgpr_count 15
		.amdhsa_user_sgpr_dispatch_ptr 0
		.amdhsa_user_sgpr_queue_ptr 0
		.amdhsa_user_sgpr_kernarg_segment_ptr 1
		.amdhsa_user_sgpr_dispatch_id 0
		.amdhsa_user_sgpr_private_segment_size 0
		.amdhsa_wavefront_size32 1
		.amdhsa_uses_dynamic_stack 0
		.amdhsa_enable_private_segment 0
		.amdhsa_system_sgpr_workgroup_id_x 1
		.amdhsa_system_sgpr_workgroup_id_y 0
		.amdhsa_system_sgpr_workgroup_id_z 0
		.amdhsa_system_sgpr_workgroup_info 0
		.amdhsa_system_vgpr_workitem_id 0
		.amdhsa_next_free_vgpr 1
		.amdhsa_next_free_sgpr 1
		.amdhsa_reserve_vcc 0
		.amdhsa_float_round_mode_32 0
		.amdhsa_float_round_mode_16_64 0
		.amdhsa_float_denorm_mode_32 3
		.amdhsa_float_denorm_mode_16_64 3
		.amdhsa_dx10_clamp 1
		.amdhsa_ieee_mode 1
		.amdhsa_fp16_overflow 0
		.amdhsa_workgroup_processor_mode 1
		.amdhsa_memory_ordered 1
		.amdhsa_forward_progress 0
		.amdhsa_shared_vgpr_count 0
		.amdhsa_exception_fp_ieee_invalid_op 0
		.amdhsa_exception_fp_denorm_src 0
		.amdhsa_exception_fp_ieee_div_zero 0
		.amdhsa_exception_fp_ieee_overflow 0
		.amdhsa_exception_fp_ieee_underflow 0
		.amdhsa_exception_fp_ieee_inexact 0
		.amdhsa_exception_int_div_zero 0
	.end_amdhsa_kernel
	.section	.text._ZN7rocprim17ROCPRIM_400000_NS6detail17trampoline_kernelINS0_14default_configENS1_22reduce_config_selectorIbEEZNS1_11reduce_implILb1ES3_N6hipcub16HIPCUB_304000_NS22TransformInputIteratorIbN2at6native12_GLOBAL__N_19NonZeroOpIN3c104HalfEEEPKSF_lEEPiiNS8_6detail34convert_binary_result_type_wrapperINS8_3SumESJ_iEEEE10hipError_tPvRmT1_T2_T3_mT4_P12ihipStream_tbEUlT_E0_NS1_11comp_targetILNS1_3genE2ELNS1_11target_archE906ELNS1_3gpuE6ELNS1_3repE0EEENS1_30default_config_static_selectorELNS0_4arch9wavefront6targetE0EEEvSS_,"axG",@progbits,_ZN7rocprim17ROCPRIM_400000_NS6detail17trampoline_kernelINS0_14default_configENS1_22reduce_config_selectorIbEEZNS1_11reduce_implILb1ES3_N6hipcub16HIPCUB_304000_NS22TransformInputIteratorIbN2at6native12_GLOBAL__N_19NonZeroOpIN3c104HalfEEEPKSF_lEEPiiNS8_6detail34convert_binary_result_type_wrapperINS8_3SumESJ_iEEEE10hipError_tPvRmT1_T2_T3_mT4_P12ihipStream_tbEUlT_E0_NS1_11comp_targetILNS1_3genE2ELNS1_11target_archE906ELNS1_3gpuE6ELNS1_3repE0EEENS1_30default_config_static_selectorELNS0_4arch9wavefront6targetE0EEEvSS_,comdat
.Lfunc_end852:
	.size	_ZN7rocprim17ROCPRIM_400000_NS6detail17trampoline_kernelINS0_14default_configENS1_22reduce_config_selectorIbEEZNS1_11reduce_implILb1ES3_N6hipcub16HIPCUB_304000_NS22TransformInputIteratorIbN2at6native12_GLOBAL__N_19NonZeroOpIN3c104HalfEEEPKSF_lEEPiiNS8_6detail34convert_binary_result_type_wrapperINS8_3SumESJ_iEEEE10hipError_tPvRmT1_T2_T3_mT4_P12ihipStream_tbEUlT_E0_NS1_11comp_targetILNS1_3genE2ELNS1_11target_archE906ELNS1_3gpuE6ELNS1_3repE0EEENS1_30default_config_static_selectorELNS0_4arch9wavefront6targetE0EEEvSS_, .Lfunc_end852-_ZN7rocprim17ROCPRIM_400000_NS6detail17trampoline_kernelINS0_14default_configENS1_22reduce_config_selectorIbEEZNS1_11reduce_implILb1ES3_N6hipcub16HIPCUB_304000_NS22TransformInputIteratorIbN2at6native12_GLOBAL__N_19NonZeroOpIN3c104HalfEEEPKSF_lEEPiiNS8_6detail34convert_binary_result_type_wrapperINS8_3SumESJ_iEEEE10hipError_tPvRmT1_T2_T3_mT4_P12ihipStream_tbEUlT_E0_NS1_11comp_targetILNS1_3genE2ELNS1_11target_archE906ELNS1_3gpuE6ELNS1_3repE0EEENS1_30default_config_static_selectorELNS0_4arch9wavefront6targetE0EEEvSS_
                                        ; -- End function
	.section	.AMDGPU.csdata,"",@progbits
; Kernel info:
; codeLenInByte = 0
; NumSgprs: 0
; NumVgprs: 0
; ScratchSize: 0
; MemoryBound: 0
; FloatMode: 240
; IeeeMode: 1
; LDSByteSize: 0 bytes/workgroup (compile time only)
; SGPRBlocks: 0
; VGPRBlocks: 0
; NumSGPRsForWavesPerEU: 1
; NumVGPRsForWavesPerEU: 1
; Occupancy: 16
; WaveLimiterHint : 0
; COMPUTE_PGM_RSRC2:SCRATCH_EN: 0
; COMPUTE_PGM_RSRC2:USER_SGPR: 15
; COMPUTE_PGM_RSRC2:TRAP_HANDLER: 0
; COMPUTE_PGM_RSRC2:TGID_X_EN: 1
; COMPUTE_PGM_RSRC2:TGID_Y_EN: 0
; COMPUTE_PGM_RSRC2:TGID_Z_EN: 0
; COMPUTE_PGM_RSRC2:TIDIG_COMP_CNT: 0
	.section	.text._ZN7rocprim17ROCPRIM_400000_NS6detail17trampoline_kernelINS0_14default_configENS1_22reduce_config_selectorIbEEZNS1_11reduce_implILb1ES3_N6hipcub16HIPCUB_304000_NS22TransformInputIteratorIbN2at6native12_GLOBAL__N_19NonZeroOpIN3c104HalfEEEPKSF_lEEPiiNS8_6detail34convert_binary_result_type_wrapperINS8_3SumESJ_iEEEE10hipError_tPvRmT1_T2_T3_mT4_P12ihipStream_tbEUlT_E0_NS1_11comp_targetILNS1_3genE10ELNS1_11target_archE1201ELNS1_3gpuE5ELNS1_3repE0EEENS1_30default_config_static_selectorELNS0_4arch9wavefront6targetE0EEEvSS_,"axG",@progbits,_ZN7rocprim17ROCPRIM_400000_NS6detail17trampoline_kernelINS0_14default_configENS1_22reduce_config_selectorIbEEZNS1_11reduce_implILb1ES3_N6hipcub16HIPCUB_304000_NS22TransformInputIteratorIbN2at6native12_GLOBAL__N_19NonZeroOpIN3c104HalfEEEPKSF_lEEPiiNS8_6detail34convert_binary_result_type_wrapperINS8_3SumESJ_iEEEE10hipError_tPvRmT1_T2_T3_mT4_P12ihipStream_tbEUlT_E0_NS1_11comp_targetILNS1_3genE10ELNS1_11target_archE1201ELNS1_3gpuE5ELNS1_3repE0EEENS1_30default_config_static_selectorELNS0_4arch9wavefront6targetE0EEEvSS_,comdat
	.globl	_ZN7rocprim17ROCPRIM_400000_NS6detail17trampoline_kernelINS0_14default_configENS1_22reduce_config_selectorIbEEZNS1_11reduce_implILb1ES3_N6hipcub16HIPCUB_304000_NS22TransformInputIteratorIbN2at6native12_GLOBAL__N_19NonZeroOpIN3c104HalfEEEPKSF_lEEPiiNS8_6detail34convert_binary_result_type_wrapperINS8_3SumESJ_iEEEE10hipError_tPvRmT1_T2_T3_mT4_P12ihipStream_tbEUlT_E0_NS1_11comp_targetILNS1_3genE10ELNS1_11target_archE1201ELNS1_3gpuE5ELNS1_3repE0EEENS1_30default_config_static_selectorELNS0_4arch9wavefront6targetE0EEEvSS_ ; -- Begin function _ZN7rocprim17ROCPRIM_400000_NS6detail17trampoline_kernelINS0_14default_configENS1_22reduce_config_selectorIbEEZNS1_11reduce_implILb1ES3_N6hipcub16HIPCUB_304000_NS22TransformInputIteratorIbN2at6native12_GLOBAL__N_19NonZeroOpIN3c104HalfEEEPKSF_lEEPiiNS8_6detail34convert_binary_result_type_wrapperINS8_3SumESJ_iEEEE10hipError_tPvRmT1_T2_T3_mT4_P12ihipStream_tbEUlT_E0_NS1_11comp_targetILNS1_3genE10ELNS1_11target_archE1201ELNS1_3gpuE5ELNS1_3repE0EEENS1_30default_config_static_selectorELNS0_4arch9wavefront6targetE0EEEvSS_
	.p2align	8
	.type	_ZN7rocprim17ROCPRIM_400000_NS6detail17trampoline_kernelINS0_14default_configENS1_22reduce_config_selectorIbEEZNS1_11reduce_implILb1ES3_N6hipcub16HIPCUB_304000_NS22TransformInputIteratorIbN2at6native12_GLOBAL__N_19NonZeroOpIN3c104HalfEEEPKSF_lEEPiiNS8_6detail34convert_binary_result_type_wrapperINS8_3SumESJ_iEEEE10hipError_tPvRmT1_T2_T3_mT4_P12ihipStream_tbEUlT_E0_NS1_11comp_targetILNS1_3genE10ELNS1_11target_archE1201ELNS1_3gpuE5ELNS1_3repE0EEENS1_30default_config_static_selectorELNS0_4arch9wavefront6targetE0EEEvSS_,@function
_ZN7rocprim17ROCPRIM_400000_NS6detail17trampoline_kernelINS0_14default_configENS1_22reduce_config_selectorIbEEZNS1_11reduce_implILb1ES3_N6hipcub16HIPCUB_304000_NS22TransformInputIteratorIbN2at6native12_GLOBAL__N_19NonZeroOpIN3c104HalfEEEPKSF_lEEPiiNS8_6detail34convert_binary_result_type_wrapperINS8_3SumESJ_iEEEE10hipError_tPvRmT1_T2_T3_mT4_P12ihipStream_tbEUlT_E0_NS1_11comp_targetILNS1_3genE10ELNS1_11target_archE1201ELNS1_3gpuE5ELNS1_3repE0EEENS1_30default_config_static_selectorELNS0_4arch9wavefront6targetE0EEEvSS_: ; @_ZN7rocprim17ROCPRIM_400000_NS6detail17trampoline_kernelINS0_14default_configENS1_22reduce_config_selectorIbEEZNS1_11reduce_implILb1ES3_N6hipcub16HIPCUB_304000_NS22TransformInputIteratorIbN2at6native12_GLOBAL__N_19NonZeroOpIN3c104HalfEEEPKSF_lEEPiiNS8_6detail34convert_binary_result_type_wrapperINS8_3SumESJ_iEEEE10hipError_tPvRmT1_T2_T3_mT4_P12ihipStream_tbEUlT_E0_NS1_11comp_targetILNS1_3genE10ELNS1_11target_archE1201ELNS1_3gpuE5ELNS1_3repE0EEENS1_30default_config_static_selectorELNS0_4arch9wavefront6targetE0EEEvSS_
; %bb.0:
	.section	.rodata,"a",@progbits
	.p2align	6, 0x0
	.amdhsa_kernel _ZN7rocprim17ROCPRIM_400000_NS6detail17trampoline_kernelINS0_14default_configENS1_22reduce_config_selectorIbEEZNS1_11reduce_implILb1ES3_N6hipcub16HIPCUB_304000_NS22TransformInputIteratorIbN2at6native12_GLOBAL__N_19NonZeroOpIN3c104HalfEEEPKSF_lEEPiiNS8_6detail34convert_binary_result_type_wrapperINS8_3SumESJ_iEEEE10hipError_tPvRmT1_T2_T3_mT4_P12ihipStream_tbEUlT_E0_NS1_11comp_targetILNS1_3genE10ELNS1_11target_archE1201ELNS1_3gpuE5ELNS1_3repE0EEENS1_30default_config_static_selectorELNS0_4arch9wavefront6targetE0EEEvSS_
		.amdhsa_group_segment_fixed_size 0
		.amdhsa_private_segment_fixed_size 0
		.amdhsa_kernarg_size 64
		.amdhsa_user_sgpr_count 15
		.amdhsa_user_sgpr_dispatch_ptr 0
		.amdhsa_user_sgpr_queue_ptr 0
		.amdhsa_user_sgpr_kernarg_segment_ptr 1
		.amdhsa_user_sgpr_dispatch_id 0
		.amdhsa_user_sgpr_private_segment_size 0
		.amdhsa_wavefront_size32 1
		.amdhsa_uses_dynamic_stack 0
		.amdhsa_enable_private_segment 0
		.amdhsa_system_sgpr_workgroup_id_x 1
		.amdhsa_system_sgpr_workgroup_id_y 0
		.amdhsa_system_sgpr_workgroup_id_z 0
		.amdhsa_system_sgpr_workgroup_info 0
		.amdhsa_system_vgpr_workitem_id 0
		.amdhsa_next_free_vgpr 1
		.amdhsa_next_free_sgpr 1
		.amdhsa_reserve_vcc 0
		.amdhsa_float_round_mode_32 0
		.amdhsa_float_round_mode_16_64 0
		.amdhsa_float_denorm_mode_32 3
		.amdhsa_float_denorm_mode_16_64 3
		.amdhsa_dx10_clamp 1
		.amdhsa_ieee_mode 1
		.amdhsa_fp16_overflow 0
		.amdhsa_workgroup_processor_mode 1
		.amdhsa_memory_ordered 1
		.amdhsa_forward_progress 0
		.amdhsa_shared_vgpr_count 0
		.amdhsa_exception_fp_ieee_invalid_op 0
		.amdhsa_exception_fp_denorm_src 0
		.amdhsa_exception_fp_ieee_div_zero 0
		.amdhsa_exception_fp_ieee_overflow 0
		.amdhsa_exception_fp_ieee_underflow 0
		.amdhsa_exception_fp_ieee_inexact 0
		.amdhsa_exception_int_div_zero 0
	.end_amdhsa_kernel
	.section	.text._ZN7rocprim17ROCPRIM_400000_NS6detail17trampoline_kernelINS0_14default_configENS1_22reduce_config_selectorIbEEZNS1_11reduce_implILb1ES3_N6hipcub16HIPCUB_304000_NS22TransformInputIteratorIbN2at6native12_GLOBAL__N_19NonZeroOpIN3c104HalfEEEPKSF_lEEPiiNS8_6detail34convert_binary_result_type_wrapperINS8_3SumESJ_iEEEE10hipError_tPvRmT1_T2_T3_mT4_P12ihipStream_tbEUlT_E0_NS1_11comp_targetILNS1_3genE10ELNS1_11target_archE1201ELNS1_3gpuE5ELNS1_3repE0EEENS1_30default_config_static_selectorELNS0_4arch9wavefront6targetE0EEEvSS_,"axG",@progbits,_ZN7rocprim17ROCPRIM_400000_NS6detail17trampoline_kernelINS0_14default_configENS1_22reduce_config_selectorIbEEZNS1_11reduce_implILb1ES3_N6hipcub16HIPCUB_304000_NS22TransformInputIteratorIbN2at6native12_GLOBAL__N_19NonZeroOpIN3c104HalfEEEPKSF_lEEPiiNS8_6detail34convert_binary_result_type_wrapperINS8_3SumESJ_iEEEE10hipError_tPvRmT1_T2_T3_mT4_P12ihipStream_tbEUlT_E0_NS1_11comp_targetILNS1_3genE10ELNS1_11target_archE1201ELNS1_3gpuE5ELNS1_3repE0EEENS1_30default_config_static_selectorELNS0_4arch9wavefront6targetE0EEEvSS_,comdat
.Lfunc_end853:
	.size	_ZN7rocprim17ROCPRIM_400000_NS6detail17trampoline_kernelINS0_14default_configENS1_22reduce_config_selectorIbEEZNS1_11reduce_implILb1ES3_N6hipcub16HIPCUB_304000_NS22TransformInputIteratorIbN2at6native12_GLOBAL__N_19NonZeroOpIN3c104HalfEEEPKSF_lEEPiiNS8_6detail34convert_binary_result_type_wrapperINS8_3SumESJ_iEEEE10hipError_tPvRmT1_T2_T3_mT4_P12ihipStream_tbEUlT_E0_NS1_11comp_targetILNS1_3genE10ELNS1_11target_archE1201ELNS1_3gpuE5ELNS1_3repE0EEENS1_30default_config_static_selectorELNS0_4arch9wavefront6targetE0EEEvSS_, .Lfunc_end853-_ZN7rocprim17ROCPRIM_400000_NS6detail17trampoline_kernelINS0_14default_configENS1_22reduce_config_selectorIbEEZNS1_11reduce_implILb1ES3_N6hipcub16HIPCUB_304000_NS22TransformInputIteratorIbN2at6native12_GLOBAL__N_19NonZeroOpIN3c104HalfEEEPKSF_lEEPiiNS8_6detail34convert_binary_result_type_wrapperINS8_3SumESJ_iEEEE10hipError_tPvRmT1_T2_T3_mT4_P12ihipStream_tbEUlT_E0_NS1_11comp_targetILNS1_3genE10ELNS1_11target_archE1201ELNS1_3gpuE5ELNS1_3repE0EEENS1_30default_config_static_selectorELNS0_4arch9wavefront6targetE0EEEvSS_
                                        ; -- End function
	.section	.AMDGPU.csdata,"",@progbits
; Kernel info:
; codeLenInByte = 0
; NumSgprs: 0
; NumVgprs: 0
; ScratchSize: 0
; MemoryBound: 0
; FloatMode: 240
; IeeeMode: 1
; LDSByteSize: 0 bytes/workgroup (compile time only)
; SGPRBlocks: 0
; VGPRBlocks: 0
; NumSGPRsForWavesPerEU: 1
; NumVGPRsForWavesPerEU: 1
; Occupancy: 16
; WaveLimiterHint : 0
; COMPUTE_PGM_RSRC2:SCRATCH_EN: 0
; COMPUTE_PGM_RSRC2:USER_SGPR: 15
; COMPUTE_PGM_RSRC2:TRAP_HANDLER: 0
; COMPUTE_PGM_RSRC2:TGID_X_EN: 1
; COMPUTE_PGM_RSRC2:TGID_Y_EN: 0
; COMPUTE_PGM_RSRC2:TGID_Z_EN: 0
; COMPUTE_PGM_RSRC2:TIDIG_COMP_CNT: 0
	.section	.text._ZN7rocprim17ROCPRIM_400000_NS6detail17trampoline_kernelINS0_14default_configENS1_22reduce_config_selectorIbEEZNS1_11reduce_implILb1ES3_N6hipcub16HIPCUB_304000_NS22TransformInputIteratorIbN2at6native12_GLOBAL__N_19NonZeroOpIN3c104HalfEEEPKSF_lEEPiiNS8_6detail34convert_binary_result_type_wrapperINS8_3SumESJ_iEEEE10hipError_tPvRmT1_T2_T3_mT4_P12ihipStream_tbEUlT_E0_NS1_11comp_targetILNS1_3genE10ELNS1_11target_archE1200ELNS1_3gpuE4ELNS1_3repE0EEENS1_30default_config_static_selectorELNS0_4arch9wavefront6targetE0EEEvSS_,"axG",@progbits,_ZN7rocprim17ROCPRIM_400000_NS6detail17trampoline_kernelINS0_14default_configENS1_22reduce_config_selectorIbEEZNS1_11reduce_implILb1ES3_N6hipcub16HIPCUB_304000_NS22TransformInputIteratorIbN2at6native12_GLOBAL__N_19NonZeroOpIN3c104HalfEEEPKSF_lEEPiiNS8_6detail34convert_binary_result_type_wrapperINS8_3SumESJ_iEEEE10hipError_tPvRmT1_T2_T3_mT4_P12ihipStream_tbEUlT_E0_NS1_11comp_targetILNS1_3genE10ELNS1_11target_archE1200ELNS1_3gpuE4ELNS1_3repE0EEENS1_30default_config_static_selectorELNS0_4arch9wavefront6targetE0EEEvSS_,comdat
	.globl	_ZN7rocprim17ROCPRIM_400000_NS6detail17trampoline_kernelINS0_14default_configENS1_22reduce_config_selectorIbEEZNS1_11reduce_implILb1ES3_N6hipcub16HIPCUB_304000_NS22TransformInputIteratorIbN2at6native12_GLOBAL__N_19NonZeroOpIN3c104HalfEEEPKSF_lEEPiiNS8_6detail34convert_binary_result_type_wrapperINS8_3SumESJ_iEEEE10hipError_tPvRmT1_T2_T3_mT4_P12ihipStream_tbEUlT_E0_NS1_11comp_targetILNS1_3genE10ELNS1_11target_archE1200ELNS1_3gpuE4ELNS1_3repE0EEENS1_30default_config_static_selectorELNS0_4arch9wavefront6targetE0EEEvSS_ ; -- Begin function _ZN7rocprim17ROCPRIM_400000_NS6detail17trampoline_kernelINS0_14default_configENS1_22reduce_config_selectorIbEEZNS1_11reduce_implILb1ES3_N6hipcub16HIPCUB_304000_NS22TransformInputIteratorIbN2at6native12_GLOBAL__N_19NonZeroOpIN3c104HalfEEEPKSF_lEEPiiNS8_6detail34convert_binary_result_type_wrapperINS8_3SumESJ_iEEEE10hipError_tPvRmT1_T2_T3_mT4_P12ihipStream_tbEUlT_E0_NS1_11comp_targetILNS1_3genE10ELNS1_11target_archE1200ELNS1_3gpuE4ELNS1_3repE0EEENS1_30default_config_static_selectorELNS0_4arch9wavefront6targetE0EEEvSS_
	.p2align	8
	.type	_ZN7rocprim17ROCPRIM_400000_NS6detail17trampoline_kernelINS0_14default_configENS1_22reduce_config_selectorIbEEZNS1_11reduce_implILb1ES3_N6hipcub16HIPCUB_304000_NS22TransformInputIteratorIbN2at6native12_GLOBAL__N_19NonZeroOpIN3c104HalfEEEPKSF_lEEPiiNS8_6detail34convert_binary_result_type_wrapperINS8_3SumESJ_iEEEE10hipError_tPvRmT1_T2_T3_mT4_P12ihipStream_tbEUlT_E0_NS1_11comp_targetILNS1_3genE10ELNS1_11target_archE1200ELNS1_3gpuE4ELNS1_3repE0EEENS1_30default_config_static_selectorELNS0_4arch9wavefront6targetE0EEEvSS_,@function
_ZN7rocprim17ROCPRIM_400000_NS6detail17trampoline_kernelINS0_14default_configENS1_22reduce_config_selectorIbEEZNS1_11reduce_implILb1ES3_N6hipcub16HIPCUB_304000_NS22TransformInputIteratorIbN2at6native12_GLOBAL__N_19NonZeroOpIN3c104HalfEEEPKSF_lEEPiiNS8_6detail34convert_binary_result_type_wrapperINS8_3SumESJ_iEEEE10hipError_tPvRmT1_T2_T3_mT4_P12ihipStream_tbEUlT_E0_NS1_11comp_targetILNS1_3genE10ELNS1_11target_archE1200ELNS1_3gpuE4ELNS1_3repE0EEENS1_30default_config_static_selectorELNS0_4arch9wavefront6targetE0EEEvSS_: ; @_ZN7rocprim17ROCPRIM_400000_NS6detail17trampoline_kernelINS0_14default_configENS1_22reduce_config_selectorIbEEZNS1_11reduce_implILb1ES3_N6hipcub16HIPCUB_304000_NS22TransformInputIteratorIbN2at6native12_GLOBAL__N_19NonZeroOpIN3c104HalfEEEPKSF_lEEPiiNS8_6detail34convert_binary_result_type_wrapperINS8_3SumESJ_iEEEE10hipError_tPvRmT1_T2_T3_mT4_P12ihipStream_tbEUlT_E0_NS1_11comp_targetILNS1_3genE10ELNS1_11target_archE1200ELNS1_3gpuE4ELNS1_3repE0EEENS1_30default_config_static_selectorELNS0_4arch9wavefront6targetE0EEEvSS_
; %bb.0:
	.section	.rodata,"a",@progbits
	.p2align	6, 0x0
	.amdhsa_kernel _ZN7rocprim17ROCPRIM_400000_NS6detail17trampoline_kernelINS0_14default_configENS1_22reduce_config_selectorIbEEZNS1_11reduce_implILb1ES3_N6hipcub16HIPCUB_304000_NS22TransformInputIteratorIbN2at6native12_GLOBAL__N_19NonZeroOpIN3c104HalfEEEPKSF_lEEPiiNS8_6detail34convert_binary_result_type_wrapperINS8_3SumESJ_iEEEE10hipError_tPvRmT1_T2_T3_mT4_P12ihipStream_tbEUlT_E0_NS1_11comp_targetILNS1_3genE10ELNS1_11target_archE1200ELNS1_3gpuE4ELNS1_3repE0EEENS1_30default_config_static_selectorELNS0_4arch9wavefront6targetE0EEEvSS_
		.amdhsa_group_segment_fixed_size 0
		.amdhsa_private_segment_fixed_size 0
		.amdhsa_kernarg_size 64
		.amdhsa_user_sgpr_count 15
		.amdhsa_user_sgpr_dispatch_ptr 0
		.amdhsa_user_sgpr_queue_ptr 0
		.amdhsa_user_sgpr_kernarg_segment_ptr 1
		.amdhsa_user_sgpr_dispatch_id 0
		.amdhsa_user_sgpr_private_segment_size 0
		.amdhsa_wavefront_size32 1
		.amdhsa_uses_dynamic_stack 0
		.amdhsa_enable_private_segment 0
		.amdhsa_system_sgpr_workgroup_id_x 1
		.amdhsa_system_sgpr_workgroup_id_y 0
		.amdhsa_system_sgpr_workgroup_id_z 0
		.amdhsa_system_sgpr_workgroup_info 0
		.amdhsa_system_vgpr_workitem_id 0
		.amdhsa_next_free_vgpr 1
		.amdhsa_next_free_sgpr 1
		.amdhsa_reserve_vcc 0
		.amdhsa_float_round_mode_32 0
		.amdhsa_float_round_mode_16_64 0
		.amdhsa_float_denorm_mode_32 3
		.amdhsa_float_denorm_mode_16_64 3
		.amdhsa_dx10_clamp 1
		.amdhsa_ieee_mode 1
		.amdhsa_fp16_overflow 0
		.amdhsa_workgroup_processor_mode 1
		.amdhsa_memory_ordered 1
		.amdhsa_forward_progress 0
		.amdhsa_shared_vgpr_count 0
		.amdhsa_exception_fp_ieee_invalid_op 0
		.amdhsa_exception_fp_denorm_src 0
		.amdhsa_exception_fp_ieee_div_zero 0
		.amdhsa_exception_fp_ieee_overflow 0
		.amdhsa_exception_fp_ieee_underflow 0
		.amdhsa_exception_fp_ieee_inexact 0
		.amdhsa_exception_int_div_zero 0
	.end_amdhsa_kernel
	.section	.text._ZN7rocprim17ROCPRIM_400000_NS6detail17trampoline_kernelINS0_14default_configENS1_22reduce_config_selectorIbEEZNS1_11reduce_implILb1ES3_N6hipcub16HIPCUB_304000_NS22TransformInputIteratorIbN2at6native12_GLOBAL__N_19NonZeroOpIN3c104HalfEEEPKSF_lEEPiiNS8_6detail34convert_binary_result_type_wrapperINS8_3SumESJ_iEEEE10hipError_tPvRmT1_T2_T3_mT4_P12ihipStream_tbEUlT_E0_NS1_11comp_targetILNS1_3genE10ELNS1_11target_archE1200ELNS1_3gpuE4ELNS1_3repE0EEENS1_30default_config_static_selectorELNS0_4arch9wavefront6targetE0EEEvSS_,"axG",@progbits,_ZN7rocprim17ROCPRIM_400000_NS6detail17trampoline_kernelINS0_14default_configENS1_22reduce_config_selectorIbEEZNS1_11reduce_implILb1ES3_N6hipcub16HIPCUB_304000_NS22TransformInputIteratorIbN2at6native12_GLOBAL__N_19NonZeroOpIN3c104HalfEEEPKSF_lEEPiiNS8_6detail34convert_binary_result_type_wrapperINS8_3SumESJ_iEEEE10hipError_tPvRmT1_T2_T3_mT4_P12ihipStream_tbEUlT_E0_NS1_11comp_targetILNS1_3genE10ELNS1_11target_archE1200ELNS1_3gpuE4ELNS1_3repE0EEENS1_30default_config_static_selectorELNS0_4arch9wavefront6targetE0EEEvSS_,comdat
.Lfunc_end854:
	.size	_ZN7rocprim17ROCPRIM_400000_NS6detail17trampoline_kernelINS0_14default_configENS1_22reduce_config_selectorIbEEZNS1_11reduce_implILb1ES3_N6hipcub16HIPCUB_304000_NS22TransformInputIteratorIbN2at6native12_GLOBAL__N_19NonZeroOpIN3c104HalfEEEPKSF_lEEPiiNS8_6detail34convert_binary_result_type_wrapperINS8_3SumESJ_iEEEE10hipError_tPvRmT1_T2_T3_mT4_P12ihipStream_tbEUlT_E0_NS1_11comp_targetILNS1_3genE10ELNS1_11target_archE1200ELNS1_3gpuE4ELNS1_3repE0EEENS1_30default_config_static_selectorELNS0_4arch9wavefront6targetE0EEEvSS_, .Lfunc_end854-_ZN7rocprim17ROCPRIM_400000_NS6detail17trampoline_kernelINS0_14default_configENS1_22reduce_config_selectorIbEEZNS1_11reduce_implILb1ES3_N6hipcub16HIPCUB_304000_NS22TransformInputIteratorIbN2at6native12_GLOBAL__N_19NonZeroOpIN3c104HalfEEEPKSF_lEEPiiNS8_6detail34convert_binary_result_type_wrapperINS8_3SumESJ_iEEEE10hipError_tPvRmT1_T2_T3_mT4_P12ihipStream_tbEUlT_E0_NS1_11comp_targetILNS1_3genE10ELNS1_11target_archE1200ELNS1_3gpuE4ELNS1_3repE0EEENS1_30default_config_static_selectorELNS0_4arch9wavefront6targetE0EEEvSS_
                                        ; -- End function
	.section	.AMDGPU.csdata,"",@progbits
; Kernel info:
; codeLenInByte = 0
; NumSgprs: 0
; NumVgprs: 0
; ScratchSize: 0
; MemoryBound: 0
; FloatMode: 240
; IeeeMode: 1
; LDSByteSize: 0 bytes/workgroup (compile time only)
; SGPRBlocks: 0
; VGPRBlocks: 0
; NumSGPRsForWavesPerEU: 1
; NumVGPRsForWavesPerEU: 1
; Occupancy: 16
; WaveLimiterHint : 0
; COMPUTE_PGM_RSRC2:SCRATCH_EN: 0
; COMPUTE_PGM_RSRC2:USER_SGPR: 15
; COMPUTE_PGM_RSRC2:TRAP_HANDLER: 0
; COMPUTE_PGM_RSRC2:TGID_X_EN: 1
; COMPUTE_PGM_RSRC2:TGID_Y_EN: 0
; COMPUTE_PGM_RSRC2:TGID_Z_EN: 0
; COMPUTE_PGM_RSRC2:TIDIG_COMP_CNT: 0
	.section	.text._ZN7rocprim17ROCPRIM_400000_NS6detail17trampoline_kernelINS0_14default_configENS1_22reduce_config_selectorIbEEZNS1_11reduce_implILb1ES3_N6hipcub16HIPCUB_304000_NS22TransformInputIteratorIbN2at6native12_GLOBAL__N_19NonZeroOpIN3c104HalfEEEPKSF_lEEPiiNS8_6detail34convert_binary_result_type_wrapperINS8_3SumESJ_iEEEE10hipError_tPvRmT1_T2_T3_mT4_P12ihipStream_tbEUlT_E0_NS1_11comp_targetILNS1_3genE9ELNS1_11target_archE1100ELNS1_3gpuE3ELNS1_3repE0EEENS1_30default_config_static_selectorELNS0_4arch9wavefront6targetE0EEEvSS_,"axG",@progbits,_ZN7rocprim17ROCPRIM_400000_NS6detail17trampoline_kernelINS0_14default_configENS1_22reduce_config_selectorIbEEZNS1_11reduce_implILb1ES3_N6hipcub16HIPCUB_304000_NS22TransformInputIteratorIbN2at6native12_GLOBAL__N_19NonZeroOpIN3c104HalfEEEPKSF_lEEPiiNS8_6detail34convert_binary_result_type_wrapperINS8_3SumESJ_iEEEE10hipError_tPvRmT1_T2_T3_mT4_P12ihipStream_tbEUlT_E0_NS1_11comp_targetILNS1_3genE9ELNS1_11target_archE1100ELNS1_3gpuE3ELNS1_3repE0EEENS1_30default_config_static_selectorELNS0_4arch9wavefront6targetE0EEEvSS_,comdat
	.globl	_ZN7rocprim17ROCPRIM_400000_NS6detail17trampoline_kernelINS0_14default_configENS1_22reduce_config_selectorIbEEZNS1_11reduce_implILb1ES3_N6hipcub16HIPCUB_304000_NS22TransformInputIteratorIbN2at6native12_GLOBAL__N_19NonZeroOpIN3c104HalfEEEPKSF_lEEPiiNS8_6detail34convert_binary_result_type_wrapperINS8_3SumESJ_iEEEE10hipError_tPvRmT1_T2_T3_mT4_P12ihipStream_tbEUlT_E0_NS1_11comp_targetILNS1_3genE9ELNS1_11target_archE1100ELNS1_3gpuE3ELNS1_3repE0EEENS1_30default_config_static_selectorELNS0_4arch9wavefront6targetE0EEEvSS_ ; -- Begin function _ZN7rocprim17ROCPRIM_400000_NS6detail17trampoline_kernelINS0_14default_configENS1_22reduce_config_selectorIbEEZNS1_11reduce_implILb1ES3_N6hipcub16HIPCUB_304000_NS22TransformInputIteratorIbN2at6native12_GLOBAL__N_19NonZeroOpIN3c104HalfEEEPKSF_lEEPiiNS8_6detail34convert_binary_result_type_wrapperINS8_3SumESJ_iEEEE10hipError_tPvRmT1_T2_T3_mT4_P12ihipStream_tbEUlT_E0_NS1_11comp_targetILNS1_3genE9ELNS1_11target_archE1100ELNS1_3gpuE3ELNS1_3repE0EEENS1_30default_config_static_selectorELNS0_4arch9wavefront6targetE0EEEvSS_
	.p2align	8
	.type	_ZN7rocprim17ROCPRIM_400000_NS6detail17trampoline_kernelINS0_14default_configENS1_22reduce_config_selectorIbEEZNS1_11reduce_implILb1ES3_N6hipcub16HIPCUB_304000_NS22TransformInputIteratorIbN2at6native12_GLOBAL__N_19NonZeroOpIN3c104HalfEEEPKSF_lEEPiiNS8_6detail34convert_binary_result_type_wrapperINS8_3SumESJ_iEEEE10hipError_tPvRmT1_T2_T3_mT4_P12ihipStream_tbEUlT_E0_NS1_11comp_targetILNS1_3genE9ELNS1_11target_archE1100ELNS1_3gpuE3ELNS1_3repE0EEENS1_30default_config_static_selectorELNS0_4arch9wavefront6targetE0EEEvSS_,@function
_ZN7rocprim17ROCPRIM_400000_NS6detail17trampoline_kernelINS0_14default_configENS1_22reduce_config_selectorIbEEZNS1_11reduce_implILb1ES3_N6hipcub16HIPCUB_304000_NS22TransformInputIteratorIbN2at6native12_GLOBAL__N_19NonZeroOpIN3c104HalfEEEPKSF_lEEPiiNS8_6detail34convert_binary_result_type_wrapperINS8_3SumESJ_iEEEE10hipError_tPvRmT1_T2_T3_mT4_P12ihipStream_tbEUlT_E0_NS1_11comp_targetILNS1_3genE9ELNS1_11target_archE1100ELNS1_3gpuE3ELNS1_3repE0EEENS1_30default_config_static_selectorELNS0_4arch9wavefront6targetE0EEEvSS_: ; @_ZN7rocprim17ROCPRIM_400000_NS6detail17trampoline_kernelINS0_14default_configENS1_22reduce_config_selectorIbEEZNS1_11reduce_implILb1ES3_N6hipcub16HIPCUB_304000_NS22TransformInputIteratorIbN2at6native12_GLOBAL__N_19NonZeroOpIN3c104HalfEEEPKSF_lEEPiiNS8_6detail34convert_binary_result_type_wrapperINS8_3SumESJ_iEEEE10hipError_tPvRmT1_T2_T3_mT4_P12ihipStream_tbEUlT_E0_NS1_11comp_targetILNS1_3genE9ELNS1_11target_archE1100ELNS1_3gpuE3ELNS1_3repE0EEENS1_30default_config_static_selectorELNS0_4arch9wavefront6targetE0EEEvSS_
; %bb.0:
	s_clause 0x2
	s_load_b256 s[16:23], s[0:1], 0x10
	s_load_b64 s[4:5], s[0:1], 0x0
	s_load_b64 s[26:27], s[0:1], 0x30
	s_mov_b32 s3, 0
	v_lshlrev_b32_e32 v18, 1, v0
	v_mbcnt_lo_u32_b32 v17, -1, 0
	s_mov_b32 s24, s15
	s_mov_b32 s25, s3
	s_waitcnt lgkmcnt(0)
	s_lshl_b64 s[6:7], s[16:17], 1
	s_delay_alu instid0(SALU_CYCLE_1) | instskip(SKIP_4) | instid1(SALU_CYCLE_1)
	s_add_u32 s8, s4, s6
	s_addc_u32 s9, s5, s7
	s_lshl_b32 s2, s15, 11
	s_lshr_b64 s[6:7], s[18:19], 11
	s_lshl_b64 s[4:5], s[2:3], 1
	s_add_u32 s16, s8, s4
	s_addc_u32 s17, s9, s5
	s_cmp_lg_u64 s[6:7], s[24:25]
	s_cbranch_scc0 .LBB855_6
; %bb.1:
	s_clause 0xf
	global_load_u16 v1, v18, s[16:17]
	global_load_u16 v2, v18, s[16:17] offset:256
	global_load_u16 v3, v18, s[16:17] offset:512
	;; [unrolled: 1-line block ×15, first 2 shown]
	s_mov_b32 s3, exec_lo
	s_waitcnt vmcnt(15)
	v_and_b32_e32 v1, 0x7fff, v1
	s_waitcnt vmcnt(14)
	v_and_b32_e32 v2, 0x7fff, v2
	;; [unrolled: 2-line block ×5, first 2 shown]
	v_cmp_ne_u16_e32 vcc_lo, 0, v1
	s_waitcnt vmcnt(9)
	v_and_b32_e32 v7, 0x7fff, v7
	v_and_b32_e32 v6, 0x7fff, v6
	s_waitcnt vmcnt(7)
	v_and_b32_e32 v9, 0x7fff, v9
	v_and_b32_e32 v8, 0x7fff, v8
	v_cndmask_b32_e64 v1, 0, 1, vcc_lo
	v_cmp_ne_u16_e32 vcc_lo, 0, v3
	s_waitcnt vmcnt(5)
	v_and_b32_e32 v11, 0x7fff, v11
	v_and_b32_e32 v10, 0x7fff, v10
	s_waitcnt vmcnt(3)
	v_and_b32_e32 v13, 0x7fff, v13
	v_and_b32_e32 v12, 0x7fff, v12
	v_cndmask_b32_e64 v3, 0, 1, vcc_lo
	v_cmp_ne_u16_e32 vcc_lo, 0, v2
	s_waitcnt vmcnt(1)
	v_and_b32_e32 v15, 0x7fff, v15
	v_and_b32_e32 v14, 0x7fff, v14
	s_waitcnt vmcnt(0)
	v_and_b32_e32 v16, 0x7fff, v16
	v_add_co_ci_u32_e32 v1, vcc_lo, 0, v1, vcc_lo
	v_cmp_ne_u16_e32 vcc_lo, 0, v5
	v_cndmask_b32_e64 v2, 0, 1, vcc_lo
	v_cmp_ne_u16_e32 vcc_lo, 0, v4
	s_delay_alu instid0(VALU_DEP_4) | instskip(SKIP_3) | instid1(VALU_DEP_4)
	v_add_co_ci_u32_e32 v1, vcc_lo, v1, v3, vcc_lo
	v_cmp_ne_u16_e32 vcc_lo, 0, v7
	v_cndmask_b32_e64 v3, 0, 1, vcc_lo
	v_cmp_ne_u16_e32 vcc_lo, 0, v6
	v_add_co_ci_u32_e32 v1, vcc_lo, v1, v2, vcc_lo
	v_cmp_ne_u16_e32 vcc_lo, 0, v9
	v_cndmask_b32_e64 v2, 0, 1, vcc_lo
	v_cmp_ne_u16_e32 vcc_lo, 0, v8
	s_delay_alu instid0(VALU_DEP_4) | instskip(SKIP_3) | instid1(VALU_DEP_4)
	v_add_co_ci_u32_e32 v1, vcc_lo, v1, v3, vcc_lo
	v_cmp_ne_u16_e32 vcc_lo, 0, v11
	v_cndmask_b32_e64 v3, 0, 1, vcc_lo
	v_cmp_ne_u16_e32 vcc_lo, 0, v10
	;; [unrolled: 9-line block ×3, first 2 shown]
	v_add_co_ci_u32_e32 v1, vcc_lo, v1, v2, vcc_lo
	v_cmp_ne_u16_e32 vcc_lo, 0, v16
	s_delay_alu instid0(VALU_DEP_2) | instskip(NEXT) | instid1(VALU_DEP_1)
	v_add_co_ci_u32_e32 v1, vcc_lo, v1, v3, vcc_lo
	v_mov_b32_dpp v2, v1 quad_perm:[1,0,3,2] row_mask:0xf bank_mask:0xf
	s_delay_alu instid0(VALU_DEP_1) | instskip(NEXT) | instid1(VALU_DEP_1)
	v_add_nc_u32_e32 v1, v1, v2
	v_mov_b32_dpp v2, v1 quad_perm:[2,3,0,1] row_mask:0xf bank_mask:0xf
	s_delay_alu instid0(VALU_DEP_1) | instskip(NEXT) | instid1(VALU_DEP_1)
	v_add_nc_u32_e32 v1, v1, v2
	v_mov_b32_dpp v2, v1 row_ror:4 row_mask:0xf bank_mask:0xf
	s_delay_alu instid0(VALU_DEP_1) | instskip(NEXT) | instid1(VALU_DEP_1)
	v_add_nc_u32_e32 v1, v1, v2
	v_mov_b32_dpp v2, v1 row_ror:8 row_mask:0xf bank_mask:0xf
	s_delay_alu instid0(VALU_DEP_1)
	v_add_nc_u32_e32 v1, v1, v2
	ds_swizzle_b32 v2, v1 offset:swizzle(BROADCAST,32,15)
	s_waitcnt lgkmcnt(0)
	v_dual_mov_b32 v2, 0 :: v_dual_add_nc_u32 v1, v1, v2
	ds_bpermute_b32 v1, v2, v1 offset:124
	v_cmpx_eq_u32_e32 0, v17
	s_cbranch_execz .LBB855_3
; %bb.2:
	v_lshrrev_b32_e32 v2, 3, v0
	s_delay_alu instid0(VALU_DEP_1)
	v_and_b32_e32 v2, 12, v2
	s_waitcnt lgkmcnt(0)
	ds_store_b32 v2, v1
.LBB855_3:
	s_or_b32 exec_lo, exec_lo, s3
	s_delay_alu instid0(SALU_CYCLE_1)
	s_mov_b32 s3, exec_lo
	s_waitcnt lgkmcnt(0)
	s_barrier
	buffer_gl0_inv
	v_cmpx_gt_u32_e32 32, v0
	s_cbranch_execz .LBB855_5
; %bb.4:
	v_and_b32_e32 v1, 3, v17
	s_delay_alu instid0(VALU_DEP_1) | instskip(SKIP_4) | instid1(VALU_DEP_2)
	v_lshlrev_b32_e32 v2, 2, v1
	v_cmp_ne_u32_e32 vcc_lo, 3, v1
	ds_load_b32 v2, v2
	v_add_co_ci_u32_e32 v3, vcc_lo, 0, v17, vcc_lo
	v_cmp_gt_u32_e32 vcc_lo, 2, v1
	v_lshlrev_b32_e32 v3, 2, v3
	v_cndmask_b32_e64 v1, 0, 1, vcc_lo
	s_delay_alu instid0(VALU_DEP_1) | instskip(NEXT) | instid1(VALU_DEP_1)
	v_lshlrev_b32_e32 v1, 1, v1
	v_add_lshl_u32 v1, v1, v17, 2
	s_waitcnt lgkmcnt(0)
	ds_bpermute_b32 v3, v3, v2
	s_waitcnt lgkmcnt(0)
	v_add_nc_u32_e32 v2, v3, v2
	ds_bpermute_b32 v1, v1, v2
	s_waitcnt lgkmcnt(0)
	v_add_nc_u32_e32 v1, v1, v2
.LBB855_5:
	s_or_b32 exec_lo, exec_lo, s3
	s_branch .LBB855_44
.LBB855_6:
                                        ; implicit-def: $vgpr1
	s_cbranch_execz .LBB855_44
; %bb.7:
	s_sub_i32 s28, s18, s2
	s_mov_b32 s2, exec_lo
                                        ; implicit-def: $vgpr1_vgpr2_vgpr3_vgpr4_vgpr5_vgpr6_vgpr7_vgpr8_vgpr9_vgpr10_vgpr11_vgpr12_vgpr13_vgpr14_vgpr15_vgpr16
	v_cmpx_gt_u32_e64 s28, v0
	s_cbranch_execz .LBB855_9
; %bb.8:
	global_load_u16 v1, v18, s[16:17]
	s_waitcnt vmcnt(0)
	v_and_b32_e32 v1, 0x7fff, v1
	s_delay_alu instid0(VALU_DEP_1)
	v_cmp_ne_u16_e32 vcc_lo, 0, v1
	v_cndmask_b32_e64 v1, 0, 1, vcc_lo
.LBB855_9:
	s_or_b32 exec_lo, exec_lo, s2
	v_or_b32_e32 v19, 0x80, v0
	s_delay_alu instid0(VALU_DEP_1)
	v_cmp_gt_u32_e32 vcc_lo, s28, v19
	s_and_saveexec_b32 s3, vcc_lo
	s_cbranch_execz .LBB855_11
; %bb.10:
	global_load_u16 v2, v18, s[16:17] offset:256
	s_waitcnt vmcnt(0)
	v_and_b32_e32 v2, 0x7fff, v2
	s_delay_alu instid0(VALU_DEP_1) | instskip(NEXT) | instid1(VALU_DEP_1)
	v_cmp_ne_u16_e64 s2, 0, v2
	v_cndmask_b32_e64 v2, 0, 1, s2
.LBB855_11:
	s_or_b32 exec_lo, exec_lo, s3
	v_or_b32_e32 v19, 0x100, v0
	s_delay_alu instid0(VALU_DEP_1) | instskip(NEXT) | instid1(VALU_DEP_1)
	v_cmp_gt_u32_e64 s2, s28, v19
	s_and_saveexec_b32 s4, s2
	s_cbranch_execz .LBB855_13
; %bb.12:
	global_load_u16 v3, v18, s[16:17] offset:512
	s_waitcnt vmcnt(0)
	v_and_b32_e32 v3, 0x7fff, v3
	s_delay_alu instid0(VALU_DEP_1) | instskip(NEXT) | instid1(VALU_DEP_1)
	v_cmp_ne_u16_e64 s3, 0, v3
	v_cndmask_b32_e64 v3, 0, 1, s3
.LBB855_13:
	s_or_b32 exec_lo, exec_lo, s4
	v_or_b32_e32 v19, 0x180, v0
	s_delay_alu instid0(VALU_DEP_1) | instskip(NEXT) | instid1(VALU_DEP_1)
	v_cmp_gt_u32_e64 s3, s28, v19
	s_and_saveexec_b32 s5, s3
	;; [unrolled: 14-line block ×14, first 2 shown]
	s_cbranch_execz .LBB855_39
; %bb.38:
	global_load_u16 v16, v18, s[16:17] offset:3840
	s_waitcnt vmcnt(0)
	v_and_b32_e32 v16, 0x7fff, v16
	s_delay_alu instid0(VALU_DEP_1) | instskip(NEXT) | instid1(VALU_DEP_1)
	v_cmp_ne_u16_e64 s16, 0, v16
	v_cndmask_b32_e64 v16, 0, 1, s16
.LBB855_39:
	s_or_b32 exec_lo, exec_lo, s29
	v_cndmask_b32_e32 v2, 0, v2, vcc_lo
	v_cndmask_b32_e64 v3, 0, v3, s2
	v_cndmask_b32_e64 v4, 0, v4, s3
	v_cmp_ne_u32_e32 vcc_lo, 31, v17
	s_min_u32 s2, s28, 0x80
	v_add_nc_u32_e32 v1, v2, v1
	v_cndmask_b32_e64 v2, 0, v5, s4
	v_cndmask_b32_e64 v5, 0, v6, s5
	v_cndmask_b32_e64 v6, 0, v15, s14
	s_mov_b32 s3, exec_lo
	v_add3_u32 v1, v1, v3, v4
	v_cndmask_b32_e64 v3, 0, v7, s6
	v_cndmask_b32_e64 v4, 0, v8, s7
	s_delay_alu instid0(VALU_DEP_3) | instskip(SKIP_2) | instid1(VALU_DEP_3)
	v_add3_u32 v1, v1, v2, v5
	v_cndmask_b32_e64 v2, 0, v9, s8
	v_cndmask_b32_e64 v5, 0, v10, s9
	v_add3_u32 v1, v1, v3, v4
	v_cndmask_b32_e64 v3, 0, v11, s10
	v_cndmask_b32_e64 v4, 0, v12, s11
	s_delay_alu instid0(VALU_DEP_3) | instskip(SKIP_2) | instid1(VALU_DEP_3)
	v_add3_u32 v1, v1, v2, v5
	v_cndmask_b32_e64 v2, 0, v13, s12
	v_cndmask_b32_e64 v5, 0, v14, s13
	v_add3_u32 v1, v1, v3, v4
	v_cndmask_b32_e64 v3, 0, v16, s15
	v_add_co_ci_u32_e32 v4, vcc_lo, 0, v17, vcc_lo
	v_cmp_gt_u32_e32 vcc_lo, 30, v17
	s_delay_alu instid0(VALU_DEP_4) | instskip(NEXT) | instid1(VALU_DEP_3)
	v_add3_u32 v1, v1, v2, v5
	v_lshlrev_b32_e32 v2, 2, v4
	v_add_nc_u32_e32 v4, 1, v17
	v_cndmask_b32_e64 v5, 0, 1, vcc_lo
	s_delay_alu instid0(VALU_DEP_4) | instskip(SKIP_1) | instid1(VALU_DEP_3)
	v_add3_u32 v1, v1, v6, v3
	v_and_b32_e32 v3, 0x60, v0
	v_lshlrev_b32_e32 v5, 1, v5
	ds_bpermute_b32 v2, v2, v1
	v_sub_nc_u32_e64 v3, s2, v3 clamp
	s_delay_alu instid0(VALU_DEP_1) | instskip(SKIP_4) | instid1(VALU_DEP_2)
	v_cmp_lt_u32_e32 vcc_lo, v4, v3
	v_add_lshl_u32 v4, v5, v17, 2
	s_waitcnt lgkmcnt(0)
	v_dual_cndmask_b32 v2, 0, v2 :: v_dual_add_nc_u32 v5, 2, v17
	v_cmp_gt_u32_e32 vcc_lo, 28, v17
	v_add_nc_u32_e32 v1, v1, v2
	ds_bpermute_b32 v2, v4, v1
	v_cndmask_b32_e64 v4, 0, 1, vcc_lo
	v_cmp_lt_u32_e32 vcc_lo, v5, v3
	v_add_nc_u32_e32 v5, 4, v17
	s_delay_alu instid0(VALU_DEP_3) | instskip(NEXT) | instid1(VALU_DEP_1)
	v_lshlrev_b32_e32 v4, 2, v4
	v_add_lshl_u32 v4, v4, v17, 2
	s_waitcnt lgkmcnt(0)
	v_cndmask_b32_e32 v2, 0, v2, vcc_lo
	v_cmp_gt_u32_e32 vcc_lo, 24, v17
	s_delay_alu instid0(VALU_DEP_2) | instskip(SKIP_4) | instid1(VALU_DEP_3)
	v_add_nc_u32_e32 v1, v1, v2
	ds_bpermute_b32 v2, v4, v1
	v_cndmask_b32_e64 v4, 0, 1, vcc_lo
	v_cmp_lt_u32_e32 vcc_lo, v5, v3
	v_add_nc_u32_e32 v5, 8, v17
	v_lshlrev_b32_e32 v4, 3, v4
	s_delay_alu instid0(VALU_DEP_1) | instskip(SKIP_3) | instid1(VALU_DEP_2)
	v_add_lshl_u32 v4, v4, v17, 2
	s_waitcnt lgkmcnt(0)
	v_cndmask_b32_e32 v2, 0, v2, vcc_lo
	v_cmp_gt_u32_e32 vcc_lo, 16, v17
	v_add_nc_u32_e32 v1, v1, v2
	ds_bpermute_b32 v2, v4, v1
	v_cndmask_b32_e64 v4, 0, 1, vcc_lo
	v_cmp_lt_u32_e32 vcc_lo, v5, v3
	s_delay_alu instid0(VALU_DEP_2) | instskip(NEXT) | instid1(VALU_DEP_1)
	v_lshlrev_b32_e32 v4, 4, v4
	v_add_lshl_u32 v4, v4, v17, 2
	s_waitcnt lgkmcnt(0)
	v_cndmask_b32_e32 v2, 0, v2, vcc_lo
	s_delay_alu instid0(VALU_DEP_1) | instskip(SKIP_2) | instid1(VALU_DEP_1)
	v_add_nc_u32_e32 v1, v1, v2
	ds_bpermute_b32 v2, v4, v1
	v_add_nc_u32_e32 v4, 16, v17
	v_cmp_lt_u32_e32 vcc_lo, v4, v3
	s_waitcnt lgkmcnt(0)
	v_cndmask_b32_e32 v2, 0, v2, vcc_lo
	s_delay_alu instid0(VALU_DEP_1)
	v_add_nc_u32_e32 v1, v1, v2
	v_cmpx_eq_u32_e32 0, v17
	s_cbranch_execz .LBB855_41
; %bb.40:
	v_lshrrev_b32_e32 v2, 3, v0
	s_delay_alu instid0(VALU_DEP_1)
	v_and_b32_e32 v2, 12, v2
	ds_store_b32 v2, v1 offset:16
.LBB855_41:
	s_or_b32 exec_lo, exec_lo, s3
	s_delay_alu instid0(SALU_CYCLE_1)
	s_mov_b32 s3, exec_lo
	s_waitcnt lgkmcnt(0)
	s_barrier
	buffer_gl0_inv
	v_cmpx_gt_u32_e32 4, v0
	s_cbranch_execz .LBB855_43
; %bb.42:
	v_lshlrev_b32_e32 v1, 2, v17
	v_and_b32_e32 v2, 3, v17
	s_add_i32 s2, s2, 31
	s_delay_alu instid0(SALU_CYCLE_1)
	s_lshr_b32 s2, s2, 5
	ds_load_b32 v1, v1 offset:16
	v_cmp_ne_u32_e32 vcc_lo, 3, v2
	v_add_nc_u32_e32 v4, 1, v2
	v_add_co_ci_u32_e32 v3, vcc_lo, 0, v17, vcc_lo
	v_cmp_gt_u32_e32 vcc_lo, 2, v2
	s_delay_alu instid0(VALU_DEP_2) | instskip(SKIP_2) | instid1(VALU_DEP_2)
	v_lshlrev_b32_e32 v3, 2, v3
	v_cndmask_b32_e64 v5, 0, 1, vcc_lo
	v_cmp_gt_u32_e32 vcc_lo, s2, v4
	v_lshlrev_b32_e32 v4, 1, v5
	s_waitcnt lgkmcnt(0)
	ds_bpermute_b32 v3, v3, v1
	s_waitcnt lgkmcnt(0)
	v_dual_cndmask_b32 v3, 0, v3 :: v_dual_add_nc_u32 v2, 2, v2
	s_delay_alu instid0(VALU_DEP_1) | instskip(SKIP_1) | instid1(VALU_DEP_3)
	v_add_nc_u32_e32 v1, v3, v1
	v_add_lshl_u32 v3, v4, v17, 2
	v_cmp_gt_u32_e32 vcc_lo, s2, v2
	ds_bpermute_b32 v3, v3, v1
	s_waitcnt lgkmcnt(0)
	v_cndmask_b32_e32 v2, 0, v3, vcc_lo
	s_delay_alu instid0(VALU_DEP_1)
	v_add_nc_u32_e32 v1, v1, v2
.LBB855_43:
	s_or_b32 exec_lo, exec_lo, s3
.LBB855_44:
	s_load_b32 s0, s[0:1], 0x38
	s_mov_b32 s1, exec_lo
	v_cmpx_eq_u32_e32 0, v0
	s_cbranch_execz .LBB855_46
; %bb.45:
	s_mul_i32 s1, s26, s23
	s_mul_hi_u32 s2, s26, s22
	s_mul_i32 s3, s27, s22
	s_add_i32 s1, s2, s1
	s_mul_i32 s2, s26, s22
	s_add_i32 s3, s1, s3
	s_delay_alu instid0(SALU_CYCLE_1) | instskip(NEXT) | instid1(SALU_CYCLE_1)
	s_lshl_b64 s[2:3], s[2:3], 2
	s_add_u32 s2, s20, s2
	s_addc_u32 s3, s21, s3
	s_cmp_eq_u64 s[18:19], 0
	s_cselect_b32 s1, -1, 0
	s_waitcnt lgkmcnt(0)
	v_cndmask_b32_e64 v0, v1, s0, s1
	s_lshl_b64 s[0:1], s[24:25], 2
	v_mov_b32_e32 v1, 0
	s_add_u32 s0, s2, s0
	s_addc_u32 s1, s3, s1
	global_store_b32 v1, v0, s[0:1]
.LBB855_46:
	s_nop 0
	s_sendmsg sendmsg(MSG_DEALLOC_VGPRS)
	s_endpgm
	.section	.rodata,"a",@progbits
	.p2align	6, 0x0
	.amdhsa_kernel _ZN7rocprim17ROCPRIM_400000_NS6detail17trampoline_kernelINS0_14default_configENS1_22reduce_config_selectorIbEEZNS1_11reduce_implILb1ES3_N6hipcub16HIPCUB_304000_NS22TransformInputIteratorIbN2at6native12_GLOBAL__N_19NonZeroOpIN3c104HalfEEEPKSF_lEEPiiNS8_6detail34convert_binary_result_type_wrapperINS8_3SumESJ_iEEEE10hipError_tPvRmT1_T2_T3_mT4_P12ihipStream_tbEUlT_E0_NS1_11comp_targetILNS1_3genE9ELNS1_11target_archE1100ELNS1_3gpuE3ELNS1_3repE0EEENS1_30default_config_static_selectorELNS0_4arch9wavefront6targetE0EEEvSS_
		.amdhsa_group_segment_fixed_size 32
		.amdhsa_private_segment_fixed_size 0
		.amdhsa_kernarg_size 64
		.amdhsa_user_sgpr_count 15
		.amdhsa_user_sgpr_dispatch_ptr 0
		.amdhsa_user_sgpr_queue_ptr 0
		.amdhsa_user_sgpr_kernarg_segment_ptr 1
		.amdhsa_user_sgpr_dispatch_id 0
		.amdhsa_user_sgpr_private_segment_size 0
		.amdhsa_wavefront_size32 1
		.amdhsa_uses_dynamic_stack 0
		.amdhsa_enable_private_segment 0
		.amdhsa_system_sgpr_workgroup_id_x 1
		.amdhsa_system_sgpr_workgroup_id_y 0
		.amdhsa_system_sgpr_workgroup_id_z 0
		.amdhsa_system_sgpr_workgroup_info 0
		.amdhsa_system_vgpr_workitem_id 0
		.amdhsa_next_free_vgpr 20
		.amdhsa_next_free_sgpr 30
		.amdhsa_reserve_vcc 1
		.amdhsa_float_round_mode_32 0
		.amdhsa_float_round_mode_16_64 0
		.amdhsa_float_denorm_mode_32 3
		.amdhsa_float_denorm_mode_16_64 3
		.amdhsa_dx10_clamp 1
		.amdhsa_ieee_mode 1
		.amdhsa_fp16_overflow 0
		.amdhsa_workgroup_processor_mode 1
		.amdhsa_memory_ordered 1
		.amdhsa_forward_progress 0
		.amdhsa_shared_vgpr_count 0
		.amdhsa_exception_fp_ieee_invalid_op 0
		.amdhsa_exception_fp_denorm_src 0
		.amdhsa_exception_fp_ieee_div_zero 0
		.amdhsa_exception_fp_ieee_overflow 0
		.amdhsa_exception_fp_ieee_underflow 0
		.amdhsa_exception_fp_ieee_inexact 0
		.amdhsa_exception_int_div_zero 0
	.end_amdhsa_kernel
	.section	.text._ZN7rocprim17ROCPRIM_400000_NS6detail17trampoline_kernelINS0_14default_configENS1_22reduce_config_selectorIbEEZNS1_11reduce_implILb1ES3_N6hipcub16HIPCUB_304000_NS22TransformInputIteratorIbN2at6native12_GLOBAL__N_19NonZeroOpIN3c104HalfEEEPKSF_lEEPiiNS8_6detail34convert_binary_result_type_wrapperINS8_3SumESJ_iEEEE10hipError_tPvRmT1_T2_T3_mT4_P12ihipStream_tbEUlT_E0_NS1_11comp_targetILNS1_3genE9ELNS1_11target_archE1100ELNS1_3gpuE3ELNS1_3repE0EEENS1_30default_config_static_selectorELNS0_4arch9wavefront6targetE0EEEvSS_,"axG",@progbits,_ZN7rocprim17ROCPRIM_400000_NS6detail17trampoline_kernelINS0_14default_configENS1_22reduce_config_selectorIbEEZNS1_11reduce_implILb1ES3_N6hipcub16HIPCUB_304000_NS22TransformInputIteratorIbN2at6native12_GLOBAL__N_19NonZeroOpIN3c104HalfEEEPKSF_lEEPiiNS8_6detail34convert_binary_result_type_wrapperINS8_3SumESJ_iEEEE10hipError_tPvRmT1_T2_T3_mT4_P12ihipStream_tbEUlT_E0_NS1_11comp_targetILNS1_3genE9ELNS1_11target_archE1100ELNS1_3gpuE3ELNS1_3repE0EEENS1_30default_config_static_selectorELNS0_4arch9wavefront6targetE0EEEvSS_,comdat
.Lfunc_end855:
	.size	_ZN7rocprim17ROCPRIM_400000_NS6detail17trampoline_kernelINS0_14default_configENS1_22reduce_config_selectorIbEEZNS1_11reduce_implILb1ES3_N6hipcub16HIPCUB_304000_NS22TransformInputIteratorIbN2at6native12_GLOBAL__N_19NonZeroOpIN3c104HalfEEEPKSF_lEEPiiNS8_6detail34convert_binary_result_type_wrapperINS8_3SumESJ_iEEEE10hipError_tPvRmT1_T2_T3_mT4_P12ihipStream_tbEUlT_E0_NS1_11comp_targetILNS1_3genE9ELNS1_11target_archE1100ELNS1_3gpuE3ELNS1_3repE0EEENS1_30default_config_static_selectorELNS0_4arch9wavefront6targetE0EEEvSS_, .Lfunc_end855-_ZN7rocprim17ROCPRIM_400000_NS6detail17trampoline_kernelINS0_14default_configENS1_22reduce_config_selectorIbEEZNS1_11reduce_implILb1ES3_N6hipcub16HIPCUB_304000_NS22TransformInputIteratorIbN2at6native12_GLOBAL__N_19NonZeroOpIN3c104HalfEEEPKSF_lEEPiiNS8_6detail34convert_binary_result_type_wrapperINS8_3SumESJ_iEEEE10hipError_tPvRmT1_T2_T3_mT4_P12ihipStream_tbEUlT_E0_NS1_11comp_targetILNS1_3genE9ELNS1_11target_archE1100ELNS1_3gpuE3ELNS1_3repE0EEENS1_30default_config_static_selectorELNS0_4arch9wavefront6targetE0EEEvSS_
                                        ; -- End function
	.section	.AMDGPU.csdata,"",@progbits
; Kernel info:
; codeLenInByte = 2804
; NumSgprs: 32
; NumVgprs: 20
; ScratchSize: 0
; MemoryBound: 0
; FloatMode: 240
; IeeeMode: 1
; LDSByteSize: 32 bytes/workgroup (compile time only)
; SGPRBlocks: 3
; VGPRBlocks: 2
; NumSGPRsForWavesPerEU: 32
; NumVGPRsForWavesPerEU: 20
; Occupancy: 16
; WaveLimiterHint : 1
; COMPUTE_PGM_RSRC2:SCRATCH_EN: 0
; COMPUTE_PGM_RSRC2:USER_SGPR: 15
; COMPUTE_PGM_RSRC2:TRAP_HANDLER: 0
; COMPUTE_PGM_RSRC2:TGID_X_EN: 1
; COMPUTE_PGM_RSRC2:TGID_Y_EN: 0
; COMPUTE_PGM_RSRC2:TGID_Z_EN: 0
; COMPUTE_PGM_RSRC2:TIDIG_COMP_CNT: 0
	.section	.text._ZN7rocprim17ROCPRIM_400000_NS6detail17trampoline_kernelINS0_14default_configENS1_22reduce_config_selectorIbEEZNS1_11reduce_implILb1ES3_N6hipcub16HIPCUB_304000_NS22TransformInputIteratorIbN2at6native12_GLOBAL__N_19NonZeroOpIN3c104HalfEEEPKSF_lEEPiiNS8_6detail34convert_binary_result_type_wrapperINS8_3SumESJ_iEEEE10hipError_tPvRmT1_T2_T3_mT4_P12ihipStream_tbEUlT_E0_NS1_11comp_targetILNS1_3genE8ELNS1_11target_archE1030ELNS1_3gpuE2ELNS1_3repE0EEENS1_30default_config_static_selectorELNS0_4arch9wavefront6targetE0EEEvSS_,"axG",@progbits,_ZN7rocprim17ROCPRIM_400000_NS6detail17trampoline_kernelINS0_14default_configENS1_22reduce_config_selectorIbEEZNS1_11reduce_implILb1ES3_N6hipcub16HIPCUB_304000_NS22TransformInputIteratorIbN2at6native12_GLOBAL__N_19NonZeroOpIN3c104HalfEEEPKSF_lEEPiiNS8_6detail34convert_binary_result_type_wrapperINS8_3SumESJ_iEEEE10hipError_tPvRmT1_T2_T3_mT4_P12ihipStream_tbEUlT_E0_NS1_11comp_targetILNS1_3genE8ELNS1_11target_archE1030ELNS1_3gpuE2ELNS1_3repE0EEENS1_30default_config_static_selectorELNS0_4arch9wavefront6targetE0EEEvSS_,comdat
	.globl	_ZN7rocprim17ROCPRIM_400000_NS6detail17trampoline_kernelINS0_14default_configENS1_22reduce_config_selectorIbEEZNS1_11reduce_implILb1ES3_N6hipcub16HIPCUB_304000_NS22TransformInputIteratorIbN2at6native12_GLOBAL__N_19NonZeroOpIN3c104HalfEEEPKSF_lEEPiiNS8_6detail34convert_binary_result_type_wrapperINS8_3SumESJ_iEEEE10hipError_tPvRmT1_T2_T3_mT4_P12ihipStream_tbEUlT_E0_NS1_11comp_targetILNS1_3genE8ELNS1_11target_archE1030ELNS1_3gpuE2ELNS1_3repE0EEENS1_30default_config_static_selectorELNS0_4arch9wavefront6targetE0EEEvSS_ ; -- Begin function _ZN7rocprim17ROCPRIM_400000_NS6detail17trampoline_kernelINS0_14default_configENS1_22reduce_config_selectorIbEEZNS1_11reduce_implILb1ES3_N6hipcub16HIPCUB_304000_NS22TransformInputIteratorIbN2at6native12_GLOBAL__N_19NonZeroOpIN3c104HalfEEEPKSF_lEEPiiNS8_6detail34convert_binary_result_type_wrapperINS8_3SumESJ_iEEEE10hipError_tPvRmT1_T2_T3_mT4_P12ihipStream_tbEUlT_E0_NS1_11comp_targetILNS1_3genE8ELNS1_11target_archE1030ELNS1_3gpuE2ELNS1_3repE0EEENS1_30default_config_static_selectorELNS0_4arch9wavefront6targetE0EEEvSS_
	.p2align	8
	.type	_ZN7rocprim17ROCPRIM_400000_NS6detail17trampoline_kernelINS0_14default_configENS1_22reduce_config_selectorIbEEZNS1_11reduce_implILb1ES3_N6hipcub16HIPCUB_304000_NS22TransformInputIteratorIbN2at6native12_GLOBAL__N_19NonZeroOpIN3c104HalfEEEPKSF_lEEPiiNS8_6detail34convert_binary_result_type_wrapperINS8_3SumESJ_iEEEE10hipError_tPvRmT1_T2_T3_mT4_P12ihipStream_tbEUlT_E0_NS1_11comp_targetILNS1_3genE8ELNS1_11target_archE1030ELNS1_3gpuE2ELNS1_3repE0EEENS1_30default_config_static_selectorELNS0_4arch9wavefront6targetE0EEEvSS_,@function
_ZN7rocprim17ROCPRIM_400000_NS6detail17trampoline_kernelINS0_14default_configENS1_22reduce_config_selectorIbEEZNS1_11reduce_implILb1ES3_N6hipcub16HIPCUB_304000_NS22TransformInputIteratorIbN2at6native12_GLOBAL__N_19NonZeroOpIN3c104HalfEEEPKSF_lEEPiiNS8_6detail34convert_binary_result_type_wrapperINS8_3SumESJ_iEEEE10hipError_tPvRmT1_T2_T3_mT4_P12ihipStream_tbEUlT_E0_NS1_11comp_targetILNS1_3genE8ELNS1_11target_archE1030ELNS1_3gpuE2ELNS1_3repE0EEENS1_30default_config_static_selectorELNS0_4arch9wavefront6targetE0EEEvSS_: ; @_ZN7rocprim17ROCPRIM_400000_NS6detail17trampoline_kernelINS0_14default_configENS1_22reduce_config_selectorIbEEZNS1_11reduce_implILb1ES3_N6hipcub16HIPCUB_304000_NS22TransformInputIteratorIbN2at6native12_GLOBAL__N_19NonZeroOpIN3c104HalfEEEPKSF_lEEPiiNS8_6detail34convert_binary_result_type_wrapperINS8_3SumESJ_iEEEE10hipError_tPvRmT1_T2_T3_mT4_P12ihipStream_tbEUlT_E0_NS1_11comp_targetILNS1_3genE8ELNS1_11target_archE1030ELNS1_3gpuE2ELNS1_3repE0EEENS1_30default_config_static_selectorELNS0_4arch9wavefront6targetE0EEEvSS_
; %bb.0:
	.section	.rodata,"a",@progbits
	.p2align	6, 0x0
	.amdhsa_kernel _ZN7rocprim17ROCPRIM_400000_NS6detail17trampoline_kernelINS0_14default_configENS1_22reduce_config_selectorIbEEZNS1_11reduce_implILb1ES3_N6hipcub16HIPCUB_304000_NS22TransformInputIteratorIbN2at6native12_GLOBAL__N_19NonZeroOpIN3c104HalfEEEPKSF_lEEPiiNS8_6detail34convert_binary_result_type_wrapperINS8_3SumESJ_iEEEE10hipError_tPvRmT1_T2_T3_mT4_P12ihipStream_tbEUlT_E0_NS1_11comp_targetILNS1_3genE8ELNS1_11target_archE1030ELNS1_3gpuE2ELNS1_3repE0EEENS1_30default_config_static_selectorELNS0_4arch9wavefront6targetE0EEEvSS_
		.amdhsa_group_segment_fixed_size 0
		.amdhsa_private_segment_fixed_size 0
		.amdhsa_kernarg_size 64
		.amdhsa_user_sgpr_count 15
		.amdhsa_user_sgpr_dispatch_ptr 0
		.amdhsa_user_sgpr_queue_ptr 0
		.amdhsa_user_sgpr_kernarg_segment_ptr 1
		.amdhsa_user_sgpr_dispatch_id 0
		.amdhsa_user_sgpr_private_segment_size 0
		.amdhsa_wavefront_size32 1
		.amdhsa_uses_dynamic_stack 0
		.amdhsa_enable_private_segment 0
		.amdhsa_system_sgpr_workgroup_id_x 1
		.amdhsa_system_sgpr_workgroup_id_y 0
		.amdhsa_system_sgpr_workgroup_id_z 0
		.amdhsa_system_sgpr_workgroup_info 0
		.amdhsa_system_vgpr_workitem_id 0
		.amdhsa_next_free_vgpr 1
		.amdhsa_next_free_sgpr 1
		.amdhsa_reserve_vcc 0
		.amdhsa_float_round_mode_32 0
		.amdhsa_float_round_mode_16_64 0
		.amdhsa_float_denorm_mode_32 3
		.amdhsa_float_denorm_mode_16_64 3
		.amdhsa_dx10_clamp 1
		.amdhsa_ieee_mode 1
		.amdhsa_fp16_overflow 0
		.amdhsa_workgroup_processor_mode 1
		.amdhsa_memory_ordered 1
		.amdhsa_forward_progress 0
		.amdhsa_shared_vgpr_count 0
		.amdhsa_exception_fp_ieee_invalid_op 0
		.amdhsa_exception_fp_denorm_src 0
		.amdhsa_exception_fp_ieee_div_zero 0
		.amdhsa_exception_fp_ieee_overflow 0
		.amdhsa_exception_fp_ieee_underflow 0
		.amdhsa_exception_fp_ieee_inexact 0
		.amdhsa_exception_int_div_zero 0
	.end_amdhsa_kernel
	.section	.text._ZN7rocprim17ROCPRIM_400000_NS6detail17trampoline_kernelINS0_14default_configENS1_22reduce_config_selectorIbEEZNS1_11reduce_implILb1ES3_N6hipcub16HIPCUB_304000_NS22TransformInputIteratorIbN2at6native12_GLOBAL__N_19NonZeroOpIN3c104HalfEEEPKSF_lEEPiiNS8_6detail34convert_binary_result_type_wrapperINS8_3SumESJ_iEEEE10hipError_tPvRmT1_T2_T3_mT4_P12ihipStream_tbEUlT_E0_NS1_11comp_targetILNS1_3genE8ELNS1_11target_archE1030ELNS1_3gpuE2ELNS1_3repE0EEENS1_30default_config_static_selectorELNS0_4arch9wavefront6targetE0EEEvSS_,"axG",@progbits,_ZN7rocprim17ROCPRIM_400000_NS6detail17trampoline_kernelINS0_14default_configENS1_22reduce_config_selectorIbEEZNS1_11reduce_implILb1ES3_N6hipcub16HIPCUB_304000_NS22TransformInputIteratorIbN2at6native12_GLOBAL__N_19NonZeroOpIN3c104HalfEEEPKSF_lEEPiiNS8_6detail34convert_binary_result_type_wrapperINS8_3SumESJ_iEEEE10hipError_tPvRmT1_T2_T3_mT4_P12ihipStream_tbEUlT_E0_NS1_11comp_targetILNS1_3genE8ELNS1_11target_archE1030ELNS1_3gpuE2ELNS1_3repE0EEENS1_30default_config_static_selectorELNS0_4arch9wavefront6targetE0EEEvSS_,comdat
.Lfunc_end856:
	.size	_ZN7rocprim17ROCPRIM_400000_NS6detail17trampoline_kernelINS0_14default_configENS1_22reduce_config_selectorIbEEZNS1_11reduce_implILb1ES3_N6hipcub16HIPCUB_304000_NS22TransformInputIteratorIbN2at6native12_GLOBAL__N_19NonZeroOpIN3c104HalfEEEPKSF_lEEPiiNS8_6detail34convert_binary_result_type_wrapperINS8_3SumESJ_iEEEE10hipError_tPvRmT1_T2_T3_mT4_P12ihipStream_tbEUlT_E0_NS1_11comp_targetILNS1_3genE8ELNS1_11target_archE1030ELNS1_3gpuE2ELNS1_3repE0EEENS1_30default_config_static_selectorELNS0_4arch9wavefront6targetE0EEEvSS_, .Lfunc_end856-_ZN7rocprim17ROCPRIM_400000_NS6detail17trampoline_kernelINS0_14default_configENS1_22reduce_config_selectorIbEEZNS1_11reduce_implILb1ES3_N6hipcub16HIPCUB_304000_NS22TransformInputIteratorIbN2at6native12_GLOBAL__N_19NonZeroOpIN3c104HalfEEEPKSF_lEEPiiNS8_6detail34convert_binary_result_type_wrapperINS8_3SumESJ_iEEEE10hipError_tPvRmT1_T2_T3_mT4_P12ihipStream_tbEUlT_E0_NS1_11comp_targetILNS1_3genE8ELNS1_11target_archE1030ELNS1_3gpuE2ELNS1_3repE0EEENS1_30default_config_static_selectorELNS0_4arch9wavefront6targetE0EEEvSS_
                                        ; -- End function
	.section	.AMDGPU.csdata,"",@progbits
; Kernel info:
; codeLenInByte = 0
; NumSgprs: 0
; NumVgprs: 0
; ScratchSize: 0
; MemoryBound: 0
; FloatMode: 240
; IeeeMode: 1
; LDSByteSize: 0 bytes/workgroup (compile time only)
; SGPRBlocks: 0
; VGPRBlocks: 0
; NumSGPRsForWavesPerEU: 1
; NumVGPRsForWavesPerEU: 1
; Occupancy: 16
; WaveLimiterHint : 0
; COMPUTE_PGM_RSRC2:SCRATCH_EN: 0
; COMPUTE_PGM_RSRC2:USER_SGPR: 15
; COMPUTE_PGM_RSRC2:TRAP_HANDLER: 0
; COMPUTE_PGM_RSRC2:TGID_X_EN: 1
; COMPUTE_PGM_RSRC2:TGID_Y_EN: 0
; COMPUTE_PGM_RSRC2:TGID_Z_EN: 0
; COMPUTE_PGM_RSRC2:TIDIG_COMP_CNT: 0
	.section	.text._ZN7rocprim17ROCPRIM_400000_NS6detail17trampoline_kernelINS0_14default_configENS1_22reduce_config_selectorIbEEZNS1_11reduce_implILb1ES3_N6hipcub16HIPCUB_304000_NS22TransformInputIteratorIbN2at6native12_GLOBAL__N_19NonZeroOpIN3c104HalfEEEPKSF_lEEPiiNS8_6detail34convert_binary_result_type_wrapperINS8_3SumESJ_iEEEE10hipError_tPvRmT1_T2_T3_mT4_P12ihipStream_tbEUlT_E1_NS1_11comp_targetILNS1_3genE0ELNS1_11target_archE4294967295ELNS1_3gpuE0ELNS1_3repE0EEENS1_30default_config_static_selectorELNS0_4arch9wavefront6targetE0EEEvSS_,"axG",@progbits,_ZN7rocprim17ROCPRIM_400000_NS6detail17trampoline_kernelINS0_14default_configENS1_22reduce_config_selectorIbEEZNS1_11reduce_implILb1ES3_N6hipcub16HIPCUB_304000_NS22TransformInputIteratorIbN2at6native12_GLOBAL__N_19NonZeroOpIN3c104HalfEEEPKSF_lEEPiiNS8_6detail34convert_binary_result_type_wrapperINS8_3SumESJ_iEEEE10hipError_tPvRmT1_T2_T3_mT4_P12ihipStream_tbEUlT_E1_NS1_11comp_targetILNS1_3genE0ELNS1_11target_archE4294967295ELNS1_3gpuE0ELNS1_3repE0EEENS1_30default_config_static_selectorELNS0_4arch9wavefront6targetE0EEEvSS_,comdat
	.globl	_ZN7rocprim17ROCPRIM_400000_NS6detail17trampoline_kernelINS0_14default_configENS1_22reduce_config_selectorIbEEZNS1_11reduce_implILb1ES3_N6hipcub16HIPCUB_304000_NS22TransformInputIteratorIbN2at6native12_GLOBAL__N_19NonZeroOpIN3c104HalfEEEPKSF_lEEPiiNS8_6detail34convert_binary_result_type_wrapperINS8_3SumESJ_iEEEE10hipError_tPvRmT1_T2_T3_mT4_P12ihipStream_tbEUlT_E1_NS1_11comp_targetILNS1_3genE0ELNS1_11target_archE4294967295ELNS1_3gpuE0ELNS1_3repE0EEENS1_30default_config_static_selectorELNS0_4arch9wavefront6targetE0EEEvSS_ ; -- Begin function _ZN7rocprim17ROCPRIM_400000_NS6detail17trampoline_kernelINS0_14default_configENS1_22reduce_config_selectorIbEEZNS1_11reduce_implILb1ES3_N6hipcub16HIPCUB_304000_NS22TransformInputIteratorIbN2at6native12_GLOBAL__N_19NonZeroOpIN3c104HalfEEEPKSF_lEEPiiNS8_6detail34convert_binary_result_type_wrapperINS8_3SumESJ_iEEEE10hipError_tPvRmT1_T2_T3_mT4_P12ihipStream_tbEUlT_E1_NS1_11comp_targetILNS1_3genE0ELNS1_11target_archE4294967295ELNS1_3gpuE0ELNS1_3repE0EEENS1_30default_config_static_selectorELNS0_4arch9wavefront6targetE0EEEvSS_
	.p2align	8
	.type	_ZN7rocprim17ROCPRIM_400000_NS6detail17trampoline_kernelINS0_14default_configENS1_22reduce_config_selectorIbEEZNS1_11reduce_implILb1ES3_N6hipcub16HIPCUB_304000_NS22TransformInputIteratorIbN2at6native12_GLOBAL__N_19NonZeroOpIN3c104HalfEEEPKSF_lEEPiiNS8_6detail34convert_binary_result_type_wrapperINS8_3SumESJ_iEEEE10hipError_tPvRmT1_T2_T3_mT4_P12ihipStream_tbEUlT_E1_NS1_11comp_targetILNS1_3genE0ELNS1_11target_archE4294967295ELNS1_3gpuE0ELNS1_3repE0EEENS1_30default_config_static_selectorELNS0_4arch9wavefront6targetE0EEEvSS_,@function
_ZN7rocprim17ROCPRIM_400000_NS6detail17trampoline_kernelINS0_14default_configENS1_22reduce_config_selectorIbEEZNS1_11reduce_implILb1ES3_N6hipcub16HIPCUB_304000_NS22TransformInputIteratorIbN2at6native12_GLOBAL__N_19NonZeroOpIN3c104HalfEEEPKSF_lEEPiiNS8_6detail34convert_binary_result_type_wrapperINS8_3SumESJ_iEEEE10hipError_tPvRmT1_T2_T3_mT4_P12ihipStream_tbEUlT_E1_NS1_11comp_targetILNS1_3genE0ELNS1_11target_archE4294967295ELNS1_3gpuE0ELNS1_3repE0EEENS1_30default_config_static_selectorELNS0_4arch9wavefront6targetE0EEEvSS_: ; @_ZN7rocprim17ROCPRIM_400000_NS6detail17trampoline_kernelINS0_14default_configENS1_22reduce_config_selectorIbEEZNS1_11reduce_implILb1ES3_N6hipcub16HIPCUB_304000_NS22TransformInputIteratorIbN2at6native12_GLOBAL__N_19NonZeroOpIN3c104HalfEEEPKSF_lEEPiiNS8_6detail34convert_binary_result_type_wrapperINS8_3SumESJ_iEEEE10hipError_tPvRmT1_T2_T3_mT4_P12ihipStream_tbEUlT_E1_NS1_11comp_targetILNS1_3genE0ELNS1_11target_archE4294967295ELNS1_3gpuE0ELNS1_3repE0EEENS1_30default_config_static_selectorELNS0_4arch9wavefront6targetE0EEEvSS_
; %bb.0:
	.section	.rodata,"a",@progbits
	.p2align	6, 0x0
	.amdhsa_kernel _ZN7rocprim17ROCPRIM_400000_NS6detail17trampoline_kernelINS0_14default_configENS1_22reduce_config_selectorIbEEZNS1_11reduce_implILb1ES3_N6hipcub16HIPCUB_304000_NS22TransformInputIteratorIbN2at6native12_GLOBAL__N_19NonZeroOpIN3c104HalfEEEPKSF_lEEPiiNS8_6detail34convert_binary_result_type_wrapperINS8_3SumESJ_iEEEE10hipError_tPvRmT1_T2_T3_mT4_P12ihipStream_tbEUlT_E1_NS1_11comp_targetILNS1_3genE0ELNS1_11target_archE4294967295ELNS1_3gpuE0ELNS1_3repE0EEENS1_30default_config_static_selectorELNS0_4arch9wavefront6targetE0EEEvSS_
		.amdhsa_group_segment_fixed_size 0
		.amdhsa_private_segment_fixed_size 0
		.amdhsa_kernarg_size 48
		.amdhsa_user_sgpr_count 15
		.amdhsa_user_sgpr_dispatch_ptr 0
		.amdhsa_user_sgpr_queue_ptr 0
		.amdhsa_user_sgpr_kernarg_segment_ptr 1
		.amdhsa_user_sgpr_dispatch_id 0
		.amdhsa_user_sgpr_private_segment_size 0
		.amdhsa_wavefront_size32 1
		.amdhsa_uses_dynamic_stack 0
		.amdhsa_enable_private_segment 0
		.amdhsa_system_sgpr_workgroup_id_x 1
		.amdhsa_system_sgpr_workgroup_id_y 0
		.amdhsa_system_sgpr_workgroup_id_z 0
		.amdhsa_system_sgpr_workgroup_info 0
		.amdhsa_system_vgpr_workitem_id 0
		.amdhsa_next_free_vgpr 1
		.amdhsa_next_free_sgpr 1
		.amdhsa_reserve_vcc 0
		.amdhsa_float_round_mode_32 0
		.amdhsa_float_round_mode_16_64 0
		.amdhsa_float_denorm_mode_32 3
		.amdhsa_float_denorm_mode_16_64 3
		.amdhsa_dx10_clamp 1
		.amdhsa_ieee_mode 1
		.amdhsa_fp16_overflow 0
		.amdhsa_workgroup_processor_mode 1
		.amdhsa_memory_ordered 1
		.amdhsa_forward_progress 0
		.amdhsa_shared_vgpr_count 0
		.amdhsa_exception_fp_ieee_invalid_op 0
		.amdhsa_exception_fp_denorm_src 0
		.amdhsa_exception_fp_ieee_div_zero 0
		.amdhsa_exception_fp_ieee_overflow 0
		.amdhsa_exception_fp_ieee_underflow 0
		.amdhsa_exception_fp_ieee_inexact 0
		.amdhsa_exception_int_div_zero 0
	.end_amdhsa_kernel
	.section	.text._ZN7rocprim17ROCPRIM_400000_NS6detail17trampoline_kernelINS0_14default_configENS1_22reduce_config_selectorIbEEZNS1_11reduce_implILb1ES3_N6hipcub16HIPCUB_304000_NS22TransformInputIteratorIbN2at6native12_GLOBAL__N_19NonZeroOpIN3c104HalfEEEPKSF_lEEPiiNS8_6detail34convert_binary_result_type_wrapperINS8_3SumESJ_iEEEE10hipError_tPvRmT1_T2_T3_mT4_P12ihipStream_tbEUlT_E1_NS1_11comp_targetILNS1_3genE0ELNS1_11target_archE4294967295ELNS1_3gpuE0ELNS1_3repE0EEENS1_30default_config_static_selectorELNS0_4arch9wavefront6targetE0EEEvSS_,"axG",@progbits,_ZN7rocprim17ROCPRIM_400000_NS6detail17trampoline_kernelINS0_14default_configENS1_22reduce_config_selectorIbEEZNS1_11reduce_implILb1ES3_N6hipcub16HIPCUB_304000_NS22TransformInputIteratorIbN2at6native12_GLOBAL__N_19NonZeroOpIN3c104HalfEEEPKSF_lEEPiiNS8_6detail34convert_binary_result_type_wrapperINS8_3SumESJ_iEEEE10hipError_tPvRmT1_T2_T3_mT4_P12ihipStream_tbEUlT_E1_NS1_11comp_targetILNS1_3genE0ELNS1_11target_archE4294967295ELNS1_3gpuE0ELNS1_3repE0EEENS1_30default_config_static_selectorELNS0_4arch9wavefront6targetE0EEEvSS_,comdat
.Lfunc_end857:
	.size	_ZN7rocprim17ROCPRIM_400000_NS6detail17trampoline_kernelINS0_14default_configENS1_22reduce_config_selectorIbEEZNS1_11reduce_implILb1ES3_N6hipcub16HIPCUB_304000_NS22TransformInputIteratorIbN2at6native12_GLOBAL__N_19NonZeroOpIN3c104HalfEEEPKSF_lEEPiiNS8_6detail34convert_binary_result_type_wrapperINS8_3SumESJ_iEEEE10hipError_tPvRmT1_T2_T3_mT4_P12ihipStream_tbEUlT_E1_NS1_11comp_targetILNS1_3genE0ELNS1_11target_archE4294967295ELNS1_3gpuE0ELNS1_3repE0EEENS1_30default_config_static_selectorELNS0_4arch9wavefront6targetE0EEEvSS_, .Lfunc_end857-_ZN7rocprim17ROCPRIM_400000_NS6detail17trampoline_kernelINS0_14default_configENS1_22reduce_config_selectorIbEEZNS1_11reduce_implILb1ES3_N6hipcub16HIPCUB_304000_NS22TransformInputIteratorIbN2at6native12_GLOBAL__N_19NonZeroOpIN3c104HalfEEEPKSF_lEEPiiNS8_6detail34convert_binary_result_type_wrapperINS8_3SumESJ_iEEEE10hipError_tPvRmT1_T2_T3_mT4_P12ihipStream_tbEUlT_E1_NS1_11comp_targetILNS1_3genE0ELNS1_11target_archE4294967295ELNS1_3gpuE0ELNS1_3repE0EEENS1_30default_config_static_selectorELNS0_4arch9wavefront6targetE0EEEvSS_
                                        ; -- End function
	.section	.AMDGPU.csdata,"",@progbits
; Kernel info:
; codeLenInByte = 0
; NumSgprs: 0
; NumVgprs: 0
; ScratchSize: 0
; MemoryBound: 0
; FloatMode: 240
; IeeeMode: 1
; LDSByteSize: 0 bytes/workgroup (compile time only)
; SGPRBlocks: 0
; VGPRBlocks: 0
; NumSGPRsForWavesPerEU: 1
; NumVGPRsForWavesPerEU: 1
; Occupancy: 16
; WaveLimiterHint : 0
; COMPUTE_PGM_RSRC2:SCRATCH_EN: 0
; COMPUTE_PGM_RSRC2:USER_SGPR: 15
; COMPUTE_PGM_RSRC2:TRAP_HANDLER: 0
; COMPUTE_PGM_RSRC2:TGID_X_EN: 1
; COMPUTE_PGM_RSRC2:TGID_Y_EN: 0
; COMPUTE_PGM_RSRC2:TGID_Z_EN: 0
; COMPUTE_PGM_RSRC2:TIDIG_COMP_CNT: 0
	.section	.text._ZN7rocprim17ROCPRIM_400000_NS6detail17trampoline_kernelINS0_14default_configENS1_22reduce_config_selectorIbEEZNS1_11reduce_implILb1ES3_N6hipcub16HIPCUB_304000_NS22TransformInputIteratorIbN2at6native12_GLOBAL__N_19NonZeroOpIN3c104HalfEEEPKSF_lEEPiiNS8_6detail34convert_binary_result_type_wrapperINS8_3SumESJ_iEEEE10hipError_tPvRmT1_T2_T3_mT4_P12ihipStream_tbEUlT_E1_NS1_11comp_targetILNS1_3genE5ELNS1_11target_archE942ELNS1_3gpuE9ELNS1_3repE0EEENS1_30default_config_static_selectorELNS0_4arch9wavefront6targetE0EEEvSS_,"axG",@progbits,_ZN7rocprim17ROCPRIM_400000_NS6detail17trampoline_kernelINS0_14default_configENS1_22reduce_config_selectorIbEEZNS1_11reduce_implILb1ES3_N6hipcub16HIPCUB_304000_NS22TransformInputIteratorIbN2at6native12_GLOBAL__N_19NonZeroOpIN3c104HalfEEEPKSF_lEEPiiNS8_6detail34convert_binary_result_type_wrapperINS8_3SumESJ_iEEEE10hipError_tPvRmT1_T2_T3_mT4_P12ihipStream_tbEUlT_E1_NS1_11comp_targetILNS1_3genE5ELNS1_11target_archE942ELNS1_3gpuE9ELNS1_3repE0EEENS1_30default_config_static_selectorELNS0_4arch9wavefront6targetE0EEEvSS_,comdat
	.globl	_ZN7rocprim17ROCPRIM_400000_NS6detail17trampoline_kernelINS0_14default_configENS1_22reduce_config_selectorIbEEZNS1_11reduce_implILb1ES3_N6hipcub16HIPCUB_304000_NS22TransformInputIteratorIbN2at6native12_GLOBAL__N_19NonZeroOpIN3c104HalfEEEPKSF_lEEPiiNS8_6detail34convert_binary_result_type_wrapperINS8_3SumESJ_iEEEE10hipError_tPvRmT1_T2_T3_mT4_P12ihipStream_tbEUlT_E1_NS1_11comp_targetILNS1_3genE5ELNS1_11target_archE942ELNS1_3gpuE9ELNS1_3repE0EEENS1_30default_config_static_selectorELNS0_4arch9wavefront6targetE0EEEvSS_ ; -- Begin function _ZN7rocprim17ROCPRIM_400000_NS6detail17trampoline_kernelINS0_14default_configENS1_22reduce_config_selectorIbEEZNS1_11reduce_implILb1ES3_N6hipcub16HIPCUB_304000_NS22TransformInputIteratorIbN2at6native12_GLOBAL__N_19NonZeroOpIN3c104HalfEEEPKSF_lEEPiiNS8_6detail34convert_binary_result_type_wrapperINS8_3SumESJ_iEEEE10hipError_tPvRmT1_T2_T3_mT4_P12ihipStream_tbEUlT_E1_NS1_11comp_targetILNS1_3genE5ELNS1_11target_archE942ELNS1_3gpuE9ELNS1_3repE0EEENS1_30default_config_static_selectorELNS0_4arch9wavefront6targetE0EEEvSS_
	.p2align	8
	.type	_ZN7rocprim17ROCPRIM_400000_NS6detail17trampoline_kernelINS0_14default_configENS1_22reduce_config_selectorIbEEZNS1_11reduce_implILb1ES3_N6hipcub16HIPCUB_304000_NS22TransformInputIteratorIbN2at6native12_GLOBAL__N_19NonZeroOpIN3c104HalfEEEPKSF_lEEPiiNS8_6detail34convert_binary_result_type_wrapperINS8_3SumESJ_iEEEE10hipError_tPvRmT1_T2_T3_mT4_P12ihipStream_tbEUlT_E1_NS1_11comp_targetILNS1_3genE5ELNS1_11target_archE942ELNS1_3gpuE9ELNS1_3repE0EEENS1_30default_config_static_selectorELNS0_4arch9wavefront6targetE0EEEvSS_,@function
_ZN7rocprim17ROCPRIM_400000_NS6detail17trampoline_kernelINS0_14default_configENS1_22reduce_config_selectorIbEEZNS1_11reduce_implILb1ES3_N6hipcub16HIPCUB_304000_NS22TransformInputIteratorIbN2at6native12_GLOBAL__N_19NonZeroOpIN3c104HalfEEEPKSF_lEEPiiNS8_6detail34convert_binary_result_type_wrapperINS8_3SumESJ_iEEEE10hipError_tPvRmT1_T2_T3_mT4_P12ihipStream_tbEUlT_E1_NS1_11comp_targetILNS1_3genE5ELNS1_11target_archE942ELNS1_3gpuE9ELNS1_3repE0EEENS1_30default_config_static_selectorELNS0_4arch9wavefront6targetE0EEEvSS_: ; @_ZN7rocprim17ROCPRIM_400000_NS6detail17trampoline_kernelINS0_14default_configENS1_22reduce_config_selectorIbEEZNS1_11reduce_implILb1ES3_N6hipcub16HIPCUB_304000_NS22TransformInputIteratorIbN2at6native12_GLOBAL__N_19NonZeroOpIN3c104HalfEEEPKSF_lEEPiiNS8_6detail34convert_binary_result_type_wrapperINS8_3SumESJ_iEEEE10hipError_tPvRmT1_T2_T3_mT4_P12ihipStream_tbEUlT_E1_NS1_11comp_targetILNS1_3genE5ELNS1_11target_archE942ELNS1_3gpuE9ELNS1_3repE0EEENS1_30default_config_static_selectorELNS0_4arch9wavefront6targetE0EEEvSS_
; %bb.0:
	.section	.rodata,"a",@progbits
	.p2align	6, 0x0
	.amdhsa_kernel _ZN7rocprim17ROCPRIM_400000_NS6detail17trampoline_kernelINS0_14default_configENS1_22reduce_config_selectorIbEEZNS1_11reduce_implILb1ES3_N6hipcub16HIPCUB_304000_NS22TransformInputIteratorIbN2at6native12_GLOBAL__N_19NonZeroOpIN3c104HalfEEEPKSF_lEEPiiNS8_6detail34convert_binary_result_type_wrapperINS8_3SumESJ_iEEEE10hipError_tPvRmT1_T2_T3_mT4_P12ihipStream_tbEUlT_E1_NS1_11comp_targetILNS1_3genE5ELNS1_11target_archE942ELNS1_3gpuE9ELNS1_3repE0EEENS1_30default_config_static_selectorELNS0_4arch9wavefront6targetE0EEEvSS_
		.amdhsa_group_segment_fixed_size 0
		.amdhsa_private_segment_fixed_size 0
		.amdhsa_kernarg_size 48
		.amdhsa_user_sgpr_count 15
		.amdhsa_user_sgpr_dispatch_ptr 0
		.amdhsa_user_sgpr_queue_ptr 0
		.amdhsa_user_sgpr_kernarg_segment_ptr 1
		.amdhsa_user_sgpr_dispatch_id 0
		.amdhsa_user_sgpr_private_segment_size 0
		.amdhsa_wavefront_size32 1
		.amdhsa_uses_dynamic_stack 0
		.amdhsa_enable_private_segment 0
		.amdhsa_system_sgpr_workgroup_id_x 1
		.amdhsa_system_sgpr_workgroup_id_y 0
		.amdhsa_system_sgpr_workgroup_id_z 0
		.amdhsa_system_sgpr_workgroup_info 0
		.amdhsa_system_vgpr_workitem_id 0
		.amdhsa_next_free_vgpr 1
		.amdhsa_next_free_sgpr 1
		.amdhsa_reserve_vcc 0
		.amdhsa_float_round_mode_32 0
		.amdhsa_float_round_mode_16_64 0
		.amdhsa_float_denorm_mode_32 3
		.amdhsa_float_denorm_mode_16_64 3
		.amdhsa_dx10_clamp 1
		.amdhsa_ieee_mode 1
		.amdhsa_fp16_overflow 0
		.amdhsa_workgroup_processor_mode 1
		.amdhsa_memory_ordered 1
		.amdhsa_forward_progress 0
		.amdhsa_shared_vgpr_count 0
		.amdhsa_exception_fp_ieee_invalid_op 0
		.amdhsa_exception_fp_denorm_src 0
		.amdhsa_exception_fp_ieee_div_zero 0
		.amdhsa_exception_fp_ieee_overflow 0
		.amdhsa_exception_fp_ieee_underflow 0
		.amdhsa_exception_fp_ieee_inexact 0
		.amdhsa_exception_int_div_zero 0
	.end_amdhsa_kernel
	.section	.text._ZN7rocprim17ROCPRIM_400000_NS6detail17trampoline_kernelINS0_14default_configENS1_22reduce_config_selectorIbEEZNS1_11reduce_implILb1ES3_N6hipcub16HIPCUB_304000_NS22TransformInputIteratorIbN2at6native12_GLOBAL__N_19NonZeroOpIN3c104HalfEEEPKSF_lEEPiiNS8_6detail34convert_binary_result_type_wrapperINS8_3SumESJ_iEEEE10hipError_tPvRmT1_T2_T3_mT4_P12ihipStream_tbEUlT_E1_NS1_11comp_targetILNS1_3genE5ELNS1_11target_archE942ELNS1_3gpuE9ELNS1_3repE0EEENS1_30default_config_static_selectorELNS0_4arch9wavefront6targetE0EEEvSS_,"axG",@progbits,_ZN7rocprim17ROCPRIM_400000_NS6detail17trampoline_kernelINS0_14default_configENS1_22reduce_config_selectorIbEEZNS1_11reduce_implILb1ES3_N6hipcub16HIPCUB_304000_NS22TransformInputIteratorIbN2at6native12_GLOBAL__N_19NonZeroOpIN3c104HalfEEEPKSF_lEEPiiNS8_6detail34convert_binary_result_type_wrapperINS8_3SumESJ_iEEEE10hipError_tPvRmT1_T2_T3_mT4_P12ihipStream_tbEUlT_E1_NS1_11comp_targetILNS1_3genE5ELNS1_11target_archE942ELNS1_3gpuE9ELNS1_3repE0EEENS1_30default_config_static_selectorELNS0_4arch9wavefront6targetE0EEEvSS_,comdat
.Lfunc_end858:
	.size	_ZN7rocprim17ROCPRIM_400000_NS6detail17trampoline_kernelINS0_14default_configENS1_22reduce_config_selectorIbEEZNS1_11reduce_implILb1ES3_N6hipcub16HIPCUB_304000_NS22TransformInputIteratorIbN2at6native12_GLOBAL__N_19NonZeroOpIN3c104HalfEEEPKSF_lEEPiiNS8_6detail34convert_binary_result_type_wrapperINS8_3SumESJ_iEEEE10hipError_tPvRmT1_T2_T3_mT4_P12ihipStream_tbEUlT_E1_NS1_11comp_targetILNS1_3genE5ELNS1_11target_archE942ELNS1_3gpuE9ELNS1_3repE0EEENS1_30default_config_static_selectorELNS0_4arch9wavefront6targetE0EEEvSS_, .Lfunc_end858-_ZN7rocprim17ROCPRIM_400000_NS6detail17trampoline_kernelINS0_14default_configENS1_22reduce_config_selectorIbEEZNS1_11reduce_implILb1ES3_N6hipcub16HIPCUB_304000_NS22TransformInputIteratorIbN2at6native12_GLOBAL__N_19NonZeroOpIN3c104HalfEEEPKSF_lEEPiiNS8_6detail34convert_binary_result_type_wrapperINS8_3SumESJ_iEEEE10hipError_tPvRmT1_T2_T3_mT4_P12ihipStream_tbEUlT_E1_NS1_11comp_targetILNS1_3genE5ELNS1_11target_archE942ELNS1_3gpuE9ELNS1_3repE0EEENS1_30default_config_static_selectorELNS0_4arch9wavefront6targetE0EEEvSS_
                                        ; -- End function
	.section	.AMDGPU.csdata,"",@progbits
; Kernel info:
; codeLenInByte = 0
; NumSgprs: 0
; NumVgprs: 0
; ScratchSize: 0
; MemoryBound: 0
; FloatMode: 240
; IeeeMode: 1
; LDSByteSize: 0 bytes/workgroup (compile time only)
; SGPRBlocks: 0
; VGPRBlocks: 0
; NumSGPRsForWavesPerEU: 1
; NumVGPRsForWavesPerEU: 1
; Occupancy: 16
; WaveLimiterHint : 0
; COMPUTE_PGM_RSRC2:SCRATCH_EN: 0
; COMPUTE_PGM_RSRC2:USER_SGPR: 15
; COMPUTE_PGM_RSRC2:TRAP_HANDLER: 0
; COMPUTE_PGM_RSRC2:TGID_X_EN: 1
; COMPUTE_PGM_RSRC2:TGID_Y_EN: 0
; COMPUTE_PGM_RSRC2:TGID_Z_EN: 0
; COMPUTE_PGM_RSRC2:TIDIG_COMP_CNT: 0
	.section	.text._ZN7rocprim17ROCPRIM_400000_NS6detail17trampoline_kernelINS0_14default_configENS1_22reduce_config_selectorIbEEZNS1_11reduce_implILb1ES3_N6hipcub16HIPCUB_304000_NS22TransformInputIteratorIbN2at6native12_GLOBAL__N_19NonZeroOpIN3c104HalfEEEPKSF_lEEPiiNS8_6detail34convert_binary_result_type_wrapperINS8_3SumESJ_iEEEE10hipError_tPvRmT1_T2_T3_mT4_P12ihipStream_tbEUlT_E1_NS1_11comp_targetILNS1_3genE4ELNS1_11target_archE910ELNS1_3gpuE8ELNS1_3repE0EEENS1_30default_config_static_selectorELNS0_4arch9wavefront6targetE0EEEvSS_,"axG",@progbits,_ZN7rocprim17ROCPRIM_400000_NS6detail17trampoline_kernelINS0_14default_configENS1_22reduce_config_selectorIbEEZNS1_11reduce_implILb1ES3_N6hipcub16HIPCUB_304000_NS22TransformInputIteratorIbN2at6native12_GLOBAL__N_19NonZeroOpIN3c104HalfEEEPKSF_lEEPiiNS8_6detail34convert_binary_result_type_wrapperINS8_3SumESJ_iEEEE10hipError_tPvRmT1_T2_T3_mT4_P12ihipStream_tbEUlT_E1_NS1_11comp_targetILNS1_3genE4ELNS1_11target_archE910ELNS1_3gpuE8ELNS1_3repE0EEENS1_30default_config_static_selectorELNS0_4arch9wavefront6targetE0EEEvSS_,comdat
	.globl	_ZN7rocprim17ROCPRIM_400000_NS6detail17trampoline_kernelINS0_14default_configENS1_22reduce_config_selectorIbEEZNS1_11reduce_implILb1ES3_N6hipcub16HIPCUB_304000_NS22TransformInputIteratorIbN2at6native12_GLOBAL__N_19NonZeroOpIN3c104HalfEEEPKSF_lEEPiiNS8_6detail34convert_binary_result_type_wrapperINS8_3SumESJ_iEEEE10hipError_tPvRmT1_T2_T3_mT4_P12ihipStream_tbEUlT_E1_NS1_11comp_targetILNS1_3genE4ELNS1_11target_archE910ELNS1_3gpuE8ELNS1_3repE0EEENS1_30default_config_static_selectorELNS0_4arch9wavefront6targetE0EEEvSS_ ; -- Begin function _ZN7rocprim17ROCPRIM_400000_NS6detail17trampoline_kernelINS0_14default_configENS1_22reduce_config_selectorIbEEZNS1_11reduce_implILb1ES3_N6hipcub16HIPCUB_304000_NS22TransformInputIteratorIbN2at6native12_GLOBAL__N_19NonZeroOpIN3c104HalfEEEPKSF_lEEPiiNS8_6detail34convert_binary_result_type_wrapperINS8_3SumESJ_iEEEE10hipError_tPvRmT1_T2_T3_mT4_P12ihipStream_tbEUlT_E1_NS1_11comp_targetILNS1_3genE4ELNS1_11target_archE910ELNS1_3gpuE8ELNS1_3repE0EEENS1_30default_config_static_selectorELNS0_4arch9wavefront6targetE0EEEvSS_
	.p2align	8
	.type	_ZN7rocprim17ROCPRIM_400000_NS6detail17trampoline_kernelINS0_14default_configENS1_22reduce_config_selectorIbEEZNS1_11reduce_implILb1ES3_N6hipcub16HIPCUB_304000_NS22TransformInputIteratorIbN2at6native12_GLOBAL__N_19NonZeroOpIN3c104HalfEEEPKSF_lEEPiiNS8_6detail34convert_binary_result_type_wrapperINS8_3SumESJ_iEEEE10hipError_tPvRmT1_T2_T3_mT4_P12ihipStream_tbEUlT_E1_NS1_11comp_targetILNS1_3genE4ELNS1_11target_archE910ELNS1_3gpuE8ELNS1_3repE0EEENS1_30default_config_static_selectorELNS0_4arch9wavefront6targetE0EEEvSS_,@function
_ZN7rocprim17ROCPRIM_400000_NS6detail17trampoline_kernelINS0_14default_configENS1_22reduce_config_selectorIbEEZNS1_11reduce_implILb1ES3_N6hipcub16HIPCUB_304000_NS22TransformInputIteratorIbN2at6native12_GLOBAL__N_19NonZeroOpIN3c104HalfEEEPKSF_lEEPiiNS8_6detail34convert_binary_result_type_wrapperINS8_3SumESJ_iEEEE10hipError_tPvRmT1_T2_T3_mT4_P12ihipStream_tbEUlT_E1_NS1_11comp_targetILNS1_3genE4ELNS1_11target_archE910ELNS1_3gpuE8ELNS1_3repE0EEENS1_30default_config_static_selectorELNS0_4arch9wavefront6targetE0EEEvSS_: ; @_ZN7rocprim17ROCPRIM_400000_NS6detail17trampoline_kernelINS0_14default_configENS1_22reduce_config_selectorIbEEZNS1_11reduce_implILb1ES3_N6hipcub16HIPCUB_304000_NS22TransformInputIteratorIbN2at6native12_GLOBAL__N_19NonZeroOpIN3c104HalfEEEPKSF_lEEPiiNS8_6detail34convert_binary_result_type_wrapperINS8_3SumESJ_iEEEE10hipError_tPvRmT1_T2_T3_mT4_P12ihipStream_tbEUlT_E1_NS1_11comp_targetILNS1_3genE4ELNS1_11target_archE910ELNS1_3gpuE8ELNS1_3repE0EEENS1_30default_config_static_selectorELNS0_4arch9wavefront6targetE0EEEvSS_
; %bb.0:
	.section	.rodata,"a",@progbits
	.p2align	6, 0x0
	.amdhsa_kernel _ZN7rocprim17ROCPRIM_400000_NS6detail17trampoline_kernelINS0_14default_configENS1_22reduce_config_selectorIbEEZNS1_11reduce_implILb1ES3_N6hipcub16HIPCUB_304000_NS22TransformInputIteratorIbN2at6native12_GLOBAL__N_19NonZeroOpIN3c104HalfEEEPKSF_lEEPiiNS8_6detail34convert_binary_result_type_wrapperINS8_3SumESJ_iEEEE10hipError_tPvRmT1_T2_T3_mT4_P12ihipStream_tbEUlT_E1_NS1_11comp_targetILNS1_3genE4ELNS1_11target_archE910ELNS1_3gpuE8ELNS1_3repE0EEENS1_30default_config_static_selectorELNS0_4arch9wavefront6targetE0EEEvSS_
		.amdhsa_group_segment_fixed_size 0
		.amdhsa_private_segment_fixed_size 0
		.amdhsa_kernarg_size 48
		.amdhsa_user_sgpr_count 15
		.amdhsa_user_sgpr_dispatch_ptr 0
		.amdhsa_user_sgpr_queue_ptr 0
		.amdhsa_user_sgpr_kernarg_segment_ptr 1
		.amdhsa_user_sgpr_dispatch_id 0
		.amdhsa_user_sgpr_private_segment_size 0
		.amdhsa_wavefront_size32 1
		.amdhsa_uses_dynamic_stack 0
		.amdhsa_enable_private_segment 0
		.amdhsa_system_sgpr_workgroup_id_x 1
		.amdhsa_system_sgpr_workgroup_id_y 0
		.amdhsa_system_sgpr_workgroup_id_z 0
		.amdhsa_system_sgpr_workgroup_info 0
		.amdhsa_system_vgpr_workitem_id 0
		.amdhsa_next_free_vgpr 1
		.amdhsa_next_free_sgpr 1
		.amdhsa_reserve_vcc 0
		.amdhsa_float_round_mode_32 0
		.amdhsa_float_round_mode_16_64 0
		.amdhsa_float_denorm_mode_32 3
		.amdhsa_float_denorm_mode_16_64 3
		.amdhsa_dx10_clamp 1
		.amdhsa_ieee_mode 1
		.amdhsa_fp16_overflow 0
		.amdhsa_workgroup_processor_mode 1
		.amdhsa_memory_ordered 1
		.amdhsa_forward_progress 0
		.amdhsa_shared_vgpr_count 0
		.amdhsa_exception_fp_ieee_invalid_op 0
		.amdhsa_exception_fp_denorm_src 0
		.amdhsa_exception_fp_ieee_div_zero 0
		.amdhsa_exception_fp_ieee_overflow 0
		.amdhsa_exception_fp_ieee_underflow 0
		.amdhsa_exception_fp_ieee_inexact 0
		.amdhsa_exception_int_div_zero 0
	.end_amdhsa_kernel
	.section	.text._ZN7rocprim17ROCPRIM_400000_NS6detail17trampoline_kernelINS0_14default_configENS1_22reduce_config_selectorIbEEZNS1_11reduce_implILb1ES3_N6hipcub16HIPCUB_304000_NS22TransformInputIteratorIbN2at6native12_GLOBAL__N_19NonZeroOpIN3c104HalfEEEPKSF_lEEPiiNS8_6detail34convert_binary_result_type_wrapperINS8_3SumESJ_iEEEE10hipError_tPvRmT1_T2_T3_mT4_P12ihipStream_tbEUlT_E1_NS1_11comp_targetILNS1_3genE4ELNS1_11target_archE910ELNS1_3gpuE8ELNS1_3repE0EEENS1_30default_config_static_selectorELNS0_4arch9wavefront6targetE0EEEvSS_,"axG",@progbits,_ZN7rocprim17ROCPRIM_400000_NS6detail17trampoline_kernelINS0_14default_configENS1_22reduce_config_selectorIbEEZNS1_11reduce_implILb1ES3_N6hipcub16HIPCUB_304000_NS22TransformInputIteratorIbN2at6native12_GLOBAL__N_19NonZeroOpIN3c104HalfEEEPKSF_lEEPiiNS8_6detail34convert_binary_result_type_wrapperINS8_3SumESJ_iEEEE10hipError_tPvRmT1_T2_T3_mT4_P12ihipStream_tbEUlT_E1_NS1_11comp_targetILNS1_3genE4ELNS1_11target_archE910ELNS1_3gpuE8ELNS1_3repE0EEENS1_30default_config_static_selectorELNS0_4arch9wavefront6targetE0EEEvSS_,comdat
.Lfunc_end859:
	.size	_ZN7rocprim17ROCPRIM_400000_NS6detail17trampoline_kernelINS0_14default_configENS1_22reduce_config_selectorIbEEZNS1_11reduce_implILb1ES3_N6hipcub16HIPCUB_304000_NS22TransformInputIteratorIbN2at6native12_GLOBAL__N_19NonZeroOpIN3c104HalfEEEPKSF_lEEPiiNS8_6detail34convert_binary_result_type_wrapperINS8_3SumESJ_iEEEE10hipError_tPvRmT1_T2_T3_mT4_P12ihipStream_tbEUlT_E1_NS1_11comp_targetILNS1_3genE4ELNS1_11target_archE910ELNS1_3gpuE8ELNS1_3repE0EEENS1_30default_config_static_selectorELNS0_4arch9wavefront6targetE0EEEvSS_, .Lfunc_end859-_ZN7rocprim17ROCPRIM_400000_NS6detail17trampoline_kernelINS0_14default_configENS1_22reduce_config_selectorIbEEZNS1_11reduce_implILb1ES3_N6hipcub16HIPCUB_304000_NS22TransformInputIteratorIbN2at6native12_GLOBAL__N_19NonZeroOpIN3c104HalfEEEPKSF_lEEPiiNS8_6detail34convert_binary_result_type_wrapperINS8_3SumESJ_iEEEE10hipError_tPvRmT1_T2_T3_mT4_P12ihipStream_tbEUlT_E1_NS1_11comp_targetILNS1_3genE4ELNS1_11target_archE910ELNS1_3gpuE8ELNS1_3repE0EEENS1_30default_config_static_selectorELNS0_4arch9wavefront6targetE0EEEvSS_
                                        ; -- End function
	.section	.AMDGPU.csdata,"",@progbits
; Kernel info:
; codeLenInByte = 0
; NumSgprs: 0
; NumVgprs: 0
; ScratchSize: 0
; MemoryBound: 0
; FloatMode: 240
; IeeeMode: 1
; LDSByteSize: 0 bytes/workgroup (compile time only)
; SGPRBlocks: 0
; VGPRBlocks: 0
; NumSGPRsForWavesPerEU: 1
; NumVGPRsForWavesPerEU: 1
; Occupancy: 16
; WaveLimiterHint : 0
; COMPUTE_PGM_RSRC2:SCRATCH_EN: 0
; COMPUTE_PGM_RSRC2:USER_SGPR: 15
; COMPUTE_PGM_RSRC2:TRAP_HANDLER: 0
; COMPUTE_PGM_RSRC2:TGID_X_EN: 1
; COMPUTE_PGM_RSRC2:TGID_Y_EN: 0
; COMPUTE_PGM_RSRC2:TGID_Z_EN: 0
; COMPUTE_PGM_RSRC2:TIDIG_COMP_CNT: 0
	.section	.text._ZN7rocprim17ROCPRIM_400000_NS6detail17trampoline_kernelINS0_14default_configENS1_22reduce_config_selectorIbEEZNS1_11reduce_implILb1ES3_N6hipcub16HIPCUB_304000_NS22TransformInputIteratorIbN2at6native12_GLOBAL__N_19NonZeroOpIN3c104HalfEEEPKSF_lEEPiiNS8_6detail34convert_binary_result_type_wrapperINS8_3SumESJ_iEEEE10hipError_tPvRmT1_T2_T3_mT4_P12ihipStream_tbEUlT_E1_NS1_11comp_targetILNS1_3genE3ELNS1_11target_archE908ELNS1_3gpuE7ELNS1_3repE0EEENS1_30default_config_static_selectorELNS0_4arch9wavefront6targetE0EEEvSS_,"axG",@progbits,_ZN7rocprim17ROCPRIM_400000_NS6detail17trampoline_kernelINS0_14default_configENS1_22reduce_config_selectorIbEEZNS1_11reduce_implILb1ES3_N6hipcub16HIPCUB_304000_NS22TransformInputIteratorIbN2at6native12_GLOBAL__N_19NonZeroOpIN3c104HalfEEEPKSF_lEEPiiNS8_6detail34convert_binary_result_type_wrapperINS8_3SumESJ_iEEEE10hipError_tPvRmT1_T2_T3_mT4_P12ihipStream_tbEUlT_E1_NS1_11comp_targetILNS1_3genE3ELNS1_11target_archE908ELNS1_3gpuE7ELNS1_3repE0EEENS1_30default_config_static_selectorELNS0_4arch9wavefront6targetE0EEEvSS_,comdat
	.globl	_ZN7rocprim17ROCPRIM_400000_NS6detail17trampoline_kernelINS0_14default_configENS1_22reduce_config_selectorIbEEZNS1_11reduce_implILb1ES3_N6hipcub16HIPCUB_304000_NS22TransformInputIteratorIbN2at6native12_GLOBAL__N_19NonZeroOpIN3c104HalfEEEPKSF_lEEPiiNS8_6detail34convert_binary_result_type_wrapperINS8_3SumESJ_iEEEE10hipError_tPvRmT1_T2_T3_mT4_P12ihipStream_tbEUlT_E1_NS1_11comp_targetILNS1_3genE3ELNS1_11target_archE908ELNS1_3gpuE7ELNS1_3repE0EEENS1_30default_config_static_selectorELNS0_4arch9wavefront6targetE0EEEvSS_ ; -- Begin function _ZN7rocprim17ROCPRIM_400000_NS6detail17trampoline_kernelINS0_14default_configENS1_22reduce_config_selectorIbEEZNS1_11reduce_implILb1ES3_N6hipcub16HIPCUB_304000_NS22TransformInputIteratorIbN2at6native12_GLOBAL__N_19NonZeroOpIN3c104HalfEEEPKSF_lEEPiiNS8_6detail34convert_binary_result_type_wrapperINS8_3SumESJ_iEEEE10hipError_tPvRmT1_T2_T3_mT4_P12ihipStream_tbEUlT_E1_NS1_11comp_targetILNS1_3genE3ELNS1_11target_archE908ELNS1_3gpuE7ELNS1_3repE0EEENS1_30default_config_static_selectorELNS0_4arch9wavefront6targetE0EEEvSS_
	.p2align	8
	.type	_ZN7rocprim17ROCPRIM_400000_NS6detail17trampoline_kernelINS0_14default_configENS1_22reduce_config_selectorIbEEZNS1_11reduce_implILb1ES3_N6hipcub16HIPCUB_304000_NS22TransformInputIteratorIbN2at6native12_GLOBAL__N_19NonZeroOpIN3c104HalfEEEPKSF_lEEPiiNS8_6detail34convert_binary_result_type_wrapperINS8_3SumESJ_iEEEE10hipError_tPvRmT1_T2_T3_mT4_P12ihipStream_tbEUlT_E1_NS1_11comp_targetILNS1_3genE3ELNS1_11target_archE908ELNS1_3gpuE7ELNS1_3repE0EEENS1_30default_config_static_selectorELNS0_4arch9wavefront6targetE0EEEvSS_,@function
_ZN7rocprim17ROCPRIM_400000_NS6detail17trampoline_kernelINS0_14default_configENS1_22reduce_config_selectorIbEEZNS1_11reduce_implILb1ES3_N6hipcub16HIPCUB_304000_NS22TransformInputIteratorIbN2at6native12_GLOBAL__N_19NonZeroOpIN3c104HalfEEEPKSF_lEEPiiNS8_6detail34convert_binary_result_type_wrapperINS8_3SumESJ_iEEEE10hipError_tPvRmT1_T2_T3_mT4_P12ihipStream_tbEUlT_E1_NS1_11comp_targetILNS1_3genE3ELNS1_11target_archE908ELNS1_3gpuE7ELNS1_3repE0EEENS1_30default_config_static_selectorELNS0_4arch9wavefront6targetE0EEEvSS_: ; @_ZN7rocprim17ROCPRIM_400000_NS6detail17trampoline_kernelINS0_14default_configENS1_22reduce_config_selectorIbEEZNS1_11reduce_implILb1ES3_N6hipcub16HIPCUB_304000_NS22TransformInputIteratorIbN2at6native12_GLOBAL__N_19NonZeroOpIN3c104HalfEEEPKSF_lEEPiiNS8_6detail34convert_binary_result_type_wrapperINS8_3SumESJ_iEEEE10hipError_tPvRmT1_T2_T3_mT4_P12ihipStream_tbEUlT_E1_NS1_11comp_targetILNS1_3genE3ELNS1_11target_archE908ELNS1_3gpuE7ELNS1_3repE0EEENS1_30default_config_static_selectorELNS0_4arch9wavefront6targetE0EEEvSS_
; %bb.0:
	.section	.rodata,"a",@progbits
	.p2align	6, 0x0
	.amdhsa_kernel _ZN7rocprim17ROCPRIM_400000_NS6detail17trampoline_kernelINS0_14default_configENS1_22reduce_config_selectorIbEEZNS1_11reduce_implILb1ES3_N6hipcub16HIPCUB_304000_NS22TransformInputIteratorIbN2at6native12_GLOBAL__N_19NonZeroOpIN3c104HalfEEEPKSF_lEEPiiNS8_6detail34convert_binary_result_type_wrapperINS8_3SumESJ_iEEEE10hipError_tPvRmT1_T2_T3_mT4_P12ihipStream_tbEUlT_E1_NS1_11comp_targetILNS1_3genE3ELNS1_11target_archE908ELNS1_3gpuE7ELNS1_3repE0EEENS1_30default_config_static_selectorELNS0_4arch9wavefront6targetE0EEEvSS_
		.amdhsa_group_segment_fixed_size 0
		.amdhsa_private_segment_fixed_size 0
		.amdhsa_kernarg_size 48
		.amdhsa_user_sgpr_count 15
		.amdhsa_user_sgpr_dispatch_ptr 0
		.amdhsa_user_sgpr_queue_ptr 0
		.amdhsa_user_sgpr_kernarg_segment_ptr 1
		.amdhsa_user_sgpr_dispatch_id 0
		.amdhsa_user_sgpr_private_segment_size 0
		.amdhsa_wavefront_size32 1
		.amdhsa_uses_dynamic_stack 0
		.amdhsa_enable_private_segment 0
		.amdhsa_system_sgpr_workgroup_id_x 1
		.amdhsa_system_sgpr_workgroup_id_y 0
		.amdhsa_system_sgpr_workgroup_id_z 0
		.amdhsa_system_sgpr_workgroup_info 0
		.amdhsa_system_vgpr_workitem_id 0
		.amdhsa_next_free_vgpr 1
		.amdhsa_next_free_sgpr 1
		.amdhsa_reserve_vcc 0
		.amdhsa_float_round_mode_32 0
		.amdhsa_float_round_mode_16_64 0
		.amdhsa_float_denorm_mode_32 3
		.amdhsa_float_denorm_mode_16_64 3
		.amdhsa_dx10_clamp 1
		.amdhsa_ieee_mode 1
		.amdhsa_fp16_overflow 0
		.amdhsa_workgroup_processor_mode 1
		.amdhsa_memory_ordered 1
		.amdhsa_forward_progress 0
		.amdhsa_shared_vgpr_count 0
		.amdhsa_exception_fp_ieee_invalid_op 0
		.amdhsa_exception_fp_denorm_src 0
		.amdhsa_exception_fp_ieee_div_zero 0
		.amdhsa_exception_fp_ieee_overflow 0
		.amdhsa_exception_fp_ieee_underflow 0
		.amdhsa_exception_fp_ieee_inexact 0
		.amdhsa_exception_int_div_zero 0
	.end_amdhsa_kernel
	.section	.text._ZN7rocprim17ROCPRIM_400000_NS6detail17trampoline_kernelINS0_14default_configENS1_22reduce_config_selectorIbEEZNS1_11reduce_implILb1ES3_N6hipcub16HIPCUB_304000_NS22TransformInputIteratorIbN2at6native12_GLOBAL__N_19NonZeroOpIN3c104HalfEEEPKSF_lEEPiiNS8_6detail34convert_binary_result_type_wrapperINS8_3SumESJ_iEEEE10hipError_tPvRmT1_T2_T3_mT4_P12ihipStream_tbEUlT_E1_NS1_11comp_targetILNS1_3genE3ELNS1_11target_archE908ELNS1_3gpuE7ELNS1_3repE0EEENS1_30default_config_static_selectorELNS0_4arch9wavefront6targetE0EEEvSS_,"axG",@progbits,_ZN7rocprim17ROCPRIM_400000_NS6detail17trampoline_kernelINS0_14default_configENS1_22reduce_config_selectorIbEEZNS1_11reduce_implILb1ES3_N6hipcub16HIPCUB_304000_NS22TransformInputIteratorIbN2at6native12_GLOBAL__N_19NonZeroOpIN3c104HalfEEEPKSF_lEEPiiNS8_6detail34convert_binary_result_type_wrapperINS8_3SumESJ_iEEEE10hipError_tPvRmT1_T2_T3_mT4_P12ihipStream_tbEUlT_E1_NS1_11comp_targetILNS1_3genE3ELNS1_11target_archE908ELNS1_3gpuE7ELNS1_3repE0EEENS1_30default_config_static_selectorELNS0_4arch9wavefront6targetE0EEEvSS_,comdat
.Lfunc_end860:
	.size	_ZN7rocprim17ROCPRIM_400000_NS6detail17trampoline_kernelINS0_14default_configENS1_22reduce_config_selectorIbEEZNS1_11reduce_implILb1ES3_N6hipcub16HIPCUB_304000_NS22TransformInputIteratorIbN2at6native12_GLOBAL__N_19NonZeroOpIN3c104HalfEEEPKSF_lEEPiiNS8_6detail34convert_binary_result_type_wrapperINS8_3SumESJ_iEEEE10hipError_tPvRmT1_T2_T3_mT4_P12ihipStream_tbEUlT_E1_NS1_11comp_targetILNS1_3genE3ELNS1_11target_archE908ELNS1_3gpuE7ELNS1_3repE0EEENS1_30default_config_static_selectorELNS0_4arch9wavefront6targetE0EEEvSS_, .Lfunc_end860-_ZN7rocprim17ROCPRIM_400000_NS6detail17trampoline_kernelINS0_14default_configENS1_22reduce_config_selectorIbEEZNS1_11reduce_implILb1ES3_N6hipcub16HIPCUB_304000_NS22TransformInputIteratorIbN2at6native12_GLOBAL__N_19NonZeroOpIN3c104HalfEEEPKSF_lEEPiiNS8_6detail34convert_binary_result_type_wrapperINS8_3SumESJ_iEEEE10hipError_tPvRmT1_T2_T3_mT4_P12ihipStream_tbEUlT_E1_NS1_11comp_targetILNS1_3genE3ELNS1_11target_archE908ELNS1_3gpuE7ELNS1_3repE0EEENS1_30default_config_static_selectorELNS0_4arch9wavefront6targetE0EEEvSS_
                                        ; -- End function
	.section	.AMDGPU.csdata,"",@progbits
; Kernel info:
; codeLenInByte = 0
; NumSgprs: 0
; NumVgprs: 0
; ScratchSize: 0
; MemoryBound: 0
; FloatMode: 240
; IeeeMode: 1
; LDSByteSize: 0 bytes/workgroup (compile time only)
; SGPRBlocks: 0
; VGPRBlocks: 0
; NumSGPRsForWavesPerEU: 1
; NumVGPRsForWavesPerEU: 1
; Occupancy: 16
; WaveLimiterHint : 0
; COMPUTE_PGM_RSRC2:SCRATCH_EN: 0
; COMPUTE_PGM_RSRC2:USER_SGPR: 15
; COMPUTE_PGM_RSRC2:TRAP_HANDLER: 0
; COMPUTE_PGM_RSRC2:TGID_X_EN: 1
; COMPUTE_PGM_RSRC2:TGID_Y_EN: 0
; COMPUTE_PGM_RSRC2:TGID_Z_EN: 0
; COMPUTE_PGM_RSRC2:TIDIG_COMP_CNT: 0
	.section	.text._ZN7rocprim17ROCPRIM_400000_NS6detail17trampoline_kernelINS0_14default_configENS1_22reduce_config_selectorIbEEZNS1_11reduce_implILb1ES3_N6hipcub16HIPCUB_304000_NS22TransformInputIteratorIbN2at6native12_GLOBAL__N_19NonZeroOpIN3c104HalfEEEPKSF_lEEPiiNS8_6detail34convert_binary_result_type_wrapperINS8_3SumESJ_iEEEE10hipError_tPvRmT1_T2_T3_mT4_P12ihipStream_tbEUlT_E1_NS1_11comp_targetILNS1_3genE2ELNS1_11target_archE906ELNS1_3gpuE6ELNS1_3repE0EEENS1_30default_config_static_selectorELNS0_4arch9wavefront6targetE0EEEvSS_,"axG",@progbits,_ZN7rocprim17ROCPRIM_400000_NS6detail17trampoline_kernelINS0_14default_configENS1_22reduce_config_selectorIbEEZNS1_11reduce_implILb1ES3_N6hipcub16HIPCUB_304000_NS22TransformInputIteratorIbN2at6native12_GLOBAL__N_19NonZeroOpIN3c104HalfEEEPKSF_lEEPiiNS8_6detail34convert_binary_result_type_wrapperINS8_3SumESJ_iEEEE10hipError_tPvRmT1_T2_T3_mT4_P12ihipStream_tbEUlT_E1_NS1_11comp_targetILNS1_3genE2ELNS1_11target_archE906ELNS1_3gpuE6ELNS1_3repE0EEENS1_30default_config_static_selectorELNS0_4arch9wavefront6targetE0EEEvSS_,comdat
	.globl	_ZN7rocprim17ROCPRIM_400000_NS6detail17trampoline_kernelINS0_14default_configENS1_22reduce_config_selectorIbEEZNS1_11reduce_implILb1ES3_N6hipcub16HIPCUB_304000_NS22TransformInputIteratorIbN2at6native12_GLOBAL__N_19NonZeroOpIN3c104HalfEEEPKSF_lEEPiiNS8_6detail34convert_binary_result_type_wrapperINS8_3SumESJ_iEEEE10hipError_tPvRmT1_T2_T3_mT4_P12ihipStream_tbEUlT_E1_NS1_11comp_targetILNS1_3genE2ELNS1_11target_archE906ELNS1_3gpuE6ELNS1_3repE0EEENS1_30default_config_static_selectorELNS0_4arch9wavefront6targetE0EEEvSS_ ; -- Begin function _ZN7rocprim17ROCPRIM_400000_NS6detail17trampoline_kernelINS0_14default_configENS1_22reduce_config_selectorIbEEZNS1_11reduce_implILb1ES3_N6hipcub16HIPCUB_304000_NS22TransformInputIteratorIbN2at6native12_GLOBAL__N_19NonZeroOpIN3c104HalfEEEPKSF_lEEPiiNS8_6detail34convert_binary_result_type_wrapperINS8_3SumESJ_iEEEE10hipError_tPvRmT1_T2_T3_mT4_P12ihipStream_tbEUlT_E1_NS1_11comp_targetILNS1_3genE2ELNS1_11target_archE906ELNS1_3gpuE6ELNS1_3repE0EEENS1_30default_config_static_selectorELNS0_4arch9wavefront6targetE0EEEvSS_
	.p2align	8
	.type	_ZN7rocprim17ROCPRIM_400000_NS6detail17trampoline_kernelINS0_14default_configENS1_22reduce_config_selectorIbEEZNS1_11reduce_implILb1ES3_N6hipcub16HIPCUB_304000_NS22TransformInputIteratorIbN2at6native12_GLOBAL__N_19NonZeroOpIN3c104HalfEEEPKSF_lEEPiiNS8_6detail34convert_binary_result_type_wrapperINS8_3SumESJ_iEEEE10hipError_tPvRmT1_T2_T3_mT4_P12ihipStream_tbEUlT_E1_NS1_11comp_targetILNS1_3genE2ELNS1_11target_archE906ELNS1_3gpuE6ELNS1_3repE0EEENS1_30default_config_static_selectorELNS0_4arch9wavefront6targetE0EEEvSS_,@function
_ZN7rocprim17ROCPRIM_400000_NS6detail17trampoline_kernelINS0_14default_configENS1_22reduce_config_selectorIbEEZNS1_11reduce_implILb1ES3_N6hipcub16HIPCUB_304000_NS22TransformInputIteratorIbN2at6native12_GLOBAL__N_19NonZeroOpIN3c104HalfEEEPKSF_lEEPiiNS8_6detail34convert_binary_result_type_wrapperINS8_3SumESJ_iEEEE10hipError_tPvRmT1_T2_T3_mT4_P12ihipStream_tbEUlT_E1_NS1_11comp_targetILNS1_3genE2ELNS1_11target_archE906ELNS1_3gpuE6ELNS1_3repE0EEENS1_30default_config_static_selectorELNS0_4arch9wavefront6targetE0EEEvSS_: ; @_ZN7rocprim17ROCPRIM_400000_NS6detail17trampoline_kernelINS0_14default_configENS1_22reduce_config_selectorIbEEZNS1_11reduce_implILb1ES3_N6hipcub16HIPCUB_304000_NS22TransformInputIteratorIbN2at6native12_GLOBAL__N_19NonZeroOpIN3c104HalfEEEPKSF_lEEPiiNS8_6detail34convert_binary_result_type_wrapperINS8_3SumESJ_iEEEE10hipError_tPvRmT1_T2_T3_mT4_P12ihipStream_tbEUlT_E1_NS1_11comp_targetILNS1_3genE2ELNS1_11target_archE906ELNS1_3gpuE6ELNS1_3repE0EEENS1_30default_config_static_selectorELNS0_4arch9wavefront6targetE0EEEvSS_
; %bb.0:
	.section	.rodata,"a",@progbits
	.p2align	6, 0x0
	.amdhsa_kernel _ZN7rocprim17ROCPRIM_400000_NS6detail17trampoline_kernelINS0_14default_configENS1_22reduce_config_selectorIbEEZNS1_11reduce_implILb1ES3_N6hipcub16HIPCUB_304000_NS22TransformInputIteratorIbN2at6native12_GLOBAL__N_19NonZeroOpIN3c104HalfEEEPKSF_lEEPiiNS8_6detail34convert_binary_result_type_wrapperINS8_3SumESJ_iEEEE10hipError_tPvRmT1_T2_T3_mT4_P12ihipStream_tbEUlT_E1_NS1_11comp_targetILNS1_3genE2ELNS1_11target_archE906ELNS1_3gpuE6ELNS1_3repE0EEENS1_30default_config_static_selectorELNS0_4arch9wavefront6targetE0EEEvSS_
		.amdhsa_group_segment_fixed_size 0
		.amdhsa_private_segment_fixed_size 0
		.amdhsa_kernarg_size 48
		.amdhsa_user_sgpr_count 15
		.amdhsa_user_sgpr_dispatch_ptr 0
		.amdhsa_user_sgpr_queue_ptr 0
		.amdhsa_user_sgpr_kernarg_segment_ptr 1
		.amdhsa_user_sgpr_dispatch_id 0
		.amdhsa_user_sgpr_private_segment_size 0
		.amdhsa_wavefront_size32 1
		.amdhsa_uses_dynamic_stack 0
		.amdhsa_enable_private_segment 0
		.amdhsa_system_sgpr_workgroup_id_x 1
		.amdhsa_system_sgpr_workgroup_id_y 0
		.amdhsa_system_sgpr_workgroup_id_z 0
		.amdhsa_system_sgpr_workgroup_info 0
		.amdhsa_system_vgpr_workitem_id 0
		.amdhsa_next_free_vgpr 1
		.amdhsa_next_free_sgpr 1
		.amdhsa_reserve_vcc 0
		.amdhsa_float_round_mode_32 0
		.amdhsa_float_round_mode_16_64 0
		.amdhsa_float_denorm_mode_32 3
		.amdhsa_float_denorm_mode_16_64 3
		.amdhsa_dx10_clamp 1
		.amdhsa_ieee_mode 1
		.amdhsa_fp16_overflow 0
		.amdhsa_workgroup_processor_mode 1
		.amdhsa_memory_ordered 1
		.amdhsa_forward_progress 0
		.amdhsa_shared_vgpr_count 0
		.amdhsa_exception_fp_ieee_invalid_op 0
		.amdhsa_exception_fp_denorm_src 0
		.amdhsa_exception_fp_ieee_div_zero 0
		.amdhsa_exception_fp_ieee_overflow 0
		.amdhsa_exception_fp_ieee_underflow 0
		.amdhsa_exception_fp_ieee_inexact 0
		.amdhsa_exception_int_div_zero 0
	.end_amdhsa_kernel
	.section	.text._ZN7rocprim17ROCPRIM_400000_NS6detail17trampoline_kernelINS0_14default_configENS1_22reduce_config_selectorIbEEZNS1_11reduce_implILb1ES3_N6hipcub16HIPCUB_304000_NS22TransformInputIteratorIbN2at6native12_GLOBAL__N_19NonZeroOpIN3c104HalfEEEPKSF_lEEPiiNS8_6detail34convert_binary_result_type_wrapperINS8_3SumESJ_iEEEE10hipError_tPvRmT1_T2_T3_mT4_P12ihipStream_tbEUlT_E1_NS1_11comp_targetILNS1_3genE2ELNS1_11target_archE906ELNS1_3gpuE6ELNS1_3repE0EEENS1_30default_config_static_selectorELNS0_4arch9wavefront6targetE0EEEvSS_,"axG",@progbits,_ZN7rocprim17ROCPRIM_400000_NS6detail17trampoline_kernelINS0_14default_configENS1_22reduce_config_selectorIbEEZNS1_11reduce_implILb1ES3_N6hipcub16HIPCUB_304000_NS22TransformInputIteratorIbN2at6native12_GLOBAL__N_19NonZeroOpIN3c104HalfEEEPKSF_lEEPiiNS8_6detail34convert_binary_result_type_wrapperINS8_3SumESJ_iEEEE10hipError_tPvRmT1_T2_T3_mT4_P12ihipStream_tbEUlT_E1_NS1_11comp_targetILNS1_3genE2ELNS1_11target_archE906ELNS1_3gpuE6ELNS1_3repE0EEENS1_30default_config_static_selectorELNS0_4arch9wavefront6targetE0EEEvSS_,comdat
.Lfunc_end861:
	.size	_ZN7rocprim17ROCPRIM_400000_NS6detail17trampoline_kernelINS0_14default_configENS1_22reduce_config_selectorIbEEZNS1_11reduce_implILb1ES3_N6hipcub16HIPCUB_304000_NS22TransformInputIteratorIbN2at6native12_GLOBAL__N_19NonZeroOpIN3c104HalfEEEPKSF_lEEPiiNS8_6detail34convert_binary_result_type_wrapperINS8_3SumESJ_iEEEE10hipError_tPvRmT1_T2_T3_mT4_P12ihipStream_tbEUlT_E1_NS1_11comp_targetILNS1_3genE2ELNS1_11target_archE906ELNS1_3gpuE6ELNS1_3repE0EEENS1_30default_config_static_selectorELNS0_4arch9wavefront6targetE0EEEvSS_, .Lfunc_end861-_ZN7rocprim17ROCPRIM_400000_NS6detail17trampoline_kernelINS0_14default_configENS1_22reduce_config_selectorIbEEZNS1_11reduce_implILb1ES3_N6hipcub16HIPCUB_304000_NS22TransformInputIteratorIbN2at6native12_GLOBAL__N_19NonZeroOpIN3c104HalfEEEPKSF_lEEPiiNS8_6detail34convert_binary_result_type_wrapperINS8_3SumESJ_iEEEE10hipError_tPvRmT1_T2_T3_mT4_P12ihipStream_tbEUlT_E1_NS1_11comp_targetILNS1_3genE2ELNS1_11target_archE906ELNS1_3gpuE6ELNS1_3repE0EEENS1_30default_config_static_selectorELNS0_4arch9wavefront6targetE0EEEvSS_
                                        ; -- End function
	.section	.AMDGPU.csdata,"",@progbits
; Kernel info:
; codeLenInByte = 0
; NumSgprs: 0
; NumVgprs: 0
; ScratchSize: 0
; MemoryBound: 0
; FloatMode: 240
; IeeeMode: 1
; LDSByteSize: 0 bytes/workgroup (compile time only)
; SGPRBlocks: 0
; VGPRBlocks: 0
; NumSGPRsForWavesPerEU: 1
; NumVGPRsForWavesPerEU: 1
; Occupancy: 16
; WaveLimiterHint : 0
; COMPUTE_PGM_RSRC2:SCRATCH_EN: 0
; COMPUTE_PGM_RSRC2:USER_SGPR: 15
; COMPUTE_PGM_RSRC2:TRAP_HANDLER: 0
; COMPUTE_PGM_RSRC2:TGID_X_EN: 1
; COMPUTE_PGM_RSRC2:TGID_Y_EN: 0
; COMPUTE_PGM_RSRC2:TGID_Z_EN: 0
; COMPUTE_PGM_RSRC2:TIDIG_COMP_CNT: 0
	.section	.text._ZN7rocprim17ROCPRIM_400000_NS6detail17trampoline_kernelINS0_14default_configENS1_22reduce_config_selectorIbEEZNS1_11reduce_implILb1ES3_N6hipcub16HIPCUB_304000_NS22TransformInputIteratorIbN2at6native12_GLOBAL__N_19NonZeroOpIN3c104HalfEEEPKSF_lEEPiiNS8_6detail34convert_binary_result_type_wrapperINS8_3SumESJ_iEEEE10hipError_tPvRmT1_T2_T3_mT4_P12ihipStream_tbEUlT_E1_NS1_11comp_targetILNS1_3genE10ELNS1_11target_archE1201ELNS1_3gpuE5ELNS1_3repE0EEENS1_30default_config_static_selectorELNS0_4arch9wavefront6targetE0EEEvSS_,"axG",@progbits,_ZN7rocprim17ROCPRIM_400000_NS6detail17trampoline_kernelINS0_14default_configENS1_22reduce_config_selectorIbEEZNS1_11reduce_implILb1ES3_N6hipcub16HIPCUB_304000_NS22TransformInputIteratorIbN2at6native12_GLOBAL__N_19NonZeroOpIN3c104HalfEEEPKSF_lEEPiiNS8_6detail34convert_binary_result_type_wrapperINS8_3SumESJ_iEEEE10hipError_tPvRmT1_T2_T3_mT4_P12ihipStream_tbEUlT_E1_NS1_11comp_targetILNS1_3genE10ELNS1_11target_archE1201ELNS1_3gpuE5ELNS1_3repE0EEENS1_30default_config_static_selectorELNS0_4arch9wavefront6targetE0EEEvSS_,comdat
	.globl	_ZN7rocprim17ROCPRIM_400000_NS6detail17trampoline_kernelINS0_14default_configENS1_22reduce_config_selectorIbEEZNS1_11reduce_implILb1ES3_N6hipcub16HIPCUB_304000_NS22TransformInputIteratorIbN2at6native12_GLOBAL__N_19NonZeroOpIN3c104HalfEEEPKSF_lEEPiiNS8_6detail34convert_binary_result_type_wrapperINS8_3SumESJ_iEEEE10hipError_tPvRmT1_T2_T3_mT4_P12ihipStream_tbEUlT_E1_NS1_11comp_targetILNS1_3genE10ELNS1_11target_archE1201ELNS1_3gpuE5ELNS1_3repE0EEENS1_30default_config_static_selectorELNS0_4arch9wavefront6targetE0EEEvSS_ ; -- Begin function _ZN7rocprim17ROCPRIM_400000_NS6detail17trampoline_kernelINS0_14default_configENS1_22reduce_config_selectorIbEEZNS1_11reduce_implILb1ES3_N6hipcub16HIPCUB_304000_NS22TransformInputIteratorIbN2at6native12_GLOBAL__N_19NonZeroOpIN3c104HalfEEEPKSF_lEEPiiNS8_6detail34convert_binary_result_type_wrapperINS8_3SumESJ_iEEEE10hipError_tPvRmT1_T2_T3_mT4_P12ihipStream_tbEUlT_E1_NS1_11comp_targetILNS1_3genE10ELNS1_11target_archE1201ELNS1_3gpuE5ELNS1_3repE0EEENS1_30default_config_static_selectorELNS0_4arch9wavefront6targetE0EEEvSS_
	.p2align	8
	.type	_ZN7rocprim17ROCPRIM_400000_NS6detail17trampoline_kernelINS0_14default_configENS1_22reduce_config_selectorIbEEZNS1_11reduce_implILb1ES3_N6hipcub16HIPCUB_304000_NS22TransformInputIteratorIbN2at6native12_GLOBAL__N_19NonZeroOpIN3c104HalfEEEPKSF_lEEPiiNS8_6detail34convert_binary_result_type_wrapperINS8_3SumESJ_iEEEE10hipError_tPvRmT1_T2_T3_mT4_P12ihipStream_tbEUlT_E1_NS1_11comp_targetILNS1_3genE10ELNS1_11target_archE1201ELNS1_3gpuE5ELNS1_3repE0EEENS1_30default_config_static_selectorELNS0_4arch9wavefront6targetE0EEEvSS_,@function
_ZN7rocprim17ROCPRIM_400000_NS6detail17trampoline_kernelINS0_14default_configENS1_22reduce_config_selectorIbEEZNS1_11reduce_implILb1ES3_N6hipcub16HIPCUB_304000_NS22TransformInputIteratorIbN2at6native12_GLOBAL__N_19NonZeroOpIN3c104HalfEEEPKSF_lEEPiiNS8_6detail34convert_binary_result_type_wrapperINS8_3SumESJ_iEEEE10hipError_tPvRmT1_T2_T3_mT4_P12ihipStream_tbEUlT_E1_NS1_11comp_targetILNS1_3genE10ELNS1_11target_archE1201ELNS1_3gpuE5ELNS1_3repE0EEENS1_30default_config_static_selectorELNS0_4arch9wavefront6targetE0EEEvSS_: ; @_ZN7rocprim17ROCPRIM_400000_NS6detail17trampoline_kernelINS0_14default_configENS1_22reduce_config_selectorIbEEZNS1_11reduce_implILb1ES3_N6hipcub16HIPCUB_304000_NS22TransformInputIteratorIbN2at6native12_GLOBAL__N_19NonZeroOpIN3c104HalfEEEPKSF_lEEPiiNS8_6detail34convert_binary_result_type_wrapperINS8_3SumESJ_iEEEE10hipError_tPvRmT1_T2_T3_mT4_P12ihipStream_tbEUlT_E1_NS1_11comp_targetILNS1_3genE10ELNS1_11target_archE1201ELNS1_3gpuE5ELNS1_3repE0EEENS1_30default_config_static_selectorELNS0_4arch9wavefront6targetE0EEEvSS_
; %bb.0:
	.section	.rodata,"a",@progbits
	.p2align	6, 0x0
	.amdhsa_kernel _ZN7rocprim17ROCPRIM_400000_NS6detail17trampoline_kernelINS0_14default_configENS1_22reduce_config_selectorIbEEZNS1_11reduce_implILb1ES3_N6hipcub16HIPCUB_304000_NS22TransformInputIteratorIbN2at6native12_GLOBAL__N_19NonZeroOpIN3c104HalfEEEPKSF_lEEPiiNS8_6detail34convert_binary_result_type_wrapperINS8_3SumESJ_iEEEE10hipError_tPvRmT1_T2_T3_mT4_P12ihipStream_tbEUlT_E1_NS1_11comp_targetILNS1_3genE10ELNS1_11target_archE1201ELNS1_3gpuE5ELNS1_3repE0EEENS1_30default_config_static_selectorELNS0_4arch9wavefront6targetE0EEEvSS_
		.amdhsa_group_segment_fixed_size 0
		.amdhsa_private_segment_fixed_size 0
		.amdhsa_kernarg_size 48
		.amdhsa_user_sgpr_count 15
		.amdhsa_user_sgpr_dispatch_ptr 0
		.amdhsa_user_sgpr_queue_ptr 0
		.amdhsa_user_sgpr_kernarg_segment_ptr 1
		.amdhsa_user_sgpr_dispatch_id 0
		.amdhsa_user_sgpr_private_segment_size 0
		.amdhsa_wavefront_size32 1
		.amdhsa_uses_dynamic_stack 0
		.amdhsa_enable_private_segment 0
		.amdhsa_system_sgpr_workgroup_id_x 1
		.amdhsa_system_sgpr_workgroup_id_y 0
		.amdhsa_system_sgpr_workgroup_id_z 0
		.amdhsa_system_sgpr_workgroup_info 0
		.amdhsa_system_vgpr_workitem_id 0
		.amdhsa_next_free_vgpr 1
		.amdhsa_next_free_sgpr 1
		.amdhsa_reserve_vcc 0
		.amdhsa_float_round_mode_32 0
		.amdhsa_float_round_mode_16_64 0
		.amdhsa_float_denorm_mode_32 3
		.amdhsa_float_denorm_mode_16_64 3
		.amdhsa_dx10_clamp 1
		.amdhsa_ieee_mode 1
		.amdhsa_fp16_overflow 0
		.amdhsa_workgroup_processor_mode 1
		.amdhsa_memory_ordered 1
		.amdhsa_forward_progress 0
		.amdhsa_shared_vgpr_count 0
		.amdhsa_exception_fp_ieee_invalid_op 0
		.amdhsa_exception_fp_denorm_src 0
		.amdhsa_exception_fp_ieee_div_zero 0
		.amdhsa_exception_fp_ieee_overflow 0
		.amdhsa_exception_fp_ieee_underflow 0
		.amdhsa_exception_fp_ieee_inexact 0
		.amdhsa_exception_int_div_zero 0
	.end_amdhsa_kernel
	.section	.text._ZN7rocprim17ROCPRIM_400000_NS6detail17trampoline_kernelINS0_14default_configENS1_22reduce_config_selectorIbEEZNS1_11reduce_implILb1ES3_N6hipcub16HIPCUB_304000_NS22TransformInputIteratorIbN2at6native12_GLOBAL__N_19NonZeroOpIN3c104HalfEEEPKSF_lEEPiiNS8_6detail34convert_binary_result_type_wrapperINS8_3SumESJ_iEEEE10hipError_tPvRmT1_T2_T3_mT4_P12ihipStream_tbEUlT_E1_NS1_11comp_targetILNS1_3genE10ELNS1_11target_archE1201ELNS1_3gpuE5ELNS1_3repE0EEENS1_30default_config_static_selectorELNS0_4arch9wavefront6targetE0EEEvSS_,"axG",@progbits,_ZN7rocprim17ROCPRIM_400000_NS6detail17trampoline_kernelINS0_14default_configENS1_22reduce_config_selectorIbEEZNS1_11reduce_implILb1ES3_N6hipcub16HIPCUB_304000_NS22TransformInputIteratorIbN2at6native12_GLOBAL__N_19NonZeroOpIN3c104HalfEEEPKSF_lEEPiiNS8_6detail34convert_binary_result_type_wrapperINS8_3SumESJ_iEEEE10hipError_tPvRmT1_T2_T3_mT4_P12ihipStream_tbEUlT_E1_NS1_11comp_targetILNS1_3genE10ELNS1_11target_archE1201ELNS1_3gpuE5ELNS1_3repE0EEENS1_30default_config_static_selectorELNS0_4arch9wavefront6targetE0EEEvSS_,comdat
.Lfunc_end862:
	.size	_ZN7rocprim17ROCPRIM_400000_NS6detail17trampoline_kernelINS0_14default_configENS1_22reduce_config_selectorIbEEZNS1_11reduce_implILb1ES3_N6hipcub16HIPCUB_304000_NS22TransformInputIteratorIbN2at6native12_GLOBAL__N_19NonZeroOpIN3c104HalfEEEPKSF_lEEPiiNS8_6detail34convert_binary_result_type_wrapperINS8_3SumESJ_iEEEE10hipError_tPvRmT1_T2_T3_mT4_P12ihipStream_tbEUlT_E1_NS1_11comp_targetILNS1_3genE10ELNS1_11target_archE1201ELNS1_3gpuE5ELNS1_3repE0EEENS1_30default_config_static_selectorELNS0_4arch9wavefront6targetE0EEEvSS_, .Lfunc_end862-_ZN7rocprim17ROCPRIM_400000_NS6detail17trampoline_kernelINS0_14default_configENS1_22reduce_config_selectorIbEEZNS1_11reduce_implILb1ES3_N6hipcub16HIPCUB_304000_NS22TransformInputIteratorIbN2at6native12_GLOBAL__N_19NonZeroOpIN3c104HalfEEEPKSF_lEEPiiNS8_6detail34convert_binary_result_type_wrapperINS8_3SumESJ_iEEEE10hipError_tPvRmT1_T2_T3_mT4_P12ihipStream_tbEUlT_E1_NS1_11comp_targetILNS1_3genE10ELNS1_11target_archE1201ELNS1_3gpuE5ELNS1_3repE0EEENS1_30default_config_static_selectorELNS0_4arch9wavefront6targetE0EEEvSS_
                                        ; -- End function
	.section	.AMDGPU.csdata,"",@progbits
; Kernel info:
; codeLenInByte = 0
; NumSgprs: 0
; NumVgprs: 0
; ScratchSize: 0
; MemoryBound: 0
; FloatMode: 240
; IeeeMode: 1
; LDSByteSize: 0 bytes/workgroup (compile time only)
; SGPRBlocks: 0
; VGPRBlocks: 0
; NumSGPRsForWavesPerEU: 1
; NumVGPRsForWavesPerEU: 1
; Occupancy: 16
; WaveLimiterHint : 0
; COMPUTE_PGM_RSRC2:SCRATCH_EN: 0
; COMPUTE_PGM_RSRC2:USER_SGPR: 15
; COMPUTE_PGM_RSRC2:TRAP_HANDLER: 0
; COMPUTE_PGM_RSRC2:TGID_X_EN: 1
; COMPUTE_PGM_RSRC2:TGID_Y_EN: 0
; COMPUTE_PGM_RSRC2:TGID_Z_EN: 0
; COMPUTE_PGM_RSRC2:TIDIG_COMP_CNT: 0
	.section	.text._ZN7rocprim17ROCPRIM_400000_NS6detail17trampoline_kernelINS0_14default_configENS1_22reduce_config_selectorIbEEZNS1_11reduce_implILb1ES3_N6hipcub16HIPCUB_304000_NS22TransformInputIteratorIbN2at6native12_GLOBAL__N_19NonZeroOpIN3c104HalfEEEPKSF_lEEPiiNS8_6detail34convert_binary_result_type_wrapperINS8_3SumESJ_iEEEE10hipError_tPvRmT1_T2_T3_mT4_P12ihipStream_tbEUlT_E1_NS1_11comp_targetILNS1_3genE10ELNS1_11target_archE1200ELNS1_3gpuE4ELNS1_3repE0EEENS1_30default_config_static_selectorELNS0_4arch9wavefront6targetE0EEEvSS_,"axG",@progbits,_ZN7rocprim17ROCPRIM_400000_NS6detail17trampoline_kernelINS0_14default_configENS1_22reduce_config_selectorIbEEZNS1_11reduce_implILb1ES3_N6hipcub16HIPCUB_304000_NS22TransformInputIteratorIbN2at6native12_GLOBAL__N_19NonZeroOpIN3c104HalfEEEPKSF_lEEPiiNS8_6detail34convert_binary_result_type_wrapperINS8_3SumESJ_iEEEE10hipError_tPvRmT1_T2_T3_mT4_P12ihipStream_tbEUlT_E1_NS1_11comp_targetILNS1_3genE10ELNS1_11target_archE1200ELNS1_3gpuE4ELNS1_3repE0EEENS1_30default_config_static_selectorELNS0_4arch9wavefront6targetE0EEEvSS_,comdat
	.globl	_ZN7rocprim17ROCPRIM_400000_NS6detail17trampoline_kernelINS0_14default_configENS1_22reduce_config_selectorIbEEZNS1_11reduce_implILb1ES3_N6hipcub16HIPCUB_304000_NS22TransformInputIteratorIbN2at6native12_GLOBAL__N_19NonZeroOpIN3c104HalfEEEPKSF_lEEPiiNS8_6detail34convert_binary_result_type_wrapperINS8_3SumESJ_iEEEE10hipError_tPvRmT1_T2_T3_mT4_P12ihipStream_tbEUlT_E1_NS1_11comp_targetILNS1_3genE10ELNS1_11target_archE1200ELNS1_3gpuE4ELNS1_3repE0EEENS1_30default_config_static_selectorELNS0_4arch9wavefront6targetE0EEEvSS_ ; -- Begin function _ZN7rocprim17ROCPRIM_400000_NS6detail17trampoline_kernelINS0_14default_configENS1_22reduce_config_selectorIbEEZNS1_11reduce_implILb1ES3_N6hipcub16HIPCUB_304000_NS22TransformInputIteratorIbN2at6native12_GLOBAL__N_19NonZeroOpIN3c104HalfEEEPKSF_lEEPiiNS8_6detail34convert_binary_result_type_wrapperINS8_3SumESJ_iEEEE10hipError_tPvRmT1_T2_T3_mT4_P12ihipStream_tbEUlT_E1_NS1_11comp_targetILNS1_3genE10ELNS1_11target_archE1200ELNS1_3gpuE4ELNS1_3repE0EEENS1_30default_config_static_selectorELNS0_4arch9wavefront6targetE0EEEvSS_
	.p2align	8
	.type	_ZN7rocprim17ROCPRIM_400000_NS6detail17trampoline_kernelINS0_14default_configENS1_22reduce_config_selectorIbEEZNS1_11reduce_implILb1ES3_N6hipcub16HIPCUB_304000_NS22TransformInputIteratorIbN2at6native12_GLOBAL__N_19NonZeroOpIN3c104HalfEEEPKSF_lEEPiiNS8_6detail34convert_binary_result_type_wrapperINS8_3SumESJ_iEEEE10hipError_tPvRmT1_T2_T3_mT4_P12ihipStream_tbEUlT_E1_NS1_11comp_targetILNS1_3genE10ELNS1_11target_archE1200ELNS1_3gpuE4ELNS1_3repE0EEENS1_30default_config_static_selectorELNS0_4arch9wavefront6targetE0EEEvSS_,@function
_ZN7rocprim17ROCPRIM_400000_NS6detail17trampoline_kernelINS0_14default_configENS1_22reduce_config_selectorIbEEZNS1_11reduce_implILb1ES3_N6hipcub16HIPCUB_304000_NS22TransformInputIteratorIbN2at6native12_GLOBAL__N_19NonZeroOpIN3c104HalfEEEPKSF_lEEPiiNS8_6detail34convert_binary_result_type_wrapperINS8_3SumESJ_iEEEE10hipError_tPvRmT1_T2_T3_mT4_P12ihipStream_tbEUlT_E1_NS1_11comp_targetILNS1_3genE10ELNS1_11target_archE1200ELNS1_3gpuE4ELNS1_3repE0EEENS1_30default_config_static_selectorELNS0_4arch9wavefront6targetE0EEEvSS_: ; @_ZN7rocprim17ROCPRIM_400000_NS6detail17trampoline_kernelINS0_14default_configENS1_22reduce_config_selectorIbEEZNS1_11reduce_implILb1ES3_N6hipcub16HIPCUB_304000_NS22TransformInputIteratorIbN2at6native12_GLOBAL__N_19NonZeroOpIN3c104HalfEEEPKSF_lEEPiiNS8_6detail34convert_binary_result_type_wrapperINS8_3SumESJ_iEEEE10hipError_tPvRmT1_T2_T3_mT4_P12ihipStream_tbEUlT_E1_NS1_11comp_targetILNS1_3genE10ELNS1_11target_archE1200ELNS1_3gpuE4ELNS1_3repE0EEENS1_30default_config_static_selectorELNS0_4arch9wavefront6targetE0EEEvSS_
; %bb.0:
	.section	.rodata,"a",@progbits
	.p2align	6, 0x0
	.amdhsa_kernel _ZN7rocprim17ROCPRIM_400000_NS6detail17trampoline_kernelINS0_14default_configENS1_22reduce_config_selectorIbEEZNS1_11reduce_implILb1ES3_N6hipcub16HIPCUB_304000_NS22TransformInputIteratorIbN2at6native12_GLOBAL__N_19NonZeroOpIN3c104HalfEEEPKSF_lEEPiiNS8_6detail34convert_binary_result_type_wrapperINS8_3SumESJ_iEEEE10hipError_tPvRmT1_T2_T3_mT4_P12ihipStream_tbEUlT_E1_NS1_11comp_targetILNS1_3genE10ELNS1_11target_archE1200ELNS1_3gpuE4ELNS1_3repE0EEENS1_30default_config_static_selectorELNS0_4arch9wavefront6targetE0EEEvSS_
		.amdhsa_group_segment_fixed_size 0
		.amdhsa_private_segment_fixed_size 0
		.amdhsa_kernarg_size 48
		.amdhsa_user_sgpr_count 15
		.amdhsa_user_sgpr_dispatch_ptr 0
		.amdhsa_user_sgpr_queue_ptr 0
		.amdhsa_user_sgpr_kernarg_segment_ptr 1
		.amdhsa_user_sgpr_dispatch_id 0
		.amdhsa_user_sgpr_private_segment_size 0
		.amdhsa_wavefront_size32 1
		.amdhsa_uses_dynamic_stack 0
		.amdhsa_enable_private_segment 0
		.amdhsa_system_sgpr_workgroup_id_x 1
		.amdhsa_system_sgpr_workgroup_id_y 0
		.amdhsa_system_sgpr_workgroup_id_z 0
		.amdhsa_system_sgpr_workgroup_info 0
		.amdhsa_system_vgpr_workitem_id 0
		.amdhsa_next_free_vgpr 1
		.amdhsa_next_free_sgpr 1
		.amdhsa_reserve_vcc 0
		.amdhsa_float_round_mode_32 0
		.amdhsa_float_round_mode_16_64 0
		.amdhsa_float_denorm_mode_32 3
		.amdhsa_float_denorm_mode_16_64 3
		.amdhsa_dx10_clamp 1
		.amdhsa_ieee_mode 1
		.amdhsa_fp16_overflow 0
		.amdhsa_workgroup_processor_mode 1
		.amdhsa_memory_ordered 1
		.amdhsa_forward_progress 0
		.amdhsa_shared_vgpr_count 0
		.amdhsa_exception_fp_ieee_invalid_op 0
		.amdhsa_exception_fp_denorm_src 0
		.amdhsa_exception_fp_ieee_div_zero 0
		.amdhsa_exception_fp_ieee_overflow 0
		.amdhsa_exception_fp_ieee_underflow 0
		.amdhsa_exception_fp_ieee_inexact 0
		.amdhsa_exception_int_div_zero 0
	.end_amdhsa_kernel
	.section	.text._ZN7rocprim17ROCPRIM_400000_NS6detail17trampoline_kernelINS0_14default_configENS1_22reduce_config_selectorIbEEZNS1_11reduce_implILb1ES3_N6hipcub16HIPCUB_304000_NS22TransformInputIteratorIbN2at6native12_GLOBAL__N_19NonZeroOpIN3c104HalfEEEPKSF_lEEPiiNS8_6detail34convert_binary_result_type_wrapperINS8_3SumESJ_iEEEE10hipError_tPvRmT1_T2_T3_mT4_P12ihipStream_tbEUlT_E1_NS1_11comp_targetILNS1_3genE10ELNS1_11target_archE1200ELNS1_3gpuE4ELNS1_3repE0EEENS1_30default_config_static_selectorELNS0_4arch9wavefront6targetE0EEEvSS_,"axG",@progbits,_ZN7rocprim17ROCPRIM_400000_NS6detail17trampoline_kernelINS0_14default_configENS1_22reduce_config_selectorIbEEZNS1_11reduce_implILb1ES3_N6hipcub16HIPCUB_304000_NS22TransformInputIteratorIbN2at6native12_GLOBAL__N_19NonZeroOpIN3c104HalfEEEPKSF_lEEPiiNS8_6detail34convert_binary_result_type_wrapperINS8_3SumESJ_iEEEE10hipError_tPvRmT1_T2_T3_mT4_P12ihipStream_tbEUlT_E1_NS1_11comp_targetILNS1_3genE10ELNS1_11target_archE1200ELNS1_3gpuE4ELNS1_3repE0EEENS1_30default_config_static_selectorELNS0_4arch9wavefront6targetE0EEEvSS_,comdat
.Lfunc_end863:
	.size	_ZN7rocprim17ROCPRIM_400000_NS6detail17trampoline_kernelINS0_14default_configENS1_22reduce_config_selectorIbEEZNS1_11reduce_implILb1ES3_N6hipcub16HIPCUB_304000_NS22TransformInputIteratorIbN2at6native12_GLOBAL__N_19NonZeroOpIN3c104HalfEEEPKSF_lEEPiiNS8_6detail34convert_binary_result_type_wrapperINS8_3SumESJ_iEEEE10hipError_tPvRmT1_T2_T3_mT4_P12ihipStream_tbEUlT_E1_NS1_11comp_targetILNS1_3genE10ELNS1_11target_archE1200ELNS1_3gpuE4ELNS1_3repE0EEENS1_30default_config_static_selectorELNS0_4arch9wavefront6targetE0EEEvSS_, .Lfunc_end863-_ZN7rocprim17ROCPRIM_400000_NS6detail17trampoline_kernelINS0_14default_configENS1_22reduce_config_selectorIbEEZNS1_11reduce_implILb1ES3_N6hipcub16HIPCUB_304000_NS22TransformInputIteratorIbN2at6native12_GLOBAL__N_19NonZeroOpIN3c104HalfEEEPKSF_lEEPiiNS8_6detail34convert_binary_result_type_wrapperINS8_3SumESJ_iEEEE10hipError_tPvRmT1_T2_T3_mT4_P12ihipStream_tbEUlT_E1_NS1_11comp_targetILNS1_3genE10ELNS1_11target_archE1200ELNS1_3gpuE4ELNS1_3repE0EEENS1_30default_config_static_selectorELNS0_4arch9wavefront6targetE0EEEvSS_
                                        ; -- End function
	.section	.AMDGPU.csdata,"",@progbits
; Kernel info:
; codeLenInByte = 0
; NumSgprs: 0
; NumVgprs: 0
; ScratchSize: 0
; MemoryBound: 0
; FloatMode: 240
; IeeeMode: 1
; LDSByteSize: 0 bytes/workgroup (compile time only)
; SGPRBlocks: 0
; VGPRBlocks: 0
; NumSGPRsForWavesPerEU: 1
; NumVGPRsForWavesPerEU: 1
; Occupancy: 16
; WaveLimiterHint : 0
; COMPUTE_PGM_RSRC2:SCRATCH_EN: 0
; COMPUTE_PGM_RSRC2:USER_SGPR: 15
; COMPUTE_PGM_RSRC2:TRAP_HANDLER: 0
; COMPUTE_PGM_RSRC2:TGID_X_EN: 1
; COMPUTE_PGM_RSRC2:TGID_Y_EN: 0
; COMPUTE_PGM_RSRC2:TGID_Z_EN: 0
; COMPUTE_PGM_RSRC2:TIDIG_COMP_CNT: 0
	.section	.text._ZN7rocprim17ROCPRIM_400000_NS6detail17trampoline_kernelINS0_14default_configENS1_22reduce_config_selectorIbEEZNS1_11reduce_implILb1ES3_N6hipcub16HIPCUB_304000_NS22TransformInputIteratorIbN2at6native12_GLOBAL__N_19NonZeroOpIN3c104HalfEEEPKSF_lEEPiiNS8_6detail34convert_binary_result_type_wrapperINS8_3SumESJ_iEEEE10hipError_tPvRmT1_T2_T3_mT4_P12ihipStream_tbEUlT_E1_NS1_11comp_targetILNS1_3genE9ELNS1_11target_archE1100ELNS1_3gpuE3ELNS1_3repE0EEENS1_30default_config_static_selectorELNS0_4arch9wavefront6targetE0EEEvSS_,"axG",@progbits,_ZN7rocprim17ROCPRIM_400000_NS6detail17trampoline_kernelINS0_14default_configENS1_22reduce_config_selectorIbEEZNS1_11reduce_implILb1ES3_N6hipcub16HIPCUB_304000_NS22TransformInputIteratorIbN2at6native12_GLOBAL__N_19NonZeroOpIN3c104HalfEEEPKSF_lEEPiiNS8_6detail34convert_binary_result_type_wrapperINS8_3SumESJ_iEEEE10hipError_tPvRmT1_T2_T3_mT4_P12ihipStream_tbEUlT_E1_NS1_11comp_targetILNS1_3genE9ELNS1_11target_archE1100ELNS1_3gpuE3ELNS1_3repE0EEENS1_30default_config_static_selectorELNS0_4arch9wavefront6targetE0EEEvSS_,comdat
	.globl	_ZN7rocprim17ROCPRIM_400000_NS6detail17trampoline_kernelINS0_14default_configENS1_22reduce_config_selectorIbEEZNS1_11reduce_implILb1ES3_N6hipcub16HIPCUB_304000_NS22TransformInputIteratorIbN2at6native12_GLOBAL__N_19NonZeroOpIN3c104HalfEEEPKSF_lEEPiiNS8_6detail34convert_binary_result_type_wrapperINS8_3SumESJ_iEEEE10hipError_tPvRmT1_T2_T3_mT4_P12ihipStream_tbEUlT_E1_NS1_11comp_targetILNS1_3genE9ELNS1_11target_archE1100ELNS1_3gpuE3ELNS1_3repE0EEENS1_30default_config_static_selectorELNS0_4arch9wavefront6targetE0EEEvSS_ ; -- Begin function _ZN7rocprim17ROCPRIM_400000_NS6detail17trampoline_kernelINS0_14default_configENS1_22reduce_config_selectorIbEEZNS1_11reduce_implILb1ES3_N6hipcub16HIPCUB_304000_NS22TransformInputIteratorIbN2at6native12_GLOBAL__N_19NonZeroOpIN3c104HalfEEEPKSF_lEEPiiNS8_6detail34convert_binary_result_type_wrapperINS8_3SumESJ_iEEEE10hipError_tPvRmT1_T2_T3_mT4_P12ihipStream_tbEUlT_E1_NS1_11comp_targetILNS1_3genE9ELNS1_11target_archE1100ELNS1_3gpuE3ELNS1_3repE0EEENS1_30default_config_static_selectorELNS0_4arch9wavefront6targetE0EEEvSS_
	.p2align	8
	.type	_ZN7rocprim17ROCPRIM_400000_NS6detail17trampoline_kernelINS0_14default_configENS1_22reduce_config_selectorIbEEZNS1_11reduce_implILb1ES3_N6hipcub16HIPCUB_304000_NS22TransformInputIteratorIbN2at6native12_GLOBAL__N_19NonZeroOpIN3c104HalfEEEPKSF_lEEPiiNS8_6detail34convert_binary_result_type_wrapperINS8_3SumESJ_iEEEE10hipError_tPvRmT1_T2_T3_mT4_P12ihipStream_tbEUlT_E1_NS1_11comp_targetILNS1_3genE9ELNS1_11target_archE1100ELNS1_3gpuE3ELNS1_3repE0EEENS1_30default_config_static_selectorELNS0_4arch9wavefront6targetE0EEEvSS_,@function
_ZN7rocprim17ROCPRIM_400000_NS6detail17trampoline_kernelINS0_14default_configENS1_22reduce_config_selectorIbEEZNS1_11reduce_implILb1ES3_N6hipcub16HIPCUB_304000_NS22TransformInputIteratorIbN2at6native12_GLOBAL__N_19NonZeroOpIN3c104HalfEEEPKSF_lEEPiiNS8_6detail34convert_binary_result_type_wrapperINS8_3SumESJ_iEEEE10hipError_tPvRmT1_T2_T3_mT4_P12ihipStream_tbEUlT_E1_NS1_11comp_targetILNS1_3genE9ELNS1_11target_archE1100ELNS1_3gpuE3ELNS1_3repE0EEENS1_30default_config_static_selectorELNS0_4arch9wavefront6targetE0EEEvSS_: ; @_ZN7rocprim17ROCPRIM_400000_NS6detail17trampoline_kernelINS0_14default_configENS1_22reduce_config_selectorIbEEZNS1_11reduce_implILb1ES3_N6hipcub16HIPCUB_304000_NS22TransformInputIteratorIbN2at6native12_GLOBAL__N_19NonZeroOpIN3c104HalfEEEPKSF_lEEPiiNS8_6detail34convert_binary_result_type_wrapperINS8_3SumESJ_iEEEE10hipError_tPvRmT1_T2_T3_mT4_P12ihipStream_tbEUlT_E1_NS1_11comp_targetILNS1_3genE9ELNS1_11target_archE1100ELNS1_3gpuE3ELNS1_3repE0EEENS1_30default_config_static_selectorELNS0_4arch9wavefront6targetE0EEEvSS_
; %bb.0:
	s_clause 0x2
	s_load_b32 s26, s[0:1], 0x4
	s_load_b64 s[24:25], s[0:1], 0x8
	s_load_b128 s[20:23], s[0:1], 0x18
	s_mov_b32 s18, s15
	s_waitcnt lgkmcnt(0)
	s_cmp_lt_i32 s26, 16
	s_cbranch_scc1 .LBB864_12
; %bb.1:
	s_cmp_gt_i32 s26, 63
	s_cbranch_scc0 .LBB864_13
; %bb.2:
	s_cmpk_gt_i32 s26, 0x7f
	s_cbranch_scc0 .LBB864_22
; %bb.3:
	s_cmpk_eq_i32 s26, 0x80
	s_mov_b32 s6, 0
	s_cbranch_scc0 .LBB864_23
; %bb.4:
	s_mov_b32 s19, 0
	s_lshl_b32 s4, s18, 14
	s_mov_b32 s5, s19
	s_lshr_b64 s[8:9], s[20:21], 14
	s_lshl_b64 s[2:3], s[4:5], 1
	s_delay_alu instid0(SALU_CYCLE_1)
	s_add_u32 s2, s24, s2
	s_addc_u32 s3, s25, s3
	s_cmp_lg_u64 s[8:9], s[18:19]
	s_cbranch_scc0 .LBB864_34
; %bb.5:
	v_lshlrev_b32_e32 v6, 1, v0
	s_clause 0xf
	global_load_u16 v1, v6, s[2:3]
	global_load_u16 v2, v6, s[2:3] offset:256
	global_load_u16 v3, v6, s[2:3] offset:512
	;; [unrolled: 1-line block ×15, first 2 shown]
	v_add_co_u32 v12, s5, s2, v6
	s_delay_alu instid0(VALU_DEP_1) | instskip(SKIP_1) | instid1(VALU_DEP_2)
	v_add_co_ci_u32_e64 v13, null, s3, 0, s5
	s_mov_b32 s5, exec_lo
	v_add_co_u32 v6, vcc_lo, 0x1000, v12
	s_delay_alu instid0(VALU_DEP_2)
	v_add_co_ci_u32_e32 v7, vcc_lo, 0, v13, vcc_lo
	v_add_co_u32 v8, vcc_lo, v12, 0x2000
	v_add_co_ci_u32_e32 v9, vcc_lo, 0, v13, vcc_lo
	v_add_co_u32 v10, vcc_lo, 0x2000, v12
	s_clause 0x7
	global_load_u16 v25, v[6:7], off offset:256
	global_load_u16 v26, v[6:7], off offset:512
	;; [unrolled: 1-line block ×8, first 2 shown]
	v_add_co_ci_u32_e32 v11, vcc_lo, 0, v13, vcc_lo
	s_clause 0x11
	global_load_u16 v33, v[8:9], off offset:-4096
	global_load_u16 v34, v[8:9], off
	global_load_u16 v35, v[6:7], off offset:2304
	global_load_u16 v36, v[6:7], off offset:2560
	;; [unrolled: 1-line block ×16, first 2 shown]
	v_add_co_u32 v6, vcc_lo, 0x3000, v12
	v_add_co_ci_u32_e32 v7, vcc_lo, 0, v13, vcc_lo
	s_clause 0xf
	global_load_u16 v51, v[10:11], off offset:2560
	global_load_u16 v52, v[10:11], off offset:2816
	global_load_u16 v53, v[10:11], off offset:3072
	global_load_u16 v54, v[10:11], off offset:3328
	global_load_u16 v55, v[10:11], off offset:3584
	global_load_u16 v56, v[10:11], off offset:3840
	global_load_u16 v57, v[6:7], off offset:256
	global_load_u16 v58, v[6:7], off offset:512
	global_load_u16 v59, v[6:7], off offset:768
	global_load_u16 v60, v[6:7], off offset:1024
	global_load_u16 v61, v[6:7], off offset:1280
	global_load_u16 v62, v[6:7], off offset:1536
	global_load_u16 v63, v[6:7], off offset:1792
	global_load_u16 v64, v[6:7], off offset:2048
	global_load_u16 v65, v[6:7], off offset:2304
	global_load_u16 v66, v[6:7], off offset:2560
	v_add_co_u32 v8, vcc_lo, v12, 0x4000
	v_add_co_ci_u32_e32 v9, vcc_lo, 0, v13, vcc_lo
	v_add_co_u32 v10, vcc_lo, 0x4000, v12
	v_add_co_ci_u32_e32 v11, vcc_lo, 0, v13, vcc_lo
	s_clause 0x11
	global_load_u16 v67, v[8:9], off offset:-4096
	global_load_u16 v68, v[8:9], off
	global_load_u16 v69, v[6:7], off offset:2816
	global_load_u16 v70, v[6:7], off offset:3072
	;; [unrolled: 1-line block ×16, first 2 shown]
	v_add_co_u32 v6, vcc_lo, v12, 0x6000
	v_add_co_ci_u32_e32 v7, vcc_lo, 0, v13, vcc_lo
	v_add_co_u32 v8, vcc_lo, 0x5000, v12
	v_add_co_ci_u32_e32 v9, vcc_lo, 0, v13, vcc_lo
	s_clause 0x10
	global_load_u16 v85, v[6:7], off offset:-4096
	global_load_u16 v86, v[10:11], off offset:3072
	global_load_u16 v87, v[10:11], off offset:3328
	;; [unrolled: 1-line block ×16, first 2 shown]
	v_add_co_u32 v10, vcc_lo, 0x6000, v12
	v_add_co_ci_u32_e32 v11, vcc_lo, 0, v13, vcc_lo
	s_clause 0x8
	global_load_u16 v102, v[6:7], off
	global_load_u16 v103, v[8:9], off offset:3328
	global_load_u16 v104, v[8:9], off offset:3584
	;; [unrolled: 1-line block ×8, first 2 shown]
	v_add_co_u32 v6, vcc_lo, 0x7000, v12
	v_add_co_ci_u32_e32 v7, vcc_lo, 0, v13, vcc_lo
	s_clause 0x19
	global_load_u16 v12, v[10:11], off offset:1536
	global_load_u16 v13, v[10:11], off offset:1792
	;; [unrolled: 1-line block ×10, first 2 shown]
	global_load_u16 v11, v[6:7], off
	global_load_u16 v116, v[6:7], off offset:256
	global_load_u16 v117, v[6:7], off offset:512
	;; [unrolled: 1-line block ×15, first 2 shown]
	s_waitcnt vmcnt(62)
	v_and_b32_e32 v1, 0x7fff, v1
	v_and_b32_e32 v2, 0x7fff, v2
	;; [unrolled: 1-line block ×5, first 2 shown]
	v_cmp_ne_u16_e32 vcc_lo, 0, v1
	v_and_b32_e32 v7, 0x7fff, v14
	v_and_b32_e32 v14, 0x7fff, v15
	v_and_b32_e32 v15, 0x7fff, v16
	v_and_b32_e32 v16, 0x7fff, v17
	v_cndmask_b32_e64 v1, 0, 1, vcc_lo
	v_cmp_ne_u16_e32 vcc_lo, 0, v3
	v_and_b32_e32 v17, 0x7fff, v18
	v_and_b32_e32 v18, 0x7fff, v19
	v_and_b32_e32 v19, 0x7fff, v20
	v_and_b32_e32 v20, 0x7fff, v21
	v_cndmask_b32_e64 v3, 0, 1, vcc_lo
	v_cmp_ne_u16_e32 vcc_lo, 0, v5
	v_and_b32_e32 v21, 0x7fff, v22
	v_and_b32_e32 v22, 0x7fff, v23
	v_and_b32_e32 v23, 0x7fff, v24
	v_and_b32_e32 v24, 0x7fff, v33
	v_cndmask_b32_e64 v5, 0, 1, vcc_lo
	v_cmp_ne_u16_e32 vcc_lo, 0, v14
	v_and_b32_e32 v25, 0x7fff, v25
	v_and_b32_e32 v26, 0x7fff, v26
	v_and_b32_e32 v27, 0x7fff, v27
	v_and_b32_e32 v28, 0x7fff, v28
	v_cndmask_b32_e64 v14, 0, 1, vcc_lo
	v_cmp_ne_u16_e32 vcc_lo, 0, v16
	v_and_b32_e32 v30, 0x7fff, v30
	v_and_b32_e32 v29, 0x7fff, v29
	v_and_b32_e32 v32, 0x7fff, v32
	v_and_b32_e32 v31, 0x7fff, v31
	v_cndmask_b32_e64 v16, 0, 1, vcc_lo
	v_cmp_ne_u16_e32 vcc_lo, 0, v18
	v_and_b32_e32 v33, 0x7fff, v35
	v_and_b32_e32 v35, 0x7fff, v36
	v_and_b32_e32 v36, 0x7fff, v37
	v_and_b32_e32 v37, 0x7fff, v38
	v_cndmask_b32_e64 v18, 0, 1, vcc_lo
	v_cmp_ne_u16_e32 vcc_lo, 0, v20
	v_and_b32_e32 v38, 0x7fff, v39
	v_and_b32_e32 v39, 0x7fff, v40
	v_and_b32_e32 v34, 0x7fff, v34
	v_and_b32_e32 v40, 0x7fff, v41
	v_cndmask_b32_e64 v20, 0, 1, vcc_lo
	v_cmp_ne_u16_e32 vcc_lo, 0, v22
	v_and_b32_e32 v41, 0x7fff, v42
	v_and_b32_e32 v42, 0x7fff, v43
	v_and_b32_e32 v43, 0x7fff, v44
	v_and_b32_e32 v44, 0x7fff, v45
	v_cndmask_b32_e64 v22, 0, 1, vcc_lo
	v_cmp_ne_u16_e32 vcc_lo, 0, v2
	v_and_b32_e32 v45, 0x7fff, v46
	v_and_b32_e32 v46, 0x7fff, v47
	v_and_b32_e32 v47, 0x7fff, v48
	v_and_b32_e32 v48, 0x7fff, v49
	v_add_co_ci_u32_e32 v1, vcc_lo, 0, v1, vcc_lo
	v_cmp_ne_u16_e32 vcc_lo, 0, v4
	v_and_b32_e32 v49, 0x7fff, v50
	v_and_b32_e32 v50, 0x7fff, v51
	v_and_b32_e32 v51, 0x7fff, v52
	v_and_b32_e32 v52, 0x7fff, v53
	v_add_co_ci_u32_e32 v1, vcc_lo, v1, v3, vcc_lo
	;; [unrolled: 6-line block ×7, first 2 shown]
	v_cmp_ne_u16_e32 vcc_lo, 0, v24
	v_and_b32_e32 v73, 0x7fff, v74
	s_waitcnt vmcnt(61)
	v_and_b32_e32 v74, 0x7fff, v75
	s_waitcnt vmcnt(60)
	;; [unrolled: 2-line block ×3, first 2 shown]
	v_and_b32_e32 v76, 0x7fff, v77
	v_cndmask_b32_e64 v20, 0, 1, vcc_lo
	v_cmp_ne_u16_e32 vcc_lo, 0, v23
	s_waitcnt vmcnt(58)
	v_and_b32_e32 v77, 0x7fff, v78
	s_waitcnt vmcnt(57)
	v_and_b32_e32 v78, 0x7fff, v79
	;; [unrolled: 2-line block ×4, first 2 shown]
	v_add_co_ci_u32_e32 v1, vcc_lo, v1, v22, vcc_lo
	v_cmp_ne_u16_e32 vcc_lo, 0, v26
	s_waitcnt vmcnt(54)
	v_and_b32_e32 v81, 0x7fff, v82
	s_waitcnt vmcnt(53)
	v_and_b32_e32 v82, 0x7fff, v83
	;; [unrolled: 2-line block ×4, first 2 shown]
	v_cndmask_b32_e64 v21, 0, 1, vcc_lo
	v_cmp_ne_u16_e32 vcc_lo, 0, v25
	s_waitcnt vmcnt(49)
	v_and_b32_e32 v86, 0x7fff, v87
	s_waitcnt vmcnt(48)
	v_and_b32_e32 v87, 0x7fff, v88
	v_and_b32_e32 v85, 0x7fff, v85
	s_waitcnt vmcnt(47)
	v_and_b32_e32 v88, 0x7fff, v89
	v_add_co_ci_u32_e32 v1, vcc_lo, v1, v20, vcc_lo
	v_cmp_ne_u16_e32 vcc_lo, 0, v28
	s_waitcnt vmcnt(46)
	v_and_b32_e32 v89, 0x7fff, v90
	s_waitcnt vmcnt(45)
	v_and_b32_e32 v90, 0x7fff, v91
	;; [unrolled: 2-line block ×4, first 2 shown]
	v_cndmask_b32_e64 v20, 0, 1, vcc_lo
	v_cmp_ne_u16_e32 vcc_lo, 0, v27
	s_waitcnt vmcnt(42)
	v_and_b32_e32 v93, 0x7fff, v94
	s_waitcnt vmcnt(41)
	v_and_b32_e32 v94, 0x7fff, v95
	;; [unrolled: 2-line block ×4, first 2 shown]
	v_add_co_ci_u32_e32 v1, vcc_lo, v1, v21, vcc_lo
	v_cmp_ne_u16_e32 vcc_lo, 0, v30
	s_waitcnt vmcnt(38)
	v_and_b32_e32 v97, 0x7fff, v98
	s_waitcnt vmcnt(37)
	v_and_b32_e32 v98, 0x7fff, v99
	;; [unrolled: 2-line block ×4, first 2 shown]
	v_cndmask_b32_e64 v21, 0, 1, vcc_lo
	v_cmp_ne_u16_e32 vcc_lo, 0, v29
	s_waitcnt vmcnt(33)
	v_and_b32_e32 v101, 0x7fff, v103
	s_waitcnt vmcnt(32)
	v_and_b32_e32 v103, 0x7fff, v104
	v_and_b32_e32 v102, 0x7fff, v102
	s_waitcnt vmcnt(31)
	v_and_b32_e32 v8, 0x7fff, v8
	v_add_co_ci_u32_e32 v1, vcc_lo, v1, v20, vcc_lo
	v_cmp_ne_u16_e32 vcc_lo, 0, v32
	s_waitcnt vmcnt(29)
	v_and_b32_e32 v104, 0x7fff, v105
	v_and_b32_e32 v9, 0x7fff, v9
	s_waitcnt vmcnt(28)
	v_and_b32_e32 v105, 0x7fff, v106
	s_waitcnt vmcnt(27)
	v_and_b32_e32 v106, 0x7fff, v107
	v_cndmask_b32_e64 v20, 0, 1, vcc_lo
	v_cmp_ne_u16_e32 vcc_lo, 0, v31
	s_waitcnt vmcnt(25)
	v_and_b32_e32 v12, 0x7fff, v12
	v_and_b32_e32 v107, 0x7fff, v108
	s_waitcnt vmcnt(23)
	v_and_b32_e32 v108, 0x7fff, v109
	v_and_b32_e32 v13, 0x7fff, v13
	v_add_co_ci_u32_e32 v1, vcc_lo, v1, v21, vcc_lo
	v_cmp_ne_u16_e32 vcc_lo, 0, v35
	s_waitcnt vmcnt(22)
	v_and_b32_e32 v109, 0x7fff, v110
	s_waitcnt vmcnt(21)
	v_and_b32_e32 v110, 0x7fff, v111
	;; [unrolled: 2-line block ×4, first 2 shown]
	v_cndmask_b32_e64 v21, 0, 1, vcc_lo
	v_cmp_ne_u16_e32 vcc_lo, 0, v33
	s_waitcnt vmcnt(18)
	v_and_b32_e32 v113, 0x7fff, v114
	s_waitcnt vmcnt(17)
	v_and_b32_e32 v114, 0x7fff, v115
	s_waitcnt vmcnt(15)
	v_and_b32_e32 v11, 0x7fff, v11
	v_and_b32_e32 v10, 0x7fff, v10
	v_add_co_ci_u32_e32 v1, vcc_lo, v1, v20, vcc_lo
	v_cmp_ne_u16_e32 vcc_lo, 0, v37
	s_waitcnt vmcnt(14)
	v_and_b32_e32 v115, 0x7fff, v116
	s_waitcnt vmcnt(13)
	v_and_b32_e32 v116, 0x7fff, v117
	;; [unrolled: 2-line block ×3, first 2 shown]
	v_and_b32_e32 v2, 0x7fff, v118
	v_cndmask_b32_e64 v20, 0, 1, vcc_lo
	v_cmp_ne_u16_e32 vcc_lo, 0, v36
	s_waitcnt vmcnt(9)
	v_and_b32_e32 v4, 0x7fff, v121
	v_and_b32_e32 v3, 0x7fff, v120
	s_waitcnt vmcnt(7)
	v_and_b32_e32 v7, 0x7fff, v123
	v_and_b32_e32 v5, 0x7fff, v122
	v_add_co_ci_u32_e32 v1, vcc_lo, v1, v21, vcc_lo
	v_cmp_ne_u16_e32 vcc_lo, 0, v39
	s_waitcnt vmcnt(5)
	v_and_b32_e32 v15, 0x7fff, v125
	v_and_b32_e32 v14, 0x7fff, v124
	s_waitcnt vmcnt(3)
	v_and_b32_e32 v17, 0x7fff, v127
	v_and_b32_e32 v16, 0x7fff, v126
	v_cndmask_b32_e64 v21, 0, 1, vcc_lo
	v_cmp_ne_u16_e32 vcc_lo, 0, v38
	s_waitcnt vmcnt(1)
	v_and_b32_e32 v19, 0x7fff, v129
	v_and_b32_e32 v18, 0x7fff, v128
	v_add_co_ci_u32_e32 v1, vcc_lo, v1, v20, vcc_lo
	v_cmp_ne_u16_e32 vcc_lo, 0, v34
	v_cndmask_b32_e64 v20, 0, 1, vcc_lo
	v_cmp_ne_u16_e32 vcc_lo, 0, v40
	s_delay_alu instid0(VALU_DEP_4) | instskip(SKIP_3) | instid1(VALU_DEP_4)
	v_add_co_ci_u32_e32 v1, vcc_lo, v1, v21, vcc_lo
	v_cmp_ne_u16_e32 vcc_lo, 0, v42
	v_cndmask_b32_e64 v21, 0, 1, vcc_lo
	v_cmp_ne_u16_e32 vcc_lo, 0, v41
	v_add_co_ci_u32_e32 v1, vcc_lo, v1, v20, vcc_lo
	v_cmp_ne_u16_e32 vcc_lo, 0, v44
	v_cndmask_b32_e64 v20, 0, 1, vcc_lo
	v_cmp_ne_u16_e32 vcc_lo, 0, v43
	s_delay_alu instid0(VALU_DEP_4) | instskip(SKIP_3) | instid1(VALU_DEP_4)
	v_add_co_ci_u32_e32 v1, vcc_lo, v1, v21, vcc_lo
	v_cmp_ne_u16_e32 vcc_lo, 0, v46
	v_cndmask_b32_e64 v21, 0, 1, vcc_lo
	v_cmp_ne_u16_e32 vcc_lo, 0, v45
	;; [unrolled: 9-line block ×21, first 2 shown]
	v_add_co_ci_u32_e32 v1, vcc_lo, v1, v9, vcc_lo
	v_cmp_ne_u16_e32 vcc_lo, 0, v117
	v_cndmask_b32_e64 v9, 0, 1, vcc_lo
	v_cmp_ne_u16_e32 vcc_lo, 0, v2
	s_delay_alu instid0(VALU_DEP_4)
	v_add_co_ci_u32_e32 v1, vcc_lo, v1, v8, vcc_lo
	v_cmp_ne_u16_e32 vcc_lo, 0, v4
	s_waitcnt vmcnt(0)
	v_and_b32_e32 v4, 0x7fff, v6
	v_cndmask_b32_e64 v2, 0, 1, vcc_lo
	v_cmp_ne_u16_e32 vcc_lo, 0, v3
	v_add_co_ci_u32_e32 v1, vcc_lo, v1, v9, vcc_lo
	v_cmp_ne_u16_e32 vcc_lo, 0, v7
	v_cndmask_b32_e64 v3, 0, 1, vcc_lo
	v_cmp_ne_u16_e32 vcc_lo, 0, v5
	s_delay_alu instid0(VALU_DEP_4) | instskip(SKIP_3) | instid1(VALU_DEP_4)
	v_add_co_ci_u32_e32 v1, vcc_lo, v1, v2, vcc_lo
	v_cmp_ne_u16_e32 vcc_lo, 0, v15
	v_cndmask_b32_e64 v2, 0, 1, vcc_lo
	v_cmp_ne_u16_e32 vcc_lo, 0, v14
	v_add_co_ci_u32_e32 v1, vcc_lo, v1, v3, vcc_lo
	v_cmp_ne_u16_e32 vcc_lo, 0, v17
	v_cndmask_b32_e64 v3, 0, 1, vcc_lo
	v_cmp_ne_u16_e32 vcc_lo, 0, v16
	s_delay_alu instid0(VALU_DEP_4) | instskip(SKIP_3) | instid1(VALU_DEP_4)
	v_add_co_ci_u32_e32 v1, vcc_lo, v1, v2, vcc_lo
	v_cmp_ne_u16_e32 vcc_lo, 0, v19
	v_cndmask_b32_e64 v2, 0, 1, vcc_lo
	v_cmp_ne_u16_e32 vcc_lo, 0, v18
	v_add_co_ci_u32_e32 v1, vcc_lo, v1, v3, vcc_lo
	v_mov_b32_e32 v3, 0
	v_cmp_ne_u16_e32 vcc_lo, 0, v4
	s_delay_alu instid0(VALU_DEP_3) | instskip(NEXT) | instid1(VALU_DEP_1)
	v_add_co_ci_u32_e32 v1, vcc_lo, v1, v2, vcc_lo
	v_mov_b32_dpp v2, v1 quad_perm:[1,0,3,2] row_mask:0xf bank_mask:0xf
	s_delay_alu instid0(VALU_DEP_1) | instskip(NEXT) | instid1(VALU_DEP_1)
	v_add_nc_u32_e32 v1, v1, v2
	v_mov_b32_dpp v2, v1 quad_perm:[2,3,0,1] row_mask:0xf bank_mask:0xf
	s_delay_alu instid0(VALU_DEP_1) | instskip(NEXT) | instid1(VALU_DEP_1)
	v_add_nc_u32_e32 v1, v1, v2
	v_mov_b32_dpp v2, v1 row_ror:4 row_mask:0xf bank_mask:0xf
	s_delay_alu instid0(VALU_DEP_1) | instskip(NEXT) | instid1(VALU_DEP_1)
	v_add_nc_u32_e32 v1, v1, v2
	v_mov_b32_dpp v2, v1 row_ror:8 row_mask:0xf bank_mask:0xf
	s_delay_alu instid0(VALU_DEP_1)
	v_add_nc_u32_e32 v1, v1, v2
	ds_swizzle_b32 v2, v1 offset:swizzle(BROADCAST,32,15)
	s_waitcnt lgkmcnt(0)
	v_add_nc_u32_e32 v1, v1, v2
	v_mbcnt_lo_u32_b32 v2, -1, 0
	ds_bpermute_b32 v1, v3, v1 offset:124
	v_cmpx_eq_u32_e32 0, v2
	s_cbranch_execz .LBB864_7
; %bb.6:
	v_lshrrev_b32_e32 v3, 3, v0
	s_delay_alu instid0(VALU_DEP_1)
	v_and_b32_e32 v3, 12, v3
	s_waitcnt lgkmcnt(0)
	ds_store_b32 v3, v1
.LBB864_7:
	s_or_b32 exec_lo, exec_lo, s5
	s_delay_alu instid0(SALU_CYCLE_1)
	s_mov_b32 s5, exec_lo
	s_waitcnt lgkmcnt(0)
	s_barrier
	buffer_gl0_inv
	v_cmpx_gt_u32_e32 32, v0
	s_cbranch_execz .LBB864_9
; %bb.8:
	v_and_b32_e32 v1, 3, v2
	s_delay_alu instid0(VALU_DEP_1) | instskip(SKIP_4) | instid1(VALU_DEP_2)
	v_lshlrev_b32_e32 v3, 2, v1
	v_cmp_ne_u32_e32 vcc_lo, 3, v1
	ds_load_b32 v3, v3
	v_add_co_ci_u32_e32 v4, vcc_lo, 0, v2, vcc_lo
	v_cmp_gt_u32_e32 vcc_lo, 2, v1
	v_lshlrev_b32_e32 v4, 2, v4
	v_cndmask_b32_e64 v1, 0, 1, vcc_lo
	s_delay_alu instid0(VALU_DEP_1) | instskip(NEXT) | instid1(VALU_DEP_1)
	v_lshlrev_b32_e32 v1, 1, v1
	v_add_lshl_u32 v1, v1, v2, 2
	s_waitcnt lgkmcnt(0)
	ds_bpermute_b32 v4, v4, v3
	s_waitcnt lgkmcnt(0)
	v_add_nc_u32_e32 v3, v4, v3
	ds_bpermute_b32 v1, v1, v3
	s_waitcnt lgkmcnt(0)
	v_add_nc_u32_e32 v1, v1, v3
.LBB864_9:
	s_or_b32 exec_lo, exec_lo, s5
.LBB864_10:
	v_cmp_eq_u32_e64 s2, 0, v0
	s_and_b32 vcc_lo, exec_lo, s6
	s_cbranch_vccnz .LBB864_24
.LBB864_11:
	s_branch .LBB864_512
.LBB864_12:
	s_mov_b32 s2, 0
                                        ; implicit-def: $vgpr1
	s_cbranch_execz .LBB864_623
	s_branch .LBB864_513
.LBB864_13:
	s_mov_b32 s2, 0
                                        ; implicit-def: $vgpr1
	s_cbranch_execz .LBB864_512
; %bb.14:
	s_cmp_gt_i32 s26, 31
	s_cbranch_scc0 .LBB864_31
; %bb.15:
	s_cmp_eq_u32 s26, 32
	s_cbranch_scc0 .LBB864_32
; %bb.16:
	s_mov_b32 s19, 0
	s_lshl_b32 s4, s18, 12
	s_mov_b32 s5, s19
	s_lshr_b64 s[6:7], s[20:21], 12
	s_lshl_b64 s[2:3], s[4:5], 1
	s_delay_alu instid0(SALU_CYCLE_1)
	s_add_u32 s2, s24, s2
	s_addc_u32 s3, s25, s3
	s_cmp_lg_u64 s[6:7], s[18:19]
	s_cbranch_scc0 .LBB864_296
; %bb.17:
	v_lshlrev_b32_e32 v1, 1, v0
	s_clause 0xf
	global_load_u16 v3, v1, s[2:3]
	global_load_u16 v4, v1, s[2:3] offset:256
	global_load_u16 v5, v1, s[2:3] offset:512
	global_load_u16 v6, v1, s[2:3] offset:768
	global_load_u16 v7, v1, s[2:3] offset:1024
	global_load_u16 v8, v1, s[2:3] offset:1280
	global_load_u16 v9, v1, s[2:3] offset:1536
	global_load_u16 v10, v1, s[2:3] offset:1792
	global_load_u16 v11, v1, s[2:3] offset:2048
	global_load_u16 v12, v1, s[2:3] offset:2304
	global_load_u16 v13, v1, s[2:3] offset:2560
	global_load_u16 v14, v1, s[2:3] offset:2816
	global_load_u16 v15, v1, s[2:3] offset:3072
	global_load_u16 v16, v1, s[2:3] offset:3328
	global_load_u16 v17, v1, s[2:3] offset:3584
	global_load_u16 v18, v1, s[2:3] offset:3840
	v_add_co_u32 v1, s5, s2, v1
	s_delay_alu instid0(VALU_DEP_1) | instskip(SKIP_1) | instid1(VALU_DEP_2)
	v_add_co_ci_u32_e64 v2, null, s3, 0, s5
	s_mov_b32 s5, exec_lo
	v_add_co_u32 v1, vcc_lo, 0x1000, v1
	s_delay_alu instid0(VALU_DEP_2)
	v_add_co_ci_u32_e32 v2, vcc_lo, 0, v2, vcc_lo
	s_clause 0xf
	global_load_u16 v19, v[1:2], off
	global_load_u16 v20, v[1:2], off offset:256
	global_load_u16 v21, v[1:2], off offset:512
	;; [unrolled: 1-line block ×15, first 2 shown]
	s_waitcnt vmcnt(31)
	v_and_b32_e32 v2, 0x7fff, v3
	s_waitcnt vmcnt(30)
	v_and_b32_e32 v3, 0x7fff, v4
	;; [unrolled: 2-line block ×5, first 2 shown]
	v_cmp_ne_u16_e32 vcc_lo, 0, v2
	s_waitcnt vmcnt(26)
	v_and_b32_e32 v7, 0x7fff, v8
	s_waitcnt vmcnt(25)
	v_and_b32_e32 v8, 0x7fff, v9
	s_waitcnt vmcnt(24)
	v_and_b32_e32 v9, 0x7fff, v10
	s_waitcnt vmcnt(23)
	v_and_b32_e32 v10, 0x7fff, v11
	v_cndmask_b32_e64 v2, 0, 1, vcc_lo
	v_cmp_ne_u16_e32 vcc_lo, 0, v4
	s_waitcnt vmcnt(22)
	v_and_b32_e32 v11, 0x7fff, v12
	s_waitcnt vmcnt(21)
	v_and_b32_e32 v12, 0x7fff, v13
	s_waitcnt vmcnt(20)
	v_and_b32_e32 v13, 0x7fff, v14
	s_waitcnt vmcnt(19)
	v_and_b32_e32 v14, 0x7fff, v15
	v_cndmask_b32_e64 v4, 0, 1, vcc_lo
	;; [unrolled: 10-line block ×3, first 2 shown]
	v_cmp_ne_u16_e32 vcc_lo, 0, v8
	s_waitcnt vmcnt(14)
	v_and_b32_e32 v19, 0x7fff, v20
	s_waitcnt vmcnt(13)
	v_and_b32_e32 v20, 0x7fff, v21
	;; [unrolled: 2-line block ×3, first 2 shown]
	v_cndmask_b32_e64 v8, 0, 1, vcc_lo
	v_cmp_ne_u16_e32 vcc_lo, 0, v10
	s_waitcnt vmcnt(0)
	v_and_b32_e32 v1, 0x7fff, v1
	v_cndmask_b32_e64 v10, 0, 1, vcc_lo
	v_cmp_ne_u16_e32 vcc_lo, 0, v12
	v_cndmask_b32_e64 v12, 0, 1, vcc_lo
	v_cmp_ne_u16_e32 vcc_lo, 0, v14
	;; [unrolled: 2-line block ×4, first 2 shown]
	v_and_b32_e32 v3, 0x7fff, v22
	v_add_co_ci_u32_e32 v2, vcc_lo, 0, v2, vcc_lo
	v_cmp_ne_u16_e32 vcc_lo, 0, v5
	v_and_b32_e32 v5, 0x7fff, v25
	s_delay_alu instid0(VALU_DEP_3) | instskip(SKIP_3) | instid1(VALU_DEP_4)
	v_add_co_ci_u32_e32 v2, vcc_lo, v2, v4, vcc_lo
	v_cmp_ne_u16_e32 vcc_lo, 0, v7
	v_and_b32_e32 v4, 0x7fff, v24
	v_and_b32_e32 v7, 0x7fff, v27
	v_add_co_ci_u32_e32 v2, vcc_lo, v2, v6, vcc_lo
	v_cmp_ne_u16_e32 vcc_lo, 0, v9
	v_and_b32_e32 v6, 0x7fff, v26
	v_and_b32_e32 v9, 0x7fff, v29
	s_delay_alu instid0(VALU_DEP_4) | instskip(SKIP_3) | instid1(VALU_DEP_4)
	v_add_co_ci_u32_e32 v2, vcc_lo, v2, v8, vcc_lo
	v_cmp_ne_u16_e32 vcc_lo, 0, v11
	v_and_b32_e32 v8, 0x7fff, v28
	v_and_b32_e32 v11, 0x7fff, v31
	v_add_co_ci_u32_e32 v2, vcc_lo, v2, v10, vcc_lo
	v_cmp_ne_u16_e32 vcc_lo, 0, v13
	v_and_b32_e32 v10, 0x7fff, v30
	v_and_b32_e32 v13, 0x7fff, v33
	s_delay_alu instid0(VALU_DEP_4) | instskip(SKIP_2) | instid1(VALU_DEP_3)
	v_add_co_ci_u32_e32 v2, vcc_lo, v2, v12, vcc_lo
	v_cmp_ne_u16_e32 vcc_lo, 0, v15
	v_and_b32_e32 v12, 0x7fff, v32
	v_add_co_ci_u32_e32 v2, vcc_lo, v2, v14, vcc_lo
	v_cmp_ne_u16_e32 vcc_lo, 0, v18
	v_cndmask_b32_e64 v14, 0, 1, vcc_lo
	v_cmp_ne_u16_e32 vcc_lo, 0, v17
	s_delay_alu instid0(VALU_DEP_4) | instskip(SKIP_3) | instid1(VALU_DEP_4)
	v_add_co_ci_u32_e32 v2, vcc_lo, v2, v16, vcc_lo
	v_cmp_ne_u16_e32 vcc_lo, 0, v20
	v_cndmask_b32_e64 v15, 0, 1, vcc_lo
	v_cmp_ne_u16_e32 vcc_lo, 0, v19
	v_add_co_ci_u32_e32 v2, vcc_lo, v2, v14, vcc_lo
	v_cmp_ne_u16_e32 vcc_lo, 0, v21
	v_cndmask_b32_e64 v14, 0, 1, vcc_lo
	v_cmp_ne_u16_e32 vcc_lo, 0, v3
	s_delay_alu instid0(VALU_DEP_4) | instskip(SKIP_3) | instid1(VALU_DEP_4)
	v_add_co_ci_u32_e32 v2, vcc_lo, v2, v15, vcc_lo
	v_cmp_ne_u16_e32 vcc_lo, 0, v5
	v_cndmask_b32_e64 v3, 0, 1, vcc_lo
	v_cmp_ne_u16_e32 vcc_lo, 0, v4
	;; [unrolled: 9-line block ×4, first 2 shown]
	v_add_co_ci_u32_e32 v2, vcc_lo, v2, v4, vcc_lo
	v_cmp_ne_u16_e32 vcc_lo, 0, v1
	s_delay_alu instid0(VALU_DEP_2) | instskip(SKIP_1) | instid1(VALU_DEP_2)
	v_add_co_ci_u32_e32 v1, vcc_lo, v2, v3, vcc_lo
	v_mov_b32_e32 v3, 0
	v_mov_b32_dpp v2, v1 quad_perm:[1,0,3,2] row_mask:0xf bank_mask:0xf
	s_delay_alu instid0(VALU_DEP_1) | instskip(NEXT) | instid1(VALU_DEP_1)
	v_add_nc_u32_e32 v1, v1, v2
	v_mov_b32_dpp v2, v1 quad_perm:[2,3,0,1] row_mask:0xf bank_mask:0xf
	s_delay_alu instid0(VALU_DEP_1) | instskip(NEXT) | instid1(VALU_DEP_1)
	v_add_nc_u32_e32 v1, v1, v2
	v_mov_b32_dpp v2, v1 row_ror:4 row_mask:0xf bank_mask:0xf
	s_delay_alu instid0(VALU_DEP_1) | instskip(NEXT) | instid1(VALU_DEP_1)
	v_add_nc_u32_e32 v1, v1, v2
	v_mov_b32_dpp v2, v1 row_ror:8 row_mask:0xf bank_mask:0xf
	s_delay_alu instid0(VALU_DEP_1)
	v_add_nc_u32_e32 v1, v1, v2
	ds_swizzle_b32 v2, v1 offset:swizzle(BROADCAST,32,15)
	s_waitcnt lgkmcnt(0)
	v_add_nc_u32_e32 v1, v1, v2
	v_mbcnt_lo_u32_b32 v2, -1, 0
	ds_bpermute_b32 v1, v3, v1 offset:124
	v_cmpx_eq_u32_e32 0, v2
	s_cbranch_execz .LBB864_19
; %bb.18:
	v_lshrrev_b32_e32 v3, 3, v0
	s_delay_alu instid0(VALU_DEP_1)
	v_and_b32_e32 v3, 12, v3
	s_waitcnt lgkmcnt(0)
	ds_store_b32 v3, v1 offset:64
.LBB864_19:
	s_or_b32 exec_lo, exec_lo, s5
	s_delay_alu instid0(SALU_CYCLE_1)
	s_mov_b32 s5, exec_lo
	s_waitcnt lgkmcnt(0)
	s_barrier
	buffer_gl0_inv
	v_cmpx_gt_u32_e32 32, v0
	s_cbranch_execz .LBB864_21
; %bb.20:
	v_and_b32_e32 v1, 3, v2
	s_delay_alu instid0(VALU_DEP_1) | instskip(SKIP_4) | instid1(VALU_DEP_2)
	v_lshlrev_b32_e32 v3, 2, v1
	v_cmp_ne_u32_e32 vcc_lo, 3, v1
	ds_load_b32 v3, v3 offset:64
	v_add_co_ci_u32_e32 v4, vcc_lo, 0, v2, vcc_lo
	v_cmp_gt_u32_e32 vcc_lo, 2, v1
	v_lshlrev_b32_e32 v4, 2, v4
	v_cndmask_b32_e64 v1, 0, 1, vcc_lo
	s_delay_alu instid0(VALU_DEP_1) | instskip(NEXT) | instid1(VALU_DEP_1)
	v_lshlrev_b32_e32 v1, 1, v1
	v_add_lshl_u32 v1, v1, v2, 2
	s_waitcnt lgkmcnt(0)
	ds_bpermute_b32 v4, v4, v3
	s_waitcnt lgkmcnt(0)
	v_add_nc_u32_e32 v3, v4, v3
	ds_bpermute_b32 v1, v1, v3
	s_waitcnt lgkmcnt(0)
	v_add_nc_u32_e32 v1, v1, v3
.LBB864_21:
	s_or_b32 exec_lo, exec_lo, s5
	s_mov_b32 s5, 0
	s_branch .LBB864_297
.LBB864_22:
	s_mov_b32 s6, -1
.LBB864_23:
	s_mov_b32 s2, 0
                                        ; implicit-def: $vgpr1
	s_and_b32 vcc_lo, exec_lo, s6
	s_cbranch_vccz .LBB864_11
.LBB864_24:
	s_cmp_eq_u32 s26, 64
	s_cbranch_scc0 .LBB864_33
; %bb.25:
	s_mov_b32 s19, 0
	s_lshl_b32 s4, s18, 13
	s_mov_b32 s5, s19
	s_lshr_b64 s[6:7], s[20:21], 13
	s_lshl_b64 s[2:3], s[4:5], 1
	s_delay_alu instid0(SALU_CYCLE_1)
	s_add_u32 s2, s24, s2
	s_addc_u32 s3, s25, s3
	s_cmp_lg_u64 s[6:7], s[18:19]
	s_cbranch_scc0 .LBB864_376
; %bb.26:
	v_lshlrev_b32_e32 v1, 1, v0
	s_clause 0xf
	global_load_u16 v9, v1, s[2:3]
	global_load_u16 v10, v1, s[2:3] offset:256
	global_load_u16 v11, v1, s[2:3] offset:512
	;; [unrolled: 1-line block ×15, first 2 shown]
	v_add_co_u32 v7, s5, s2, v1
	s_delay_alu instid0(VALU_DEP_1) | instskip(SKIP_1) | instid1(VALU_DEP_2)
	v_add_co_ci_u32_e64 v8, null, s3, 0, s5
	s_mov_b32 s5, exec_lo
	v_add_co_u32 v1, vcc_lo, 0x1000, v7
	s_delay_alu instid0(VALU_DEP_2)
	v_add_co_ci_u32_e32 v2, vcc_lo, 0, v8, vcc_lo
	v_add_co_u32 v3, vcc_lo, v7, 0x2000
	v_add_co_ci_u32_e32 v4, vcc_lo, 0, v8, vcc_lo
	v_add_co_u32 v5, vcc_lo, 0x2000, v7
	;; [unrolled: 2-line block ×3, first 2 shown]
	v_add_co_ci_u32_e32 v8, vcc_lo, 0, v8, vcc_lo
	s_clause 0x1f
	global_load_u16 v25, v[3:4], off offset:-4096
	global_load_u16 v26, v[1:2], off offset:256
	global_load_u16 v27, v[1:2], off offset:512
	;; [unrolled: 1-line block ×15, first 2 shown]
	global_load_u16 v2, v[3:4], off
	global_load_u16 v3, v[5:6], off offset:256
	global_load_u16 v4, v[5:6], off offset:512
	;; [unrolled: 1-line block ×15, first 2 shown]
	s_clause 0xf
	global_load_u16 v6, v[7:8], off
	global_load_u16 v52, v[7:8], off offset:256
	global_load_u16 v53, v[7:8], off offset:512
	;; [unrolled: 1-line block ×15, first 2 shown]
	s_waitcnt vmcnt(62)
	v_and_b32_e32 v8, 0x7fff, v9
	v_and_b32_e32 v9, 0x7fff, v10
	s_waitcnt vmcnt(61)
	v_and_b32_e32 v10, 0x7fff, v11
	s_waitcnt vmcnt(60)
	;; [unrolled: 2-line block ×3, first 2 shown]
	v_and_b32_e32 v12, 0x7fff, v13
	v_cmp_ne_u16_e32 vcc_lo, 0, v8
	s_waitcnt vmcnt(58)
	v_and_b32_e32 v13, 0x7fff, v14
	s_waitcnt vmcnt(57)
	v_and_b32_e32 v14, 0x7fff, v15
	s_waitcnt vmcnt(56)
	v_and_b32_e32 v15, 0x7fff, v16
	s_waitcnt vmcnt(55)
	v_and_b32_e32 v16, 0x7fff, v17
	v_cndmask_b32_e64 v8, 0, 1, vcc_lo
	v_cmp_ne_u16_e32 vcc_lo, 0, v10
	s_waitcnt vmcnt(54)
	v_and_b32_e32 v17, 0x7fff, v18
	s_waitcnt vmcnt(53)
	v_and_b32_e32 v18, 0x7fff, v19
	s_waitcnt vmcnt(52)
	v_and_b32_e32 v19, 0x7fff, v20
	s_waitcnt vmcnt(51)
	v_and_b32_e32 v20, 0x7fff, v21
	v_cndmask_b32_e64 v10, 0, 1, vcc_lo
	v_cmp_ne_u16_e32 vcc_lo, 0, v12
	s_waitcnt vmcnt(50)
	v_and_b32_e32 v21, 0x7fff, v22
	s_waitcnt vmcnt(49)
	v_and_b32_e32 v22, 0x7fff, v23
	s_waitcnt vmcnt(48)
	v_and_b32_e32 v23, 0x7fff, v24
	s_waitcnt vmcnt(47)
	v_and_b32_e32 v24, 0x7fff, v25
	v_cndmask_b32_e64 v12, 0, 1, vcc_lo
	v_cmp_ne_u16_e32 vcc_lo, 0, v14
	s_waitcnt vmcnt(46)
	v_and_b32_e32 v25, 0x7fff, v26
	s_waitcnt vmcnt(45)
	v_and_b32_e32 v26, 0x7fff, v27
	s_waitcnt vmcnt(44)
	v_and_b32_e32 v27, 0x7fff, v28
	s_waitcnt vmcnt(43)
	v_and_b32_e32 v28, 0x7fff, v29
	v_cndmask_b32_e64 v14, 0, 1, vcc_lo
	v_cmp_ne_u16_e32 vcc_lo, 0, v16
	s_waitcnt vmcnt(42)
	v_and_b32_e32 v29, 0x7fff, v30
	s_waitcnt vmcnt(41)
	v_and_b32_e32 v30, 0x7fff, v31
	s_waitcnt vmcnt(40)
	v_and_b32_e32 v31, 0x7fff, v32
	s_waitcnt vmcnt(39)
	v_and_b32_e32 v32, 0x7fff, v33
	v_cndmask_b32_e64 v16, 0, 1, vcc_lo
	v_cmp_ne_u16_e32 vcc_lo, 0, v18
	s_waitcnt vmcnt(38)
	v_and_b32_e32 v33, 0x7fff, v34
	s_waitcnt vmcnt(37)
	v_and_b32_e32 v34, 0x7fff, v35
	s_waitcnt vmcnt(36)
	v_and_b32_e32 v35, 0x7fff, v36
	s_waitcnt vmcnt(35)
	v_and_b32_e32 v36, 0x7fff, v37
	v_cndmask_b32_e64 v18, 0, 1, vcc_lo
	v_cmp_ne_u16_e32 vcc_lo, 0, v20
	s_waitcnt vmcnt(34)
	v_and_b32_e32 v37, 0x7fff, v38
	s_waitcnt vmcnt(33)
	v_and_b32_e32 v38, 0x7fff, v39
	;; [unrolled: 2-line block ×3, first 2 shown]
	v_and_b32_e32 v1, 0x7fff, v1
	v_cndmask_b32_e64 v20, 0, 1, vcc_lo
	v_cmp_ne_u16_e32 vcc_lo, 0, v22
	s_waitcnt vmcnt(29)
	v_and_b32_e32 v4, 0x7fff, v4
	v_and_b32_e32 v3, 0x7fff, v3
	s_waitcnt vmcnt(28)
	v_and_b32_e32 v39, 0x7fff, v40
	s_waitcnt vmcnt(27)
	v_and_b32_e32 v40, 0x7fff, v41
	v_cndmask_b32_e64 v22, 0, 1, vcc_lo
	v_cmp_ne_u16_e32 vcc_lo, 0, v9
	s_waitcnt vmcnt(26)
	v_and_b32_e32 v41, 0x7fff, v42
	s_waitcnt vmcnt(25)
	v_and_b32_e32 v42, 0x7fff, v43
	;; [unrolled: 2-line block ×4, first 2 shown]
	v_add_co_ci_u32_e32 v8, vcc_lo, 0, v8, vcc_lo
	v_cmp_ne_u16_e32 vcc_lo, 0, v11
	s_waitcnt vmcnt(22)
	v_and_b32_e32 v45, 0x7fff, v46
	s_waitcnt vmcnt(21)
	v_and_b32_e32 v46, 0x7fff, v47
	;; [unrolled: 2-line block ×4, first 2 shown]
	v_add_co_ci_u32_e32 v8, vcc_lo, v8, v10, vcc_lo
	v_cmp_ne_u16_e32 vcc_lo, 0, v13
	s_waitcnt vmcnt(18)
	v_and_b32_e32 v49, 0x7fff, v50
	s_waitcnt vmcnt(17)
	v_and_b32_e32 v50, 0x7fff, v51
	;; [unrolled: 2-line block ×3, first 2 shown]
	v_and_b32_e32 v5, 0x7fff, v5
	v_add_co_ci_u32_e32 v8, vcc_lo, v8, v12, vcc_lo
	v_cmp_ne_u16_e32 vcc_lo, 0, v15
	s_waitcnt vmcnt(14)
	v_and_b32_e32 v51, 0x7fff, v52
	s_waitcnt vmcnt(13)
	v_and_b32_e32 v52, 0x7fff, v53
	;; [unrolled: 2-line block ×3, first 2 shown]
	v_and_b32_e32 v9, 0x7fff, v54
	v_add_co_ci_u32_e32 v8, vcc_lo, v8, v14, vcc_lo
	v_cmp_ne_u16_e32 vcc_lo, 0, v17
	s_waitcnt vmcnt(9)
	v_and_b32_e32 v11, 0x7fff, v57
	v_and_b32_e32 v10, 0x7fff, v56
	s_waitcnt vmcnt(7)
	v_and_b32_e32 v13, 0x7fff, v59
	v_and_b32_e32 v12, 0x7fff, v58
	v_add_co_ci_u32_e32 v8, vcc_lo, v8, v16, vcc_lo
	v_cmp_ne_u16_e32 vcc_lo, 0, v19
	s_waitcnt vmcnt(5)
	v_and_b32_e32 v15, 0x7fff, v61
	v_and_b32_e32 v14, 0x7fff, v60
	s_waitcnt vmcnt(3)
	v_and_b32_e32 v17, 0x7fff, v63
	v_and_b32_e32 v16, 0x7fff, v62
	v_add_co_ci_u32_e32 v8, vcc_lo, v8, v18, vcc_lo
	v_cmp_ne_u16_e32 vcc_lo, 0, v21
	s_waitcnt vmcnt(1)
	v_and_b32_e32 v19, 0x7fff, v65
	v_and_b32_e32 v18, 0x7fff, v64
	v_add_co_ci_u32_e32 v8, vcc_lo, v8, v20, vcc_lo
	v_cmp_ne_u16_e32 vcc_lo, 0, v24
	v_cndmask_b32_e64 v20, 0, 1, vcc_lo
	v_cmp_ne_u16_e32 vcc_lo, 0, v23
	s_delay_alu instid0(VALU_DEP_4) | instskip(SKIP_3) | instid1(VALU_DEP_4)
	v_add_co_ci_u32_e32 v8, vcc_lo, v8, v22, vcc_lo
	v_cmp_ne_u16_e32 vcc_lo, 0, v26
	v_cndmask_b32_e64 v21, 0, 1, vcc_lo
	v_cmp_ne_u16_e32 vcc_lo, 0, v25
	v_add_co_ci_u32_e32 v8, vcc_lo, v8, v20, vcc_lo
	v_cmp_ne_u16_e32 vcc_lo, 0, v28
	v_cndmask_b32_e64 v20, 0, 1, vcc_lo
	v_cmp_ne_u16_e32 vcc_lo, 0, v27
	s_delay_alu instid0(VALU_DEP_4) | instskip(SKIP_3) | instid1(VALU_DEP_4)
	v_add_co_ci_u32_e32 v8, vcc_lo, v8, v21, vcc_lo
	v_cmp_ne_u16_e32 vcc_lo, 0, v30
	v_cndmask_b32_e64 v21, 0, 1, vcc_lo
	v_cmp_ne_u16_e32 vcc_lo, 0, v29
	v_add_co_ci_u32_e32 v8, vcc_lo, v8, v20, vcc_lo
	v_cmp_ne_u16_e32 vcc_lo, 0, v32
	v_cndmask_b32_e64 v20, 0, 1, vcc_lo
	v_cmp_ne_u16_e32 vcc_lo, 0, v31
	s_delay_alu instid0(VALU_DEP_4) | instskip(SKIP_3) | instid1(VALU_DEP_4)
	v_add_co_ci_u32_e32 v8, vcc_lo, v8, v21, vcc_lo
	v_cmp_ne_u16_e32 vcc_lo, 0, v34
	v_cndmask_b32_e64 v21, 0, 1, vcc_lo
	v_cmp_ne_u16_e32 vcc_lo, 0, v33
	v_add_co_ci_u32_e32 v8, vcc_lo, v8, v20, vcc_lo
	v_cmp_ne_u16_e32 vcc_lo, 0, v36
	v_cndmask_b32_e64 v20, 0, 1, vcc_lo
	v_cmp_ne_u16_e32 vcc_lo, 0, v35
	s_delay_alu instid0(VALU_DEP_4) | instskip(SKIP_3) | instid1(VALU_DEP_4)
	v_add_co_ci_u32_e32 v8, vcc_lo, v8, v21, vcc_lo
	v_cmp_ne_u16_e32 vcc_lo, 0, v38
	v_cndmask_b32_e64 v21, 0, 1, vcc_lo
	v_cmp_ne_u16_e32 vcc_lo, 0, v37
	v_add_co_ci_u32_e32 v8, vcc_lo, v8, v20, vcc_lo
	v_cmp_ne_u16_e32 vcc_lo, 0, v2
	v_cndmask_b32_e64 v2, 0, 1, vcc_lo
	v_cmp_ne_u16_e32 vcc_lo, 0, v1
	s_delay_alu instid0(VALU_DEP_4) | instskip(SKIP_3) | instid1(VALU_DEP_4)
	v_add_co_ci_u32_e32 v1, vcc_lo, v8, v21, vcc_lo
	v_cmp_ne_u16_e32 vcc_lo, 0, v4
	v_cndmask_b32_e64 v4, 0, 1, vcc_lo
	v_cmp_ne_u16_e32 vcc_lo, 0, v3
	v_add_co_ci_u32_e32 v1, vcc_lo, v1, v2, vcc_lo
	v_cmp_ne_u16_e32 vcc_lo, 0, v40
	v_cndmask_b32_e64 v2, 0, 1, vcc_lo
	v_cmp_ne_u16_e32 vcc_lo, 0, v39
	s_delay_alu instid0(VALU_DEP_4)
	v_add_co_ci_u32_e32 v1, vcc_lo, v1, v4, vcc_lo
	v_cmp_ne_u16_e32 vcc_lo, 0, v42
	s_waitcnt vmcnt(0)
	v_and_b32_e32 v4, 0x7fff, v7
	v_cndmask_b32_e64 v3, 0, 1, vcc_lo
	v_cmp_ne_u16_e32 vcc_lo, 0, v41
	v_add_co_ci_u32_e32 v1, vcc_lo, v1, v2, vcc_lo
	v_cmp_ne_u16_e32 vcc_lo, 0, v44
	v_cndmask_b32_e64 v2, 0, 1, vcc_lo
	v_cmp_ne_u16_e32 vcc_lo, 0, v43
	s_delay_alu instid0(VALU_DEP_4) | instskip(SKIP_3) | instid1(VALU_DEP_4)
	v_add_co_ci_u32_e32 v1, vcc_lo, v1, v3, vcc_lo
	v_cmp_ne_u16_e32 vcc_lo, 0, v46
	v_cndmask_b32_e64 v3, 0, 1, vcc_lo
	v_cmp_ne_u16_e32 vcc_lo, 0, v45
	v_add_co_ci_u32_e32 v1, vcc_lo, v1, v2, vcc_lo
	v_cmp_ne_u16_e32 vcc_lo, 0, v48
	v_cndmask_b32_e64 v2, 0, 1, vcc_lo
	v_cmp_ne_u16_e32 vcc_lo, 0, v47
	s_delay_alu instid0(VALU_DEP_4) | instskip(SKIP_3) | instid1(VALU_DEP_4)
	v_add_co_ci_u32_e32 v1, vcc_lo, v1, v3, vcc_lo
	v_cmp_ne_u16_e32 vcc_lo, 0, v50
	;; [unrolled: 9-line block ×6, first 2 shown]
	v_cndmask_b32_e64 v3, 0, 1, vcc_lo
	v_cmp_ne_u16_e32 vcc_lo, 0, v18
	v_add_co_ci_u32_e32 v1, vcc_lo, v1, v2, vcc_lo
	v_cmp_ne_u16_e32 vcc_lo, 0, v4
	s_delay_alu instid0(VALU_DEP_2) | instskip(SKIP_1) | instid1(VALU_DEP_2)
	v_add_co_ci_u32_e32 v1, vcc_lo, v1, v3, vcc_lo
	v_mov_b32_e32 v3, 0
	v_mov_b32_dpp v2, v1 quad_perm:[1,0,3,2] row_mask:0xf bank_mask:0xf
	s_delay_alu instid0(VALU_DEP_1) | instskip(NEXT) | instid1(VALU_DEP_1)
	v_add_nc_u32_e32 v1, v1, v2
	v_mov_b32_dpp v2, v1 quad_perm:[2,3,0,1] row_mask:0xf bank_mask:0xf
	s_delay_alu instid0(VALU_DEP_1) | instskip(NEXT) | instid1(VALU_DEP_1)
	v_add_nc_u32_e32 v1, v1, v2
	v_mov_b32_dpp v2, v1 row_ror:4 row_mask:0xf bank_mask:0xf
	s_delay_alu instid0(VALU_DEP_1) | instskip(NEXT) | instid1(VALU_DEP_1)
	v_add_nc_u32_e32 v1, v1, v2
	v_mov_b32_dpp v2, v1 row_ror:8 row_mask:0xf bank_mask:0xf
	s_delay_alu instid0(VALU_DEP_1)
	v_add_nc_u32_e32 v1, v1, v2
	ds_swizzle_b32 v2, v1 offset:swizzle(BROADCAST,32,15)
	s_waitcnt lgkmcnt(0)
	v_add_nc_u32_e32 v1, v1, v2
	v_mbcnt_lo_u32_b32 v2, -1, 0
	ds_bpermute_b32 v1, v3, v1 offset:124
	v_cmpx_eq_u32_e32 0, v2
	s_cbranch_execz .LBB864_28
; %bb.27:
	v_lshrrev_b32_e32 v3, 3, v0
	s_delay_alu instid0(VALU_DEP_1)
	v_and_b32_e32 v3, 12, v3
	s_waitcnt lgkmcnt(0)
	ds_store_b32 v3, v1 offset:96
.LBB864_28:
	s_or_b32 exec_lo, exec_lo, s5
	s_delay_alu instid0(SALU_CYCLE_1)
	s_mov_b32 s5, exec_lo
	s_waitcnt lgkmcnt(0)
	s_barrier
	buffer_gl0_inv
	v_cmpx_gt_u32_e32 32, v0
	s_cbranch_execz .LBB864_30
; %bb.29:
	v_and_b32_e32 v1, 3, v2
	s_delay_alu instid0(VALU_DEP_1) | instskip(SKIP_4) | instid1(VALU_DEP_2)
	v_lshlrev_b32_e32 v3, 2, v1
	v_cmp_ne_u32_e32 vcc_lo, 3, v1
	ds_load_b32 v3, v3 offset:96
	v_add_co_ci_u32_e32 v4, vcc_lo, 0, v2, vcc_lo
	v_cmp_gt_u32_e32 vcc_lo, 2, v1
	v_lshlrev_b32_e32 v4, 2, v4
	v_cndmask_b32_e64 v1, 0, 1, vcc_lo
	s_delay_alu instid0(VALU_DEP_1) | instskip(NEXT) | instid1(VALU_DEP_1)
	v_lshlrev_b32_e32 v1, 1, v1
	v_add_lshl_u32 v1, v1, v2, 2
	s_waitcnt lgkmcnt(0)
	ds_bpermute_b32 v4, v4, v3
	s_waitcnt lgkmcnt(0)
	v_add_nc_u32_e32 v3, v4, v3
	ds_bpermute_b32 v1, v1, v3
	s_waitcnt lgkmcnt(0)
	v_add_nc_u32_e32 v1, v1, v3
.LBB864_30:
	s_or_b32 exec_lo, exec_lo, s5
	s_mov_b32 s5, 0
	s_branch .LBB864_377
.LBB864_31:
                                        ; implicit-def: $vgpr1
	s_cbranch_execz .LBB864_512
	s_branch .LBB864_368
.LBB864_32:
                                        ; implicit-def: $vgpr1
	s_branch .LBB864_512
.LBB864_33:
                                        ; implicit-def: $vgpr1
	s_branch .LBB864_512
.LBB864_34:
                                        ; implicit-def: $vgpr1
	s_cbranch_execz .LBB864_10
; %bb.35:
	s_sub_i32 s4, s20, s4
	s_mov_b32 s5, exec_lo
                                        ; implicit-def: $vgpr1
	v_cmpx_gt_u32_e64 s4, v0
	s_cbranch_execz .LBB864_37
; %bb.36:
	v_lshlrev_b32_e32 v1, 1, v0
	global_load_u16 v1, v1, s[2:3]
	s_waitcnt vmcnt(0)
	v_and_b32_e32 v1, 0x7fff, v1
	s_delay_alu instid0(VALU_DEP_1)
	v_cmp_ne_u16_e32 vcc_lo, 0, v1
	v_cndmask_b32_e64 v1, 0, 1, vcc_lo
.LBB864_37:
	s_or_b32 exec_lo, exec_lo, s5
	v_or_b32_e32 v3, 0x80, v0
	v_mov_b32_e32 v2, 0
	s_delay_alu instid0(VALU_DEP_2)
	v_cmp_gt_u32_e32 vcc_lo, s4, v3
	v_mov_b32_e32 v3, 0
	s_and_saveexec_b32 s5, vcc_lo
	s_cbranch_execz .LBB864_39
; %bb.38:
	v_lshlrev_b32_e32 v3, 1, v0
	global_load_u16 v3, v3, s[2:3] offset:256
	s_waitcnt vmcnt(0)
	v_and_b32_e32 v3, 0x7fff, v3
	s_delay_alu instid0(VALU_DEP_1)
	v_cmp_ne_u16_e32 vcc_lo, 0, v3
	v_cndmask_b32_e64 v3, 0, 1, vcc_lo
.LBB864_39:
	s_or_b32 exec_lo, exec_lo, s5
	v_or_b32_e32 v4, 0x100, v0
	s_mov_b32 s5, exec_lo
	s_delay_alu instid0(VALU_DEP_1)
	v_cmpx_gt_u32_e64 s4, v4
	s_cbranch_execz .LBB864_41
; %bb.40:
	v_lshlrev_b32_e32 v2, 1, v0
	global_load_u16 v2, v2, s[2:3] offset:512
	s_waitcnt vmcnt(0)
	v_and_b32_e32 v2, 0x7fff, v2
	s_delay_alu instid0(VALU_DEP_1)
	v_cmp_ne_u16_e32 vcc_lo, 0, v2
	v_cndmask_b32_e64 v2, 0, 1, vcc_lo
.LBB864_41:
	s_or_b32 exec_lo, exec_lo, s5
	v_or_b32_e32 v5, 0x180, v0
	v_mov_b32_e32 v4, 0
	s_delay_alu instid0(VALU_DEP_2)
	v_cmp_gt_u32_e32 vcc_lo, s4, v5
	v_mov_b32_e32 v5, 0
	s_and_saveexec_b32 s5, vcc_lo
	s_cbranch_execz .LBB864_43
; %bb.42:
	v_lshlrev_b32_e32 v5, 1, v0
	global_load_u16 v5, v5, s[2:3] offset:768
	s_waitcnt vmcnt(0)
	v_and_b32_e32 v5, 0x7fff, v5
	s_delay_alu instid0(VALU_DEP_1)
	v_cmp_ne_u16_e32 vcc_lo, 0, v5
	v_cndmask_b32_e64 v5, 0, 1, vcc_lo
.LBB864_43:
	s_or_b32 exec_lo, exec_lo, s5
	v_or_b32_e32 v6, 0x200, v0
	s_mov_b32 s5, exec_lo
	s_delay_alu instid0(VALU_DEP_1)
	v_cmpx_gt_u32_e64 s4, v6
	s_cbranch_execz .LBB864_45
; %bb.44:
	v_lshlrev_b32_e32 v4, 1, v0
	global_load_u16 v4, v4, s[2:3] offset:1024
	s_waitcnt vmcnt(0)
	v_and_b32_e32 v4, 0x7fff, v4
	s_delay_alu instid0(VALU_DEP_1)
	v_cmp_ne_u16_e32 vcc_lo, 0, v4
	v_cndmask_b32_e64 v4, 0, 1, vcc_lo
.LBB864_45:
	;; [unrolled: 32-line block ×7, first 2 shown]
	s_or_b32 exec_lo, exec_lo, s5
	v_or_b32_e32 v17, 0x780, v0
	v_mov_b32_e32 v16, 0
	s_delay_alu instid0(VALU_DEP_2)
	v_cmp_gt_u32_e32 vcc_lo, s4, v17
	v_mov_b32_e32 v17, 0
	s_and_saveexec_b32 s5, vcc_lo
	s_cbranch_execz .LBB864_67
; %bb.66:
	v_lshlrev_b32_e32 v17, 1, v0
	global_load_u16 v17, v17, s[2:3] offset:3840
	s_waitcnt vmcnt(0)
	v_and_b32_e32 v17, 0x7fff, v17
	s_delay_alu instid0(VALU_DEP_1)
	v_cmp_ne_u16_e32 vcc_lo, 0, v17
	v_cndmask_b32_e64 v17, 0, 1, vcc_lo
.LBB864_67:
	s_or_b32 exec_lo, exec_lo, s5
	v_or_b32_e32 v18, 0x800, v0
	s_mov_b32 s5, exec_lo
	s_delay_alu instid0(VALU_DEP_1)
	v_cmpx_gt_u32_e64 s4, v18
	s_cbranch_execz .LBB864_69
; %bb.68:
	v_lshlrev_b32_e32 v16, 1, v18
	global_load_u16 v16, v16, s[2:3]
	s_waitcnt vmcnt(0)
	v_and_b32_e32 v16, 0x7fff, v16
	s_delay_alu instid0(VALU_DEP_1)
	v_cmp_ne_u16_e32 vcc_lo, 0, v16
	v_cndmask_b32_e64 v16, 0, 1, vcc_lo
.LBB864_69:
	s_or_b32 exec_lo, exec_lo, s5
	v_or_b32_e32 v20, 0x880, v0
	v_dual_mov_b32 v18, 0 :: v_dual_mov_b32 v19, 0
	s_mov_b32 s5, exec_lo
	s_delay_alu instid0(VALU_DEP_2)
	v_cmpx_gt_u32_e64 s4, v20
	s_cbranch_execz .LBB864_71
; %bb.70:
	v_lshlrev_b32_e32 v19, 1, v20
	global_load_u16 v19, v19, s[2:3]
	s_waitcnt vmcnt(0)
	v_and_b32_e32 v19, 0x7fff, v19
	s_delay_alu instid0(VALU_DEP_1)
	v_cmp_ne_u16_e32 vcc_lo, 0, v19
	v_cndmask_b32_e64 v19, 0, 1, vcc_lo
.LBB864_71:
	s_or_b32 exec_lo, exec_lo, s5
	v_or_b32_e32 v20, 0x900, v0
	s_mov_b32 s5, exec_lo
	s_delay_alu instid0(VALU_DEP_1)
	v_cmpx_gt_u32_e64 s4, v20
	s_cbranch_execz .LBB864_73
; %bb.72:
	v_lshlrev_b32_e32 v18, 1, v20
	global_load_u16 v18, v18, s[2:3]
	s_waitcnt vmcnt(0)
	v_and_b32_e32 v18, 0x7fff, v18
	s_delay_alu instid0(VALU_DEP_1)
	v_cmp_ne_u16_e32 vcc_lo, 0, v18
	v_cndmask_b32_e64 v18, 0, 1, vcc_lo
.LBB864_73:
	s_or_b32 exec_lo, exec_lo, s5
	v_or_b32_e32 v22, 0x980, v0
	v_dual_mov_b32 v20, 0 :: v_dual_mov_b32 v21, 0
	s_mov_b32 s5, exec_lo
	s_delay_alu instid0(VALU_DEP_2)
	v_cmpx_gt_u32_e64 s4, v22
	s_cbranch_execz .LBB864_75
; %bb.74:
	v_lshlrev_b32_e32 v21, 1, v22
	global_load_u16 v21, v21, s[2:3]
	s_waitcnt vmcnt(0)
	v_and_b32_e32 v21, 0x7fff, v21
	s_delay_alu instid0(VALU_DEP_1)
	v_cmp_ne_u16_e32 vcc_lo, 0, v21
	v_cndmask_b32_e64 v21, 0, 1, vcc_lo
.LBB864_75:
	;; [unrolled: 31-line block ×55, first 2 shown]
	s_or_b32 exec_lo, exec_lo, s5
	v_or_b32_e32 v128, 0x3f00, v0
	s_mov_b32 s5, exec_lo
	s_delay_alu instid0(VALU_DEP_1)
	v_cmpx_gt_u32_e64 s4, v128
	s_cbranch_execz .LBB864_289
; %bb.288:
	v_lshlrev_b32_e32 v126, 1, v128
	global_load_u16 v126, v126, s[2:3]
	s_waitcnt vmcnt(0)
	v_and_b32_e32 v126, 0x7fff, v126
	s_delay_alu instid0(VALU_DEP_1)
	v_cmp_ne_u16_e32 vcc_lo, 0, v126
	v_cndmask_b32_e64 v126, 0, 1, vcc_lo
.LBB864_289:
	s_or_b32 exec_lo, exec_lo, s5
	v_or_b32_e32 v129, 0x3f80, v0
	v_mov_b32_e32 v128, 0
	s_mov_b32 s5, exec_lo
	s_delay_alu instid0(VALU_DEP_2)
	v_cmpx_gt_u32_e64 s4, v129
	s_cbranch_execz .LBB864_291
; %bb.290:
	v_lshlrev_b32_e32 v128, 1, v129
	global_load_u16 v128, v128, s[2:3]
	s_waitcnt vmcnt(0)
	v_and_b32_e32 v128, 0x7fff, v128
	s_delay_alu instid0(VALU_DEP_1) | instskip(NEXT) | instid1(VALU_DEP_1)
	v_cmp_ne_u16_e64 vcc_lo, 0, v128
	v_cndmask_b32_e64 v128, 0, 1, vcc_lo
.LBB864_291:
	s_or_b32 exec_lo, exec_lo, s5
	v_add_nc_u32_e32 v1, v3, v1
	s_min_u32 s2, s4, 0x80
	s_mov_b32 s3, exec_lo
	s_delay_alu instid0(VALU_DEP_1) | instskip(SKIP_1) | instid1(VALU_DEP_2)
	v_add3_u32 v1, v1, v2, v5
	v_mbcnt_lo_u32_b32 v2, -1, 0
	v_add3_u32 v1, v1, v4, v7
	s_delay_alu instid0(VALU_DEP_2) | instskip(NEXT) | instid1(VALU_DEP_2)
	v_cmp_ne_u32_e32 vcc_lo, 31, v2
	v_add3_u32 v1, v1, v6, v9
	v_add_co_ci_u32_e32 v3, vcc_lo, 0, v2, vcc_lo
	v_cmp_gt_u32_e32 vcc_lo, 30, v2
	v_add_nc_u32_e32 v6, 1, v2
	s_delay_alu instid0(VALU_DEP_4) | instskip(NEXT) | instid1(VALU_DEP_4)
	v_add3_u32 v1, v1, v8, v11
	v_lshlrev_b32_e32 v3, 2, v3
	v_cndmask_b32_e64 v5, 0, 1, vcc_lo
	s_delay_alu instid0(VALU_DEP_3) | instskip(NEXT) | instid1(VALU_DEP_2)
	v_add3_u32 v1, v1, v10, v13
	v_lshlrev_b32_e32 v5, 1, v5
	s_delay_alu instid0(VALU_DEP_2) | instskip(NEXT) | instid1(VALU_DEP_2)
	v_add3_u32 v1, v1, v12, v15
	v_add_lshl_u32 v5, v5, v2, 2
	s_delay_alu instid0(VALU_DEP_2) | instskip(NEXT) | instid1(VALU_DEP_1)
	v_add3_u32 v1, v1, v14, v17
	v_add3_u32 v1, v1, v16, v19
	s_delay_alu instid0(VALU_DEP_1) | instskip(NEXT) | instid1(VALU_DEP_1)
	v_add3_u32 v1, v1, v18, v21
	v_add3_u32 v1, v1, v20, v23
	s_delay_alu instid0(VALU_DEP_1) | instskip(NEXT) | instid1(VALU_DEP_1)
	;; [unrolled: 3-line block ×27, first 2 shown]
	v_add3_u32 v1, v1, v122, v125
	v_add3_u32 v1, v1, v124, v127
	s_delay_alu instid0(VALU_DEP_1) | instskip(SKIP_2) | instid1(VALU_DEP_1)
	v_add3_u32 v1, v1, v126, v128
	ds_bpermute_b32 v3, v3, v1
	v_and_b32_e32 v4, 0x60, v0
	v_sub_nc_u32_e64 v4, s2, v4 clamp
	s_delay_alu instid0(VALU_DEP_1) | instskip(SKIP_3) | instid1(VALU_DEP_2)
	v_cmp_lt_u32_e32 vcc_lo, v6, v4
	s_waitcnt lgkmcnt(0)
	v_dual_cndmask_b32 v3, 0, v3 :: v_dual_add_nc_u32 v6, 2, v2
	v_cmp_gt_u32_e32 vcc_lo, 28, v2
	v_add_nc_u32_e32 v1, v3, v1
	ds_bpermute_b32 v3, v5, v1
	v_cndmask_b32_e64 v5, 0, 1, vcc_lo
	v_cmp_lt_u32_e32 vcc_lo, v6, v4
	v_add_nc_u32_e32 v6, 4, v2
	s_delay_alu instid0(VALU_DEP_3) | instskip(NEXT) | instid1(VALU_DEP_1)
	v_lshlrev_b32_e32 v5, 2, v5
	v_add_lshl_u32 v5, v5, v2, 2
	s_waitcnt lgkmcnt(0)
	v_cndmask_b32_e32 v3, 0, v3, vcc_lo
	v_cmp_gt_u32_e32 vcc_lo, 24, v2
	s_delay_alu instid0(VALU_DEP_2) | instskip(SKIP_4) | instid1(VALU_DEP_3)
	v_add_nc_u32_e32 v1, v1, v3
	ds_bpermute_b32 v3, v5, v1
	v_cndmask_b32_e64 v5, 0, 1, vcc_lo
	v_cmp_lt_u32_e32 vcc_lo, v6, v4
	v_add_nc_u32_e32 v6, 8, v2
	v_lshlrev_b32_e32 v5, 3, v5
	s_delay_alu instid0(VALU_DEP_1) | instskip(SKIP_3) | instid1(VALU_DEP_2)
	v_add_lshl_u32 v5, v5, v2, 2
	s_waitcnt lgkmcnt(0)
	v_cndmask_b32_e32 v3, 0, v3, vcc_lo
	v_cmp_gt_u32_e32 vcc_lo, 16, v2
	v_add_nc_u32_e32 v1, v1, v3
	ds_bpermute_b32 v3, v5, v1
	v_cndmask_b32_e64 v5, 0, 1, vcc_lo
	v_cmp_lt_u32_e32 vcc_lo, v6, v4
	s_delay_alu instid0(VALU_DEP_2) | instskip(NEXT) | instid1(VALU_DEP_1)
	v_lshlrev_b32_e32 v5, 4, v5
	v_add_lshl_u32 v5, v5, v2, 2
	s_waitcnt lgkmcnt(0)
	v_cndmask_b32_e32 v3, 0, v3, vcc_lo
	s_delay_alu instid0(VALU_DEP_1) | instskip(SKIP_2) | instid1(VALU_DEP_1)
	v_add_nc_u32_e32 v1, v1, v3
	ds_bpermute_b32 v3, v5, v1
	v_add_nc_u32_e32 v5, 16, v2
	v_cmp_lt_u32_e32 vcc_lo, v5, v4
	s_waitcnt lgkmcnt(0)
	v_cndmask_b32_e32 v3, 0, v3, vcc_lo
	s_delay_alu instid0(VALU_DEP_1)
	v_add_nc_u32_e32 v1, v1, v3
	v_cmpx_eq_u32_e32 0, v2
	s_cbranch_execz .LBB864_293
; %bb.292:
	v_lshrrev_b32_e32 v3, 3, v0
	s_delay_alu instid0(VALU_DEP_1)
	v_and_b32_e32 v3, 12, v3
	ds_store_b32 v3, v1 offset:128
.LBB864_293:
	s_or_b32 exec_lo, exec_lo, s3
	s_delay_alu instid0(SALU_CYCLE_1)
	s_mov_b32 s3, exec_lo
	s_waitcnt lgkmcnt(0)
	s_barrier
	buffer_gl0_inv
	v_cmpx_gt_u32_e32 4, v0
	s_cbranch_execz .LBB864_295
; %bb.294:
	v_and_b32_e32 v3, 3, v2
	s_add_i32 s2, s2, 31
	s_delay_alu instid0(SALU_CYCLE_1) | instskip(NEXT) | instid1(VALU_DEP_1)
	s_lshr_b32 s2, s2, 5
	v_cmp_ne_u32_e32 vcc_lo, 3, v3
	v_add_nc_u32_e32 v5, 1, v3
	v_add_co_ci_u32_e32 v4, vcc_lo, 0, v2, vcc_lo
	v_cmp_gt_u32_e32 vcc_lo, 2, v3
	v_add_nc_u32_e32 v3, 2, v3
	s_delay_alu instid0(VALU_DEP_3) | instskip(SKIP_3) | instid1(VALU_DEP_3)
	v_lshlrev_b32_e32 v4, 2, v4
	v_cndmask_b32_e64 v6, 0, 1, vcc_lo
	v_cmp_gt_u32_e32 vcc_lo, s2, v5
	v_lshlrev_b32_e32 v1, 2, v2
	v_lshlrev_b32_e32 v5, 1, v6
	ds_load_b32 v1, v1 offset:128
	v_add_lshl_u32 v2, v5, v2, 2
	s_waitcnt lgkmcnt(0)
	ds_bpermute_b32 v4, v4, v1
	s_waitcnt lgkmcnt(0)
	v_cndmask_b32_e32 v4, 0, v4, vcc_lo
	v_cmp_gt_u32_e32 vcc_lo, s2, v3
	s_delay_alu instid0(VALU_DEP_2) | instskip(SKIP_3) | instid1(VALU_DEP_1)
	v_add_nc_u32_e32 v1, v4, v1
	ds_bpermute_b32 v2, v2, v1
	s_waitcnt lgkmcnt(0)
	v_cndmask_b32_e32 v2, 0, v2, vcc_lo
	v_add_nc_u32_e32 v1, v1, v2
.LBB864_295:
	s_or_b32 exec_lo, exec_lo, s3
	v_cmp_eq_u32_e64 s2, 0, v0
	s_and_b32 vcc_lo, exec_lo, s6
	s_cbranch_vccnz .LBB864_24
	s_branch .LBB864_11
.LBB864_296:
	s_mov_b32 s5, -1
                                        ; implicit-def: $vgpr1
.LBB864_297:
	s_delay_alu instid0(SALU_CYCLE_1)
	s_and_b32 vcc_lo, exec_lo, s5
	s_cbranch_vccz .LBB864_367
; %bb.298:
	s_sub_i32 s4, s20, s4
	s_mov_b32 s5, exec_lo
                                        ; implicit-def: $vgpr1
	v_cmpx_gt_u32_e64 s4, v0
	s_cbranch_execz .LBB864_300
; %bb.299:
	v_lshlrev_b32_e32 v1, 1, v0
	global_load_u16 v1, v1, s[2:3]
	s_waitcnt vmcnt(0)
	v_and_b32_e32 v1, 0x7fff, v1
	s_delay_alu instid0(VALU_DEP_1)
	v_cmp_ne_u16_e32 vcc_lo, 0, v1
	v_cndmask_b32_e64 v1, 0, 1, vcc_lo
.LBB864_300:
	s_or_b32 exec_lo, exec_lo, s5
	v_or_b32_e32 v3, 0x80, v0
	v_mov_b32_e32 v2, 0
	s_delay_alu instid0(VALU_DEP_2)
	v_cmp_gt_u32_e32 vcc_lo, s4, v3
	v_mov_b32_e32 v3, 0
	s_and_saveexec_b32 s5, vcc_lo
	s_cbranch_execz .LBB864_302
; %bb.301:
	v_lshlrev_b32_e32 v3, 1, v0
	global_load_u16 v3, v3, s[2:3] offset:256
	s_waitcnt vmcnt(0)
	v_and_b32_e32 v3, 0x7fff, v3
	s_delay_alu instid0(VALU_DEP_1)
	v_cmp_ne_u16_e32 vcc_lo, 0, v3
	v_cndmask_b32_e64 v3, 0, 1, vcc_lo
.LBB864_302:
	s_or_b32 exec_lo, exec_lo, s5
	v_or_b32_e32 v4, 0x100, v0
	s_mov_b32 s5, exec_lo
	s_delay_alu instid0(VALU_DEP_1)
	v_cmpx_gt_u32_e64 s4, v4
	s_cbranch_execz .LBB864_304
; %bb.303:
	v_lshlrev_b32_e32 v2, 1, v0
	global_load_u16 v2, v2, s[2:3] offset:512
	s_waitcnt vmcnt(0)
	v_and_b32_e32 v2, 0x7fff, v2
	s_delay_alu instid0(VALU_DEP_1)
	v_cmp_ne_u16_e32 vcc_lo, 0, v2
	v_cndmask_b32_e64 v2, 0, 1, vcc_lo
.LBB864_304:
	s_or_b32 exec_lo, exec_lo, s5
	v_or_b32_e32 v5, 0x180, v0
	v_mov_b32_e32 v4, 0
	s_delay_alu instid0(VALU_DEP_2)
	v_cmp_gt_u32_e32 vcc_lo, s4, v5
	v_mov_b32_e32 v5, 0
	s_and_saveexec_b32 s5, vcc_lo
	s_cbranch_execz .LBB864_306
; %bb.305:
	v_lshlrev_b32_e32 v5, 1, v0
	global_load_u16 v5, v5, s[2:3] offset:768
	s_waitcnt vmcnt(0)
	v_and_b32_e32 v5, 0x7fff, v5
	s_delay_alu instid0(VALU_DEP_1)
	v_cmp_ne_u16_e32 vcc_lo, 0, v5
	v_cndmask_b32_e64 v5, 0, 1, vcc_lo
.LBB864_306:
	s_or_b32 exec_lo, exec_lo, s5
	v_or_b32_e32 v6, 0x200, v0
	s_mov_b32 s5, exec_lo
	s_delay_alu instid0(VALU_DEP_1)
	v_cmpx_gt_u32_e64 s4, v6
	s_cbranch_execz .LBB864_308
; %bb.307:
	v_lshlrev_b32_e32 v4, 1, v0
	global_load_u16 v4, v4, s[2:3] offset:1024
	s_waitcnt vmcnt(0)
	v_and_b32_e32 v4, 0x7fff, v4
	s_delay_alu instid0(VALU_DEP_1)
	v_cmp_ne_u16_e32 vcc_lo, 0, v4
	v_cndmask_b32_e64 v4, 0, 1, vcc_lo
.LBB864_308:
	;; [unrolled: 32-line block ×7, first 2 shown]
	s_or_b32 exec_lo, exec_lo, s5
	v_or_b32_e32 v17, 0x780, v0
	v_mov_b32_e32 v16, 0
	s_delay_alu instid0(VALU_DEP_2)
	v_cmp_gt_u32_e32 vcc_lo, s4, v17
	v_mov_b32_e32 v17, 0
	s_and_saveexec_b32 s5, vcc_lo
	s_cbranch_execz .LBB864_330
; %bb.329:
	v_lshlrev_b32_e32 v17, 1, v0
	global_load_u16 v17, v17, s[2:3] offset:3840
	s_waitcnt vmcnt(0)
	v_and_b32_e32 v17, 0x7fff, v17
	s_delay_alu instid0(VALU_DEP_1)
	v_cmp_ne_u16_e32 vcc_lo, 0, v17
	v_cndmask_b32_e64 v17, 0, 1, vcc_lo
.LBB864_330:
	s_or_b32 exec_lo, exec_lo, s5
	v_or_b32_e32 v18, 0x800, v0
	s_mov_b32 s5, exec_lo
	s_delay_alu instid0(VALU_DEP_1)
	v_cmpx_gt_u32_e64 s4, v18
	s_cbranch_execz .LBB864_332
; %bb.331:
	v_lshlrev_b32_e32 v16, 1, v18
	global_load_u16 v16, v16, s[2:3]
	s_waitcnt vmcnt(0)
	v_and_b32_e32 v16, 0x7fff, v16
	s_delay_alu instid0(VALU_DEP_1)
	v_cmp_ne_u16_e32 vcc_lo, 0, v16
	v_cndmask_b32_e64 v16, 0, 1, vcc_lo
.LBB864_332:
	s_or_b32 exec_lo, exec_lo, s5
	v_or_b32_e32 v20, 0x880, v0
	v_dual_mov_b32 v18, 0 :: v_dual_mov_b32 v19, 0
	s_mov_b32 s5, exec_lo
	s_delay_alu instid0(VALU_DEP_2)
	v_cmpx_gt_u32_e64 s4, v20
	s_cbranch_execz .LBB864_334
; %bb.333:
	v_lshlrev_b32_e32 v19, 1, v20
	global_load_u16 v19, v19, s[2:3]
	s_waitcnt vmcnt(0)
	v_and_b32_e32 v19, 0x7fff, v19
	s_delay_alu instid0(VALU_DEP_1)
	v_cmp_ne_u16_e32 vcc_lo, 0, v19
	v_cndmask_b32_e64 v19, 0, 1, vcc_lo
.LBB864_334:
	s_or_b32 exec_lo, exec_lo, s5
	v_or_b32_e32 v20, 0x900, v0
	s_mov_b32 s5, exec_lo
	s_delay_alu instid0(VALU_DEP_1)
	v_cmpx_gt_u32_e64 s4, v20
	s_cbranch_execz .LBB864_336
; %bb.335:
	v_lshlrev_b32_e32 v18, 1, v20
	global_load_u16 v18, v18, s[2:3]
	s_waitcnt vmcnt(0)
	v_and_b32_e32 v18, 0x7fff, v18
	s_delay_alu instid0(VALU_DEP_1)
	v_cmp_ne_u16_e32 vcc_lo, 0, v18
	v_cndmask_b32_e64 v18, 0, 1, vcc_lo
.LBB864_336:
	s_or_b32 exec_lo, exec_lo, s5
	v_or_b32_e32 v22, 0x980, v0
	v_dual_mov_b32 v20, 0 :: v_dual_mov_b32 v21, 0
	s_mov_b32 s5, exec_lo
	s_delay_alu instid0(VALU_DEP_2)
	v_cmpx_gt_u32_e64 s4, v22
	s_cbranch_execz .LBB864_338
; %bb.337:
	v_lshlrev_b32_e32 v21, 1, v22
	global_load_u16 v21, v21, s[2:3]
	s_waitcnt vmcnt(0)
	v_and_b32_e32 v21, 0x7fff, v21
	s_delay_alu instid0(VALU_DEP_1)
	v_cmp_ne_u16_e32 vcc_lo, 0, v21
	v_cndmask_b32_e64 v21, 0, 1, vcc_lo
.LBB864_338:
	;; [unrolled: 31-line block ×7, first 2 shown]
	s_or_b32 exec_lo, exec_lo, s5
	v_or_b32_e32 v32, 0xf00, v0
	s_mov_b32 s5, exec_lo
	s_delay_alu instid0(VALU_DEP_1)
	v_cmpx_gt_u32_e64 s4, v32
	s_cbranch_execz .LBB864_360
; %bb.359:
	v_lshlrev_b32_e32 v30, 1, v32
	global_load_u16 v30, v30, s[2:3]
	s_waitcnt vmcnt(0)
	v_and_b32_e32 v30, 0x7fff, v30
	s_delay_alu instid0(VALU_DEP_1)
	v_cmp_ne_u16_e32 vcc_lo, 0, v30
	v_cndmask_b32_e64 v30, 0, 1, vcc_lo
.LBB864_360:
	s_or_b32 exec_lo, exec_lo, s5
	v_or_b32_e32 v33, 0xf80, v0
	v_mov_b32_e32 v32, 0
	s_mov_b32 s5, exec_lo
	s_delay_alu instid0(VALU_DEP_2)
	v_cmpx_gt_u32_e64 s4, v33
	s_cbranch_execz .LBB864_362
; %bb.361:
	v_lshlrev_b32_e32 v32, 1, v33
	global_load_u16 v32, v32, s[2:3]
	s_waitcnt vmcnt(0)
	v_and_b32_e32 v32, 0x7fff, v32
	s_delay_alu instid0(VALU_DEP_1)
	v_cmp_ne_u16_e32 vcc_lo, 0, v32
	v_cndmask_b32_e64 v32, 0, 1, vcc_lo
.LBB864_362:
	s_or_b32 exec_lo, exec_lo, s5
	v_add_nc_u32_e32 v1, v3, v1
	s_min_u32 s2, s4, 0x80
	s_mov_b32 s3, exec_lo
	s_delay_alu instid0(VALU_DEP_1) | instskip(SKIP_1) | instid1(VALU_DEP_2)
	v_add3_u32 v1, v1, v2, v5
	v_mbcnt_lo_u32_b32 v2, -1, 0
	v_add3_u32 v1, v1, v4, v7
	s_delay_alu instid0(VALU_DEP_2) | instskip(NEXT) | instid1(VALU_DEP_2)
	v_cmp_ne_u32_e32 vcc_lo, 31, v2
	v_add3_u32 v1, v1, v6, v9
	v_add_co_ci_u32_e32 v3, vcc_lo, 0, v2, vcc_lo
	v_cmp_gt_u32_e32 vcc_lo, 30, v2
	v_add_nc_u32_e32 v6, 1, v2
	s_delay_alu instid0(VALU_DEP_4) | instskip(NEXT) | instid1(VALU_DEP_4)
	v_add3_u32 v1, v1, v8, v11
	v_lshlrev_b32_e32 v3, 2, v3
	v_cndmask_b32_e64 v5, 0, 1, vcc_lo
	s_delay_alu instid0(VALU_DEP_3) | instskip(NEXT) | instid1(VALU_DEP_2)
	v_add3_u32 v1, v1, v10, v13
	v_lshlrev_b32_e32 v5, 1, v5
	s_delay_alu instid0(VALU_DEP_2) | instskip(NEXT) | instid1(VALU_DEP_2)
	v_add3_u32 v1, v1, v12, v15
	v_add_lshl_u32 v5, v5, v2, 2
	s_delay_alu instid0(VALU_DEP_2) | instskip(NEXT) | instid1(VALU_DEP_1)
	v_add3_u32 v1, v1, v14, v17
	v_add3_u32 v1, v1, v16, v19
	s_delay_alu instid0(VALU_DEP_1) | instskip(NEXT) | instid1(VALU_DEP_1)
	v_add3_u32 v1, v1, v18, v21
	v_add3_u32 v1, v1, v20, v23
	s_delay_alu instid0(VALU_DEP_1) | instskip(NEXT) | instid1(VALU_DEP_1)
	;; [unrolled: 3-line block ×3, first 2 shown]
	v_add3_u32 v1, v1, v26, v29
	v_add3_u32 v1, v1, v28, v31
	s_delay_alu instid0(VALU_DEP_1) | instskip(SKIP_2) | instid1(VALU_DEP_1)
	v_add3_u32 v1, v1, v30, v32
	ds_bpermute_b32 v3, v3, v1
	v_and_b32_e32 v4, 0x60, v0
	v_sub_nc_u32_e64 v4, s2, v4 clamp
	s_delay_alu instid0(VALU_DEP_1) | instskip(SKIP_3) | instid1(VALU_DEP_2)
	v_cmp_lt_u32_e32 vcc_lo, v6, v4
	s_waitcnt lgkmcnt(0)
	v_dual_cndmask_b32 v3, 0, v3 :: v_dual_add_nc_u32 v6, 2, v2
	v_cmp_gt_u32_e32 vcc_lo, 28, v2
	v_add_nc_u32_e32 v1, v3, v1
	ds_bpermute_b32 v3, v5, v1
	v_cndmask_b32_e64 v5, 0, 1, vcc_lo
	v_cmp_lt_u32_e32 vcc_lo, v6, v4
	v_add_nc_u32_e32 v6, 4, v2
	s_delay_alu instid0(VALU_DEP_3) | instskip(NEXT) | instid1(VALU_DEP_1)
	v_lshlrev_b32_e32 v5, 2, v5
	v_add_lshl_u32 v5, v5, v2, 2
	s_waitcnt lgkmcnt(0)
	v_cndmask_b32_e32 v3, 0, v3, vcc_lo
	v_cmp_gt_u32_e32 vcc_lo, 24, v2
	s_delay_alu instid0(VALU_DEP_2) | instskip(SKIP_4) | instid1(VALU_DEP_3)
	v_add_nc_u32_e32 v1, v1, v3
	ds_bpermute_b32 v3, v5, v1
	v_cndmask_b32_e64 v5, 0, 1, vcc_lo
	v_cmp_lt_u32_e32 vcc_lo, v6, v4
	v_add_nc_u32_e32 v6, 8, v2
	v_lshlrev_b32_e32 v5, 3, v5
	s_delay_alu instid0(VALU_DEP_1) | instskip(SKIP_3) | instid1(VALU_DEP_2)
	v_add_lshl_u32 v5, v5, v2, 2
	s_waitcnt lgkmcnt(0)
	v_cndmask_b32_e32 v3, 0, v3, vcc_lo
	v_cmp_gt_u32_e32 vcc_lo, 16, v2
	v_add_nc_u32_e32 v1, v1, v3
	ds_bpermute_b32 v3, v5, v1
	v_cndmask_b32_e64 v5, 0, 1, vcc_lo
	v_cmp_lt_u32_e32 vcc_lo, v6, v4
	s_delay_alu instid0(VALU_DEP_2) | instskip(NEXT) | instid1(VALU_DEP_1)
	v_lshlrev_b32_e32 v5, 4, v5
	v_add_lshl_u32 v5, v5, v2, 2
	s_waitcnt lgkmcnt(0)
	v_cndmask_b32_e32 v3, 0, v3, vcc_lo
	s_delay_alu instid0(VALU_DEP_1) | instskip(SKIP_2) | instid1(VALU_DEP_1)
	v_add_nc_u32_e32 v1, v1, v3
	ds_bpermute_b32 v3, v5, v1
	v_add_nc_u32_e32 v5, 16, v2
	v_cmp_lt_u32_e32 vcc_lo, v5, v4
	s_waitcnt lgkmcnt(0)
	v_cndmask_b32_e32 v3, 0, v3, vcc_lo
	s_delay_alu instid0(VALU_DEP_1)
	v_add_nc_u32_e32 v1, v1, v3
	v_cmpx_eq_u32_e32 0, v2
	s_cbranch_execz .LBB864_364
; %bb.363:
	v_lshrrev_b32_e32 v3, 3, v0
	s_delay_alu instid0(VALU_DEP_1)
	v_and_b32_e32 v3, 12, v3
	ds_store_b32 v3, v1 offset:128
.LBB864_364:
	s_or_b32 exec_lo, exec_lo, s3
	s_delay_alu instid0(SALU_CYCLE_1)
	s_mov_b32 s3, exec_lo
	s_waitcnt lgkmcnt(0)
	s_barrier
	buffer_gl0_inv
	v_cmpx_gt_u32_e32 4, v0
	s_cbranch_execz .LBB864_366
; %bb.365:
	v_and_b32_e32 v3, 3, v2
	s_add_i32 s2, s2, 31
	s_delay_alu instid0(SALU_CYCLE_1) | instskip(NEXT) | instid1(VALU_DEP_1)
	s_lshr_b32 s2, s2, 5
	v_cmp_ne_u32_e32 vcc_lo, 3, v3
	v_add_nc_u32_e32 v5, 1, v3
	v_add_co_ci_u32_e32 v4, vcc_lo, 0, v2, vcc_lo
	v_cmp_gt_u32_e32 vcc_lo, 2, v3
	v_add_nc_u32_e32 v3, 2, v3
	s_delay_alu instid0(VALU_DEP_3) | instskip(SKIP_3) | instid1(VALU_DEP_3)
	v_lshlrev_b32_e32 v4, 2, v4
	v_cndmask_b32_e64 v6, 0, 1, vcc_lo
	v_cmp_gt_u32_e32 vcc_lo, s2, v5
	v_lshlrev_b32_e32 v1, 2, v2
	v_lshlrev_b32_e32 v5, 1, v6
	ds_load_b32 v1, v1 offset:128
	v_add_lshl_u32 v2, v5, v2, 2
	s_waitcnt lgkmcnt(0)
	ds_bpermute_b32 v4, v4, v1
	s_waitcnt lgkmcnt(0)
	v_cndmask_b32_e32 v4, 0, v4, vcc_lo
	v_cmp_gt_u32_e32 vcc_lo, s2, v3
	s_delay_alu instid0(VALU_DEP_2) | instskip(SKIP_3) | instid1(VALU_DEP_1)
	v_add_nc_u32_e32 v1, v4, v1
	ds_bpermute_b32 v2, v2, v1
	s_waitcnt lgkmcnt(0)
	v_cndmask_b32_e32 v2, 0, v2, vcc_lo
	v_add_nc_u32_e32 v1, v1, v2
.LBB864_366:
	s_or_b32 exec_lo, exec_lo, s3
.LBB864_367:
	v_cmp_eq_u32_e64 s2, 0, v0
	s_branch .LBB864_512
.LBB864_368:
	s_cmp_eq_u32 s26, 16
	s_cbranch_scc0 .LBB864_375
; %bb.369:
	s_mov_b32 s19, 0
	s_lshl_b32 s2, s18, 11
	s_mov_b32 s3, s19
	s_lshr_b64 s[6:7], s[20:21], 11
	s_lshl_b64 s[4:5], s[2:3], 1
	s_delay_alu instid0(SALU_CYCLE_1)
	s_add_u32 s16, s24, s4
	s_addc_u32 s17, s25, s5
	s_cmp_lg_u64 s[6:7], s[18:19]
	s_cbranch_scc0 .LBB864_533
; %bb.370:
	v_lshlrev_b32_e32 v1, 1, v0
	s_mov_b32 s3, exec_lo
	s_clause 0xf
	global_load_u16 v2, v1, s[16:17]
	global_load_u16 v3, v1, s[16:17] offset:256
	global_load_u16 v4, v1, s[16:17] offset:512
	;; [unrolled: 1-line block ×15, first 2 shown]
	s_waitcnt vmcnt(15)
	v_and_b32_e32 v2, 0x7fff, v2
	s_waitcnt vmcnt(14)
	v_and_b32_e32 v3, 0x7fff, v3
	;; [unrolled: 2-line block ×5, first 2 shown]
	v_cmp_ne_u16_e32 vcc_lo, 0, v2
	s_waitcnt vmcnt(9)
	v_and_b32_e32 v8, 0x7fff, v8
	v_and_b32_e32 v7, 0x7fff, v7
	s_waitcnt vmcnt(7)
	v_and_b32_e32 v10, 0x7fff, v10
	v_and_b32_e32 v9, 0x7fff, v9
	v_cndmask_b32_e64 v2, 0, 1, vcc_lo
	v_cmp_ne_u16_e32 vcc_lo, 0, v4
	s_waitcnt vmcnt(5)
	v_and_b32_e32 v12, 0x7fff, v12
	v_and_b32_e32 v11, 0x7fff, v11
	s_waitcnt vmcnt(3)
	v_and_b32_e32 v14, 0x7fff, v14
	v_and_b32_e32 v13, 0x7fff, v13
	v_cndmask_b32_e64 v4, 0, 1, vcc_lo
	v_cmp_ne_u16_e32 vcc_lo, 0, v3
	s_waitcnt vmcnt(1)
	v_and_b32_e32 v16, 0x7fff, v16
	v_and_b32_e32 v15, 0x7fff, v15
	s_waitcnt vmcnt(0)
	v_and_b32_e32 v1, 0x7fff, v1
	v_add_co_ci_u32_e32 v2, vcc_lo, 0, v2, vcc_lo
	v_cmp_ne_u16_e32 vcc_lo, 0, v6
	v_cndmask_b32_e64 v3, 0, 1, vcc_lo
	v_cmp_ne_u16_e32 vcc_lo, 0, v5
	s_delay_alu instid0(VALU_DEP_4) | instskip(SKIP_3) | instid1(VALU_DEP_4)
	v_add_co_ci_u32_e32 v2, vcc_lo, v2, v4, vcc_lo
	v_cmp_ne_u16_e32 vcc_lo, 0, v8
	v_cndmask_b32_e64 v4, 0, 1, vcc_lo
	v_cmp_ne_u16_e32 vcc_lo, 0, v7
	v_add_co_ci_u32_e32 v2, vcc_lo, v2, v3, vcc_lo
	v_cmp_ne_u16_e32 vcc_lo, 0, v10
	v_cndmask_b32_e64 v3, 0, 1, vcc_lo
	v_cmp_ne_u16_e32 vcc_lo, 0, v9
	s_delay_alu instid0(VALU_DEP_4) | instskip(SKIP_3) | instid1(VALU_DEP_4)
	v_add_co_ci_u32_e32 v2, vcc_lo, v2, v4, vcc_lo
	v_cmp_ne_u16_e32 vcc_lo, 0, v12
	v_cndmask_b32_e64 v4, 0, 1, vcc_lo
	v_cmp_ne_u16_e32 vcc_lo, 0, v11
	;; [unrolled: 9-line block ×3, first 2 shown]
	v_add_co_ci_u32_e32 v2, vcc_lo, v2, v3, vcc_lo
	v_cmp_ne_u16_e32 vcc_lo, 0, v1
	s_delay_alu instid0(VALU_DEP_2) | instskip(NEXT) | instid1(VALU_DEP_1)
	v_add_co_ci_u32_e32 v1, vcc_lo, v2, v4, vcc_lo
	v_mov_b32_dpp v2, v1 quad_perm:[1,0,3,2] row_mask:0xf bank_mask:0xf
	s_delay_alu instid0(VALU_DEP_1) | instskip(NEXT) | instid1(VALU_DEP_1)
	v_add_nc_u32_e32 v1, v1, v2
	v_mov_b32_dpp v2, v1 quad_perm:[2,3,0,1] row_mask:0xf bank_mask:0xf
	s_delay_alu instid0(VALU_DEP_1) | instskip(NEXT) | instid1(VALU_DEP_1)
	v_add_nc_u32_e32 v1, v1, v2
	v_mov_b32_dpp v2, v1 row_ror:4 row_mask:0xf bank_mask:0xf
	s_delay_alu instid0(VALU_DEP_1) | instskip(NEXT) | instid1(VALU_DEP_1)
	v_add_nc_u32_e32 v1, v1, v2
	v_mov_b32_dpp v2, v1 row_ror:8 row_mask:0xf bank_mask:0xf
	s_delay_alu instid0(VALU_DEP_1)
	v_add_nc_u32_e32 v1, v1, v2
	ds_swizzle_b32 v2, v1 offset:swizzle(BROADCAST,32,15)
	s_waitcnt lgkmcnt(0)
	v_dual_mov_b32 v2, 0 :: v_dual_add_nc_u32 v1, v1, v2
	ds_bpermute_b32 v1, v2, v1 offset:124
	v_mbcnt_lo_u32_b32 v2, -1, 0
	s_delay_alu instid0(VALU_DEP_1)
	v_cmpx_eq_u32_e32 0, v2
	s_cbranch_execz .LBB864_372
; %bb.371:
	v_lshrrev_b32_e32 v3, 3, v0
	s_delay_alu instid0(VALU_DEP_1)
	v_and_b32_e32 v3, 12, v3
	s_waitcnt lgkmcnt(0)
	ds_store_b32 v3, v1 offset:16
.LBB864_372:
	s_or_b32 exec_lo, exec_lo, s3
	s_delay_alu instid0(SALU_CYCLE_1)
	s_mov_b32 s3, exec_lo
	s_waitcnt lgkmcnt(0)
	s_barrier
	buffer_gl0_inv
	v_cmpx_gt_u32_e32 32, v0
	s_cbranch_execz .LBB864_374
; %bb.373:
	v_and_b32_e32 v1, 3, v2
	s_delay_alu instid0(VALU_DEP_1) | instskip(SKIP_4) | instid1(VALU_DEP_2)
	v_lshlrev_b32_e32 v3, 2, v1
	v_cmp_ne_u32_e32 vcc_lo, 3, v1
	ds_load_b32 v3, v3 offset:16
	v_add_co_ci_u32_e32 v4, vcc_lo, 0, v2, vcc_lo
	v_cmp_gt_u32_e32 vcc_lo, 2, v1
	v_lshlrev_b32_e32 v4, 2, v4
	v_cndmask_b32_e64 v1, 0, 1, vcc_lo
	s_delay_alu instid0(VALU_DEP_1) | instskip(NEXT) | instid1(VALU_DEP_1)
	v_lshlrev_b32_e32 v1, 1, v1
	v_add_lshl_u32 v1, v1, v2, 2
	s_waitcnt lgkmcnt(0)
	ds_bpermute_b32 v4, v4, v3
	s_waitcnt lgkmcnt(0)
	v_add_nc_u32_e32 v3, v4, v3
	ds_bpermute_b32 v1, v1, v3
	s_waitcnt lgkmcnt(0)
	v_add_nc_u32_e32 v1, v1, v3
.LBB864_374:
	s_or_b32 exec_lo, exec_lo, s3
	s_mov_b32 s3, 0
	s_branch .LBB864_534
.LBB864_375:
                                        ; implicit-def: $vgpr1
	s_branch .LBB864_623
.LBB864_376:
	s_mov_b32 s5, -1
                                        ; implicit-def: $vgpr1
.LBB864_377:
	s_delay_alu instid0(SALU_CYCLE_1)
	s_and_b32 vcc_lo, exec_lo, s5
	s_cbranch_vccz .LBB864_511
; %bb.378:
	s_sub_i32 s4, s20, s4
	s_mov_b32 s5, exec_lo
                                        ; implicit-def: $vgpr1
	v_cmpx_gt_u32_e64 s4, v0
	s_cbranch_execz .LBB864_380
; %bb.379:
	v_lshlrev_b32_e32 v1, 1, v0
	global_load_u16 v1, v1, s[2:3]
	s_waitcnt vmcnt(0)
	v_and_b32_e32 v1, 0x7fff, v1
	s_delay_alu instid0(VALU_DEP_1)
	v_cmp_ne_u16_e32 vcc_lo, 0, v1
	v_cndmask_b32_e64 v1, 0, 1, vcc_lo
.LBB864_380:
	s_or_b32 exec_lo, exec_lo, s5
	v_or_b32_e32 v3, 0x80, v0
	v_mov_b32_e32 v2, 0
	s_delay_alu instid0(VALU_DEP_2)
	v_cmp_gt_u32_e32 vcc_lo, s4, v3
	v_mov_b32_e32 v3, 0
	s_and_saveexec_b32 s5, vcc_lo
	s_cbranch_execz .LBB864_382
; %bb.381:
	v_lshlrev_b32_e32 v3, 1, v0
	global_load_u16 v3, v3, s[2:3] offset:256
	s_waitcnt vmcnt(0)
	v_and_b32_e32 v3, 0x7fff, v3
	s_delay_alu instid0(VALU_DEP_1)
	v_cmp_ne_u16_e32 vcc_lo, 0, v3
	v_cndmask_b32_e64 v3, 0, 1, vcc_lo
.LBB864_382:
	s_or_b32 exec_lo, exec_lo, s5
	v_or_b32_e32 v4, 0x100, v0
	s_mov_b32 s5, exec_lo
	s_delay_alu instid0(VALU_DEP_1)
	v_cmpx_gt_u32_e64 s4, v4
	s_cbranch_execz .LBB864_384
; %bb.383:
	v_lshlrev_b32_e32 v2, 1, v0
	global_load_u16 v2, v2, s[2:3] offset:512
	s_waitcnt vmcnt(0)
	v_and_b32_e32 v2, 0x7fff, v2
	s_delay_alu instid0(VALU_DEP_1)
	v_cmp_ne_u16_e32 vcc_lo, 0, v2
	v_cndmask_b32_e64 v2, 0, 1, vcc_lo
.LBB864_384:
	s_or_b32 exec_lo, exec_lo, s5
	v_or_b32_e32 v5, 0x180, v0
	v_mov_b32_e32 v4, 0
	s_delay_alu instid0(VALU_DEP_2)
	v_cmp_gt_u32_e32 vcc_lo, s4, v5
	v_mov_b32_e32 v5, 0
	s_and_saveexec_b32 s5, vcc_lo
	s_cbranch_execz .LBB864_386
; %bb.385:
	v_lshlrev_b32_e32 v5, 1, v0
	global_load_u16 v5, v5, s[2:3] offset:768
	s_waitcnt vmcnt(0)
	v_and_b32_e32 v5, 0x7fff, v5
	s_delay_alu instid0(VALU_DEP_1)
	v_cmp_ne_u16_e32 vcc_lo, 0, v5
	v_cndmask_b32_e64 v5, 0, 1, vcc_lo
.LBB864_386:
	s_or_b32 exec_lo, exec_lo, s5
	v_or_b32_e32 v6, 0x200, v0
	s_mov_b32 s5, exec_lo
	s_delay_alu instid0(VALU_DEP_1)
	v_cmpx_gt_u32_e64 s4, v6
	s_cbranch_execz .LBB864_388
; %bb.387:
	v_lshlrev_b32_e32 v4, 1, v0
	global_load_u16 v4, v4, s[2:3] offset:1024
	s_waitcnt vmcnt(0)
	v_and_b32_e32 v4, 0x7fff, v4
	s_delay_alu instid0(VALU_DEP_1)
	v_cmp_ne_u16_e32 vcc_lo, 0, v4
	v_cndmask_b32_e64 v4, 0, 1, vcc_lo
.LBB864_388:
	;; [unrolled: 32-line block ×7, first 2 shown]
	s_or_b32 exec_lo, exec_lo, s5
	v_or_b32_e32 v17, 0x780, v0
	v_mov_b32_e32 v16, 0
	s_delay_alu instid0(VALU_DEP_2)
	v_cmp_gt_u32_e32 vcc_lo, s4, v17
	v_mov_b32_e32 v17, 0
	s_and_saveexec_b32 s5, vcc_lo
	s_cbranch_execz .LBB864_410
; %bb.409:
	v_lshlrev_b32_e32 v17, 1, v0
	global_load_u16 v17, v17, s[2:3] offset:3840
	s_waitcnt vmcnt(0)
	v_and_b32_e32 v17, 0x7fff, v17
	s_delay_alu instid0(VALU_DEP_1)
	v_cmp_ne_u16_e32 vcc_lo, 0, v17
	v_cndmask_b32_e64 v17, 0, 1, vcc_lo
.LBB864_410:
	s_or_b32 exec_lo, exec_lo, s5
	v_or_b32_e32 v18, 0x800, v0
	s_mov_b32 s5, exec_lo
	s_delay_alu instid0(VALU_DEP_1)
	v_cmpx_gt_u32_e64 s4, v18
	s_cbranch_execz .LBB864_412
; %bb.411:
	v_lshlrev_b32_e32 v16, 1, v18
	global_load_u16 v16, v16, s[2:3]
	s_waitcnt vmcnt(0)
	v_and_b32_e32 v16, 0x7fff, v16
	s_delay_alu instid0(VALU_DEP_1)
	v_cmp_ne_u16_e32 vcc_lo, 0, v16
	v_cndmask_b32_e64 v16, 0, 1, vcc_lo
.LBB864_412:
	s_or_b32 exec_lo, exec_lo, s5
	v_or_b32_e32 v20, 0x880, v0
	v_dual_mov_b32 v18, 0 :: v_dual_mov_b32 v19, 0
	s_mov_b32 s5, exec_lo
	s_delay_alu instid0(VALU_DEP_2)
	v_cmpx_gt_u32_e64 s4, v20
	s_cbranch_execz .LBB864_414
; %bb.413:
	v_lshlrev_b32_e32 v19, 1, v20
	global_load_u16 v19, v19, s[2:3]
	s_waitcnt vmcnt(0)
	v_and_b32_e32 v19, 0x7fff, v19
	s_delay_alu instid0(VALU_DEP_1)
	v_cmp_ne_u16_e32 vcc_lo, 0, v19
	v_cndmask_b32_e64 v19, 0, 1, vcc_lo
.LBB864_414:
	s_or_b32 exec_lo, exec_lo, s5
	v_or_b32_e32 v20, 0x900, v0
	s_mov_b32 s5, exec_lo
	s_delay_alu instid0(VALU_DEP_1)
	v_cmpx_gt_u32_e64 s4, v20
	s_cbranch_execz .LBB864_416
; %bb.415:
	v_lshlrev_b32_e32 v18, 1, v20
	global_load_u16 v18, v18, s[2:3]
	s_waitcnt vmcnt(0)
	v_and_b32_e32 v18, 0x7fff, v18
	s_delay_alu instid0(VALU_DEP_1)
	v_cmp_ne_u16_e32 vcc_lo, 0, v18
	v_cndmask_b32_e64 v18, 0, 1, vcc_lo
.LBB864_416:
	s_or_b32 exec_lo, exec_lo, s5
	v_or_b32_e32 v22, 0x980, v0
	v_dual_mov_b32 v20, 0 :: v_dual_mov_b32 v21, 0
	s_mov_b32 s5, exec_lo
	s_delay_alu instid0(VALU_DEP_2)
	v_cmpx_gt_u32_e64 s4, v22
	s_cbranch_execz .LBB864_418
; %bb.417:
	v_lshlrev_b32_e32 v21, 1, v22
	global_load_u16 v21, v21, s[2:3]
	s_waitcnt vmcnt(0)
	v_and_b32_e32 v21, 0x7fff, v21
	s_delay_alu instid0(VALU_DEP_1)
	v_cmp_ne_u16_e32 vcc_lo, 0, v21
	v_cndmask_b32_e64 v21, 0, 1, vcc_lo
.LBB864_418:
	;; [unrolled: 31-line block ×23, first 2 shown]
	s_or_b32 exec_lo, exec_lo, s5
	v_or_b32_e32 v64, 0x1f00, v0
	s_mov_b32 s5, exec_lo
	s_delay_alu instid0(VALU_DEP_1)
	v_cmpx_gt_u32_e64 s4, v64
	s_cbranch_execz .LBB864_504
; %bb.503:
	v_lshlrev_b32_e32 v62, 1, v64
	global_load_u16 v62, v62, s[2:3]
	s_waitcnt vmcnt(0)
	v_and_b32_e32 v62, 0x7fff, v62
	s_delay_alu instid0(VALU_DEP_1)
	v_cmp_ne_u16_e32 vcc_lo, 0, v62
	v_cndmask_b32_e64 v62, 0, 1, vcc_lo
.LBB864_504:
	s_or_b32 exec_lo, exec_lo, s5
	v_or_b32_e32 v65, 0x1f80, v0
	v_mov_b32_e32 v64, 0
	s_mov_b32 s5, exec_lo
	s_delay_alu instid0(VALU_DEP_2)
	v_cmpx_gt_u32_e64 s4, v65
	s_cbranch_execz .LBB864_506
; %bb.505:
	v_lshlrev_b32_e32 v64, 1, v65
	global_load_u16 v64, v64, s[2:3]
	s_waitcnt vmcnt(0)
	v_and_b32_e32 v64, 0x7fff, v64
	s_delay_alu instid0(VALU_DEP_1)
	v_cmp_ne_u16_e32 vcc_lo, 0, v64
	v_cndmask_b32_e64 v64, 0, 1, vcc_lo
.LBB864_506:
	s_or_b32 exec_lo, exec_lo, s5
	v_add_nc_u32_e32 v1, v3, v1
	s_min_u32 s2, s4, 0x80
	s_mov_b32 s3, exec_lo
	s_delay_alu instid0(VALU_DEP_1) | instskip(SKIP_1) | instid1(VALU_DEP_2)
	v_add3_u32 v1, v1, v2, v5
	v_mbcnt_lo_u32_b32 v2, -1, 0
	v_add3_u32 v1, v1, v4, v7
	s_delay_alu instid0(VALU_DEP_2) | instskip(NEXT) | instid1(VALU_DEP_2)
	v_cmp_ne_u32_e32 vcc_lo, 31, v2
	v_add3_u32 v1, v1, v6, v9
	v_add_co_ci_u32_e32 v3, vcc_lo, 0, v2, vcc_lo
	v_cmp_gt_u32_e32 vcc_lo, 30, v2
	v_add_nc_u32_e32 v6, 1, v2
	s_delay_alu instid0(VALU_DEP_4) | instskip(NEXT) | instid1(VALU_DEP_4)
	v_add3_u32 v1, v1, v8, v11
	v_lshlrev_b32_e32 v3, 2, v3
	v_cndmask_b32_e64 v5, 0, 1, vcc_lo
	s_delay_alu instid0(VALU_DEP_3) | instskip(NEXT) | instid1(VALU_DEP_2)
	v_add3_u32 v1, v1, v10, v13
	v_lshlrev_b32_e32 v5, 1, v5
	s_delay_alu instid0(VALU_DEP_2) | instskip(NEXT) | instid1(VALU_DEP_2)
	v_add3_u32 v1, v1, v12, v15
	v_add_lshl_u32 v5, v5, v2, 2
	s_delay_alu instid0(VALU_DEP_2) | instskip(NEXT) | instid1(VALU_DEP_1)
	v_add3_u32 v1, v1, v14, v17
	v_add3_u32 v1, v1, v16, v19
	s_delay_alu instid0(VALU_DEP_1) | instskip(NEXT) | instid1(VALU_DEP_1)
	v_add3_u32 v1, v1, v18, v21
	v_add3_u32 v1, v1, v20, v23
	s_delay_alu instid0(VALU_DEP_1) | instskip(NEXT) | instid1(VALU_DEP_1)
	;; [unrolled: 3-line block ×11, first 2 shown]
	v_add3_u32 v1, v1, v58, v61
	v_add3_u32 v1, v1, v60, v63
	s_delay_alu instid0(VALU_DEP_1) | instskip(SKIP_2) | instid1(VALU_DEP_1)
	v_add3_u32 v1, v1, v62, v64
	ds_bpermute_b32 v3, v3, v1
	v_and_b32_e32 v4, 0x60, v0
	v_sub_nc_u32_e64 v4, s2, v4 clamp
	s_delay_alu instid0(VALU_DEP_1) | instskip(SKIP_3) | instid1(VALU_DEP_2)
	v_cmp_lt_u32_e32 vcc_lo, v6, v4
	s_waitcnt lgkmcnt(0)
	v_dual_cndmask_b32 v3, 0, v3 :: v_dual_add_nc_u32 v6, 2, v2
	v_cmp_gt_u32_e32 vcc_lo, 28, v2
	v_add_nc_u32_e32 v1, v3, v1
	ds_bpermute_b32 v3, v5, v1
	v_cndmask_b32_e64 v5, 0, 1, vcc_lo
	v_cmp_lt_u32_e32 vcc_lo, v6, v4
	v_add_nc_u32_e32 v6, 4, v2
	s_delay_alu instid0(VALU_DEP_3) | instskip(NEXT) | instid1(VALU_DEP_1)
	v_lshlrev_b32_e32 v5, 2, v5
	v_add_lshl_u32 v5, v5, v2, 2
	s_waitcnt lgkmcnt(0)
	v_cndmask_b32_e32 v3, 0, v3, vcc_lo
	v_cmp_gt_u32_e32 vcc_lo, 24, v2
	s_delay_alu instid0(VALU_DEP_2) | instskip(SKIP_4) | instid1(VALU_DEP_3)
	v_add_nc_u32_e32 v1, v1, v3
	ds_bpermute_b32 v3, v5, v1
	v_cndmask_b32_e64 v5, 0, 1, vcc_lo
	v_cmp_lt_u32_e32 vcc_lo, v6, v4
	v_add_nc_u32_e32 v6, 8, v2
	v_lshlrev_b32_e32 v5, 3, v5
	s_delay_alu instid0(VALU_DEP_1) | instskip(SKIP_3) | instid1(VALU_DEP_2)
	v_add_lshl_u32 v5, v5, v2, 2
	s_waitcnt lgkmcnt(0)
	v_cndmask_b32_e32 v3, 0, v3, vcc_lo
	v_cmp_gt_u32_e32 vcc_lo, 16, v2
	v_add_nc_u32_e32 v1, v1, v3
	ds_bpermute_b32 v3, v5, v1
	v_cndmask_b32_e64 v5, 0, 1, vcc_lo
	v_cmp_lt_u32_e32 vcc_lo, v6, v4
	s_delay_alu instid0(VALU_DEP_2) | instskip(NEXT) | instid1(VALU_DEP_1)
	v_lshlrev_b32_e32 v5, 4, v5
	v_add_lshl_u32 v5, v5, v2, 2
	s_waitcnt lgkmcnt(0)
	v_cndmask_b32_e32 v3, 0, v3, vcc_lo
	s_delay_alu instid0(VALU_DEP_1) | instskip(SKIP_2) | instid1(VALU_DEP_1)
	v_add_nc_u32_e32 v1, v1, v3
	ds_bpermute_b32 v3, v5, v1
	v_add_nc_u32_e32 v5, 16, v2
	v_cmp_lt_u32_e32 vcc_lo, v5, v4
	s_waitcnt lgkmcnt(0)
	v_cndmask_b32_e32 v3, 0, v3, vcc_lo
	s_delay_alu instid0(VALU_DEP_1)
	v_add_nc_u32_e32 v1, v1, v3
	v_cmpx_eq_u32_e32 0, v2
	s_cbranch_execz .LBB864_508
; %bb.507:
	v_lshrrev_b32_e32 v3, 3, v0
	s_delay_alu instid0(VALU_DEP_1)
	v_and_b32_e32 v3, 12, v3
	ds_store_b32 v3, v1 offset:128
.LBB864_508:
	s_or_b32 exec_lo, exec_lo, s3
	s_delay_alu instid0(SALU_CYCLE_1)
	s_mov_b32 s3, exec_lo
	s_waitcnt lgkmcnt(0)
	s_barrier
	buffer_gl0_inv
	v_cmpx_gt_u32_e32 4, v0
	s_cbranch_execz .LBB864_510
; %bb.509:
	v_and_b32_e32 v3, 3, v2
	s_add_i32 s2, s2, 31
	s_delay_alu instid0(SALU_CYCLE_1) | instskip(NEXT) | instid1(VALU_DEP_1)
	s_lshr_b32 s2, s2, 5
	v_cmp_ne_u32_e32 vcc_lo, 3, v3
	v_add_nc_u32_e32 v5, 1, v3
	v_add_co_ci_u32_e32 v4, vcc_lo, 0, v2, vcc_lo
	v_cmp_gt_u32_e32 vcc_lo, 2, v3
	v_add_nc_u32_e32 v3, 2, v3
	s_delay_alu instid0(VALU_DEP_3) | instskip(SKIP_3) | instid1(VALU_DEP_3)
	v_lshlrev_b32_e32 v4, 2, v4
	v_cndmask_b32_e64 v6, 0, 1, vcc_lo
	v_cmp_gt_u32_e32 vcc_lo, s2, v5
	v_lshlrev_b32_e32 v1, 2, v2
	v_lshlrev_b32_e32 v5, 1, v6
	ds_load_b32 v1, v1 offset:128
	v_add_lshl_u32 v2, v5, v2, 2
	s_waitcnt lgkmcnt(0)
	ds_bpermute_b32 v4, v4, v1
	s_waitcnt lgkmcnt(0)
	v_cndmask_b32_e32 v4, 0, v4, vcc_lo
	v_cmp_gt_u32_e32 vcc_lo, s2, v3
	s_delay_alu instid0(VALU_DEP_2) | instskip(SKIP_3) | instid1(VALU_DEP_1)
	v_add_nc_u32_e32 v1, v4, v1
	ds_bpermute_b32 v2, v2, v1
	s_waitcnt lgkmcnt(0)
	v_cndmask_b32_e32 v2, 0, v2, vcc_lo
	v_add_nc_u32_e32 v1, v1, v2
.LBB864_510:
	s_or_b32 exec_lo, exec_lo, s3
.LBB864_511:
	v_cmp_eq_u32_e64 s2, 0, v0
.LBB864_512:
	s_branch .LBB864_623
.LBB864_513:
	s_cmp_gt_i32 s26, 3
	s_cbranch_scc0 .LBB864_522
; %bb.514:
	s_cmp_gt_i32 s26, 7
	s_cbranch_scc0 .LBB864_523
; %bb.515:
	s_cmp_eq_u32 s26, 8
	s_cbranch_scc0 .LBB864_531
; %bb.516:
	s_mov_b32 s19, 0
	s_lshl_b32 s2, s18, 10
	s_mov_b32 s3, s19
	s_lshr_b64 s[6:7], s[20:21], 10
	s_lshl_b64 s[4:5], s[2:3], 1
	s_delay_alu instid0(SALU_CYCLE_1)
	s_add_u32 s8, s24, s4
	s_addc_u32 s9, s25, s5
	s_cmp_lg_u64 s[6:7], s[18:19]
	s_cbranch_scc0 .LBB864_573
; %bb.517:
	v_lshlrev_b32_e32 v1, 1, v0
	s_mov_b32 s3, exec_lo
	s_clause 0x7
	global_load_u16 v2, v1, s[8:9]
	global_load_u16 v3, v1, s[8:9] offset:256
	global_load_u16 v4, v1, s[8:9] offset:512
	;; [unrolled: 1-line block ×7, first 2 shown]
	s_waitcnt vmcnt(7)
	v_and_b32_e32 v2, 0x7fff, v2
	s_waitcnt vmcnt(6)
	v_and_b32_e32 v3, 0x7fff, v3
	;; [unrolled: 2-line block ×5, first 2 shown]
	v_cmp_ne_u16_e32 vcc_lo, 0, v2
	s_waitcnt vmcnt(1)
	v_and_b32_e32 v8, 0x7fff, v8
	v_and_b32_e32 v7, 0x7fff, v7
	s_waitcnt vmcnt(0)
	v_and_b32_e32 v1, 0x7fff, v1
	v_cndmask_b32_e64 v2, 0, 1, vcc_lo
	v_cmp_ne_u16_e32 vcc_lo, 0, v4
	v_cndmask_b32_e64 v4, 0, 1, vcc_lo
	v_cmp_ne_u16_e32 vcc_lo, 0, v3
	s_delay_alu instid0(VALU_DEP_4) | instskip(SKIP_3) | instid1(VALU_DEP_4)
	v_add_co_ci_u32_e32 v2, vcc_lo, 0, v2, vcc_lo
	v_cmp_ne_u16_e32 vcc_lo, 0, v6
	v_cndmask_b32_e64 v3, 0, 1, vcc_lo
	v_cmp_ne_u16_e32 vcc_lo, 0, v5
	v_add_co_ci_u32_e32 v2, vcc_lo, v2, v4, vcc_lo
	v_cmp_ne_u16_e32 vcc_lo, 0, v8
	v_cndmask_b32_e64 v4, 0, 1, vcc_lo
	v_cmp_ne_u16_e32 vcc_lo, 0, v7
	s_delay_alu instid0(VALU_DEP_4) | instskip(SKIP_1) | instid1(VALU_DEP_2)
	v_add_co_ci_u32_e32 v2, vcc_lo, v2, v3, vcc_lo
	v_cmp_ne_u16_e32 vcc_lo, 0, v1
	v_add_co_ci_u32_e32 v1, vcc_lo, v2, v4, vcc_lo
	s_delay_alu instid0(VALU_DEP_1) | instskip(NEXT) | instid1(VALU_DEP_1)
	v_mov_b32_dpp v2, v1 quad_perm:[1,0,3,2] row_mask:0xf bank_mask:0xf
	v_add_nc_u32_e32 v1, v1, v2
	s_delay_alu instid0(VALU_DEP_1) | instskip(NEXT) | instid1(VALU_DEP_1)
	v_mov_b32_dpp v2, v1 quad_perm:[2,3,0,1] row_mask:0xf bank_mask:0xf
	v_add_nc_u32_e32 v1, v1, v2
	s_delay_alu instid0(VALU_DEP_1) | instskip(NEXT) | instid1(VALU_DEP_1)
	v_mov_b32_dpp v2, v1 row_ror:4 row_mask:0xf bank_mask:0xf
	v_add_nc_u32_e32 v1, v1, v2
	s_delay_alu instid0(VALU_DEP_1) | instskip(NEXT) | instid1(VALU_DEP_1)
	v_mov_b32_dpp v2, v1 row_ror:8 row_mask:0xf bank_mask:0xf
	v_add_nc_u32_e32 v1, v1, v2
	ds_swizzle_b32 v2, v1 offset:swizzle(BROADCAST,32,15)
	s_waitcnt lgkmcnt(0)
	v_dual_mov_b32 v2, 0 :: v_dual_add_nc_u32 v1, v1, v2
	ds_bpermute_b32 v1, v2, v1 offset:124
	v_mbcnt_lo_u32_b32 v2, -1, 0
	s_delay_alu instid0(VALU_DEP_1)
	v_cmpx_eq_u32_e32 0, v2
	s_cbranch_execz .LBB864_519
; %bb.518:
	v_lshrrev_b32_e32 v3, 3, v0
	s_delay_alu instid0(VALU_DEP_1)
	v_and_b32_e32 v3, 12, v3
	s_waitcnt lgkmcnt(0)
	ds_store_b32 v3, v1 offset:112
.LBB864_519:
	s_or_b32 exec_lo, exec_lo, s3
	s_delay_alu instid0(SALU_CYCLE_1)
	s_mov_b32 s3, exec_lo
	s_waitcnt lgkmcnt(0)
	s_barrier
	buffer_gl0_inv
	v_cmpx_gt_u32_e32 32, v0
	s_cbranch_execz .LBB864_521
; %bb.520:
	v_lshl_or_b32 v1, v2, 2, 0x70
	v_and_b32_e32 v3, 3, v2
	ds_load_b32 v1, v1
	v_cmp_ne_u32_e32 vcc_lo, 3, v3
	v_add_co_ci_u32_e32 v4, vcc_lo, 0, v2, vcc_lo
	v_cmp_gt_u32_e32 vcc_lo, 2, v3
	s_delay_alu instid0(VALU_DEP_2) | instskip(SKIP_1) | instid1(VALU_DEP_1)
	v_lshlrev_b32_e32 v4, 2, v4
	v_cndmask_b32_e64 v3, 0, 1, vcc_lo
	v_lshlrev_b32_e32 v3, 1, v3
	s_waitcnt lgkmcnt(0)
	ds_bpermute_b32 v4, v4, v1
	v_add_lshl_u32 v2, v3, v2, 2
	s_waitcnt lgkmcnt(0)
	v_add_nc_u32_e32 v1, v4, v1
	ds_bpermute_b32 v2, v2, v1
	s_waitcnt lgkmcnt(0)
	v_add_nc_u32_e32 v1, v2, v1
.LBB864_521:
	s_or_b32 exec_lo, exec_lo, s3
	s_mov_b32 s3, 0
	s_branch .LBB864_574
.LBB864_522:
                                        ; implicit-def: $vgpr1
	s_cbranch_execnz .LBB864_614
	s_branch .LBB864_623
.LBB864_523:
                                        ; implicit-def: $vgpr1
	s_cbranch_execz .LBB864_597
; %bb.524:
	s_cmp_eq_u32 s26, 4
	s_cbranch_scc0 .LBB864_532
; %bb.525:
	s_mov_b32 s19, 0
	s_lshl_b32 s2, s18, 9
	s_mov_b32 s3, s19
	s_lshr_b64 s[6:7], s[20:21], 9
	s_lshl_b64 s[4:5], s[2:3], 1
	s_delay_alu instid0(SALU_CYCLE_1)
	s_add_u32 s4, s24, s4
	s_addc_u32 s5, s25, s5
	s_cmp_lg_u64 s[6:7], s[18:19]
	s_cbranch_scc0 .LBB864_598
; %bb.526:
	v_lshlrev_b32_e32 v1, 1, v0
	s_mov_b32 s3, exec_lo
	s_clause 0x3
	global_load_u16 v2, v1, s[4:5]
	global_load_u16 v3, v1, s[4:5] offset:512
	global_load_u16 v4, v1, s[4:5] offset:256
	;; [unrolled: 1-line block ×3, first 2 shown]
	s_waitcnt vmcnt(3)
	v_and_b32_e32 v2, 0x7fff, v2
	s_waitcnt vmcnt(2)
	v_and_b32_e32 v3, 0x7fff, v3
	;; [unrolled: 2-line block ×4, first 2 shown]
	v_cmp_ne_u16_e32 vcc_lo, 0, v2
	v_cndmask_b32_e64 v2, 0, 1, vcc_lo
	v_cmp_ne_u16_e32 vcc_lo, 0, v3
	v_cndmask_b32_e64 v3, 0, 1, vcc_lo
	v_cmp_ne_u16_e32 vcc_lo, 0, v4
	s_delay_alu instid0(VALU_DEP_4) | instskip(SKIP_1) | instid1(VALU_DEP_2)
	v_add_co_ci_u32_e32 v2, vcc_lo, 0, v2, vcc_lo
	v_cmp_ne_u16_e32 vcc_lo, 0, v1
	v_add_co_ci_u32_e32 v1, vcc_lo, v2, v3, vcc_lo
	s_delay_alu instid0(VALU_DEP_1) | instskip(NEXT) | instid1(VALU_DEP_1)
	v_mov_b32_dpp v2, v1 quad_perm:[1,0,3,2] row_mask:0xf bank_mask:0xf
	v_add_nc_u32_e32 v1, v1, v2
	s_delay_alu instid0(VALU_DEP_1) | instskip(NEXT) | instid1(VALU_DEP_1)
	v_mov_b32_dpp v2, v1 quad_perm:[2,3,0,1] row_mask:0xf bank_mask:0xf
	v_add_nc_u32_e32 v1, v1, v2
	s_delay_alu instid0(VALU_DEP_1) | instskip(NEXT) | instid1(VALU_DEP_1)
	v_mov_b32_dpp v2, v1 row_ror:4 row_mask:0xf bank_mask:0xf
	v_add_nc_u32_e32 v1, v1, v2
	s_delay_alu instid0(VALU_DEP_1) | instskip(NEXT) | instid1(VALU_DEP_1)
	v_mov_b32_dpp v2, v1 row_ror:8 row_mask:0xf bank_mask:0xf
	v_add_nc_u32_e32 v1, v1, v2
	ds_swizzle_b32 v2, v1 offset:swizzle(BROADCAST,32,15)
	s_waitcnt lgkmcnt(0)
	v_dual_mov_b32 v2, 0 :: v_dual_add_nc_u32 v1, v1, v2
	ds_bpermute_b32 v1, v2, v1 offset:124
	v_mbcnt_lo_u32_b32 v2, -1, 0
	s_delay_alu instid0(VALU_DEP_1)
	v_cmpx_eq_u32_e32 0, v2
	s_cbranch_execz .LBB864_528
; %bb.527:
	v_lshrrev_b32_e32 v3, 3, v0
	s_delay_alu instid0(VALU_DEP_1)
	v_and_b32_e32 v3, 12, v3
	s_waitcnt lgkmcnt(0)
	ds_store_b32 v3, v1 offset:80
.LBB864_528:
	s_or_b32 exec_lo, exec_lo, s3
	s_delay_alu instid0(SALU_CYCLE_1)
	s_mov_b32 s3, exec_lo
	s_waitcnt lgkmcnt(0)
	s_barrier
	buffer_gl0_inv
	v_cmpx_gt_u32_e32 32, v0
	s_cbranch_execz .LBB864_530
; %bb.529:
	v_and_b32_e32 v1, 3, v2
	s_delay_alu instid0(VALU_DEP_1) | instskip(SKIP_4) | instid1(VALU_DEP_2)
	v_lshlrev_b32_e32 v3, 2, v1
	v_cmp_ne_u32_e32 vcc_lo, 3, v1
	ds_load_b32 v3, v3 offset:80
	v_add_co_ci_u32_e32 v4, vcc_lo, 0, v2, vcc_lo
	v_cmp_gt_u32_e32 vcc_lo, 2, v1
	v_lshlrev_b32_e32 v4, 2, v4
	v_cndmask_b32_e64 v1, 0, 1, vcc_lo
	s_delay_alu instid0(VALU_DEP_1) | instskip(NEXT) | instid1(VALU_DEP_1)
	v_lshlrev_b32_e32 v1, 1, v1
	v_add_lshl_u32 v1, v1, v2, 2
	s_waitcnt lgkmcnt(0)
	ds_bpermute_b32 v4, v4, v3
	s_waitcnt lgkmcnt(0)
	v_add_nc_u32_e32 v3, v4, v3
	ds_bpermute_b32 v1, v1, v3
	s_waitcnt lgkmcnt(0)
	v_add_nc_u32_e32 v1, v1, v3
.LBB864_530:
	s_or_b32 exec_lo, exec_lo, s3
	s_mov_b32 s3, 0
	s_branch .LBB864_599
.LBB864_531:
                                        ; implicit-def: $vgpr1
	s_branch .LBB864_597
.LBB864_532:
                                        ; implicit-def: $vgpr1
	s_branch .LBB864_623
.LBB864_533:
	s_mov_b32 s3, -1
                                        ; implicit-def: $vgpr1
.LBB864_534:
	s_delay_alu instid0(SALU_CYCLE_1)
	s_and_b32 vcc_lo, exec_lo, s3
	s_cbranch_vccz .LBB864_572
; %bb.535:
	s_sub_i32 s27, s20, s2
	s_mov_b32 s2, exec_lo
                                        ; implicit-def: $vgpr1_vgpr2_vgpr3_vgpr4_vgpr5_vgpr6_vgpr7_vgpr8_vgpr9_vgpr10_vgpr11_vgpr12_vgpr13_vgpr14_vgpr15_vgpr16
	v_cmpx_gt_u32_e64 s27, v0
	s_cbranch_execz .LBB864_537
; %bb.536:
	v_lshlrev_b32_e32 v1, 1, v0
	global_load_u16 v1, v1, s[16:17]
	s_waitcnt vmcnt(0)
	v_and_b32_e32 v1, 0x7fff, v1
	s_delay_alu instid0(VALU_DEP_1)
	v_cmp_ne_u16_e32 vcc_lo, 0, v1
	v_cndmask_b32_e64 v1, 0, 1, vcc_lo
.LBB864_537:
	s_or_b32 exec_lo, exec_lo, s2
	v_or_b32_e32 v17, 0x80, v0
	s_delay_alu instid0(VALU_DEP_1)
	v_cmp_gt_u32_e32 vcc_lo, s27, v17
	s_and_saveexec_b32 s3, vcc_lo
	s_cbranch_execz .LBB864_539
; %bb.538:
	v_lshlrev_b32_e32 v2, 1, v0
	global_load_u16 v2, v2, s[16:17] offset:256
	s_waitcnt vmcnt(0)
	v_and_b32_e32 v2, 0x7fff, v2
	s_delay_alu instid0(VALU_DEP_1) | instskip(NEXT) | instid1(VALU_DEP_1)
	v_cmp_ne_u16_e64 s2, 0, v2
	v_cndmask_b32_e64 v2, 0, 1, s2
.LBB864_539:
	s_or_b32 exec_lo, exec_lo, s3
	v_or_b32_e32 v17, 0x100, v0
	s_delay_alu instid0(VALU_DEP_1) | instskip(NEXT) | instid1(VALU_DEP_1)
	v_cmp_gt_u32_e64 s2, s27, v17
	s_and_saveexec_b32 s4, s2
	s_cbranch_execz .LBB864_541
; %bb.540:
	v_lshlrev_b32_e32 v3, 1, v0
	global_load_u16 v3, v3, s[16:17] offset:512
	s_waitcnt vmcnt(0)
	v_and_b32_e32 v3, 0x7fff, v3
	s_delay_alu instid0(VALU_DEP_1) | instskip(NEXT) | instid1(VALU_DEP_1)
	v_cmp_ne_u16_e64 s3, 0, v3
	v_cndmask_b32_e64 v3, 0, 1, s3
.LBB864_541:
	s_or_b32 exec_lo, exec_lo, s4
	v_or_b32_e32 v17, 0x180, v0
	s_delay_alu instid0(VALU_DEP_1) | instskip(NEXT) | instid1(VALU_DEP_1)
	v_cmp_gt_u32_e64 s3, s27, v17
	s_and_saveexec_b32 s5, s3
	;; [unrolled: 15-line block ×14, first 2 shown]
	s_cbranch_execz .LBB864_567
; %bb.566:
	v_lshlrev_b32_e32 v16, 1, v0
	global_load_u16 v16, v16, s[16:17] offset:3840
	s_waitcnt vmcnt(0)
	v_and_b32_e32 v16, 0x7fff, v16
	s_delay_alu instid0(VALU_DEP_1) | instskip(NEXT) | instid1(VALU_DEP_1)
	v_cmp_ne_u16_e64 s16, 0, v16
	v_cndmask_b32_e64 v16, 0, 1, s16
.LBB864_567:
	s_or_b32 exec_lo, exec_lo, s28
	v_cndmask_b32_e32 v2, 0, v2, vcc_lo
	v_cndmask_b32_e64 v3, 0, v3, s2
	v_cndmask_b32_e64 v4, 0, v4, s3
	s_min_u32 s2, s27, 0x80
	s_mov_b32 s3, exec_lo
	v_add_nc_u32_e32 v1, v2, v1
	v_cndmask_b32_e64 v2, 0, v5, s4
	v_cndmask_b32_e64 v5, 0, v6, s5
	;; [unrolled: 1-line block ×3, first 2 shown]
	s_delay_alu instid0(VALU_DEP_4) | instskip(SKIP_3) | instid1(VALU_DEP_4)
	v_add3_u32 v1, v1, v3, v4
	v_cndmask_b32_e64 v3, 0, v7, s6
	v_cndmask_b32_e64 v4, 0, v8, s7
	;; [unrolled: 1-line block ×3, first 2 shown]
	v_add3_u32 v1, v1, v2, v5
	v_cndmask_b32_e64 v2, 0, v9, s8
	v_cndmask_b32_e64 v5, 0, v10, s9
	s_delay_alu instid0(VALU_DEP_3) | instskip(SKIP_2) | instid1(VALU_DEP_3)
	v_add3_u32 v1, v1, v3, v4
	v_cndmask_b32_e64 v3, 0, v11, s10
	v_cndmask_b32_e64 v4, 0, v12, s11
	v_add3_u32 v1, v1, v2, v5
	v_mbcnt_lo_u32_b32 v2, -1, 0
	v_cndmask_b32_e64 v5, 0, v13, s12
	s_delay_alu instid0(VALU_DEP_3) | instskip(NEXT) | instid1(VALU_DEP_3)
	v_add3_u32 v1, v1, v3, v4
	v_cmp_ne_u32_e32 vcc_lo, 31, v2
	v_cndmask_b32_e64 v3, 0, v16, s15
	s_delay_alu instid0(VALU_DEP_3) | instskip(SKIP_3) | instid1(VALU_DEP_4)
	v_add3_u32 v1, v1, v5, v6
	v_add_co_ci_u32_e32 v4, vcc_lo, 0, v2, vcc_lo
	v_cmp_gt_u32_e32 vcc_lo, 30, v2
	v_add_nc_u32_e32 v6, 1, v2
	v_add3_u32 v1, v1, v7, v3
	s_delay_alu instid0(VALU_DEP_4) | instskip(SKIP_4) | instid1(VALU_DEP_2)
	v_lshlrev_b32_e32 v4, 2, v4
	v_cndmask_b32_e64 v5, 0, 1, vcc_lo
	ds_bpermute_b32 v3, v4, v1
	v_and_b32_e32 v4, 0x60, v0
	v_lshlrev_b32_e32 v5, 1, v5
	v_sub_nc_u32_e64 v4, s2, v4 clamp
	s_delay_alu instid0(VALU_DEP_2) | instskip(NEXT) | instid1(VALU_DEP_2)
	v_add_lshl_u32 v5, v5, v2, 2
	v_cmp_lt_u32_e32 vcc_lo, v6, v4
	s_waitcnt lgkmcnt(0)
	v_dual_cndmask_b32 v3, 0, v3 :: v_dual_add_nc_u32 v6, 2, v2
	v_cmp_gt_u32_e32 vcc_lo, 28, v2
	s_delay_alu instid0(VALU_DEP_2) | instskip(SKIP_4) | instid1(VALU_DEP_3)
	v_add_nc_u32_e32 v1, v1, v3
	ds_bpermute_b32 v3, v5, v1
	v_cndmask_b32_e64 v5, 0, 1, vcc_lo
	v_cmp_lt_u32_e32 vcc_lo, v6, v4
	v_add_nc_u32_e32 v6, 4, v2
	v_lshlrev_b32_e32 v5, 2, v5
	s_delay_alu instid0(VALU_DEP_1) | instskip(SKIP_3) | instid1(VALU_DEP_2)
	v_add_lshl_u32 v5, v5, v2, 2
	s_waitcnt lgkmcnt(0)
	v_cndmask_b32_e32 v3, 0, v3, vcc_lo
	v_cmp_gt_u32_e32 vcc_lo, 24, v2
	v_add_nc_u32_e32 v1, v1, v3
	ds_bpermute_b32 v3, v5, v1
	v_cndmask_b32_e64 v5, 0, 1, vcc_lo
	v_cmp_lt_u32_e32 vcc_lo, v6, v4
	v_add_nc_u32_e32 v6, 8, v2
	s_delay_alu instid0(VALU_DEP_3) | instskip(NEXT) | instid1(VALU_DEP_1)
	v_lshlrev_b32_e32 v5, 3, v5
	v_add_lshl_u32 v5, v5, v2, 2
	s_waitcnt lgkmcnt(0)
	v_cndmask_b32_e32 v3, 0, v3, vcc_lo
	v_cmp_gt_u32_e32 vcc_lo, 16, v2
	s_delay_alu instid0(VALU_DEP_2) | instskip(SKIP_3) | instid1(VALU_DEP_2)
	v_add_nc_u32_e32 v1, v1, v3
	ds_bpermute_b32 v3, v5, v1
	v_cndmask_b32_e64 v5, 0, 1, vcc_lo
	v_cmp_lt_u32_e32 vcc_lo, v6, v4
	v_lshlrev_b32_e32 v5, 4, v5
	s_delay_alu instid0(VALU_DEP_1) | instskip(SKIP_2) | instid1(VALU_DEP_1)
	v_add_lshl_u32 v5, v5, v2, 2
	s_waitcnt lgkmcnt(0)
	v_cndmask_b32_e32 v3, 0, v3, vcc_lo
	v_add_nc_u32_e32 v1, v1, v3
	ds_bpermute_b32 v3, v5, v1
	v_add_nc_u32_e32 v5, 16, v2
	s_delay_alu instid0(VALU_DEP_1) | instskip(SKIP_2) | instid1(VALU_DEP_1)
	v_cmp_lt_u32_e32 vcc_lo, v5, v4
	s_waitcnt lgkmcnt(0)
	v_cndmask_b32_e32 v3, 0, v3, vcc_lo
	v_add_nc_u32_e32 v1, v1, v3
	v_cmpx_eq_u32_e32 0, v2
	s_cbranch_execz .LBB864_569
; %bb.568:
	v_lshrrev_b32_e32 v3, 3, v0
	s_delay_alu instid0(VALU_DEP_1)
	v_and_b32_e32 v3, 12, v3
	ds_store_b32 v3, v1 offset:128
.LBB864_569:
	s_or_b32 exec_lo, exec_lo, s3
	s_delay_alu instid0(SALU_CYCLE_1)
	s_mov_b32 s3, exec_lo
	s_waitcnt lgkmcnt(0)
	s_barrier
	buffer_gl0_inv
	v_cmpx_gt_u32_e32 4, v0
	s_cbranch_execz .LBB864_571
; %bb.570:
	v_and_b32_e32 v3, 3, v2
	s_add_i32 s2, s2, 31
	s_delay_alu instid0(SALU_CYCLE_1) | instskip(NEXT) | instid1(VALU_DEP_1)
	s_lshr_b32 s2, s2, 5
	v_cmp_ne_u32_e32 vcc_lo, 3, v3
	v_add_nc_u32_e32 v5, 1, v3
	v_add_co_ci_u32_e32 v4, vcc_lo, 0, v2, vcc_lo
	v_cmp_gt_u32_e32 vcc_lo, 2, v3
	v_add_nc_u32_e32 v3, 2, v3
	s_delay_alu instid0(VALU_DEP_3) | instskip(SKIP_3) | instid1(VALU_DEP_3)
	v_lshlrev_b32_e32 v4, 2, v4
	v_cndmask_b32_e64 v6, 0, 1, vcc_lo
	v_cmp_gt_u32_e32 vcc_lo, s2, v5
	v_lshlrev_b32_e32 v1, 2, v2
	v_lshlrev_b32_e32 v5, 1, v6
	ds_load_b32 v1, v1 offset:128
	v_add_lshl_u32 v2, v5, v2, 2
	s_waitcnt lgkmcnt(0)
	ds_bpermute_b32 v4, v4, v1
	s_waitcnt lgkmcnt(0)
	v_cndmask_b32_e32 v4, 0, v4, vcc_lo
	v_cmp_gt_u32_e32 vcc_lo, s2, v3
	s_delay_alu instid0(VALU_DEP_2) | instskip(SKIP_3) | instid1(VALU_DEP_1)
	v_add_nc_u32_e32 v1, v4, v1
	ds_bpermute_b32 v2, v2, v1
	s_waitcnt lgkmcnt(0)
	v_cndmask_b32_e32 v2, 0, v2, vcc_lo
	v_add_nc_u32_e32 v1, v1, v2
.LBB864_571:
	s_or_b32 exec_lo, exec_lo, s3
.LBB864_572:
	v_cmp_eq_u32_e64 s2, 0, v0
	s_branch .LBB864_623
.LBB864_573:
	s_mov_b32 s3, -1
                                        ; implicit-def: $vgpr1
.LBB864_574:
	s_delay_alu instid0(SALU_CYCLE_1)
	s_and_b32 vcc_lo, exec_lo, s3
	s_cbranch_vccz .LBB864_596
; %bb.575:
	s_sub_i32 s10, s20, s2
	s_mov_b32 s2, exec_lo
                                        ; implicit-def: $vgpr1_vgpr2_vgpr3_vgpr4_vgpr5_vgpr6_vgpr7_vgpr8
	v_cmpx_gt_u32_e64 s10, v0
	s_cbranch_execz .LBB864_577
; %bb.576:
	v_lshlrev_b32_e32 v1, 1, v0
	global_load_u16 v1, v1, s[8:9]
	s_waitcnt vmcnt(0)
	v_and_b32_e32 v1, 0x7fff, v1
	s_delay_alu instid0(VALU_DEP_1)
	v_cmp_ne_u16_e32 vcc_lo, 0, v1
	v_cndmask_b32_e64 v1, 0, 1, vcc_lo
.LBB864_577:
	s_or_b32 exec_lo, exec_lo, s2
	v_or_b32_e32 v9, 0x80, v0
	s_delay_alu instid0(VALU_DEP_1)
	v_cmp_gt_u32_e32 vcc_lo, s10, v9
	s_and_saveexec_b32 s3, vcc_lo
	s_cbranch_execz .LBB864_579
; %bb.578:
	v_lshlrev_b32_e32 v2, 1, v0
	global_load_u16 v2, v2, s[8:9] offset:256
	s_waitcnt vmcnt(0)
	v_and_b32_e32 v2, 0x7fff, v2
	s_delay_alu instid0(VALU_DEP_1) | instskip(NEXT) | instid1(VALU_DEP_1)
	v_cmp_ne_u16_e64 s2, 0, v2
	v_cndmask_b32_e64 v2, 0, 1, s2
.LBB864_579:
	s_or_b32 exec_lo, exec_lo, s3
	v_or_b32_e32 v9, 0x100, v0
	s_delay_alu instid0(VALU_DEP_1) | instskip(NEXT) | instid1(VALU_DEP_1)
	v_cmp_gt_u32_e64 s2, s10, v9
	s_and_saveexec_b32 s4, s2
	s_cbranch_execz .LBB864_581
; %bb.580:
	v_lshlrev_b32_e32 v3, 1, v0
	global_load_u16 v3, v3, s[8:9] offset:512
	s_waitcnt vmcnt(0)
	v_and_b32_e32 v3, 0x7fff, v3
	s_delay_alu instid0(VALU_DEP_1) | instskip(NEXT) | instid1(VALU_DEP_1)
	v_cmp_ne_u16_e64 s3, 0, v3
	v_cndmask_b32_e64 v3, 0, 1, s3
.LBB864_581:
	s_or_b32 exec_lo, exec_lo, s4
	v_or_b32_e32 v9, 0x180, v0
	s_delay_alu instid0(VALU_DEP_1) | instskip(NEXT) | instid1(VALU_DEP_1)
	v_cmp_gt_u32_e64 s3, s10, v9
	s_and_saveexec_b32 s5, s3
	;; [unrolled: 15-line block ×6, first 2 shown]
	s_cbranch_execz .LBB864_591
; %bb.590:
	v_lshlrev_b32_e32 v8, 1, v0
	global_load_u16 v8, v8, s[8:9] offset:1792
	s_waitcnt vmcnt(0)
	v_and_b32_e32 v8, 0x7fff, v8
	s_delay_alu instid0(VALU_DEP_1) | instskip(NEXT) | instid1(VALU_DEP_1)
	v_cmp_ne_u16_e64 s8, 0, v8
	v_cndmask_b32_e64 v8, 0, 1, s8
.LBB864_591:
	s_or_b32 exec_lo, exec_lo, s11
	v_cndmask_b32_e32 v2, 0, v2, vcc_lo
	v_cndmask_b32_e64 v3, 0, v3, s2
	v_cndmask_b32_e64 v4, 0, v4, s3
	;; [unrolled: 1-line block ×4, first 2 shown]
	v_add_nc_u32_e32 v1, v2, v1
	v_mbcnt_lo_u32_b32 v2, -1, 0
	v_cndmask_b32_e64 v7, 0, v7, s6
	s_min_u32 s2, s10, 0x80
	s_mov_b32 s3, exec_lo
	v_add3_u32 v1, v1, v3, v4
	v_cmp_ne_u32_e32 vcc_lo, 31, v2
	v_cndmask_b32_e64 v3, 0, v8, s7
	s_delay_alu instid0(VALU_DEP_3) | instskip(SKIP_3) | instid1(VALU_DEP_4)
	v_add3_u32 v1, v1, v5, v6
	v_add_co_ci_u32_e32 v4, vcc_lo, 0, v2, vcc_lo
	v_cmp_gt_u32_e32 vcc_lo, 30, v2
	v_add_nc_u32_e32 v6, 1, v2
	v_add3_u32 v1, v1, v7, v3
	s_delay_alu instid0(VALU_DEP_4) | instskip(SKIP_4) | instid1(VALU_DEP_2)
	v_lshlrev_b32_e32 v4, 2, v4
	v_cndmask_b32_e64 v5, 0, 1, vcc_lo
	ds_bpermute_b32 v3, v4, v1
	v_and_b32_e32 v4, 0x60, v0
	v_lshlrev_b32_e32 v5, 1, v5
	v_sub_nc_u32_e64 v4, s2, v4 clamp
	s_delay_alu instid0(VALU_DEP_2) | instskip(NEXT) | instid1(VALU_DEP_2)
	v_add_lshl_u32 v5, v5, v2, 2
	v_cmp_lt_u32_e32 vcc_lo, v6, v4
	s_waitcnt lgkmcnt(0)
	v_dual_cndmask_b32 v3, 0, v3 :: v_dual_add_nc_u32 v6, 2, v2
	v_cmp_gt_u32_e32 vcc_lo, 28, v2
	s_delay_alu instid0(VALU_DEP_2) | instskip(SKIP_4) | instid1(VALU_DEP_3)
	v_add_nc_u32_e32 v1, v1, v3
	ds_bpermute_b32 v3, v5, v1
	v_cndmask_b32_e64 v5, 0, 1, vcc_lo
	v_cmp_lt_u32_e32 vcc_lo, v6, v4
	v_add_nc_u32_e32 v6, 4, v2
	v_lshlrev_b32_e32 v5, 2, v5
	s_delay_alu instid0(VALU_DEP_1) | instskip(SKIP_3) | instid1(VALU_DEP_2)
	v_add_lshl_u32 v5, v5, v2, 2
	s_waitcnt lgkmcnt(0)
	v_cndmask_b32_e32 v3, 0, v3, vcc_lo
	v_cmp_gt_u32_e32 vcc_lo, 24, v2
	v_add_nc_u32_e32 v1, v1, v3
	ds_bpermute_b32 v3, v5, v1
	v_cndmask_b32_e64 v5, 0, 1, vcc_lo
	v_cmp_lt_u32_e32 vcc_lo, v6, v4
	v_add_nc_u32_e32 v6, 8, v2
	s_delay_alu instid0(VALU_DEP_3) | instskip(NEXT) | instid1(VALU_DEP_1)
	v_lshlrev_b32_e32 v5, 3, v5
	v_add_lshl_u32 v5, v5, v2, 2
	s_waitcnt lgkmcnt(0)
	v_cndmask_b32_e32 v3, 0, v3, vcc_lo
	v_cmp_gt_u32_e32 vcc_lo, 16, v2
	s_delay_alu instid0(VALU_DEP_2) | instskip(SKIP_3) | instid1(VALU_DEP_2)
	v_add_nc_u32_e32 v1, v1, v3
	ds_bpermute_b32 v3, v5, v1
	v_cndmask_b32_e64 v5, 0, 1, vcc_lo
	v_cmp_lt_u32_e32 vcc_lo, v6, v4
	v_lshlrev_b32_e32 v5, 4, v5
	s_delay_alu instid0(VALU_DEP_1) | instskip(SKIP_2) | instid1(VALU_DEP_1)
	v_add_lshl_u32 v5, v5, v2, 2
	s_waitcnt lgkmcnt(0)
	v_cndmask_b32_e32 v3, 0, v3, vcc_lo
	v_add_nc_u32_e32 v1, v1, v3
	ds_bpermute_b32 v3, v5, v1
	v_add_nc_u32_e32 v5, 16, v2
	s_delay_alu instid0(VALU_DEP_1) | instskip(SKIP_2) | instid1(VALU_DEP_1)
	v_cmp_lt_u32_e32 vcc_lo, v5, v4
	s_waitcnt lgkmcnt(0)
	v_cndmask_b32_e32 v3, 0, v3, vcc_lo
	v_add_nc_u32_e32 v1, v1, v3
	v_cmpx_eq_u32_e32 0, v2
	s_cbranch_execz .LBB864_593
; %bb.592:
	v_lshrrev_b32_e32 v3, 3, v0
	s_delay_alu instid0(VALU_DEP_1)
	v_and_b32_e32 v3, 12, v3
	ds_store_b32 v3, v1 offset:128
.LBB864_593:
	s_or_b32 exec_lo, exec_lo, s3
	s_delay_alu instid0(SALU_CYCLE_1)
	s_mov_b32 s3, exec_lo
	s_waitcnt lgkmcnt(0)
	s_barrier
	buffer_gl0_inv
	v_cmpx_gt_u32_e32 4, v0
	s_cbranch_execz .LBB864_595
; %bb.594:
	v_and_b32_e32 v3, 3, v2
	s_add_i32 s2, s2, 31
	s_delay_alu instid0(SALU_CYCLE_1) | instskip(NEXT) | instid1(VALU_DEP_1)
	s_lshr_b32 s2, s2, 5
	v_cmp_ne_u32_e32 vcc_lo, 3, v3
	v_add_nc_u32_e32 v5, 1, v3
	v_add_co_ci_u32_e32 v4, vcc_lo, 0, v2, vcc_lo
	v_cmp_gt_u32_e32 vcc_lo, 2, v3
	v_add_nc_u32_e32 v3, 2, v3
	s_delay_alu instid0(VALU_DEP_3) | instskip(SKIP_3) | instid1(VALU_DEP_3)
	v_lshlrev_b32_e32 v4, 2, v4
	v_cndmask_b32_e64 v6, 0, 1, vcc_lo
	v_cmp_gt_u32_e32 vcc_lo, s2, v5
	v_lshlrev_b32_e32 v1, 2, v2
	v_lshlrev_b32_e32 v5, 1, v6
	ds_load_b32 v1, v1 offset:128
	v_add_lshl_u32 v2, v5, v2, 2
	s_waitcnt lgkmcnt(0)
	ds_bpermute_b32 v4, v4, v1
	s_waitcnt lgkmcnt(0)
	v_cndmask_b32_e32 v4, 0, v4, vcc_lo
	v_cmp_gt_u32_e32 vcc_lo, s2, v3
	s_delay_alu instid0(VALU_DEP_2) | instskip(SKIP_3) | instid1(VALU_DEP_1)
	v_add_nc_u32_e32 v1, v4, v1
	ds_bpermute_b32 v2, v2, v1
	s_waitcnt lgkmcnt(0)
	v_cndmask_b32_e32 v2, 0, v2, vcc_lo
	v_add_nc_u32_e32 v1, v1, v2
.LBB864_595:
	s_or_b32 exec_lo, exec_lo, s3
.LBB864_596:
	v_cmp_eq_u32_e64 s2, 0, v0
.LBB864_597:
	s_branch .LBB864_623
.LBB864_598:
	s_mov_b32 s3, -1
                                        ; implicit-def: $vgpr1
.LBB864_599:
	s_delay_alu instid0(SALU_CYCLE_1)
	s_and_b32 vcc_lo, exec_lo, s3
	s_cbranch_vccz .LBB864_613
; %bb.600:
	s_sub_i32 s6, s20, s2
	s_mov_b32 s2, exec_lo
                                        ; implicit-def: $vgpr1_vgpr2_vgpr3_vgpr4
	v_cmpx_gt_u32_e64 s6, v0
	s_cbranch_execz .LBB864_602
; %bb.601:
	v_lshlrev_b32_e32 v1, 1, v0
	global_load_u16 v1, v1, s[4:5]
	s_waitcnt vmcnt(0)
	v_and_b32_e32 v1, 0x7fff, v1
	s_delay_alu instid0(VALU_DEP_1)
	v_cmp_ne_u16_e32 vcc_lo, 0, v1
	v_cndmask_b32_e64 v1, 0, 1, vcc_lo
.LBB864_602:
	s_or_b32 exec_lo, exec_lo, s2
	v_or_b32_e32 v5, 0x80, v0
	s_delay_alu instid0(VALU_DEP_1)
	v_cmp_gt_u32_e32 vcc_lo, s6, v5
	s_and_saveexec_b32 s3, vcc_lo
	s_cbranch_execz .LBB864_604
; %bb.603:
	v_lshlrev_b32_e32 v2, 1, v0
	global_load_u16 v2, v2, s[4:5] offset:256
	s_waitcnt vmcnt(0)
	v_and_b32_e32 v2, 0x7fff, v2
	s_delay_alu instid0(VALU_DEP_1) | instskip(NEXT) | instid1(VALU_DEP_1)
	v_cmp_ne_u16_e64 s2, 0, v2
	v_cndmask_b32_e64 v2, 0, 1, s2
.LBB864_604:
	s_or_b32 exec_lo, exec_lo, s3
	v_or_b32_e32 v5, 0x100, v0
	s_delay_alu instid0(VALU_DEP_1) | instskip(NEXT) | instid1(VALU_DEP_1)
	v_cmp_gt_u32_e64 s2, s6, v5
	s_and_saveexec_b32 s7, s2
	s_cbranch_execz .LBB864_606
; %bb.605:
	v_lshlrev_b32_e32 v3, 1, v0
	global_load_u16 v3, v3, s[4:5] offset:512
	s_waitcnt vmcnt(0)
	v_and_b32_e32 v3, 0x7fff, v3
	s_delay_alu instid0(VALU_DEP_1) | instskip(NEXT) | instid1(VALU_DEP_1)
	v_cmp_ne_u16_e64 s3, 0, v3
	v_cndmask_b32_e64 v3, 0, 1, s3
.LBB864_606:
	s_or_b32 exec_lo, exec_lo, s7
	v_or_b32_e32 v5, 0x180, v0
	s_delay_alu instid0(VALU_DEP_1) | instskip(NEXT) | instid1(VALU_DEP_1)
	v_cmp_gt_u32_e64 s3, s6, v5
	s_and_saveexec_b32 s7, s3
	s_cbranch_execz .LBB864_608
; %bb.607:
	v_lshlrev_b32_e32 v4, 1, v0
	global_load_u16 v4, v4, s[4:5] offset:768
	s_waitcnt vmcnt(0)
	v_and_b32_e32 v4, 0x7fff, v4
	s_delay_alu instid0(VALU_DEP_1) | instskip(NEXT) | instid1(VALU_DEP_1)
	v_cmp_ne_u16_e64 s4, 0, v4
	v_cndmask_b32_e64 v4, 0, 1, s4
.LBB864_608:
	s_or_b32 exec_lo, exec_lo, s7
	v_cndmask_b32_e32 v5, 0, v2, vcc_lo
	v_mbcnt_lo_u32_b32 v2, -1, 0
	v_cndmask_b32_e64 v3, 0, v3, s2
	v_cndmask_b32_e64 v4, 0, v4, s3
	s_min_u32 s2, s6, 0x80
	v_add_nc_u32_e32 v1, v5, v1
	v_cmp_ne_u32_e32 vcc_lo, 31, v2
	s_mov_b32 s3, exec_lo
	s_delay_alu instid0(VALU_DEP_2) | instskip(SKIP_3) | instid1(VALU_DEP_3)
	v_add3_u32 v1, v1, v3, v4
	v_and_b32_e32 v4, 0x60, v0
	v_add_co_ci_u32_e32 v5, vcc_lo, 0, v2, vcc_lo
	v_cmp_gt_u32_e32 vcc_lo, 30, v2
	v_sub_nc_u32_e64 v4, s2, v4 clamp
	s_delay_alu instid0(VALU_DEP_3) | instskip(SKIP_4) | instid1(VALU_DEP_2)
	v_lshlrev_b32_e32 v3, 2, v5
	v_cndmask_b32_e64 v5, 0, 1, vcc_lo
	ds_bpermute_b32 v3, v3, v1
	v_add_nc_u32_e32 v6, 1, v2
	v_lshlrev_b32_e32 v5, 1, v5
	v_cmp_lt_u32_e32 vcc_lo, v6, v4
	s_delay_alu instid0(VALU_DEP_2) | instskip(SKIP_3) | instid1(VALU_DEP_2)
	v_add_lshl_u32 v5, v5, v2, 2
	s_waitcnt lgkmcnt(0)
	v_cndmask_b32_e32 v3, 0, v3, vcc_lo
	v_cmp_gt_u32_e32 vcc_lo, 28, v2
	v_add_nc_u32_e32 v1, v3, v1
	ds_bpermute_b32 v3, v5, v1
	v_add_nc_u32_e32 v6, 2, v2
	v_cndmask_b32_e64 v5, 0, 1, vcc_lo
	s_delay_alu instid0(VALU_DEP_2) | instskip(NEXT) | instid1(VALU_DEP_2)
	v_cmp_lt_u32_e32 vcc_lo, v6, v4
	v_lshlrev_b32_e32 v5, 2, v5
	s_delay_alu instid0(VALU_DEP_1) | instskip(SKIP_3) | instid1(VALU_DEP_2)
	v_add_lshl_u32 v5, v5, v2, 2
	s_waitcnt lgkmcnt(0)
	v_cndmask_b32_e32 v3, 0, v3, vcc_lo
	v_cmp_gt_u32_e32 vcc_lo, 24, v2
	v_add_nc_u32_e32 v1, v1, v3
	ds_bpermute_b32 v3, v5, v1
	v_add_nc_u32_e32 v6, 4, v2
	v_cndmask_b32_e64 v5, 0, 1, vcc_lo
	s_delay_alu instid0(VALU_DEP_2) | instskip(NEXT) | instid1(VALU_DEP_2)
	v_cmp_lt_u32_e32 vcc_lo, v6, v4
	v_lshlrev_b32_e32 v5, 3, v5
	s_delay_alu instid0(VALU_DEP_1) | instskip(SKIP_3) | instid1(VALU_DEP_2)
	v_add_lshl_u32 v5, v5, v2, 2
	s_waitcnt lgkmcnt(0)
	v_cndmask_b32_e32 v3, 0, v3, vcc_lo
	v_cmp_gt_u32_e32 vcc_lo, 16, v2
	v_add_nc_u32_e32 v1, v1, v3
	ds_bpermute_b32 v3, v5, v1
	v_add_nc_u32_e32 v6, 8, v2
	v_cndmask_b32_e64 v5, 0, 1, vcc_lo
	s_delay_alu instid0(VALU_DEP_2) | instskip(NEXT) | instid1(VALU_DEP_2)
	v_cmp_lt_u32_e32 vcc_lo, v6, v4
	v_lshlrev_b32_e32 v5, 4, v5
	s_delay_alu instid0(VALU_DEP_1) | instskip(SKIP_2) | instid1(VALU_DEP_1)
	v_add_lshl_u32 v5, v5, v2, 2
	s_waitcnt lgkmcnt(0)
	v_cndmask_b32_e32 v3, 0, v3, vcc_lo
	v_add_nc_u32_e32 v1, v1, v3
	ds_bpermute_b32 v3, v5, v1
	v_add_nc_u32_e32 v5, 16, v2
	s_delay_alu instid0(VALU_DEP_1) | instskip(SKIP_2) | instid1(VALU_DEP_1)
	v_cmp_lt_u32_e32 vcc_lo, v5, v4
	s_waitcnt lgkmcnt(0)
	v_cndmask_b32_e32 v3, 0, v3, vcc_lo
	v_add_nc_u32_e32 v1, v1, v3
	v_cmpx_eq_u32_e32 0, v2
	s_cbranch_execz .LBB864_610
; %bb.609:
	v_lshrrev_b32_e32 v3, 3, v0
	s_delay_alu instid0(VALU_DEP_1)
	v_and_b32_e32 v3, 12, v3
	ds_store_b32 v3, v1 offset:128
.LBB864_610:
	s_or_b32 exec_lo, exec_lo, s3
	s_delay_alu instid0(SALU_CYCLE_1)
	s_mov_b32 s3, exec_lo
	s_waitcnt lgkmcnt(0)
	s_barrier
	buffer_gl0_inv
	v_cmpx_gt_u32_e32 4, v0
	s_cbranch_execz .LBB864_612
; %bb.611:
	v_and_b32_e32 v3, 3, v2
	s_add_i32 s2, s2, 31
	s_delay_alu instid0(SALU_CYCLE_1) | instskip(NEXT) | instid1(VALU_DEP_1)
	s_lshr_b32 s2, s2, 5
	v_cmp_ne_u32_e32 vcc_lo, 3, v3
	v_add_nc_u32_e32 v5, 1, v3
	v_add_co_ci_u32_e32 v4, vcc_lo, 0, v2, vcc_lo
	v_cmp_gt_u32_e32 vcc_lo, 2, v3
	v_add_nc_u32_e32 v3, 2, v3
	s_delay_alu instid0(VALU_DEP_3) | instskip(SKIP_3) | instid1(VALU_DEP_3)
	v_lshlrev_b32_e32 v4, 2, v4
	v_cndmask_b32_e64 v6, 0, 1, vcc_lo
	v_cmp_gt_u32_e32 vcc_lo, s2, v5
	v_lshlrev_b32_e32 v1, 2, v2
	v_lshlrev_b32_e32 v5, 1, v6
	ds_load_b32 v1, v1 offset:128
	v_add_lshl_u32 v2, v5, v2, 2
	s_waitcnt lgkmcnt(0)
	ds_bpermute_b32 v4, v4, v1
	s_waitcnt lgkmcnt(0)
	v_cndmask_b32_e32 v4, 0, v4, vcc_lo
	v_cmp_gt_u32_e32 vcc_lo, s2, v3
	s_delay_alu instid0(VALU_DEP_2) | instskip(SKIP_3) | instid1(VALU_DEP_1)
	v_add_nc_u32_e32 v1, v4, v1
	ds_bpermute_b32 v2, v2, v1
	s_waitcnt lgkmcnt(0)
	v_cndmask_b32_e32 v2, 0, v2, vcc_lo
	v_add_nc_u32_e32 v1, v1, v2
.LBB864_612:
	s_or_b32 exec_lo, exec_lo, s3
.LBB864_613:
	v_cmp_eq_u32_e64 s2, 0, v0
	s_branch .LBB864_623
.LBB864_614:
	s_cmp_gt_i32 s26, 1
	s_cbranch_scc0 .LBB864_622
; %bb.615:
	s_cmp_eq_u32 s26, 2
	s_cbranch_scc0 .LBB864_626
; %bb.616:
	s_mov_b32 s19, 0
	s_lshl_b32 s6, s18, 8
	s_mov_b32 s7, s19
	s_lshr_b64 s[8:9], s[20:21], 8
	s_lshl_b64 s[2:3], s[6:7], 1
	s_delay_alu instid0(SALU_CYCLE_1)
	s_add_u32 s4, s24, s2
	s_addc_u32 s5, s25, s3
	s_cmp_lg_u64 s[8:9], s[18:19]
	s_cbranch_scc0 .LBB864_627
; %bb.617:
	v_lshlrev_b32_e32 v1, 1, v0
	s_clause 0x1
	global_load_u16 v2, v1, s[4:5]
	global_load_u16 v1, v1, s[4:5] offset:256
	s_waitcnt vmcnt(1)
	v_and_b32_e32 v2, 0x7fff, v2
	s_waitcnt vmcnt(0)
	v_and_b32_e32 v1, 0x7fff, v1
	s_delay_alu instid0(VALU_DEP_2) | instskip(SKIP_1) | instid1(VALU_DEP_3)
	v_cmp_ne_u16_e32 vcc_lo, 0, v2
	v_cndmask_b32_e64 v2, 0, 1, vcc_lo
	v_cmp_ne_u16_e32 vcc_lo, 0, v1
	s_delay_alu instid0(VALU_DEP_2) | instskip(SKIP_1) | instid1(VALU_DEP_1)
	v_add_co_ci_u32_e64 v1, s2, 0, v2, vcc_lo
	s_mov_b32 s2, exec_lo
	v_mov_b32_dpp v1, v1 quad_perm:[1,0,3,2] row_mask:0xf bank_mask:0xf
	s_delay_alu instid0(VALU_DEP_1) | instskip(NEXT) | instid1(VALU_DEP_1)
	v_add_co_ci_u32_e32 v1, vcc_lo, v1, v2, vcc_lo
	v_mov_b32_dpp v2, v1 quad_perm:[2,3,0,1] row_mask:0xf bank_mask:0xf
	s_delay_alu instid0(VALU_DEP_1) | instskip(NEXT) | instid1(VALU_DEP_1)
	v_add_nc_u32_e32 v1, v1, v2
	v_mov_b32_dpp v2, v1 row_ror:4 row_mask:0xf bank_mask:0xf
	s_delay_alu instid0(VALU_DEP_1) | instskip(NEXT) | instid1(VALU_DEP_1)
	v_add_nc_u32_e32 v1, v1, v2
	v_mov_b32_dpp v2, v1 row_ror:8 row_mask:0xf bank_mask:0xf
	s_delay_alu instid0(VALU_DEP_1)
	v_add_nc_u32_e32 v1, v1, v2
	ds_swizzle_b32 v2, v1 offset:swizzle(BROADCAST,32,15)
	s_waitcnt lgkmcnt(0)
	v_dual_mov_b32 v2, 0 :: v_dual_add_nc_u32 v1, v1, v2
	ds_bpermute_b32 v1, v2, v1 offset:124
	v_mbcnt_lo_u32_b32 v2, -1, 0
	s_delay_alu instid0(VALU_DEP_1)
	v_cmpx_eq_u32_e32 0, v2
	s_cbranch_execz .LBB864_619
; %bb.618:
	v_lshrrev_b32_e32 v3, 3, v0
	s_delay_alu instid0(VALU_DEP_1)
	v_and_b32_e32 v3, 12, v3
	s_waitcnt lgkmcnt(0)
	ds_store_b32 v3, v1 offset:48
.LBB864_619:
	s_or_b32 exec_lo, exec_lo, s2
	s_delay_alu instid0(SALU_CYCLE_1)
	s_mov_b32 s2, exec_lo
	s_waitcnt lgkmcnt(0)
	s_barrier
	buffer_gl0_inv
	v_cmpx_gt_u32_e32 32, v0
	s_cbranch_execz .LBB864_621
; %bb.620:
	v_and_b32_e32 v1, 3, v2
	s_delay_alu instid0(VALU_DEP_1) | instskip(SKIP_4) | instid1(VALU_DEP_2)
	v_lshlrev_b32_e32 v3, 2, v1
	v_cmp_ne_u32_e32 vcc_lo, 3, v1
	ds_load_b32 v3, v3 offset:48
	v_add_co_ci_u32_e32 v4, vcc_lo, 0, v2, vcc_lo
	v_cmp_gt_u32_e32 vcc_lo, 2, v1
	v_lshlrev_b32_e32 v4, 2, v4
	v_cndmask_b32_e64 v1, 0, 1, vcc_lo
	s_delay_alu instid0(VALU_DEP_1) | instskip(NEXT) | instid1(VALU_DEP_1)
	v_lshlrev_b32_e32 v1, 1, v1
	v_add_lshl_u32 v1, v1, v2, 2
	s_waitcnt lgkmcnt(0)
	ds_bpermute_b32 v4, v4, v3
	s_waitcnt lgkmcnt(0)
	v_add_nc_u32_e32 v3, v4, v3
	ds_bpermute_b32 v1, v1, v3
	s_waitcnt lgkmcnt(0)
	v_add_nc_u32_e32 v1, v1, v3
.LBB864_621:
	s_or_b32 exec_lo, exec_lo, s2
	s_mov_b32 s2, 0
	s_branch .LBB864_628
.LBB864_622:
                                        ; implicit-def: $vgpr1
	s_cbranch_execnz .LBB864_639
.LBB864_623:
	s_delay_alu instid0(VALU_DEP_1)
	s_and_saveexec_b32 s3, s2
	s_cbranch_execz .LBB864_625
.LBB864_624:
	s_load_b32 s2, s[0:1], 0x28
	s_cmp_lg_u64 s[20:21], 0
	s_cselect_b32 vcc_lo, -1, 0
	s_lshl_b64 s[0:1], s[18:19], 2
	v_dual_cndmask_b32 v0, 0, v1 :: v_dual_mov_b32 v1, 0
	s_add_u32 s0, s22, s0
	s_addc_u32 s1, s23, s1
	s_waitcnt lgkmcnt(0)
	s_delay_alu instid0(VALU_DEP_1)
	v_add_nc_u32_e32 v0, s2, v0
	global_store_b32 v1, v0, s[0:1]
.LBB864_625:
	s_nop 0
	s_sendmsg sendmsg(MSG_DEALLOC_VGPRS)
	s_endpgm
.LBB864_626:
                                        ; implicit-def: $vgpr1
	s_branch .LBB864_623
.LBB864_627:
	s_mov_b32 s2, -1
                                        ; implicit-def: $vgpr1
.LBB864_628:
	s_delay_alu instid0(SALU_CYCLE_1)
	s_and_b32 vcc_lo, exec_lo, s2
	s_cbranch_vccz .LBB864_638
; %bb.629:
	s_sub_i32 s3, s20, s6
	s_mov_b32 s2, exec_lo
                                        ; implicit-def: $vgpr1_vgpr2
	v_cmpx_gt_u32_e64 s3, v0
	s_cbranch_execz .LBB864_631
; %bb.630:
	v_lshlrev_b32_e32 v1, 1, v0
	global_load_u16 v1, v1, s[4:5]
	s_waitcnt vmcnt(0)
	v_and_b32_e32 v1, 0x7fff, v1
	s_delay_alu instid0(VALU_DEP_1)
	v_cmp_ne_u16_e32 vcc_lo, 0, v1
	v_cndmask_b32_e64 v1, 0, 1, vcc_lo
.LBB864_631:
	s_or_b32 exec_lo, exec_lo, s2
	v_or_b32_e32 v3, 0x80, v0
	s_delay_alu instid0(VALU_DEP_1)
	v_cmp_gt_u32_e32 vcc_lo, s3, v3
	s_and_saveexec_b32 s6, vcc_lo
	s_cbranch_execz .LBB864_633
; %bb.632:
	v_lshlrev_b32_e32 v2, 1, v0
	global_load_u16 v2, v2, s[4:5] offset:256
	s_waitcnt vmcnt(0)
	v_and_b32_e32 v2, 0x7fff, v2
	s_delay_alu instid0(VALU_DEP_1) | instskip(NEXT) | instid1(VALU_DEP_1)
	v_cmp_ne_u16_e64 s2, 0, v2
	v_cndmask_b32_e64 v2, 0, 1, s2
.LBB864_633:
	s_or_b32 exec_lo, exec_lo, s6
	v_mbcnt_lo_u32_b32 v3, -1, 0
	s_delay_alu instid0(VALU_DEP_2) | instskip(SKIP_2) | instid1(VALU_DEP_2)
	v_cndmask_b32_e32 v2, 0, v2, vcc_lo
	s_min_u32 s2, s3, 0x80
	s_mov_b32 s3, exec_lo
	v_cmp_ne_u32_e32 vcc_lo, 31, v3
	v_add_nc_u32_e32 v6, 1, v3
	v_add_co_ci_u32_e32 v4, vcc_lo, 0, v3, vcc_lo
	v_cmp_gt_u32_e32 vcc_lo, 30, v3
	v_cndmask_b32_e64 v5, 0, 1, vcc_lo
	s_delay_alu instid0(VALU_DEP_1) | instskip(SKIP_3) | instid1(VALU_DEP_4)
	v_lshlrev_b32_e32 v5, 1, v5
	v_add_nc_u32_e32 v1, v2, v1
	v_lshlrev_b32_e32 v2, 2, v4
	v_and_b32_e32 v4, 0x60, v0
	v_add_lshl_u32 v5, v5, v3, 2
	ds_bpermute_b32 v2, v2, v1
	v_sub_nc_u32_e64 v4, s2, v4 clamp
	s_delay_alu instid0(VALU_DEP_1) | instskip(SKIP_4) | instid1(VALU_DEP_2)
	v_cmp_lt_u32_e32 vcc_lo, v6, v4
	v_add_nc_u32_e32 v6, 2, v3
	s_waitcnt lgkmcnt(0)
	v_cndmask_b32_e32 v2, 0, v2, vcc_lo
	v_cmp_gt_u32_e32 vcc_lo, 28, v3
	v_add_nc_u32_e32 v1, v2, v1
	ds_bpermute_b32 v2, v5, v1
	v_cndmask_b32_e64 v5, 0, 1, vcc_lo
	v_cmp_lt_u32_e32 vcc_lo, v6, v4
	v_add_nc_u32_e32 v6, 4, v3
	s_delay_alu instid0(VALU_DEP_3) | instskip(NEXT) | instid1(VALU_DEP_1)
	v_lshlrev_b32_e32 v5, 2, v5
	v_add_lshl_u32 v5, v5, v3, 2
	s_waitcnt lgkmcnt(0)
	v_cndmask_b32_e32 v2, 0, v2, vcc_lo
	v_cmp_gt_u32_e32 vcc_lo, 24, v3
	s_delay_alu instid0(VALU_DEP_2) | instskip(SKIP_4) | instid1(VALU_DEP_3)
	v_add_nc_u32_e32 v1, v1, v2
	ds_bpermute_b32 v2, v5, v1
	v_cndmask_b32_e64 v5, 0, 1, vcc_lo
	v_cmp_lt_u32_e32 vcc_lo, v6, v4
	v_add_nc_u32_e32 v6, 8, v3
	v_lshlrev_b32_e32 v5, 3, v5
	s_delay_alu instid0(VALU_DEP_1) | instskip(SKIP_3) | instid1(VALU_DEP_2)
	v_add_lshl_u32 v5, v5, v3, 2
	s_waitcnt lgkmcnt(0)
	v_cndmask_b32_e32 v2, 0, v2, vcc_lo
	v_cmp_gt_u32_e32 vcc_lo, 16, v3
	v_add_nc_u32_e32 v1, v1, v2
	ds_bpermute_b32 v2, v5, v1
	v_cndmask_b32_e64 v5, 0, 1, vcc_lo
	v_cmp_lt_u32_e32 vcc_lo, v6, v4
	s_delay_alu instid0(VALU_DEP_2) | instskip(NEXT) | instid1(VALU_DEP_1)
	v_lshlrev_b32_e32 v5, 4, v5
	v_add_lshl_u32 v5, v5, v3, 2
	s_waitcnt lgkmcnt(0)
	v_cndmask_b32_e32 v2, 0, v2, vcc_lo
	s_delay_alu instid0(VALU_DEP_1) | instskip(SKIP_2) | instid1(VALU_DEP_1)
	v_add_nc_u32_e32 v1, v1, v2
	ds_bpermute_b32 v2, v5, v1
	v_add_nc_u32_e32 v5, 16, v3
	v_cmp_lt_u32_e32 vcc_lo, v5, v4
	s_waitcnt lgkmcnt(0)
	v_cndmask_b32_e32 v2, 0, v2, vcc_lo
	s_delay_alu instid0(VALU_DEP_1)
	v_add_nc_u32_e32 v1, v1, v2
	v_cmpx_eq_u32_e32 0, v3
	s_cbranch_execz .LBB864_635
; %bb.634:
	v_lshrrev_b32_e32 v2, 3, v0
	s_delay_alu instid0(VALU_DEP_1)
	v_and_b32_e32 v2, 12, v2
	ds_store_b32 v2, v1 offset:128
.LBB864_635:
	s_or_b32 exec_lo, exec_lo, s3
	s_delay_alu instid0(SALU_CYCLE_1)
	s_mov_b32 s3, exec_lo
	s_waitcnt lgkmcnt(0)
	s_barrier
	buffer_gl0_inv
	v_cmpx_gt_u32_e32 4, v0
	s_cbranch_execz .LBB864_637
; %bb.636:
	v_and_b32_e32 v2, 3, v3
	s_add_i32 s2, s2, 31
	s_delay_alu instid0(SALU_CYCLE_1) | instskip(NEXT) | instid1(VALU_DEP_1)
	s_lshr_b32 s2, s2, 5
	v_cmp_ne_u32_e32 vcc_lo, 3, v2
	v_add_nc_u32_e32 v5, 1, v2
	v_add_co_ci_u32_e32 v4, vcc_lo, 0, v3, vcc_lo
	v_cmp_gt_u32_e32 vcc_lo, 2, v2
	v_add_nc_u32_e32 v2, 2, v2
	s_delay_alu instid0(VALU_DEP_3) | instskip(SKIP_3) | instid1(VALU_DEP_3)
	v_lshlrev_b32_e32 v4, 2, v4
	v_cndmask_b32_e64 v6, 0, 1, vcc_lo
	v_cmp_gt_u32_e32 vcc_lo, s2, v5
	v_lshlrev_b32_e32 v1, 2, v3
	v_lshlrev_b32_e32 v5, 1, v6
	ds_load_b32 v1, v1 offset:128
	v_add_lshl_u32 v3, v5, v3, 2
	s_waitcnt lgkmcnt(0)
	ds_bpermute_b32 v4, v4, v1
	s_waitcnt lgkmcnt(0)
	v_cndmask_b32_e32 v4, 0, v4, vcc_lo
	v_cmp_gt_u32_e32 vcc_lo, s2, v2
	s_delay_alu instid0(VALU_DEP_2) | instskip(SKIP_3) | instid1(VALU_DEP_1)
	v_add_nc_u32_e32 v1, v4, v1
	ds_bpermute_b32 v3, v3, v1
	s_waitcnt lgkmcnt(0)
	v_cndmask_b32_e32 v2, 0, v3, vcc_lo
	v_add_nc_u32_e32 v1, v1, v2
.LBB864_637:
	s_or_b32 exec_lo, exec_lo, s3
.LBB864_638:
	v_cmp_eq_u32_e64 s2, 0, v0
	s_branch .LBB864_623
.LBB864_639:
	s_cmp_eq_u32 s26, 1
	s_cbranch_scc0 .LBB864_647
; %bb.640:
	s_mov_b32 s5, 0
	v_mbcnt_lo_u32_b32 v2, -1, 0
	s_lshr_b64 s[2:3], s[20:21], 7
	s_mov_b32 s19, s5
	s_lshl_b32 s4, s18, 7
	s_cmp_lg_u64 s[2:3], s[18:19]
	s_cbranch_scc0 .LBB864_648
; %bb.641:
	s_lshl_b64 s[2:3], s[4:5], 1
	v_lshlrev_b32_e32 v1, 1, v0
	s_add_u32 s2, s24, s2
	s_addc_u32 s3, s25, s3
	global_load_u16 v1, v1, s[2:3]
	s_waitcnt vmcnt(0)
	v_and_b32_e32 v1, 0x7fff, v1
	s_delay_alu instid0(VALU_DEP_1) | instskip(SKIP_1) | instid1(VALU_DEP_1)
	v_cmp_ne_u16_e32 vcc_lo, 0, v1
	v_cndmask_b32_e64 v1, 0, 1, vcc_lo
	v_mov_b32_dpp v1, v1 quad_perm:[1,0,3,2] row_mask:0xf bank_mask:0xf
	s_delay_alu instid0(VALU_DEP_1) | instskip(SKIP_1) | instid1(VALU_DEP_1)
	v_add_co_ci_u32_e64 v3, s2, 0, v1, vcc_lo
	s_mov_b32 s2, exec_lo
	v_mov_b32_dpp v3, v3 quad_perm:[2,3,0,1] row_mask:0xf bank_mask:0xf
	s_delay_alu instid0(VALU_DEP_1) | instskip(NEXT) | instid1(VALU_DEP_1)
	v_add_co_ci_u32_e32 v1, vcc_lo, v3, v1, vcc_lo
	v_mov_b32_dpp v3, v1 row_ror:4 row_mask:0xf bank_mask:0xf
	s_delay_alu instid0(VALU_DEP_1) | instskip(NEXT) | instid1(VALU_DEP_1)
	v_add_nc_u32_e32 v1, v1, v3
	v_mov_b32_dpp v3, v1 row_ror:8 row_mask:0xf bank_mask:0xf
	s_delay_alu instid0(VALU_DEP_1)
	v_add_nc_u32_e32 v1, v1, v3
	ds_swizzle_b32 v3, v1 offset:swizzle(BROADCAST,32,15)
	s_waitcnt lgkmcnt(0)
	v_add_nc_u32_e32 v1, v1, v3
	v_mov_b32_e32 v3, 0
	ds_bpermute_b32 v1, v3, v1 offset:124
	v_cmpx_eq_u32_e32 0, v2
	s_cbranch_execz .LBB864_643
; %bb.642:
	v_lshrrev_b32_e32 v3, 3, v0
	s_delay_alu instid0(VALU_DEP_1)
	v_and_b32_e32 v3, 12, v3
	s_waitcnt lgkmcnt(0)
	ds_store_b32 v3, v1 offset:32
.LBB864_643:
	s_or_b32 exec_lo, exec_lo, s2
	s_delay_alu instid0(SALU_CYCLE_1)
	s_mov_b32 s2, exec_lo
	s_waitcnt lgkmcnt(0)
	s_barrier
	buffer_gl0_inv
	v_cmpx_gt_u32_e32 32, v0
	s_cbranch_execz .LBB864_645
; %bb.644:
	v_and_b32_e32 v1, 3, v2
	s_delay_alu instid0(VALU_DEP_1) | instskip(SKIP_4) | instid1(VALU_DEP_2)
	v_lshlrev_b32_e32 v3, 2, v1
	v_cmp_ne_u32_e32 vcc_lo, 3, v1
	ds_load_b32 v3, v3 offset:32
	v_add_co_ci_u32_e32 v4, vcc_lo, 0, v2, vcc_lo
	v_cmp_gt_u32_e32 vcc_lo, 2, v1
	v_lshlrev_b32_e32 v4, 2, v4
	v_cndmask_b32_e64 v1, 0, 1, vcc_lo
	s_delay_alu instid0(VALU_DEP_1) | instskip(NEXT) | instid1(VALU_DEP_1)
	v_lshlrev_b32_e32 v1, 1, v1
	v_add_lshl_u32 v1, v1, v2, 2
	s_waitcnt lgkmcnt(0)
	ds_bpermute_b32 v4, v4, v3
	s_waitcnt lgkmcnt(0)
	v_add_nc_u32_e32 v3, v4, v3
	ds_bpermute_b32 v1, v1, v3
	s_waitcnt lgkmcnt(0)
	v_add_nc_u32_e32 v1, v1, v3
.LBB864_645:
	s_or_b32 exec_lo, exec_lo, s2
.LBB864_646:
	v_cmp_eq_u32_e64 s2, 0, v0
	s_delay_alu instid0(VALU_DEP_1)
	s_and_saveexec_b32 s3, s2
	s_cbranch_execnz .LBB864_624
	s_branch .LBB864_625
.LBB864_647:
                                        ; implicit-def: $sgpr18_sgpr19
                                        ; implicit-def: $vgpr1
	s_and_saveexec_b32 s3, s2
	s_cbranch_execz .LBB864_625
	s_branch .LBB864_624
.LBB864_648:
                                        ; implicit-def: $vgpr1
	s_cbranch_execz .LBB864_646
; %bb.649:
	s_sub_i32 s2, s20, s4
	s_mov_b32 s3, exec_lo
                                        ; implicit-def: $vgpr1
	v_cmpx_gt_u32_e64 s2, v0
	s_cbranch_execz .LBB864_651
; %bb.650:
	s_lshl_b64 s[4:5], s[4:5], 1
	v_lshlrev_b32_e32 v1, 1, v0
	s_add_u32 s4, s24, s4
	s_addc_u32 s5, s25, s5
	global_load_u16 v1, v1, s[4:5]
	s_waitcnt vmcnt(0)
	v_and_b32_e32 v1, 0x7fff, v1
	s_delay_alu instid0(VALU_DEP_1)
	v_cmp_ne_u16_e32 vcc_lo, 0, v1
	v_cndmask_b32_e64 v1, 0, 1, vcc_lo
.LBB864_651:
	s_or_b32 exec_lo, exec_lo, s3
	v_cmp_ne_u32_e32 vcc_lo, 31, v2
	s_min_u32 s2, s2, 0x80
	v_add_nc_u32_e32 v5, 1, v2
	s_mov_b32 s3, exec_lo
	v_add_co_ci_u32_e32 v3, vcc_lo, 0, v2, vcc_lo
	v_cmp_gt_u32_e32 vcc_lo, 30, v2
	s_delay_alu instid0(VALU_DEP_2) | instskip(SKIP_4) | instid1(VALU_DEP_2)
	v_lshlrev_b32_e32 v3, 2, v3
	v_cndmask_b32_e64 v6, 0, 1, vcc_lo
	ds_bpermute_b32 v3, v3, v1
	v_and_b32_e32 v4, 0x60, v0
	v_lshlrev_b32_e32 v6, 1, v6
	v_sub_nc_u32_e64 v4, s2, v4 clamp
	s_delay_alu instid0(VALU_DEP_1) | instskip(NEXT) | instid1(VALU_DEP_3)
	v_cmp_lt_u32_e32 vcc_lo, v5, v4
	v_add_lshl_u32 v5, v6, v2, 2
	s_waitcnt lgkmcnt(0)
	v_dual_cndmask_b32 v3, 0, v3 :: v_dual_add_nc_u32 v6, 2, v2
	v_cmp_gt_u32_e32 vcc_lo, 28, v2
	s_delay_alu instid0(VALU_DEP_2) | instskip(SKIP_4) | instid1(VALU_DEP_3)
	v_add_nc_u32_e32 v1, v3, v1
	ds_bpermute_b32 v3, v5, v1
	v_cndmask_b32_e64 v5, 0, 1, vcc_lo
	v_cmp_lt_u32_e32 vcc_lo, v6, v4
	v_add_nc_u32_e32 v6, 4, v2
	v_lshlrev_b32_e32 v5, 2, v5
	s_delay_alu instid0(VALU_DEP_1) | instskip(SKIP_3) | instid1(VALU_DEP_2)
	v_add_lshl_u32 v5, v5, v2, 2
	s_waitcnt lgkmcnt(0)
	v_cndmask_b32_e32 v3, 0, v3, vcc_lo
	v_cmp_gt_u32_e32 vcc_lo, 24, v2
	v_add_nc_u32_e32 v1, v1, v3
	ds_bpermute_b32 v3, v5, v1
	v_cndmask_b32_e64 v5, 0, 1, vcc_lo
	v_cmp_lt_u32_e32 vcc_lo, v6, v4
	v_add_nc_u32_e32 v6, 8, v2
	s_delay_alu instid0(VALU_DEP_3) | instskip(NEXT) | instid1(VALU_DEP_1)
	v_lshlrev_b32_e32 v5, 3, v5
	v_add_lshl_u32 v5, v5, v2, 2
	s_waitcnt lgkmcnt(0)
	v_cndmask_b32_e32 v3, 0, v3, vcc_lo
	v_cmp_gt_u32_e32 vcc_lo, 16, v2
	s_delay_alu instid0(VALU_DEP_2) | instskip(SKIP_3) | instid1(VALU_DEP_2)
	v_add_nc_u32_e32 v1, v1, v3
	ds_bpermute_b32 v3, v5, v1
	v_cndmask_b32_e64 v5, 0, 1, vcc_lo
	v_cmp_lt_u32_e32 vcc_lo, v6, v4
	v_lshlrev_b32_e32 v5, 4, v5
	s_delay_alu instid0(VALU_DEP_1) | instskip(SKIP_2) | instid1(VALU_DEP_1)
	v_add_lshl_u32 v5, v5, v2, 2
	s_waitcnt lgkmcnt(0)
	v_cndmask_b32_e32 v3, 0, v3, vcc_lo
	v_add_nc_u32_e32 v1, v1, v3
	ds_bpermute_b32 v3, v5, v1
	v_add_nc_u32_e32 v5, 16, v2
	s_delay_alu instid0(VALU_DEP_1) | instskip(SKIP_2) | instid1(VALU_DEP_1)
	v_cmp_lt_u32_e32 vcc_lo, v5, v4
	s_waitcnt lgkmcnt(0)
	v_cndmask_b32_e32 v3, 0, v3, vcc_lo
	v_add_nc_u32_e32 v1, v1, v3
	v_cmpx_eq_u32_e32 0, v2
	s_cbranch_execz .LBB864_653
; %bb.652:
	v_lshrrev_b32_e32 v3, 3, v0
	s_delay_alu instid0(VALU_DEP_1)
	v_and_b32_e32 v3, 12, v3
	ds_store_b32 v3, v1 offset:128
.LBB864_653:
	s_or_b32 exec_lo, exec_lo, s3
	s_delay_alu instid0(SALU_CYCLE_1)
	s_mov_b32 s3, exec_lo
	s_waitcnt lgkmcnt(0)
	s_barrier
	buffer_gl0_inv
	v_cmpx_gt_u32_e32 4, v0
	s_cbranch_execz .LBB864_655
; %bb.654:
	v_and_b32_e32 v3, 3, v2
	s_add_i32 s2, s2, 31
	s_delay_alu instid0(SALU_CYCLE_1) | instskip(NEXT) | instid1(VALU_DEP_1)
	s_lshr_b32 s2, s2, 5
	v_cmp_ne_u32_e32 vcc_lo, 3, v3
	v_add_nc_u32_e32 v5, 1, v3
	v_add_co_ci_u32_e32 v4, vcc_lo, 0, v2, vcc_lo
	v_cmp_gt_u32_e32 vcc_lo, 2, v3
	v_add_nc_u32_e32 v3, 2, v3
	s_delay_alu instid0(VALU_DEP_3) | instskip(SKIP_3) | instid1(VALU_DEP_3)
	v_lshlrev_b32_e32 v4, 2, v4
	v_cndmask_b32_e64 v6, 0, 1, vcc_lo
	v_cmp_gt_u32_e32 vcc_lo, s2, v5
	v_lshlrev_b32_e32 v1, 2, v2
	v_lshlrev_b32_e32 v5, 1, v6
	ds_load_b32 v1, v1 offset:128
	v_add_lshl_u32 v2, v5, v2, 2
	s_waitcnt lgkmcnt(0)
	ds_bpermute_b32 v4, v4, v1
	s_waitcnt lgkmcnt(0)
	v_cndmask_b32_e32 v4, 0, v4, vcc_lo
	v_cmp_gt_u32_e32 vcc_lo, s2, v3
	s_delay_alu instid0(VALU_DEP_2) | instskip(SKIP_3) | instid1(VALU_DEP_1)
	v_add_nc_u32_e32 v1, v4, v1
	ds_bpermute_b32 v2, v2, v1
	s_waitcnt lgkmcnt(0)
	v_cndmask_b32_e32 v2, 0, v2, vcc_lo
	v_add_nc_u32_e32 v1, v1, v2
.LBB864_655:
	s_or_b32 exec_lo, exec_lo, s3
	v_cmp_eq_u32_e64 s2, 0, v0
	s_delay_alu instid0(VALU_DEP_1)
	s_and_saveexec_b32 s3, s2
	s_cbranch_execnz .LBB864_624
	s_branch .LBB864_625
	.section	.rodata,"a",@progbits
	.p2align	6, 0x0
	.amdhsa_kernel _ZN7rocprim17ROCPRIM_400000_NS6detail17trampoline_kernelINS0_14default_configENS1_22reduce_config_selectorIbEEZNS1_11reduce_implILb1ES3_N6hipcub16HIPCUB_304000_NS22TransformInputIteratorIbN2at6native12_GLOBAL__N_19NonZeroOpIN3c104HalfEEEPKSF_lEEPiiNS8_6detail34convert_binary_result_type_wrapperINS8_3SumESJ_iEEEE10hipError_tPvRmT1_T2_T3_mT4_P12ihipStream_tbEUlT_E1_NS1_11comp_targetILNS1_3genE9ELNS1_11target_archE1100ELNS1_3gpuE3ELNS1_3repE0EEENS1_30default_config_static_selectorELNS0_4arch9wavefront6targetE0EEEvSS_
		.amdhsa_group_segment_fixed_size 144
		.amdhsa_private_segment_fixed_size 0
		.amdhsa_kernarg_size 48
		.amdhsa_user_sgpr_count 15
		.amdhsa_user_sgpr_dispatch_ptr 0
		.amdhsa_user_sgpr_queue_ptr 0
		.amdhsa_user_sgpr_kernarg_segment_ptr 1
		.amdhsa_user_sgpr_dispatch_id 0
		.amdhsa_user_sgpr_private_segment_size 0
		.amdhsa_wavefront_size32 1
		.amdhsa_uses_dynamic_stack 0
		.amdhsa_enable_private_segment 0
		.amdhsa_system_sgpr_workgroup_id_x 1
		.amdhsa_system_sgpr_workgroup_id_y 0
		.amdhsa_system_sgpr_workgroup_id_z 0
		.amdhsa_system_sgpr_workgroup_info 0
		.amdhsa_system_vgpr_workitem_id 0
		.amdhsa_next_free_vgpr 130
		.amdhsa_next_free_sgpr 29
		.amdhsa_reserve_vcc 1
		.amdhsa_float_round_mode_32 0
		.amdhsa_float_round_mode_16_64 0
		.amdhsa_float_denorm_mode_32 3
		.amdhsa_float_denorm_mode_16_64 3
		.amdhsa_dx10_clamp 1
		.amdhsa_ieee_mode 1
		.amdhsa_fp16_overflow 0
		.amdhsa_workgroup_processor_mode 1
		.amdhsa_memory_ordered 1
		.amdhsa_forward_progress 0
		.amdhsa_shared_vgpr_count 0
		.amdhsa_exception_fp_ieee_invalid_op 0
		.amdhsa_exception_fp_denorm_src 0
		.amdhsa_exception_fp_ieee_div_zero 0
		.amdhsa_exception_fp_ieee_overflow 0
		.amdhsa_exception_fp_ieee_underflow 0
		.amdhsa_exception_fp_ieee_inexact 0
		.amdhsa_exception_int_div_zero 0
	.end_amdhsa_kernel
	.section	.text._ZN7rocprim17ROCPRIM_400000_NS6detail17trampoline_kernelINS0_14default_configENS1_22reduce_config_selectorIbEEZNS1_11reduce_implILb1ES3_N6hipcub16HIPCUB_304000_NS22TransformInputIteratorIbN2at6native12_GLOBAL__N_19NonZeroOpIN3c104HalfEEEPKSF_lEEPiiNS8_6detail34convert_binary_result_type_wrapperINS8_3SumESJ_iEEEE10hipError_tPvRmT1_T2_T3_mT4_P12ihipStream_tbEUlT_E1_NS1_11comp_targetILNS1_3genE9ELNS1_11target_archE1100ELNS1_3gpuE3ELNS1_3repE0EEENS1_30default_config_static_selectorELNS0_4arch9wavefront6targetE0EEEvSS_,"axG",@progbits,_ZN7rocprim17ROCPRIM_400000_NS6detail17trampoline_kernelINS0_14default_configENS1_22reduce_config_selectorIbEEZNS1_11reduce_implILb1ES3_N6hipcub16HIPCUB_304000_NS22TransformInputIteratorIbN2at6native12_GLOBAL__N_19NonZeroOpIN3c104HalfEEEPKSF_lEEPiiNS8_6detail34convert_binary_result_type_wrapperINS8_3SumESJ_iEEEE10hipError_tPvRmT1_T2_T3_mT4_P12ihipStream_tbEUlT_E1_NS1_11comp_targetILNS1_3genE9ELNS1_11target_archE1100ELNS1_3gpuE3ELNS1_3repE0EEENS1_30default_config_static_selectorELNS0_4arch9wavefront6targetE0EEEvSS_,comdat
.Lfunc_end864:
	.size	_ZN7rocprim17ROCPRIM_400000_NS6detail17trampoline_kernelINS0_14default_configENS1_22reduce_config_selectorIbEEZNS1_11reduce_implILb1ES3_N6hipcub16HIPCUB_304000_NS22TransformInputIteratorIbN2at6native12_GLOBAL__N_19NonZeroOpIN3c104HalfEEEPKSF_lEEPiiNS8_6detail34convert_binary_result_type_wrapperINS8_3SumESJ_iEEEE10hipError_tPvRmT1_T2_T3_mT4_P12ihipStream_tbEUlT_E1_NS1_11comp_targetILNS1_3genE9ELNS1_11target_archE1100ELNS1_3gpuE3ELNS1_3repE0EEENS1_30default_config_static_selectorELNS0_4arch9wavefront6targetE0EEEvSS_, .Lfunc_end864-_ZN7rocprim17ROCPRIM_400000_NS6detail17trampoline_kernelINS0_14default_configENS1_22reduce_config_selectorIbEEZNS1_11reduce_implILb1ES3_N6hipcub16HIPCUB_304000_NS22TransformInputIteratorIbN2at6native12_GLOBAL__N_19NonZeroOpIN3c104HalfEEEPKSF_lEEPiiNS8_6detail34convert_binary_result_type_wrapperINS8_3SumESJ_iEEEE10hipError_tPvRmT1_T2_T3_mT4_P12ihipStream_tbEUlT_E1_NS1_11comp_targetILNS1_3genE9ELNS1_11target_archE1100ELNS1_3gpuE3ELNS1_3repE0EEENS1_30default_config_static_selectorELNS0_4arch9wavefront6targetE0EEEvSS_
                                        ; -- End function
	.section	.AMDGPU.csdata,"",@progbits
; Kernel info:
; codeLenInByte = 35796
; NumSgprs: 31
; NumVgprs: 130
; ScratchSize: 0
; MemoryBound: 0
; FloatMode: 240
; IeeeMode: 1
; LDSByteSize: 144 bytes/workgroup (compile time only)
; SGPRBlocks: 3
; VGPRBlocks: 16
; NumSGPRsForWavesPerEU: 31
; NumVGPRsForWavesPerEU: 130
; Occupancy: 10
; WaveLimiterHint : 1
; COMPUTE_PGM_RSRC2:SCRATCH_EN: 0
; COMPUTE_PGM_RSRC2:USER_SGPR: 15
; COMPUTE_PGM_RSRC2:TRAP_HANDLER: 0
; COMPUTE_PGM_RSRC2:TGID_X_EN: 1
; COMPUTE_PGM_RSRC2:TGID_Y_EN: 0
; COMPUTE_PGM_RSRC2:TGID_Z_EN: 0
; COMPUTE_PGM_RSRC2:TIDIG_COMP_CNT: 0
	.section	.text._ZN7rocprim17ROCPRIM_400000_NS6detail17trampoline_kernelINS0_14default_configENS1_22reduce_config_selectorIbEEZNS1_11reduce_implILb1ES3_N6hipcub16HIPCUB_304000_NS22TransformInputIteratorIbN2at6native12_GLOBAL__N_19NonZeroOpIN3c104HalfEEEPKSF_lEEPiiNS8_6detail34convert_binary_result_type_wrapperINS8_3SumESJ_iEEEE10hipError_tPvRmT1_T2_T3_mT4_P12ihipStream_tbEUlT_E1_NS1_11comp_targetILNS1_3genE8ELNS1_11target_archE1030ELNS1_3gpuE2ELNS1_3repE0EEENS1_30default_config_static_selectorELNS0_4arch9wavefront6targetE0EEEvSS_,"axG",@progbits,_ZN7rocprim17ROCPRIM_400000_NS6detail17trampoline_kernelINS0_14default_configENS1_22reduce_config_selectorIbEEZNS1_11reduce_implILb1ES3_N6hipcub16HIPCUB_304000_NS22TransformInputIteratorIbN2at6native12_GLOBAL__N_19NonZeroOpIN3c104HalfEEEPKSF_lEEPiiNS8_6detail34convert_binary_result_type_wrapperINS8_3SumESJ_iEEEE10hipError_tPvRmT1_T2_T3_mT4_P12ihipStream_tbEUlT_E1_NS1_11comp_targetILNS1_3genE8ELNS1_11target_archE1030ELNS1_3gpuE2ELNS1_3repE0EEENS1_30default_config_static_selectorELNS0_4arch9wavefront6targetE0EEEvSS_,comdat
	.globl	_ZN7rocprim17ROCPRIM_400000_NS6detail17trampoline_kernelINS0_14default_configENS1_22reduce_config_selectorIbEEZNS1_11reduce_implILb1ES3_N6hipcub16HIPCUB_304000_NS22TransformInputIteratorIbN2at6native12_GLOBAL__N_19NonZeroOpIN3c104HalfEEEPKSF_lEEPiiNS8_6detail34convert_binary_result_type_wrapperINS8_3SumESJ_iEEEE10hipError_tPvRmT1_T2_T3_mT4_P12ihipStream_tbEUlT_E1_NS1_11comp_targetILNS1_3genE8ELNS1_11target_archE1030ELNS1_3gpuE2ELNS1_3repE0EEENS1_30default_config_static_selectorELNS0_4arch9wavefront6targetE0EEEvSS_ ; -- Begin function _ZN7rocprim17ROCPRIM_400000_NS6detail17trampoline_kernelINS0_14default_configENS1_22reduce_config_selectorIbEEZNS1_11reduce_implILb1ES3_N6hipcub16HIPCUB_304000_NS22TransformInputIteratorIbN2at6native12_GLOBAL__N_19NonZeroOpIN3c104HalfEEEPKSF_lEEPiiNS8_6detail34convert_binary_result_type_wrapperINS8_3SumESJ_iEEEE10hipError_tPvRmT1_T2_T3_mT4_P12ihipStream_tbEUlT_E1_NS1_11comp_targetILNS1_3genE8ELNS1_11target_archE1030ELNS1_3gpuE2ELNS1_3repE0EEENS1_30default_config_static_selectorELNS0_4arch9wavefront6targetE0EEEvSS_
	.p2align	8
	.type	_ZN7rocprim17ROCPRIM_400000_NS6detail17trampoline_kernelINS0_14default_configENS1_22reduce_config_selectorIbEEZNS1_11reduce_implILb1ES3_N6hipcub16HIPCUB_304000_NS22TransformInputIteratorIbN2at6native12_GLOBAL__N_19NonZeroOpIN3c104HalfEEEPKSF_lEEPiiNS8_6detail34convert_binary_result_type_wrapperINS8_3SumESJ_iEEEE10hipError_tPvRmT1_T2_T3_mT4_P12ihipStream_tbEUlT_E1_NS1_11comp_targetILNS1_3genE8ELNS1_11target_archE1030ELNS1_3gpuE2ELNS1_3repE0EEENS1_30default_config_static_selectorELNS0_4arch9wavefront6targetE0EEEvSS_,@function
_ZN7rocprim17ROCPRIM_400000_NS6detail17trampoline_kernelINS0_14default_configENS1_22reduce_config_selectorIbEEZNS1_11reduce_implILb1ES3_N6hipcub16HIPCUB_304000_NS22TransformInputIteratorIbN2at6native12_GLOBAL__N_19NonZeroOpIN3c104HalfEEEPKSF_lEEPiiNS8_6detail34convert_binary_result_type_wrapperINS8_3SumESJ_iEEEE10hipError_tPvRmT1_T2_T3_mT4_P12ihipStream_tbEUlT_E1_NS1_11comp_targetILNS1_3genE8ELNS1_11target_archE1030ELNS1_3gpuE2ELNS1_3repE0EEENS1_30default_config_static_selectorELNS0_4arch9wavefront6targetE0EEEvSS_: ; @_ZN7rocprim17ROCPRIM_400000_NS6detail17trampoline_kernelINS0_14default_configENS1_22reduce_config_selectorIbEEZNS1_11reduce_implILb1ES3_N6hipcub16HIPCUB_304000_NS22TransformInputIteratorIbN2at6native12_GLOBAL__N_19NonZeroOpIN3c104HalfEEEPKSF_lEEPiiNS8_6detail34convert_binary_result_type_wrapperINS8_3SumESJ_iEEEE10hipError_tPvRmT1_T2_T3_mT4_P12ihipStream_tbEUlT_E1_NS1_11comp_targetILNS1_3genE8ELNS1_11target_archE1030ELNS1_3gpuE2ELNS1_3repE0EEENS1_30default_config_static_selectorELNS0_4arch9wavefront6targetE0EEEvSS_
; %bb.0:
	.section	.rodata,"a",@progbits
	.p2align	6, 0x0
	.amdhsa_kernel _ZN7rocprim17ROCPRIM_400000_NS6detail17trampoline_kernelINS0_14default_configENS1_22reduce_config_selectorIbEEZNS1_11reduce_implILb1ES3_N6hipcub16HIPCUB_304000_NS22TransformInputIteratorIbN2at6native12_GLOBAL__N_19NonZeroOpIN3c104HalfEEEPKSF_lEEPiiNS8_6detail34convert_binary_result_type_wrapperINS8_3SumESJ_iEEEE10hipError_tPvRmT1_T2_T3_mT4_P12ihipStream_tbEUlT_E1_NS1_11comp_targetILNS1_3genE8ELNS1_11target_archE1030ELNS1_3gpuE2ELNS1_3repE0EEENS1_30default_config_static_selectorELNS0_4arch9wavefront6targetE0EEEvSS_
		.amdhsa_group_segment_fixed_size 0
		.amdhsa_private_segment_fixed_size 0
		.amdhsa_kernarg_size 48
		.amdhsa_user_sgpr_count 15
		.amdhsa_user_sgpr_dispatch_ptr 0
		.amdhsa_user_sgpr_queue_ptr 0
		.amdhsa_user_sgpr_kernarg_segment_ptr 1
		.amdhsa_user_sgpr_dispatch_id 0
		.amdhsa_user_sgpr_private_segment_size 0
		.amdhsa_wavefront_size32 1
		.amdhsa_uses_dynamic_stack 0
		.amdhsa_enable_private_segment 0
		.amdhsa_system_sgpr_workgroup_id_x 1
		.amdhsa_system_sgpr_workgroup_id_y 0
		.amdhsa_system_sgpr_workgroup_id_z 0
		.amdhsa_system_sgpr_workgroup_info 0
		.amdhsa_system_vgpr_workitem_id 0
		.amdhsa_next_free_vgpr 1
		.amdhsa_next_free_sgpr 1
		.amdhsa_reserve_vcc 0
		.amdhsa_float_round_mode_32 0
		.amdhsa_float_round_mode_16_64 0
		.amdhsa_float_denorm_mode_32 3
		.amdhsa_float_denorm_mode_16_64 3
		.amdhsa_dx10_clamp 1
		.amdhsa_ieee_mode 1
		.amdhsa_fp16_overflow 0
		.amdhsa_workgroup_processor_mode 1
		.amdhsa_memory_ordered 1
		.amdhsa_forward_progress 0
		.amdhsa_shared_vgpr_count 0
		.amdhsa_exception_fp_ieee_invalid_op 0
		.amdhsa_exception_fp_denorm_src 0
		.amdhsa_exception_fp_ieee_div_zero 0
		.amdhsa_exception_fp_ieee_overflow 0
		.amdhsa_exception_fp_ieee_underflow 0
		.amdhsa_exception_fp_ieee_inexact 0
		.amdhsa_exception_int_div_zero 0
	.end_amdhsa_kernel
	.section	.text._ZN7rocprim17ROCPRIM_400000_NS6detail17trampoline_kernelINS0_14default_configENS1_22reduce_config_selectorIbEEZNS1_11reduce_implILb1ES3_N6hipcub16HIPCUB_304000_NS22TransformInputIteratorIbN2at6native12_GLOBAL__N_19NonZeroOpIN3c104HalfEEEPKSF_lEEPiiNS8_6detail34convert_binary_result_type_wrapperINS8_3SumESJ_iEEEE10hipError_tPvRmT1_T2_T3_mT4_P12ihipStream_tbEUlT_E1_NS1_11comp_targetILNS1_3genE8ELNS1_11target_archE1030ELNS1_3gpuE2ELNS1_3repE0EEENS1_30default_config_static_selectorELNS0_4arch9wavefront6targetE0EEEvSS_,"axG",@progbits,_ZN7rocprim17ROCPRIM_400000_NS6detail17trampoline_kernelINS0_14default_configENS1_22reduce_config_selectorIbEEZNS1_11reduce_implILb1ES3_N6hipcub16HIPCUB_304000_NS22TransformInputIteratorIbN2at6native12_GLOBAL__N_19NonZeroOpIN3c104HalfEEEPKSF_lEEPiiNS8_6detail34convert_binary_result_type_wrapperINS8_3SumESJ_iEEEE10hipError_tPvRmT1_T2_T3_mT4_P12ihipStream_tbEUlT_E1_NS1_11comp_targetILNS1_3genE8ELNS1_11target_archE1030ELNS1_3gpuE2ELNS1_3repE0EEENS1_30default_config_static_selectorELNS0_4arch9wavefront6targetE0EEEvSS_,comdat
.Lfunc_end865:
	.size	_ZN7rocprim17ROCPRIM_400000_NS6detail17trampoline_kernelINS0_14default_configENS1_22reduce_config_selectorIbEEZNS1_11reduce_implILb1ES3_N6hipcub16HIPCUB_304000_NS22TransformInputIteratorIbN2at6native12_GLOBAL__N_19NonZeroOpIN3c104HalfEEEPKSF_lEEPiiNS8_6detail34convert_binary_result_type_wrapperINS8_3SumESJ_iEEEE10hipError_tPvRmT1_T2_T3_mT4_P12ihipStream_tbEUlT_E1_NS1_11comp_targetILNS1_3genE8ELNS1_11target_archE1030ELNS1_3gpuE2ELNS1_3repE0EEENS1_30default_config_static_selectorELNS0_4arch9wavefront6targetE0EEEvSS_, .Lfunc_end865-_ZN7rocprim17ROCPRIM_400000_NS6detail17trampoline_kernelINS0_14default_configENS1_22reduce_config_selectorIbEEZNS1_11reduce_implILb1ES3_N6hipcub16HIPCUB_304000_NS22TransformInputIteratorIbN2at6native12_GLOBAL__N_19NonZeroOpIN3c104HalfEEEPKSF_lEEPiiNS8_6detail34convert_binary_result_type_wrapperINS8_3SumESJ_iEEEE10hipError_tPvRmT1_T2_T3_mT4_P12ihipStream_tbEUlT_E1_NS1_11comp_targetILNS1_3genE8ELNS1_11target_archE1030ELNS1_3gpuE2ELNS1_3repE0EEENS1_30default_config_static_selectorELNS0_4arch9wavefront6targetE0EEEvSS_
                                        ; -- End function
	.section	.AMDGPU.csdata,"",@progbits
; Kernel info:
; codeLenInByte = 0
; NumSgprs: 0
; NumVgprs: 0
; ScratchSize: 0
; MemoryBound: 0
; FloatMode: 240
; IeeeMode: 1
; LDSByteSize: 0 bytes/workgroup (compile time only)
; SGPRBlocks: 0
; VGPRBlocks: 0
; NumSGPRsForWavesPerEU: 1
; NumVGPRsForWavesPerEU: 1
; Occupancy: 16
; WaveLimiterHint : 0
; COMPUTE_PGM_RSRC2:SCRATCH_EN: 0
; COMPUTE_PGM_RSRC2:USER_SGPR: 15
; COMPUTE_PGM_RSRC2:TRAP_HANDLER: 0
; COMPUTE_PGM_RSRC2:TGID_X_EN: 1
; COMPUTE_PGM_RSRC2:TGID_Y_EN: 0
; COMPUTE_PGM_RSRC2:TGID_Z_EN: 0
; COMPUTE_PGM_RSRC2:TIDIG_COMP_CNT: 0
	.section	.text._ZN7rocprim17ROCPRIM_400000_NS6detail17trampoline_kernelINS0_14default_configENS1_25partition_config_selectorILNS1_17partition_subalgoE5ElNS0_10empty_typeEbEEZZNS1_14partition_implILS5_5ELb0ES3_mN6hipcub16HIPCUB_304000_NS21CountingInputIteratorIllEEPS6_NSA_22TransformInputIteratorIbN2at6native12_GLOBAL__N_19NonZeroOpIN3c104HalfEEEPKSK_lEENS0_5tupleIJPlS6_EEENSP_IJSD_SD_EEES6_PiJS6_EEE10hipError_tPvRmT3_T4_T5_T6_T7_T9_mT8_P12ihipStream_tbDpT10_ENKUlT_T0_E_clISt17integral_constantIbLb0EES1D_EEDaS18_S19_EUlS18_E_NS1_11comp_targetILNS1_3genE0ELNS1_11target_archE4294967295ELNS1_3gpuE0ELNS1_3repE0EEENS1_30default_config_static_selectorELNS0_4arch9wavefront6targetE0EEEvT1_,"axG",@progbits,_ZN7rocprim17ROCPRIM_400000_NS6detail17trampoline_kernelINS0_14default_configENS1_25partition_config_selectorILNS1_17partition_subalgoE5ElNS0_10empty_typeEbEEZZNS1_14partition_implILS5_5ELb0ES3_mN6hipcub16HIPCUB_304000_NS21CountingInputIteratorIllEEPS6_NSA_22TransformInputIteratorIbN2at6native12_GLOBAL__N_19NonZeroOpIN3c104HalfEEEPKSK_lEENS0_5tupleIJPlS6_EEENSP_IJSD_SD_EEES6_PiJS6_EEE10hipError_tPvRmT3_T4_T5_T6_T7_T9_mT8_P12ihipStream_tbDpT10_ENKUlT_T0_E_clISt17integral_constantIbLb0EES1D_EEDaS18_S19_EUlS18_E_NS1_11comp_targetILNS1_3genE0ELNS1_11target_archE4294967295ELNS1_3gpuE0ELNS1_3repE0EEENS1_30default_config_static_selectorELNS0_4arch9wavefront6targetE0EEEvT1_,comdat
	.globl	_ZN7rocprim17ROCPRIM_400000_NS6detail17trampoline_kernelINS0_14default_configENS1_25partition_config_selectorILNS1_17partition_subalgoE5ElNS0_10empty_typeEbEEZZNS1_14partition_implILS5_5ELb0ES3_mN6hipcub16HIPCUB_304000_NS21CountingInputIteratorIllEEPS6_NSA_22TransformInputIteratorIbN2at6native12_GLOBAL__N_19NonZeroOpIN3c104HalfEEEPKSK_lEENS0_5tupleIJPlS6_EEENSP_IJSD_SD_EEES6_PiJS6_EEE10hipError_tPvRmT3_T4_T5_T6_T7_T9_mT8_P12ihipStream_tbDpT10_ENKUlT_T0_E_clISt17integral_constantIbLb0EES1D_EEDaS18_S19_EUlS18_E_NS1_11comp_targetILNS1_3genE0ELNS1_11target_archE4294967295ELNS1_3gpuE0ELNS1_3repE0EEENS1_30default_config_static_selectorELNS0_4arch9wavefront6targetE0EEEvT1_ ; -- Begin function _ZN7rocprim17ROCPRIM_400000_NS6detail17trampoline_kernelINS0_14default_configENS1_25partition_config_selectorILNS1_17partition_subalgoE5ElNS0_10empty_typeEbEEZZNS1_14partition_implILS5_5ELb0ES3_mN6hipcub16HIPCUB_304000_NS21CountingInputIteratorIllEEPS6_NSA_22TransformInputIteratorIbN2at6native12_GLOBAL__N_19NonZeroOpIN3c104HalfEEEPKSK_lEENS0_5tupleIJPlS6_EEENSP_IJSD_SD_EEES6_PiJS6_EEE10hipError_tPvRmT3_T4_T5_T6_T7_T9_mT8_P12ihipStream_tbDpT10_ENKUlT_T0_E_clISt17integral_constantIbLb0EES1D_EEDaS18_S19_EUlS18_E_NS1_11comp_targetILNS1_3genE0ELNS1_11target_archE4294967295ELNS1_3gpuE0ELNS1_3repE0EEENS1_30default_config_static_selectorELNS0_4arch9wavefront6targetE0EEEvT1_
	.p2align	8
	.type	_ZN7rocprim17ROCPRIM_400000_NS6detail17trampoline_kernelINS0_14default_configENS1_25partition_config_selectorILNS1_17partition_subalgoE5ElNS0_10empty_typeEbEEZZNS1_14partition_implILS5_5ELb0ES3_mN6hipcub16HIPCUB_304000_NS21CountingInputIteratorIllEEPS6_NSA_22TransformInputIteratorIbN2at6native12_GLOBAL__N_19NonZeroOpIN3c104HalfEEEPKSK_lEENS0_5tupleIJPlS6_EEENSP_IJSD_SD_EEES6_PiJS6_EEE10hipError_tPvRmT3_T4_T5_T6_T7_T9_mT8_P12ihipStream_tbDpT10_ENKUlT_T0_E_clISt17integral_constantIbLb0EES1D_EEDaS18_S19_EUlS18_E_NS1_11comp_targetILNS1_3genE0ELNS1_11target_archE4294967295ELNS1_3gpuE0ELNS1_3repE0EEENS1_30default_config_static_selectorELNS0_4arch9wavefront6targetE0EEEvT1_,@function
_ZN7rocprim17ROCPRIM_400000_NS6detail17trampoline_kernelINS0_14default_configENS1_25partition_config_selectorILNS1_17partition_subalgoE5ElNS0_10empty_typeEbEEZZNS1_14partition_implILS5_5ELb0ES3_mN6hipcub16HIPCUB_304000_NS21CountingInputIteratorIllEEPS6_NSA_22TransformInputIteratorIbN2at6native12_GLOBAL__N_19NonZeroOpIN3c104HalfEEEPKSK_lEENS0_5tupleIJPlS6_EEENSP_IJSD_SD_EEES6_PiJS6_EEE10hipError_tPvRmT3_T4_T5_T6_T7_T9_mT8_P12ihipStream_tbDpT10_ENKUlT_T0_E_clISt17integral_constantIbLb0EES1D_EEDaS18_S19_EUlS18_E_NS1_11comp_targetILNS1_3genE0ELNS1_11target_archE4294967295ELNS1_3gpuE0ELNS1_3repE0EEENS1_30default_config_static_selectorELNS0_4arch9wavefront6targetE0EEEvT1_: ; @_ZN7rocprim17ROCPRIM_400000_NS6detail17trampoline_kernelINS0_14default_configENS1_25partition_config_selectorILNS1_17partition_subalgoE5ElNS0_10empty_typeEbEEZZNS1_14partition_implILS5_5ELb0ES3_mN6hipcub16HIPCUB_304000_NS21CountingInputIteratorIllEEPS6_NSA_22TransformInputIteratorIbN2at6native12_GLOBAL__N_19NonZeroOpIN3c104HalfEEEPKSK_lEENS0_5tupleIJPlS6_EEENSP_IJSD_SD_EEES6_PiJS6_EEE10hipError_tPvRmT3_T4_T5_T6_T7_T9_mT8_P12ihipStream_tbDpT10_ENKUlT_T0_E_clISt17integral_constantIbLb0EES1D_EEDaS18_S19_EUlS18_E_NS1_11comp_targetILNS1_3genE0ELNS1_11target_archE4294967295ELNS1_3gpuE0ELNS1_3repE0EEENS1_30default_config_static_selectorELNS0_4arch9wavefront6targetE0EEEvT1_
; %bb.0:
	.section	.rodata,"a",@progbits
	.p2align	6, 0x0
	.amdhsa_kernel _ZN7rocprim17ROCPRIM_400000_NS6detail17trampoline_kernelINS0_14default_configENS1_25partition_config_selectorILNS1_17partition_subalgoE5ElNS0_10empty_typeEbEEZZNS1_14partition_implILS5_5ELb0ES3_mN6hipcub16HIPCUB_304000_NS21CountingInputIteratorIllEEPS6_NSA_22TransformInputIteratorIbN2at6native12_GLOBAL__N_19NonZeroOpIN3c104HalfEEEPKSK_lEENS0_5tupleIJPlS6_EEENSP_IJSD_SD_EEES6_PiJS6_EEE10hipError_tPvRmT3_T4_T5_T6_T7_T9_mT8_P12ihipStream_tbDpT10_ENKUlT_T0_E_clISt17integral_constantIbLb0EES1D_EEDaS18_S19_EUlS18_E_NS1_11comp_targetILNS1_3genE0ELNS1_11target_archE4294967295ELNS1_3gpuE0ELNS1_3repE0EEENS1_30default_config_static_selectorELNS0_4arch9wavefront6targetE0EEEvT1_
		.amdhsa_group_segment_fixed_size 0
		.amdhsa_private_segment_fixed_size 0
		.amdhsa_kernarg_size 120
		.amdhsa_user_sgpr_count 15
		.amdhsa_user_sgpr_dispatch_ptr 0
		.amdhsa_user_sgpr_queue_ptr 0
		.amdhsa_user_sgpr_kernarg_segment_ptr 1
		.amdhsa_user_sgpr_dispatch_id 0
		.amdhsa_user_sgpr_private_segment_size 0
		.amdhsa_wavefront_size32 1
		.amdhsa_uses_dynamic_stack 0
		.amdhsa_enable_private_segment 0
		.amdhsa_system_sgpr_workgroup_id_x 1
		.amdhsa_system_sgpr_workgroup_id_y 0
		.amdhsa_system_sgpr_workgroup_id_z 0
		.amdhsa_system_sgpr_workgroup_info 0
		.amdhsa_system_vgpr_workitem_id 0
		.amdhsa_next_free_vgpr 1
		.amdhsa_next_free_sgpr 1
		.amdhsa_reserve_vcc 0
		.amdhsa_float_round_mode_32 0
		.amdhsa_float_round_mode_16_64 0
		.amdhsa_float_denorm_mode_32 3
		.amdhsa_float_denorm_mode_16_64 3
		.amdhsa_dx10_clamp 1
		.amdhsa_ieee_mode 1
		.amdhsa_fp16_overflow 0
		.amdhsa_workgroup_processor_mode 1
		.amdhsa_memory_ordered 1
		.amdhsa_forward_progress 0
		.amdhsa_shared_vgpr_count 0
		.amdhsa_exception_fp_ieee_invalid_op 0
		.amdhsa_exception_fp_denorm_src 0
		.amdhsa_exception_fp_ieee_div_zero 0
		.amdhsa_exception_fp_ieee_overflow 0
		.amdhsa_exception_fp_ieee_underflow 0
		.amdhsa_exception_fp_ieee_inexact 0
		.amdhsa_exception_int_div_zero 0
	.end_amdhsa_kernel
	.section	.text._ZN7rocprim17ROCPRIM_400000_NS6detail17trampoline_kernelINS0_14default_configENS1_25partition_config_selectorILNS1_17partition_subalgoE5ElNS0_10empty_typeEbEEZZNS1_14partition_implILS5_5ELb0ES3_mN6hipcub16HIPCUB_304000_NS21CountingInputIteratorIllEEPS6_NSA_22TransformInputIteratorIbN2at6native12_GLOBAL__N_19NonZeroOpIN3c104HalfEEEPKSK_lEENS0_5tupleIJPlS6_EEENSP_IJSD_SD_EEES6_PiJS6_EEE10hipError_tPvRmT3_T4_T5_T6_T7_T9_mT8_P12ihipStream_tbDpT10_ENKUlT_T0_E_clISt17integral_constantIbLb0EES1D_EEDaS18_S19_EUlS18_E_NS1_11comp_targetILNS1_3genE0ELNS1_11target_archE4294967295ELNS1_3gpuE0ELNS1_3repE0EEENS1_30default_config_static_selectorELNS0_4arch9wavefront6targetE0EEEvT1_,"axG",@progbits,_ZN7rocprim17ROCPRIM_400000_NS6detail17trampoline_kernelINS0_14default_configENS1_25partition_config_selectorILNS1_17partition_subalgoE5ElNS0_10empty_typeEbEEZZNS1_14partition_implILS5_5ELb0ES3_mN6hipcub16HIPCUB_304000_NS21CountingInputIteratorIllEEPS6_NSA_22TransformInputIteratorIbN2at6native12_GLOBAL__N_19NonZeroOpIN3c104HalfEEEPKSK_lEENS0_5tupleIJPlS6_EEENSP_IJSD_SD_EEES6_PiJS6_EEE10hipError_tPvRmT3_T4_T5_T6_T7_T9_mT8_P12ihipStream_tbDpT10_ENKUlT_T0_E_clISt17integral_constantIbLb0EES1D_EEDaS18_S19_EUlS18_E_NS1_11comp_targetILNS1_3genE0ELNS1_11target_archE4294967295ELNS1_3gpuE0ELNS1_3repE0EEENS1_30default_config_static_selectorELNS0_4arch9wavefront6targetE0EEEvT1_,comdat
.Lfunc_end866:
	.size	_ZN7rocprim17ROCPRIM_400000_NS6detail17trampoline_kernelINS0_14default_configENS1_25partition_config_selectorILNS1_17partition_subalgoE5ElNS0_10empty_typeEbEEZZNS1_14partition_implILS5_5ELb0ES3_mN6hipcub16HIPCUB_304000_NS21CountingInputIteratorIllEEPS6_NSA_22TransformInputIteratorIbN2at6native12_GLOBAL__N_19NonZeroOpIN3c104HalfEEEPKSK_lEENS0_5tupleIJPlS6_EEENSP_IJSD_SD_EEES6_PiJS6_EEE10hipError_tPvRmT3_T4_T5_T6_T7_T9_mT8_P12ihipStream_tbDpT10_ENKUlT_T0_E_clISt17integral_constantIbLb0EES1D_EEDaS18_S19_EUlS18_E_NS1_11comp_targetILNS1_3genE0ELNS1_11target_archE4294967295ELNS1_3gpuE0ELNS1_3repE0EEENS1_30default_config_static_selectorELNS0_4arch9wavefront6targetE0EEEvT1_, .Lfunc_end866-_ZN7rocprim17ROCPRIM_400000_NS6detail17trampoline_kernelINS0_14default_configENS1_25partition_config_selectorILNS1_17partition_subalgoE5ElNS0_10empty_typeEbEEZZNS1_14partition_implILS5_5ELb0ES3_mN6hipcub16HIPCUB_304000_NS21CountingInputIteratorIllEEPS6_NSA_22TransformInputIteratorIbN2at6native12_GLOBAL__N_19NonZeroOpIN3c104HalfEEEPKSK_lEENS0_5tupleIJPlS6_EEENSP_IJSD_SD_EEES6_PiJS6_EEE10hipError_tPvRmT3_T4_T5_T6_T7_T9_mT8_P12ihipStream_tbDpT10_ENKUlT_T0_E_clISt17integral_constantIbLb0EES1D_EEDaS18_S19_EUlS18_E_NS1_11comp_targetILNS1_3genE0ELNS1_11target_archE4294967295ELNS1_3gpuE0ELNS1_3repE0EEENS1_30default_config_static_selectorELNS0_4arch9wavefront6targetE0EEEvT1_
                                        ; -- End function
	.section	.AMDGPU.csdata,"",@progbits
; Kernel info:
; codeLenInByte = 0
; NumSgprs: 0
; NumVgprs: 0
; ScratchSize: 0
; MemoryBound: 0
; FloatMode: 240
; IeeeMode: 1
; LDSByteSize: 0 bytes/workgroup (compile time only)
; SGPRBlocks: 0
; VGPRBlocks: 0
; NumSGPRsForWavesPerEU: 1
; NumVGPRsForWavesPerEU: 1
; Occupancy: 16
; WaveLimiterHint : 0
; COMPUTE_PGM_RSRC2:SCRATCH_EN: 0
; COMPUTE_PGM_RSRC2:USER_SGPR: 15
; COMPUTE_PGM_RSRC2:TRAP_HANDLER: 0
; COMPUTE_PGM_RSRC2:TGID_X_EN: 1
; COMPUTE_PGM_RSRC2:TGID_Y_EN: 0
; COMPUTE_PGM_RSRC2:TGID_Z_EN: 0
; COMPUTE_PGM_RSRC2:TIDIG_COMP_CNT: 0
	.section	.text._ZN7rocprim17ROCPRIM_400000_NS6detail17trampoline_kernelINS0_14default_configENS1_25partition_config_selectorILNS1_17partition_subalgoE5ElNS0_10empty_typeEbEEZZNS1_14partition_implILS5_5ELb0ES3_mN6hipcub16HIPCUB_304000_NS21CountingInputIteratorIllEEPS6_NSA_22TransformInputIteratorIbN2at6native12_GLOBAL__N_19NonZeroOpIN3c104HalfEEEPKSK_lEENS0_5tupleIJPlS6_EEENSP_IJSD_SD_EEES6_PiJS6_EEE10hipError_tPvRmT3_T4_T5_T6_T7_T9_mT8_P12ihipStream_tbDpT10_ENKUlT_T0_E_clISt17integral_constantIbLb0EES1D_EEDaS18_S19_EUlS18_E_NS1_11comp_targetILNS1_3genE5ELNS1_11target_archE942ELNS1_3gpuE9ELNS1_3repE0EEENS1_30default_config_static_selectorELNS0_4arch9wavefront6targetE0EEEvT1_,"axG",@progbits,_ZN7rocprim17ROCPRIM_400000_NS6detail17trampoline_kernelINS0_14default_configENS1_25partition_config_selectorILNS1_17partition_subalgoE5ElNS0_10empty_typeEbEEZZNS1_14partition_implILS5_5ELb0ES3_mN6hipcub16HIPCUB_304000_NS21CountingInputIteratorIllEEPS6_NSA_22TransformInputIteratorIbN2at6native12_GLOBAL__N_19NonZeroOpIN3c104HalfEEEPKSK_lEENS0_5tupleIJPlS6_EEENSP_IJSD_SD_EEES6_PiJS6_EEE10hipError_tPvRmT3_T4_T5_T6_T7_T9_mT8_P12ihipStream_tbDpT10_ENKUlT_T0_E_clISt17integral_constantIbLb0EES1D_EEDaS18_S19_EUlS18_E_NS1_11comp_targetILNS1_3genE5ELNS1_11target_archE942ELNS1_3gpuE9ELNS1_3repE0EEENS1_30default_config_static_selectorELNS0_4arch9wavefront6targetE0EEEvT1_,comdat
	.globl	_ZN7rocprim17ROCPRIM_400000_NS6detail17trampoline_kernelINS0_14default_configENS1_25partition_config_selectorILNS1_17partition_subalgoE5ElNS0_10empty_typeEbEEZZNS1_14partition_implILS5_5ELb0ES3_mN6hipcub16HIPCUB_304000_NS21CountingInputIteratorIllEEPS6_NSA_22TransformInputIteratorIbN2at6native12_GLOBAL__N_19NonZeroOpIN3c104HalfEEEPKSK_lEENS0_5tupleIJPlS6_EEENSP_IJSD_SD_EEES6_PiJS6_EEE10hipError_tPvRmT3_T4_T5_T6_T7_T9_mT8_P12ihipStream_tbDpT10_ENKUlT_T0_E_clISt17integral_constantIbLb0EES1D_EEDaS18_S19_EUlS18_E_NS1_11comp_targetILNS1_3genE5ELNS1_11target_archE942ELNS1_3gpuE9ELNS1_3repE0EEENS1_30default_config_static_selectorELNS0_4arch9wavefront6targetE0EEEvT1_ ; -- Begin function _ZN7rocprim17ROCPRIM_400000_NS6detail17trampoline_kernelINS0_14default_configENS1_25partition_config_selectorILNS1_17partition_subalgoE5ElNS0_10empty_typeEbEEZZNS1_14partition_implILS5_5ELb0ES3_mN6hipcub16HIPCUB_304000_NS21CountingInputIteratorIllEEPS6_NSA_22TransformInputIteratorIbN2at6native12_GLOBAL__N_19NonZeroOpIN3c104HalfEEEPKSK_lEENS0_5tupleIJPlS6_EEENSP_IJSD_SD_EEES6_PiJS6_EEE10hipError_tPvRmT3_T4_T5_T6_T7_T9_mT8_P12ihipStream_tbDpT10_ENKUlT_T0_E_clISt17integral_constantIbLb0EES1D_EEDaS18_S19_EUlS18_E_NS1_11comp_targetILNS1_3genE5ELNS1_11target_archE942ELNS1_3gpuE9ELNS1_3repE0EEENS1_30default_config_static_selectorELNS0_4arch9wavefront6targetE0EEEvT1_
	.p2align	8
	.type	_ZN7rocprim17ROCPRIM_400000_NS6detail17trampoline_kernelINS0_14default_configENS1_25partition_config_selectorILNS1_17partition_subalgoE5ElNS0_10empty_typeEbEEZZNS1_14partition_implILS5_5ELb0ES3_mN6hipcub16HIPCUB_304000_NS21CountingInputIteratorIllEEPS6_NSA_22TransformInputIteratorIbN2at6native12_GLOBAL__N_19NonZeroOpIN3c104HalfEEEPKSK_lEENS0_5tupleIJPlS6_EEENSP_IJSD_SD_EEES6_PiJS6_EEE10hipError_tPvRmT3_T4_T5_T6_T7_T9_mT8_P12ihipStream_tbDpT10_ENKUlT_T0_E_clISt17integral_constantIbLb0EES1D_EEDaS18_S19_EUlS18_E_NS1_11comp_targetILNS1_3genE5ELNS1_11target_archE942ELNS1_3gpuE9ELNS1_3repE0EEENS1_30default_config_static_selectorELNS0_4arch9wavefront6targetE0EEEvT1_,@function
_ZN7rocprim17ROCPRIM_400000_NS6detail17trampoline_kernelINS0_14default_configENS1_25partition_config_selectorILNS1_17partition_subalgoE5ElNS0_10empty_typeEbEEZZNS1_14partition_implILS5_5ELb0ES3_mN6hipcub16HIPCUB_304000_NS21CountingInputIteratorIllEEPS6_NSA_22TransformInputIteratorIbN2at6native12_GLOBAL__N_19NonZeroOpIN3c104HalfEEEPKSK_lEENS0_5tupleIJPlS6_EEENSP_IJSD_SD_EEES6_PiJS6_EEE10hipError_tPvRmT3_T4_T5_T6_T7_T9_mT8_P12ihipStream_tbDpT10_ENKUlT_T0_E_clISt17integral_constantIbLb0EES1D_EEDaS18_S19_EUlS18_E_NS1_11comp_targetILNS1_3genE5ELNS1_11target_archE942ELNS1_3gpuE9ELNS1_3repE0EEENS1_30default_config_static_selectorELNS0_4arch9wavefront6targetE0EEEvT1_: ; @_ZN7rocprim17ROCPRIM_400000_NS6detail17trampoline_kernelINS0_14default_configENS1_25partition_config_selectorILNS1_17partition_subalgoE5ElNS0_10empty_typeEbEEZZNS1_14partition_implILS5_5ELb0ES3_mN6hipcub16HIPCUB_304000_NS21CountingInputIteratorIllEEPS6_NSA_22TransformInputIteratorIbN2at6native12_GLOBAL__N_19NonZeroOpIN3c104HalfEEEPKSK_lEENS0_5tupleIJPlS6_EEENSP_IJSD_SD_EEES6_PiJS6_EEE10hipError_tPvRmT3_T4_T5_T6_T7_T9_mT8_P12ihipStream_tbDpT10_ENKUlT_T0_E_clISt17integral_constantIbLb0EES1D_EEDaS18_S19_EUlS18_E_NS1_11comp_targetILNS1_3genE5ELNS1_11target_archE942ELNS1_3gpuE9ELNS1_3repE0EEENS1_30default_config_static_selectorELNS0_4arch9wavefront6targetE0EEEvT1_
; %bb.0:
	.section	.rodata,"a",@progbits
	.p2align	6, 0x0
	.amdhsa_kernel _ZN7rocprim17ROCPRIM_400000_NS6detail17trampoline_kernelINS0_14default_configENS1_25partition_config_selectorILNS1_17partition_subalgoE5ElNS0_10empty_typeEbEEZZNS1_14partition_implILS5_5ELb0ES3_mN6hipcub16HIPCUB_304000_NS21CountingInputIteratorIllEEPS6_NSA_22TransformInputIteratorIbN2at6native12_GLOBAL__N_19NonZeroOpIN3c104HalfEEEPKSK_lEENS0_5tupleIJPlS6_EEENSP_IJSD_SD_EEES6_PiJS6_EEE10hipError_tPvRmT3_T4_T5_T6_T7_T9_mT8_P12ihipStream_tbDpT10_ENKUlT_T0_E_clISt17integral_constantIbLb0EES1D_EEDaS18_S19_EUlS18_E_NS1_11comp_targetILNS1_3genE5ELNS1_11target_archE942ELNS1_3gpuE9ELNS1_3repE0EEENS1_30default_config_static_selectorELNS0_4arch9wavefront6targetE0EEEvT1_
		.amdhsa_group_segment_fixed_size 0
		.amdhsa_private_segment_fixed_size 0
		.amdhsa_kernarg_size 120
		.amdhsa_user_sgpr_count 15
		.amdhsa_user_sgpr_dispatch_ptr 0
		.amdhsa_user_sgpr_queue_ptr 0
		.amdhsa_user_sgpr_kernarg_segment_ptr 1
		.amdhsa_user_sgpr_dispatch_id 0
		.amdhsa_user_sgpr_private_segment_size 0
		.amdhsa_wavefront_size32 1
		.amdhsa_uses_dynamic_stack 0
		.amdhsa_enable_private_segment 0
		.amdhsa_system_sgpr_workgroup_id_x 1
		.amdhsa_system_sgpr_workgroup_id_y 0
		.amdhsa_system_sgpr_workgroup_id_z 0
		.amdhsa_system_sgpr_workgroup_info 0
		.amdhsa_system_vgpr_workitem_id 0
		.amdhsa_next_free_vgpr 1
		.amdhsa_next_free_sgpr 1
		.amdhsa_reserve_vcc 0
		.amdhsa_float_round_mode_32 0
		.amdhsa_float_round_mode_16_64 0
		.amdhsa_float_denorm_mode_32 3
		.amdhsa_float_denorm_mode_16_64 3
		.amdhsa_dx10_clamp 1
		.amdhsa_ieee_mode 1
		.amdhsa_fp16_overflow 0
		.amdhsa_workgroup_processor_mode 1
		.amdhsa_memory_ordered 1
		.amdhsa_forward_progress 0
		.amdhsa_shared_vgpr_count 0
		.amdhsa_exception_fp_ieee_invalid_op 0
		.amdhsa_exception_fp_denorm_src 0
		.amdhsa_exception_fp_ieee_div_zero 0
		.amdhsa_exception_fp_ieee_overflow 0
		.amdhsa_exception_fp_ieee_underflow 0
		.amdhsa_exception_fp_ieee_inexact 0
		.amdhsa_exception_int_div_zero 0
	.end_amdhsa_kernel
	.section	.text._ZN7rocprim17ROCPRIM_400000_NS6detail17trampoline_kernelINS0_14default_configENS1_25partition_config_selectorILNS1_17partition_subalgoE5ElNS0_10empty_typeEbEEZZNS1_14partition_implILS5_5ELb0ES3_mN6hipcub16HIPCUB_304000_NS21CountingInputIteratorIllEEPS6_NSA_22TransformInputIteratorIbN2at6native12_GLOBAL__N_19NonZeroOpIN3c104HalfEEEPKSK_lEENS0_5tupleIJPlS6_EEENSP_IJSD_SD_EEES6_PiJS6_EEE10hipError_tPvRmT3_T4_T5_T6_T7_T9_mT8_P12ihipStream_tbDpT10_ENKUlT_T0_E_clISt17integral_constantIbLb0EES1D_EEDaS18_S19_EUlS18_E_NS1_11comp_targetILNS1_3genE5ELNS1_11target_archE942ELNS1_3gpuE9ELNS1_3repE0EEENS1_30default_config_static_selectorELNS0_4arch9wavefront6targetE0EEEvT1_,"axG",@progbits,_ZN7rocprim17ROCPRIM_400000_NS6detail17trampoline_kernelINS0_14default_configENS1_25partition_config_selectorILNS1_17partition_subalgoE5ElNS0_10empty_typeEbEEZZNS1_14partition_implILS5_5ELb0ES3_mN6hipcub16HIPCUB_304000_NS21CountingInputIteratorIllEEPS6_NSA_22TransformInputIteratorIbN2at6native12_GLOBAL__N_19NonZeroOpIN3c104HalfEEEPKSK_lEENS0_5tupleIJPlS6_EEENSP_IJSD_SD_EEES6_PiJS6_EEE10hipError_tPvRmT3_T4_T5_T6_T7_T9_mT8_P12ihipStream_tbDpT10_ENKUlT_T0_E_clISt17integral_constantIbLb0EES1D_EEDaS18_S19_EUlS18_E_NS1_11comp_targetILNS1_3genE5ELNS1_11target_archE942ELNS1_3gpuE9ELNS1_3repE0EEENS1_30default_config_static_selectorELNS0_4arch9wavefront6targetE0EEEvT1_,comdat
.Lfunc_end867:
	.size	_ZN7rocprim17ROCPRIM_400000_NS6detail17trampoline_kernelINS0_14default_configENS1_25partition_config_selectorILNS1_17partition_subalgoE5ElNS0_10empty_typeEbEEZZNS1_14partition_implILS5_5ELb0ES3_mN6hipcub16HIPCUB_304000_NS21CountingInputIteratorIllEEPS6_NSA_22TransformInputIteratorIbN2at6native12_GLOBAL__N_19NonZeroOpIN3c104HalfEEEPKSK_lEENS0_5tupleIJPlS6_EEENSP_IJSD_SD_EEES6_PiJS6_EEE10hipError_tPvRmT3_T4_T5_T6_T7_T9_mT8_P12ihipStream_tbDpT10_ENKUlT_T0_E_clISt17integral_constantIbLb0EES1D_EEDaS18_S19_EUlS18_E_NS1_11comp_targetILNS1_3genE5ELNS1_11target_archE942ELNS1_3gpuE9ELNS1_3repE0EEENS1_30default_config_static_selectorELNS0_4arch9wavefront6targetE0EEEvT1_, .Lfunc_end867-_ZN7rocprim17ROCPRIM_400000_NS6detail17trampoline_kernelINS0_14default_configENS1_25partition_config_selectorILNS1_17partition_subalgoE5ElNS0_10empty_typeEbEEZZNS1_14partition_implILS5_5ELb0ES3_mN6hipcub16HIPCUB_304000_NS21CountingInputIteratorIllEEPS6_NSA_22TransformInputIteratorIbN2at6native12_GLOBAL__N_19NonZeroOpIN3c104HalfEEEPKSK_lEENS0_5tupleIJPlS6_EEENSP_IJSD_SD_EEES6_PiJS6_EEE10hipError_tPvRmT3_T4_T5_T6_T7_T9_mT8_P12ihipStream_tbDpT10_ENKUlT_T0_E_clISt17integral_constantIbLb0EES1D_EEDaS18_S19_EUlS18_E_NS1_11comp_targetILNS1_3genE5ELNS1_11target_archE942ELNS1_3gpuE9ELNS1_3repE0EEENS1_30default_config_static_selectorELNS0_4arch9wavefront6targetE0EEEvT1_
                                        ; -- End function
	.section	.AMDGPU.csdata,"",@progbits
; Kernel info:
; codeLenInByte = 0
; NumSgprs: 0
; NumVgprs: 0
; ScratchSize: 0
; MemoryBound: 0
; FloatMode: 240
; IeeeMode: 1
; LDSByteSize: 0 bytes/workgroup (compile time only)
; SGPRBlocks: 0
; VGPRBlocks: 0
; NumSGPRsForWavesPerEU: 1
; NumVGPRsForWavesPerEU: 1
; Occupancy: 16
; WaveLimiterHint : 0
; COMPUTE_PGM_RSRC2:SCRATCH_EN: 0
; COMPUTE_PGM_RSRC2:USER_SGPR: 15
; COMPUTE_PGM_RSRC2:TRAP_HANDLER: 0
; COMPUTE_PGM_RSRC2:TGID_X_EN: 1
; COMPUTE_PGM_RSRC2:TGID_Y_EN: 0
; COMPUTE_PGM_RSRC2:TGID_Z_EN: 0
; COMPUTE_PGM_RSRC2:TIDIG_COMP_CNT: 0
	.section	.text._ZN7rocprim17ROCPRIM_400000_NS6detail17trampoline_kernelINS0_14default_configENS1_25partition_config_selectorILNS1_17partition_subalgoE5ElNS0_10empty_typeEbEEZZNS1_14partition_implILS5_5ELb0ES3_mN6hipcub16HIPCUB_304000_NS21CountingInputIteratorIllEEPS6_NSA_22TransformInputIteratorIbN2at6native12_GLOBAL__N_19NonZeroOpIN3c104HalfEEEPKSK_lEENS0_5tupleIJPlS6_EEENSP_IJSD_SD_EEES6_PiJS6_EEE10hipError_tPvRmT3_T4_T5_T6_T7_T9_mT8_P12ihipStream_tbDpT10_ENKUlT_T0_E_clISt17integral_constantIbLb0EES1D_EEDaS18_S19_EUlS18_E_NS1_11comp_targetILNS1_3genE4ELNS1_11target_archE910ELNS1_3gpuE8ELNS1_3repE0EEENS1_30default_config_static_selectorELNS0_4arch9wavefront6targetE0EEEvT1_,"axG",@progbits,_ZN7rocprim17ROCPRIM_400000_NS6detail17trampoline_kernelINS0_14default_configENS1_25partition_config_selectorILNS1_17partition_subalgoE5ElNS0_10empty_typeEbEEZZNS1_14partition_implILS5_5ELb0ES3_mN6hipcub16HIPCUB_304000_NS21CountingInputIteratorIllEEPS6_NSA_22TransformInputIteratorIbN2at6native12_GLOBAL__N_19NonZeroOpIN3c104HalfEEEPKSK_lEENS0_5tupleIJPlS6_EEENSP_IJSD_SD_EEES6_PiJS6_EEE10hipError_tPvRmT3_T4_T5_T6_T7_T9_mT8_P12ihipStream_tbDpT10_ENKUlT_T0_E_clISt17integral_constantIbLb0EES1D_EEDaS18_S19_EUlS18_E_NS1_11comp_targetILNS1_3genE4ELNS1_11target_archE910ELNS1_3gpuE8ELNS1_3repE0EEENS1_30default_config_static_selectorELNS0_4arch9wavefront6targetE0EEEvT1_,comdat
	.globl	_ZN7rocprim17ROCPRIM_400000_NS6detail17trampoline_kernelINS0_14default_configENS1_25partition_config_selectorILNS1_17partition_subalgoE5ElNS0_10empty_typeEbEEZZNS1_14partition_implILS5_5ELb0ES3_mN6hipcub16HIPCUB_304000_NS21CountingInputIteratorIllEEPS6_NSA_22TransformInputIteratorIbN2at6native12_GLOBAL__N_19NonZeroOpIN3c104HalfEEEPKSK_lEENS0_5tupleIJPlS6_EEENSP_IJSD_SD_EEES6_PiJS6_EEE10hipError_tPvRmT3_T4_T5_T6_T7_T9_mT8_P12ihipStream_tbDpT10_ENKUlT_T0_E_clISt17integral_constantIbLb0EES1D_EEDaS18_S19_EUlS18_E_NS1_11comp_targetILNS1_3genE4ELNS1_11target_archE910ELNS1_3gpuE8ELNS1_3repE0EEENS1_30default_config_static_selectorELNS0_4arch9wavefront6targetE0EEEvT1_ ; -- Begin function _ZN7rocprim17ROCPRIM_400000_NS6detail17trampoline_kernelINS0_14default_configENS1_25partition_config_selectorILNS1_17partition_subalgoE5ElNS0_10empty_typeEbEEZZNS1_14partition_implILS5_5ELb0ES3_mN6hipcub16HIPCUB_304000_NS21CountingInputIteratorIllEEPS6_NSA_22TransformInputIteratorIbN2at6native12_GLOBAL__N_19NonZeroOpIN3c104HalfEEEPKSK_lEENS0_5tupleIJPlS6_EEENSP_IJSD_SD_EEES6_PiJS6_EEE10hipError_tPvRmT3_T4_T5_T6_T7_T9_mT8_P12ihipStream_tbDpT10_ENKUlT_T0_E_clISt17integral_constantIbLb0EES1D_EEDaS18_S19_EUlS18_E_NS1_11comp_targetILNS1_3genE4ELNS1_11target_archE910ELNS1_3gpuE8ELNS1_3repE0EEENS1_30default_config_static_selectorELNS0_4arch9wavefront6targetE0EEEvT1_
	.p2align	8
	.type	_ZN7rocprim17ROCPRIM_400000_NS6detail17trampoline_kernelINS0_14default_configENS1_25partition_config_selectorILNS1_17partition_subalgoE5ElNS0_10empty_typeEbEEZZNS1_14partition_implILS5_5ELb0ES3_mN6hipcub16HIPCUB_304000_NS21CountingInputIteratorIllEEPS6_NSA_22TransformInputIteratorIbN2at6native12_GLOBAL__N_19NonZeroOpIN3c104HalfEEEPKSK_lEENS0_5tupleIJPlS6_EEENSP_IJSD_SD_EEES6_PiJS6_EEE10hipError_tPvRmT3_T4_T5_T6_T7_T9_mT8_P12ihipStream_tbDpT10_ENKUlT_T0_E_clISt17integral_constantIbLb0EES1D_EEDaS18_S19_EUlS18_E_NS1_11comp_targetILNS1_3genE4ELNS1_11target_archE910ELNS1_3gpuE8ELNS1_3repE0EEENS1_30default_config_static_selectorELNS0_4arch9wavefront6targetE0EEEvT1_,@function
_ZN7rocprim17ROCPRIM_400000_NS6detail17trampoline_kernelINS0_14default_configENS1_25partition_config_selectorILNS1_17partition_subalgoE5ElNS0_10empty_typeEbEEZZNS1_14partition_implILS5_5ELb0ES3_mN6hipcub16HIPCUB_304000_NS21CountingInputIteratorIllEEPS6_NSA_22TransformInputIteratorIbN2at6native12_GLOBAL__N_19NonZeroOpIN3c104HalfEEEPKSK_lEENS0_5tupleIJPlS6_EEENSP_IJSD_SD_EEES6_PiJS6_EEE10hipError_tPvRmT3_T4_T5_T6_T7_T9_mT8_P12ihipStream_tbDpT10_ENKUlT_T0_E_clISt17integral_constantIbLb0EES1D_EEDaS18_S19_EUlS18_E_NS1_11comp_targetILNS1_3genE4ELNS1_11target_archE910ELNS1_3gpuE8ELNS1_3repE0EEENS1_30default_config_static_selectorELNS0_4arch9wavefront6targetE0EEEvT1_: ; @_ZN7rocprim17ROCPRIM_400000_NS6detail17trampoline_kernelINS0_14default_configENS1_25partition_config_selectorILNS1_17partition_subalgoE5ElNS0_10empty_typeEbEEZZNS1_14partition_implILS5_5ELb0ES3_mN6hipcub16HIPCUB_304000_NS21CountingInputIteratorIllEEPS6_NSA_22TransformInputIteratorIbN2at6native12_GLOBAL__N_19NonZeroOpIN3c104HalfEEEPKSK_lEENS0_5tupleIJPlS6_EEENSP_IJSD_SD_EEES6_PiJS6_EEE10hipError_tPvRmT3_T4_T5_T6_T7_T9_mT8_P12ihipStream_tbDpT10_ENKUlT_T0_E_clISt17integral_constantIbLb0EES1D_EEDaS18_S19_EUlS18_E_NS1_11comp_targetILNS1_3genE4ELNS1_11target_archE910ELNS1_3gpuE8ELNS1_3repE0EEENS1_30default_config_static_selectorELNS0_4arch9wavefront6targetE0EEEvT1_
; %bb.0:
	.section	.rodata,"a",@progbits
	.p2align	6, 0x0
	.amdhsa_kernel _ZN7rocprim17ROCPRIM_400000_NS6detail17trampoline_kernelINS0_14default_configENS1_25partition_config_selectorILNS1_17partition_subalgoE5ElNS0_10empty_typeEbEEZZNS1_14partition_implILS5_5ELb0ES3_mN6hipcub16HIPCUB_304000_NS21CountingInputIteratorIllEEPS6_NSA_22TransformInputIteratorIbN2at6native12_GLOBAL__N_19NonZeroOpIN3c104HalfEEEPKSK_lEENS0_5tupleIJPlS6_EEENSP_IJSD_SD_EEES6_PiJS6_EEE10hipError_tPvRmT3_T4_T5_T6_T7_T9_mT8_P12ihipStream_tbDpT10_ENKUlT_T0_E_clISt17integral_constantIbLb0EES1D_EEDaS18_S19_EUlS18_E_NS1_11comp_targetILNS1_3genE4ELNS1_11target_archE910ELNS1_3gpuE8ELNS1_3repE0EEENS1_30default_config_static_selectorELNS0_4arch9wavefront6targetE0EEEvT1_
		.amdhsa_group_segment_fixed_size 0
		.amdhsa_private_segment_fixed_size 0
		.amdhsa_kernarg_size 120
		.amdhsa_user_sgpr_count 15
		.amdhsa_user_sgpr_dispatch_ptr 0
		.amdhsa_user_sgpr_queue_ptr 0
		.amdhsa_user_sgpr_kernarg_segment_ptr 1
		.amdhsa_user_sgpr_dispatch_id 0
		.amdhsa_user_sgpr_private_segment_size 0
		.amdhsa_wavefront_size32 1
		.amdhsa_uses_dynamic_stack 0
		.amdhsa_enable_private_segment 0
		.amdhsa_system_sgpr_workgroup_id_x 1
		.amdhsa_system_sgpr_workgroup_id_y 0
		.amdhsa_system_sgpr_workgroup_id_z 0
		.amdhsa_system_sgpr_workgroup_info 0
		.amdhsa_system_vgpr_workitem_id 0
		.amdhsa_next_free_vgpr 1
		.amdhsa_next_free_sgpr 1
		.amdhsa_reserve_vcc 0
		.amdhsa_float_round_mode_32 0
		.amdhsa_float_round_mode_16_64 0
		.amdhsa_float_denorm_mode_32 3
		.amdhsa_float_denorm_mode_16_64 3
		.amdhsa_dx10_clamp 1
		.amdhsa_ieee_mode 1
		.amdhsa_fp16_overflow 0
		.amdhsa_workgroup_processor_mode 1
		.amdhsa_memory_ordered 1
		.amdhsa_forward_progress 0
		.amdhsa_shared_vgpr_count 0
		.amdhsa_exception_fp_ieee_invalid_op 0
		.amdhsa_exception_fp_denorm_src 0
		.amdhsa_exception_fp_ieee_div_zero 0
		.amdhsa_exception_fp_ieee_overflow 0
		.amdhsa_exception_fp_ieee_underflow 0
		.amdhsa_exception_fp_ieee_inexact 0
		.amdhsa_exception_int_div_zero 0
	.end_amdhsa_kernel
	.section	.text._ZN7rocprim17ROCPRIM_400000_NS6detail17trampoline_kernelINS0_14default_configENS1_25partition_config_selectorILNS1_17partition_subalgoE5ElNS0_10empty_typeEbEEZZNS1_14partition_implILS5_5ELb0ES3_mN6hipcub16HIPCUB_304000_NS21CountingInputIteratorIllEEPS6_NSA_22TransformInputIteratorIbN2at6native12_GLOBAL__N_19NonZeroOpIN3c104HalfEEEPKSK_lEENS0_5tupleIJPlS6_EEENSP_IJSD_SD_EEES6_PiJS6_EEE10hipError_tPvRmT3_T4_T5_T6_T7_T9_mT8_P12ihipStream_tbDpT10_ENKUlT_T0_E_clISt17integral_constantIbLb0EES1D_EEDaS18_S19_EUlS18_E_NS1_11comp_targetILNS1_3genE4ELNS1_11target_archE910ELNS1_3gpuE8ELNS1_3repE0EEENS1_30default_config_static_selectorELNS0_4arch9wavefront6targetE0EEEvT1_,"axG",@progbits,_ZN7rocprim17ROCPRIM_400000_NS6detail17trampoline_kernelINS0_14default_configENS1_25partition_config_selectorILNS1_17partition_subalgoE5ElNS0_10empty_typeEbEEZZNS1_14partition_implILS5_5ELb0ES3_mN6hipcub16HIPCUB_304000_NS21CountingInputIteratorIllEEPS6_NSA_22TransformInputIteratorIbN2at6native12_GLOBAL__N_19NonZeroOpIN3c104HalfEEEPKSK_lEENS0_5tupleIJPlS6_EEENSP_IJSD_SD_EEES6_PiJS6_EEE10hipError_tPvRmT3_T4_T5_T6_T7_T9_mT8_P12ihipStream_tbDpT10_ENKUlT_T0_E_clISt17integral_constantIbLb0EES1D_EEDaS18_S19_EUlS18_E_NS1_11comp_targetILNS1_3genE4ELNS1_11target_archE910ELNS1_3gpuE8ELNS1_3repE0EEENS1_30default_config_static_selectorELNS0_4arch9wavefront6targetE0EEEvT1_,comdat
.Lfunc_end868:
	.size	_ZN7rocprim17ROCPRIM_400000_NS6detail17trampoline_kernelINS0_14default_configENS1_25partition_config_selectorILNS1_17partition_subalgoE5ElNS0_10empty_typeEbEEZZNS1_14partition_implILS5_5ELb0ES3_mN6hipcub16HIPCUB_304000_NS21CountingInputIteratorIllEEPS6_NSA_22TransformInputIteratorIbN2at6native12_GLOBAL__N_19NonZeroOpIN3c104HalfEEEPKSK_lEENS0_5tupleIJPlS6_EEENSP_IJSD_SD_EEES6_PiJS6_EEE10hipError_tPvRmT3_T4_T5_T6_T7_T9_mT8_P12ihipStream_tbDpT10_ENKUlT_T0_E_clISt17integral_constantIbLb0EES1D_EEDaS18_S19_EUlS18_E_NS1_11comp_targetILNS1_3genE4ELNS1_11target_archE910ELNS1_3gpuE8ELNS1_3repE0EEENS1_30default_config_static_selectorELNS0_4arch9wavefront6targetE0EEEvT1_, .Lfunc_end868-_ZN7rocprim17ROCPRIM_400000_NS6detail17trampoline_kernelINS0_14default_configENS1_25partition_config_selectorILNS1_17partition_subalgoE5ElNS0_10empty_typeEbEEZZNS1_14partition_implILS5_5ELb0ES3_mN6hipcub16HIPCUB_304000_NS21CountingInputIteratorIllEEPS6_NSA_22TransformInputIteratorIbN2at6native12_GLOBAL__N_19NonZeroOpIN3c104HalfEEEPKSK_lEENS0_5tupleIJPlS6_EEENSP_IJSD_SD_EEES6_PiJS6_EEE10hipError_tPvRmT3_T4_T5_T6_T7_T9_mT8_P12ihipStream_tbDpT10_ENKUlT_T0_E_clISt17integral_constantIbLb0EES1D_EEDaS18_S19_EUlS18_E_NS1_11comp_targetILNS1_3genE4ELNS1_11target_archE910ELNS1_3gpuE8ELNS1_3repE0EEENS1_30default_config_static_selectorELNS0_4arch9wavefront6targetE0EEEvT1_
                                        ; -- End function
	.section	.AMDGPU.csdata,"",@progbits
; Kernel info:
; codeLenInByte = 0
; NumSgprs: 0
; NumVgprs: 0
; ScratchSize: 0
; MemoryBound: 0
; FloatMode: 240
; IeeeMode: 1
; LDSByteSize: 0 bytes/workgroup (compile time only)
; SGPRBlocks: 0
; VGPRBlocks: 0
; NumSGPRsForWavesPerEU: 1
; NumVGPRsForWavesPerEU: 1
; Occupancy: 15
; WaveLimiterHint : 0
; COMPUTE_PGM_RSRC2:SCRATCH_EN: 0
; COMPUTE_PGM_RSRC2:USER_SGPR: 15
; COMPUTE_PGM_RSRC2:TRAP_HANDLER: 0
; COMPUTE_PGM_RSRC2:TGID_X_EN: 1
; COMPUTE_PGM_RSRC2:TGID_Y_EN: 0
; COMPUTE_PGM_RSRC2:TGID_Z_EN: 0
; COMPUTE_PGM_RSRC2:TIDIG_COMP_CNT: 0
	.section	.text._ZN7rocprim17ROCPRIM_400000_NS6detail17trampoline_kernelINS0_14default_configENS1_25partition_config_selectorILNS1_17partition_subalgoE5ElNS0_10empty_typeEbEEZZNS1_14partition_implILS5_5ELb0ES3_mN6hipcub16HIPCUB_304000_NS21CountingInputIteratorIllEEPS6_NSA_22TransformInputIteratorIbN2at6native12_GLOBAL__N_19NonZeroOpIN3c104HalfEEEPKSK_lEENS0_5tupleIJPlS6_EEENSP_IJSD_SD_EEES6_PiJS6_EEE10hipError_tPvRmT3_T4_T5_T6_T7_T9_mT8_P12ihipStream_tbDpT10_ENKUlT_T0_E_clISt17integral_constantIbLb0EES1D_EEDaS18_S19_EUlS18_E_NS1_11comp_targetILNS1_3genE3ELNS1_11target_archE908ELNS1_3gpuE7ELNS1_3repE0EEENS1_30default_config_static_selectorELNS0_4arch9wavefront6targetE0EEEvT1_,"axG",@progbits,_ZN7rocprim17ROCPRIM_400000_NS6detail17trampoline_kernelINS0_14default_configENS1_25partition_config_selectorILNS1_17partition_subalgoE5ElNS0_10empty_typeEbEEZZNS1_14partition_implILS5_5ELb0ES3_mN6hipcub16HIPCUB_304000_NS21CountingInputIteratorIllEEPS6_NSA_22TransformInputIteratorIbN2at6native12_GLOBAL__N_19NonZeroOpIN3c104HalfEEEPKSK_lEENS0_5tupleIJPlS6_EEENSP_IJSD_SD_EEES6_PiJS6_EEE10hipError_tPvRmT3_T4_T5_T6_T7_T9_mT8_P12ihipStream_tbDpT10_ENKUlT_T0_E_clISt17integral_constantIbLb0EES1D_EEDaS18_S19_EUlS18_E_NS1_11comp_targetILNS1_3genE3ELNS1_11target_archE908ELNS1_3gpuE7ELNS1_3repE0EEENS1_30default_config_static_selectorELNS0_4arch9wavefront6targetE0EEEvT1_,comdat
	.globl	_ZN7rocprim17ROCPRIM_400000_NS6detail17trampoline_kernelINS0_14default_configENS1_25partition_config_selectorILNS1_17partition_subalgoE5ElNS0_10empty_typeEbEEZZNS1_14partition_implILS5_5ELb0ES3_mN6hipcub16HIPCUB_304000_NS21CountingInputIteratorIllEEPS6_NSA_22TransformInputIteratorIbN2at6native12_GLOBAL__N_19NonZeroOpIN3c104HalfEEEPKSK_lEENS0_5tupleIJPlS6_EEENSP_IJSD_SD_EEES6_PiJS6_EEE10hipError_tPvRmT3_T4_T5_T6_T7_T9_mT8_P12ihipStream_tbDpT10_ENKUlT_T0_E_clISt17integral_constantIbLb0EES1D_EEDaS18_S19_EUlS18_E_NS1_11comp_targetILNS1_3genE3ELNS1_11target_archE908ELNS1_3gpuE7ELNS1_3repE0EEENS1_30default_config_static_selectorELNS0_4arch9wavefront6targetE0EEEvT1_ ; -- Begin function _ZN7rocprim17ROCPRIM_400000_NS6detail17trampoline_kernelINS0_14default_configENS1_25partition_config_selectorILNS1_17partition_subalgoE5ElNS0_10empty_typeEbEEZZNS1_14partition_implILS5_5ELb0ES3_mN6hipcub16HIPCUB_304000_NS21CountingInputIteratorIllEEPS6_NSA_22TransformInputIteratorIbN2at6native12_GLOBAL__N_19NonZeroOpIN3c104HalfEEEPKSK_lEENS0_5tupleIJPlS6_EEENSP_IJSD_SD_EEES6_PiJS6_EEE10hipError_tPvRmT3_T4_T5_T6_T7_T9_mT8_P12ihipStream_tbDpT10_ENKUlT_T0_E_clISt17integral_constantIbLb0EES1D_EEDaS18_S19_EUlS18_E_NS1_11comp_targetILNS1_3genE3ELNS1_11target_archE908ELNS1_3gpuE7ELNS1_3repE0EEENS1_30default_config_static_selectorELNS0_4arch9wavefront6targetE0EEEvT1_
	.p2align	8
	.type	_ZN7rocprim17ROCPRIM_400000_NS6detail17trampoline_kernelINS0_14default_configENS1_25partition_config_selectorILNS1_17partition_subalgoE5ElNS0_10empty_typeEbEEZZNS1_14partition_implILS5_5ELb0ES3_mN6hipcub16HIPCUB_304000_NS21CountingInputIteratorIllEEPS6_NSA_22TransformInputIteratorIbN2at6native12_GLOBAL__N_19NonZeroOpIN3c104HalfEEEPKSK_lEENS0_5tupleIJPlS6_EEENSP_IJSD_SD_EEES6_PiJS6_EEE10hipError_tPvRmT3_T4_T5_T6_T7_T9_mT8_P12ihipStream_tbDpT10_ENKUlT_T0_E_clISt17integral_constantIbLb0EES1D_EEDaS18_S19_EUlS18_E_NS1_11comp_targetILNS1_3genE3ELNS1_11target_archE908ELNS1_3gpuE7ELNS1_3repE0EEENS1_30default_config_static_selectorELNS0_4arch9wavefront6targetE0EEEvT1_,@function
_ZN7rocprim17ROCPRIM_400000_NS6detail17trampoline_kernelINS0_14default_configENS1_25partition_config_selectorILNS1_17partition_subalgoE5ElNS0_10empty_typeEbEEZZNS1_14partition_implILS5_5ELb0ES3_mN6hipcub16HIPCUB_304000_NS21CountingInputIteratorIllEEPS6_NSA_22TransformInputIteratorIbN2at6native12_GLOBAL__N_19NonZeroOpIN3c104HalfEEEPKSK_lEENS0_5tupleIJPlS6_EEENSP_IJSD_SD_EEES6_PiJS6_EEE10hipError_tPvRmT3_T4_T5_T6_T7_T9_mT8_P12ihipStream_tbDpT10_ENKUlT_T0_E_clISt17integral_constantIbLb0EES1D_EEDaS18_S19_EUlS18_E_NS1_11comp_targetILNS1_3genE3ELNS1_11target_archE908ELNS1_3gpuE7ELNS1_3repE0EEENS1_30default_config_static_selectorELNS0_4arch9wavefront6targetE0EEEvT1_: ; @_ZN7rocprim17ROCPRIM_400000_NS6detail17trampoline_kernelINS0_14default_configENS1_25partition_config_selectorILNS1_17partition_subalgoE5ElNS0_10empty_typeEbEEZZNS1_14partition_implILS5_5ELb0ES3_mN6hipcub16HIPCUB_304000_NS21CountingInputIteratorIllEEPS6_NSA_22TransformInputIteratorIbN2at6native12_GLOBAL__N_19NonZeroOpIN3c104HalfEEEPKSK_lEENS0_5tupleIJPlS6_EEENSP_IJSD_SD_EEES6_PiJS6_EEE10hipError_tPvRmT3_T4_T5_T6_T7_T9_mT8_P12ihipStream_tbDpT10_ENKUlT_T0_E_clISt17integral_constantIbLb0EES1D_EEDaS18_S19_EUlS18_E_NS1_11comp_targetILNS1_3genE3ELNS1_11target_archE908ELNS1_3gpuE7ELNS1_3repE0EEENS1_30default_config_static_selectorELNS0_4arch9wavefront6targetE0EEEvT1_
; %bb.0:
	.section	.rodata,"a",@progbits
	.p2align	6, 0x0
	.amdhsa_kernel _ZN7rocprim17ROCPRIM_400000_NS6detail17trampoline_kernelINS0_14default_configENS1_25partition_config_selectorILNS1_17partition_subalgoE5ElNS0_10empty_typeEbEEZZNS1_14partition_implILS5_5ELb0ES3_mN6hipcub16HIPCUB_304000_NS21CountingInputIteratorIllEEPS6_NSA_22TransformInputIteratorIbN2at6native12_GLOBAL__N_19NonZeroOpIN3c104HalfEEEPKSK_lEENS0_5tupleIJPlS6_EEENSP_IJSD_SD_EEES6_PiJS6_EEE10hipError_tPvRmT3_T4_T5_T6_T7_T9_mT8_P12ihipStream_tbDpT10_ENKUlT_T0_E_clISt17integral_constantIbLb0EES1D_EEDaS18_S19_EUlS18_E_NS1_11comp_targetILNS1_3genE3ELNS1_11target_archE908ELNS1_3gpuE7ELNS1_3repE0EEENS1_30default_config_static_selectorELNS0_4arch9wavefront6targetE0EEEvT1_
		.amdhsa_group_segment_fixed_size 0
		.amdhsa_private_segment_fixed_size 0
		.amdhsa_kernarg_size 120
		.amdhsa_user_sgpr_count 15
		.amdhsa_user_sgpr_dispatch_ptr 0
		.amdhsa_user_sgpr_queue_ptr 0
		.amdhsa_user_sgpr_kernarg_segment_ptr 1
		.amdhsa_user_sgpr_dispatch_id 0
		.amdhsa_user_sgpr_private_segment_size 0
		.amdhsa_wavefront_size32 1
		.amdhsa_uses_dynamic_stack 0
		.amdhsa_enable_private_segment 0
		.amdhsa_system_sgpr_workgroup_id_x 1
		.amdhsa_system_sgpr_workgroup_id_y 0
		.amdhsa_system_sgpr_workgroup_id_z 0
		.amdhsa_system_sgpr_workgroup_info 0
		.amdhsa_system_vgpr_workitem_id 0
		.amdhsa_next_free_vgpr 1
		.amdhsa_next_free_sgpr 1
		.amdhsa_reserve_vcc 0
		.amdhsa_float_round_mode_32 0
		.amdhsa_float_round_mode_16_64 0
		.amdhsa_float_denorm_mode_32 3
		.amdhsa_float_denorm_mode_16_64 3
		.amdhsa_dx10_clamp 1
		.amdhsa_ieee_mode 1
		.amdhsa_fp16_overflow 0
		.amdhsa_workgroup_processor_mode 1
		.amdhsa_memory_ordered 1
		.amdhsa_forward_progress 0
		.amdhsa_shared_vgpr_count 0
		.amdhsa_exception_fp_ieee_invalid_op 0
		.amdhsa_exception_fp_denorm_src 0
		.amdhsa_exception_fp_ieee_div_zero 0
		.amdhsa_exception_fp_ieee_overflow 0
		.amdhsa_exception_fp_ieee_underflow 0
		.amdhsa_exception_fp_ieee_inexact 0
		.amdhsa_exception_int_div_zero 0
	.end_amdhsa_kernel
	.section	.text._ZN7rocprim17ROCPRIM_400000_NS6detail17trampoline_kernelINS0_14default_configENS1_25partition_config_selectorILNS1_17partition_subalgoE5ElNS0_10empty_typeEbEEZZNS1_14partition_implILS5_5ELb0ES3_mN6hipcub16HIPCUB_304000_NS21CountingInputIteratorIllEEPS6_NSA_22TransformInputIteratorIbN2at6native12_GLOBAL__N_19NonZeroOpIN3c104HalfEEEPKSK_lEENS0_5tupleIJPlS6_EEENSP_IJSD_SD_EEES6_PiJS6_EEE10hipError_tPvRmT3_T4_T5_T6_T7_T9_mT8_P12ihipStream_tbDpT10_ENKUlT_T0_E_clISt17integral_constantIbLb0EES1D_EEDaS18_S19_EUlS18_E_NS1_11comp_targetILNS1_3genE3ELNS1_11target_archE908ELNS1_3gpuE7ELNS1_3repE0EEENS1_30default_config_static_selectorELNS0_4arch9wavefront6targetE0EEEvT1_,"axG",@progbits,_ZN7rocprim17ROCPRIM_400000_NS6detail17trampoline_kernelINS0_14default_configENS1_25partition_config_selectorILNS1_17partition_subalgoE5ElNS0_10empty_typeEbEEZZNS1_14partition_implILS5_5ELb0ES3_mN6hipcub16HIPCUB_304000_NS21CountingInputIteratorIllEEPS6_NSA_22TransformInputIteratorIbN2at6native12_GLOBAL__N_19NonZeroOpIN3c104HalfEEEPKSK_lEENS0_5tupleIJPlS6_EEENSP_IJSD_SD_EEES6_PiJS6_EEE10hipError_tPvRmT3_T4_T5_T6_T7_T9_mT8_P12ihipStream_tbDpT10_ENKUlT_T0_E_clISt17integral_constantIbLb0EES1D_EEDaS18_S19_EUlS18_E_NS1_11comp_targetILNS1_3genE3ELNS1_11target_archE908ELNS1_3gpuE7ELNS1_3repE0EEENS1_30default_config_static_selectorELNS0_4arch9wavefront6targetE0EEEvT1_,comdat
.Lfunc_end869:
	.size	_ZN7rocprim17ROCPRIM_400000_NS6detail17trampoline_kernelINS0_14default_configENS1_25partition_config_selectorILNS1_17partition_subalgoE5ElNS0_10empty_typeEbEEZZNS1_14partition_implILS5_5ELb0ES3_mN6hipcub16HIPCUB_304000_NS21CountingInputIteratorIllEEPS6_NSA_22TransformInputIteratorIbN2at6native12_GLOBAL__N_19NonZeroOpIN3c104HalfEEEPKSK_lEENS0_5tupleIJPlS6_EEENSP_IJSD_SD_EEES6_PiJS6_EEE10hipError_tPvRmT3_T4_T5_T6_T7_T9_mT8_P12ihipStream_tbDpT10_ENKUlT_T0_E_clISt17integral_constantIbLb0EES1D_EEDaS18_S19_EUlS18_E_NS1_11comp_targetILNS1_3genE3ELNS1_11target_archE908ELNS1_3gpuE7ELNS1_3repE0EEENS1_30default_config_static_selectorELNS0_4arch9wavefront6targetE0EEEvT1_, .Lfunc_end869-_ZN7rocprim17ROCPRIM_400000_NS6detail17trampoline_kernelINS0_14default_configENS1_25partition_config_selectorILNS1_17partition_subalgoE5ElNS0_10empty_typeEbEEZZNS1_14partition_implILS5_5ELb0ES3_mN6hipcub16HIPCUB_304000_NS21CountingInputIteratorIllEEPS6_NSA_22TransformInputIteratorIbN2at6native12_GLOBAL__N_19NonZeroOpIN3c104HalfEEEPKSK_lEENS0_5tupleIJPlS6_EEENSP_IJSD_SD_EEES6_PiJS6_EEE10hipError_tPvRmT3_T4_T5_T6_T7_T9_mT8_P12ihipStream_tbDpT10_ENKUlT_T0_E_clISt17integral_constantIbLb0EES1D_EEDaS18_S19_EUlS18_E_NS1_11comp_targetILNS1_3genE3ELNS1_11target_archE908ELNS1_3gpuE7ELNS1_3repE0EEENS1_30default_config_static_selectorELNS0_4arch9wavefront6targetE0EEEvT1_
                                        ; -- End function
	.section	.AMDGPU.csdata,"",@progbits
; Kernel info:
; codeLenInByte = 0
; NumSgprs: 0
; NumVgprs: 0
; ScratchSize: 0
; MemoryBound: 0
; FloatMode: 240
; IeeeMode: 1
; LDSByteSize: 0 bytes/workgroup (compile time only)
; SGPRBlocks: 0
; VGPRBlocks: 0
; NumSGPRsForWavesPerEU: 1
; NumVGPRsForWavesPerEU: 1
; Occupancy: 16
; WaveLimiterHint : 0
; COMPUTE_PGM_RSRC2:SCRATCH_EN: 0
; COMPUTE_PGM_RSRC2:USER_SGPR: 15
; COMPUTE_PGM_RSRC2:TRAP_HANDLER: 0
; COMPUTE_PGM_RSRC2:TGID_X_EN: 1
; COMPUTE_PGM_RSRC2:TGID_Y_EN: 0
; COMPUTE_PGM_RSRC2:TGID_Z_EN: 0
; COMPUTE_PGM_RSRC2:TIDIG_COMP_CNT: 0
	.section	.text._ZN7rocprim17ROCPRIM_400000_NS6detail17trampoline_kernelINS0_14default_configENS1_25partition_config_selectorILNS1_17partition_subalgoE5ElNS0_10empty_typeEbEEZZNS1_14partition_implILS5_5ELb0ES3_mN6hipcub16HIPCUB_304000_NS21CountingInputIteratorIllEEPS6_NSA_22TransformInputIteratorIbN2at6native12_GLOBAL__N_19NonZeroOpIN3c104HalfEEEPKSK_lEENS0_5tupleIJPlS6_EEENSP_IJSD_SD_EEES6_PiJS6_EEE10hipError_tPvRmT3_T4_T5_T6_T7_T9_mT8_P12ihipStream_tbDpT10_ENKUlT_T0_E_clISt17integral_constantIbLb0EES1D_EEDaS18_S19_EUlS18_E_NS1_11comp_targetILNS1_3genE2ELNS1_11target_archE906ELNS1_3gpuE6ELNS1_3repE0EEENS1_30default_config_static_selectorELNS0_4arch9wavefront6targetE0EEEvT1_,"axG",@progbits,_ZN7rocprim17ROCPRIM_400000_NS6detail17trampoline_kernelINS0_14default_configENS1_25partition_config_selectorILNS1_17partition_subalgoE5ElNS0_10empty_typeEbEEZZNS1_14partition_implILS5_5ELb0ES3_mN6hipcub16HIPCUB_304000_NS21CountingInputIteratorIllEEPS6_NSA_22TransformInputIteratorIbN2at6native12_GLOBAL__N_19NonZeroOpIN3c104HalfEEEPKSK_lEENS0_5tupleIJPlS6_EEENSP_IJSD_SD_EEES6_PiJS6_EEE10hipError_tPvRmT3_T4_T5_T6_T7_T9_mT8_P12ihipStream_tbDpT10_ENKUlT_T0_E_clISt17integral_constantIbLb0EES1D_EEDaS18_S19_EUlS18_E_NS1_11comp_targetILNS1_3genE2ELNS1_11target_archE906ELNS1_3gpuE6ELNS1_3repE0EEENS1_30default_config_static_selectorELNS0_4arch9wavefront6targetE0EEEvT1_,comdat
	.globl	_ZN7rocprim17ROCPRIM_400000_NS6detail17trampoline_kernelINS0_14default_configENS1_25partition_config_selectorILNS1_17partition_subalgoE5ElNS0_10empty_typeEbEEZZNS1_14partition_implILS5_5ELb0ES3_mN6hipcub16HIPCUB_304000_NS21CountingInputIteratorIllEEPS6_NSA_22TransformInputIteratorIbN2at6native12_GLOBAL__N_19NonZeroOpIN3c104HalfEEEPKSK_lEENS0_5tupleIJPlS6_EEENSP_IJSD_SD_EEES6_PiJS6_EEE10hipError_tPvRmT3_T4_T5_T6_T7_T9_mT8_P12ihipStream_tbDpT10_ENKUlT_T0_E_clISt17integral_constantIbLb0EES1D_EEDaS18_S19_EUlS18_E_NS1_11comp_targetILNS1_3genE2ELNS1_11target_archE906ELNS1_3gpuE6ELNS1_3repE0EEENS1_30default_config_static_selectorELNS0_4arch9wavefront6targetE0EEEvT1_ ; -- Begin function _ZN7rocprim17ROCPRIM_400000_NS6detail17trampoline_kernelINS0_14default_configENS1_25partition_config_selectorILNS1_17partition_subalgoE5ElNS0_10empty_typeEbEEZZNS1_14partition_implILS5_5ELb0ES3_mN6hipcub16HIPCUB_304000_NS21CountingInputIteratorIllEEPS6_NSA_22TransformInputIteratorIbN2at6native12_GLOBAL__N_19NonZeroOpIN3c104HalfEEEPKSK_lEENS0_5tupleIJPlS6_EEENSP_IJSD_SD_EEES6_PiJS6_EEE10hipError_tPvRmT3_T4_T5_T6_T7_T9_mT8_P12ihipStream_tbDpT10_ENKUlT_T0_E_clISt17integral_constantIbLb0EES1D_EEDaS18_S19_EUlS18_E_NS1_11comp_targetILNS1_3genE2ELNS1_11target_archE906ELNS1_3gpuE6ELNS1_3repE0EEENS1_30default_config_static_selectorELNS0_4arch9wavefront6targetE0EEEvT1_
	.p2align	8
	.type	_ZN7rocprim17ROCPRIM_400000_NS6detail17trampoline_kernelINS0_14default_configENS1_25partition_config_selectorILNS1_17partition_subalgoE5ElNS0_10empty_typeEbEEZZNS1_14partition_implILS5_5ELb0ES3_mN6hipcub16HIPCUB_304000_NS21CountingInputIteratorIllEEPS6_NSA_22TransformInputIteratorIbN2at6native12_GLOBAL__N_19NonZeroOpIN3c104HalfEEEPKSK_lEENS0_5tupleIJPlS6_EEENSP_IJSD_SD_EEES6_PiJS6_EEE10hipError_tPvRmT3_T4_T5_T6_T7_T9_mT8_P12ihipStream_tbDpT10_ENKUlT_T0_E_clISt17integral_constantIbLb0EES1D_EEDaS18_S19_EUlS18_E_NS1_11comp_targetILNS1_3genE2ELNS1_11target_archE906ELNS1_3gpuE6ELNS1_3repE0EEENS1_30default_config_static_selectorELNS0_4arch9wavefront6targetE0EEEvT1_,@function
_ZN7rocprim17ROCPRIM_400000_NS6detail17trampoline_kernelINS0_14default_configENS1_25partition_config_selectorILNS1_17partition_subalgoE5ElNS0_10empty_typeEbEEZZNS1_14partition_implILS5_5ELb0ES3_mN6hipcub16HIPCUB_304000_NS21CountingInputIteratorIllEEPS6_NSA_22TransformInputIteratorIbN2at6native12_GLOBAL__N_19NonZeroOpIN3c104HalfEEEPKSK_lEENS0_5tupleIJPlS6_EEENSP_IJSD_SD_EEES6_PiJS6_EEE10hipError_tPvRmT3_T4_T5_T6_T7_T9_mT8_P12ihipStream_tbDpT10_ENKUlT_T0_E_clISt17integral_constantIbLb0EES1D_EEDaS18_S19_EUlS18_E_NS1_11comp_targetILNS1_3genE2ELNS1_11target_archE906ELNS1_3gpuE6ELNS1_3repE0EEENS1_30default_config_static_selectorELNS0_4arch9wavefront6targetE0EEEvT1_: ; @_ZN7rocprim17ROCPRIM_400000_NS6detail17trampoline_kernelINS0_14default_configENS1_25partition_config_selectorILNS1_17partition_subalgoE5ElNS0_10empty_typeEbEEZZNS1_14partition_implILS5_5ELb0ES3_mN6hipcub16HIPCUB_304000_NS21CountingInputIteratorIllEEPS6_NSA_22TransformInputIteratorIbN2at6native12_GLOBAL__N_19NonZeroOpIN3c104HalfEEEPKSK_lEENS0_5tupleIJPlS6_EEENSP_IJSD_SD_EEES6_PiJS6_EEE10hipError_tPvRmT3_T4_T5_T6_T7_T9_mT8_P12ihipStream_tbDpT10_ENKUlT_T0_E_clISt17integral_constantIbLb0EES1D_EEDaS18_S19_EUlS18_E_NS1_11comp_targetILNS1_3genE2ELNS1_11target_archE906ELNS1_3gpuE6ELNS1_3repE0EEENS1_30default_config_static_selectorELNS0_4arch9wavefront6targetE0EEEvT1_
; %bb.0:
	.section	.rodata,"a",@progbits
	.p2align	6, 0x0
	.amdhsa_kernel _ZN7rocprim17ROCPRIM_400000_NS6detail17trampoline_kernelINS0_14default_configENS1_25partition_config_selectorILNS1_17partition_subalgoE5ElNS0_10empty_typeEbEEZZNS1_14partition_implILS5_5ELb0ES3_mN6hipcub16HIPCUB_304000_NS21CountingInputIteratorIllEEPS6_NSA_22TransformInputIteratorIbN2at6native12_GLOBAL__N_19NonZeroOpIN3c104HalfEEEPKSK_lEENS0_5tupleIJPlS6_EEENSP_IJSD_SD_EEES6_PiJS6_EEE10hipError_tPvRmT3_T4_T5_T6_T7_T9_mT8_P12ihipStream_tbDpT10_ENKUlT_T0_E_clISt17integral_constantIbLb0EES1D_EEDaS18_S19_EUlS18_E_NS1_11comp_targetILNS1_3genE2ELNS1_11target_archE906ELNS1_3gpuE6ELNS1_3repE0EEENS1_30default_config_static_selectorELNS0_4arch9wavefront6targetE0EEEvT1_
		.amdhsa_group_segment_fixed_size 0
		.amdhsa_private_segment_fixed_size 0
		.amdhsa_kernarg_size 120
		.amdhsa_user_sgpr_count 15
		.amdhsa_user_sgpr_dispatch_ptr 0
		.amdhsa_user_sgpr_queue_ptr 0
		.amdhsa_user_sgpr_kernarg_segment_ptr 1
		.amdhsa_user_sgpr_dispatch_id 0
		.amdhsa_user_sgpr_private_segment_size 0
		.amdhsa_wavefront_size32 1
		.amdhsa_uses_dynamic_stack 0
		.amdhsa_enable_private_segment 0
		.amdhsa_system_sgpr_workgroup_id_x 1
		.amdhsa_system_sgpr_workgroup_id_y 0
		.amdhsa_system_sgpr_workgroup_id_z 0
		.amdhsa_system_sgpr_workgroup_info 0
		.amdhsa_system_vgpr_workitem_id 0
		.amdhsa_next_free_vgpr 1
		.amdhsa_next_free_sgpr 1
		.amdhsa_reserve_vcc 0
		.amdhsa_float_round_mode_32 0
		.amdhsa_float_round_mode_16_64 0
		.amdhsa_float_denorm_mode_32 3
		.amdhsa_float_denorm_mode_16_64 3
		.amdhsa_dx10_clamp 1
		.amdhsa_ieee_mode 1
		.amdhsa_fp16_overflow 0
		.amdhsa_workgroup_processor_mode 1
		.amdhsa_memory_ordered 1
		.amdhsa_forward_progress 0
		.amdhsa_shared_vgpr_count 0
		.amdhsa_exception_fp_ieee_invalid_op 0
		.amdhsa_exception_fp_denorm_src 0
		.amdhsa_exception_fp_ieee_div_zero 0
		.amdhsa_exception_fp_ieee_overflow 0
		.amdhsa_exception_fp_ieee_underflow 0
		.amdhsa_exception_fp_ieee_inexact 0
		.amdhsa_exception_int_div_zero 0
	.end_amdhsa_kernel
	.section	.text._ZN7rocprim17ROCPRIM_400000_NS6detail17trampoline_kernelINS0_14default_configENS1_25partition_config_selectorILNS1_17partition_subalgoE5ElNS0_10empty_typeEbEEZZNS1_14partition_implILS5_5ELb0ES3_mN6hipcub16HIPCUB_304000_NS21CountingInputIteratorIllEEPS6_NSA_22TransformInputIteratorIbN2at6native12_GLOBAL__N_19NonZeroOpIN3c104HalfEEEPKSK_lEENS0_5tupleIJPlS6_EEENSP_IJSD_SD_EEES6_PiJS6_EEE10hipError_tPvRmT3_T4_T5_T6_T7_T9_mT8_P12ihipStream_tbDpT10_ENKUlT_T0_E_clISt17integral_constantIbLb0EES1D_EEDaS18_S19_EUlS18_E_NS1_11comp_targetILNS1_3genE2ELNS1_11target_archE906ELNS1_3gpuE6ELNS1_3repE0EEENS1_30default_config_static_selectorELNS0_4arch9wavefront6targetE0EEEvT1_,"axG",@progbits,_ZN7rocprim17ROCPRIM_400000_NS6detail17trampoline_kernelINS0_14default_configENS1_25partition_config_selectorILNS1_17partition_subalgoE5ElNS0_10empty_typeEbEEZZNS1_14partition_implILS5_5ELb0ES3_mN6hipcub16HIPCUB_304000_NS21CountingInputIteratorIllEEPS6_NSA_22TransformInputIteratorIbN2at6native12_GLOBAL__N_19NonZeroOpIN3c104HalfEEEPKSK_lEENS0_5tupleIJPlS6_EEENSP_IJSD_SD_EEES6_PiJS6_EEE10hipError_tPvRmT3_T4_T5_T6_T7_T9_mT8_P12ihipStream_tbDpT10_ENKUlT_T0_E_clISt17integral_constantIbLb0EES1D_EEDaS18_S19_EUlS18_E_NS1_11comp_targetILNS1_3genE2ELNS1_11target_archE906ELNS1_3gpuE6ELNS1_3repE0EEENS1_30default_config_static_selectorELNS0_4arch9wavefront6targetE0EEEvT1_,comdat
.Lfunc_end870:
	.size	_ZN7rocprim17ROCPRIM_400000_NS6detail17trampoline_kernelINS0_14default_configENS1_25partition_config_selectorILNS1_17partition_subalgoE5ElNS0_10empty_typeEbEEZZNS1_14partition_implILS5_5ELb0ES3_mN6hipcub16HIPCUB_304000_NS21CountingInputIteratorIllEEPS6_NSA_22TransformInputIteratorIbN2at6native12_GLOBAL__N_19NonZeroOpIN3c104HalfEEEPKSK_lEENS0_5tupleIJPlS6_EEENSP_IJSD_SD_EEES6_PiJS6_EEE10hipError_tPvRmT3_T4_T5_T6_T7_T9_mT8_P12ihipStream_tbDpT10_ENKUlT_T0_E_clISt17integral_constantIbLb0EES1D_EEDaS18_S19_EUlS18_E_NS1_11comp_targetILNS1_3genE2ELNS1_11target_archE906ELNS1_3gpuE6ELNS1_3repE0EEENS1_30default_config_static_selectorELNS0_4arch9wavefront6targetE0EEEvT1_, .Lfunc_end870-_ZN7rocprim17ROCPRIM_400000_NS6detail17trampoline_kernelINS0_14default_configENS1_25partition_config_selectorILNS1_17partition_subalgoE5ElNS0_10empty_typeEbEEZZNS1_14partition_implILS5_5ELb0ES3_mN6hipcub16HIPCUB_304000_NS21CountingInputIteratorIllEEPS6_NSA_22TransformInputIteratorIbN2at6native12_GLOBAL__N_19NonZeroOpIN3c104HalfEEEPKSK_lEENS0_5tupleIJPlS6_EEENSP_IJSD_SD_EEES6_PiJS6_EEE10hipError_tPvRmT3_T4_T5_T6_T7_T9_mT8_P12ihipStream_tbDpT10_ENKUlT_T0_E_clISt17integral_constantIbLb0EES1D_EEDaS18_S19_EUlS18_E_NS1_11comp_targetILNS1_3genE2ELNS1_11target_archE906ELNS1_3gpuE6ELNS1_3repE0EEENS1_30default_config_static_selectorELNS0_4arch9wavefront6targetE0EEEvT1_
                                        ; -- End function
	.section	.AMDGPU.csdata,"",@progbits
; Kernel info:
; codeLenInByte = 0
; NumSgprs: 0
; NumVgprs: 0
; ScratchSize: 0
; MemoryBound: 0
; FloatMode: 240
; IeeeMode: 1
; LDSByteSize: 0 bytes/workgroup (compile time only)
; SGPRBlocks: 0
; VGPRBlocks: 0
; NumSGPRsForWavesPerEU: 1
; NumVGPRsForWavesPerEU: 1
; Occupancy: 16
; WaveLimiterHint : 0
; COMPUTE_PGM_RSRC2:SCRATCH_EN: 0
; COMPUTE_PGM_RSRC2:USER_SGPR: 15
; COMPUTE_PGM_RSRC2:TRAP_HANDLER: 0
; COMPUTE_PGM_RSRC2:TGID_X_EN: 1
; COMPUTE_PGM_RSRC2:TGID_Y_EN: 0
; COMPUTE_PGM_RSRC2:TGID_Z_EN: 0
; COMPUTE_PGM_RSRC2:TIDIG_COMP_CNT: 0
	.section	.text._ZN7rocprim17ROCPRIM_400000_NS6detail17trampoline_kernelINS0_14default_configENS1_25partition_config_selectorILNS1_17partition_subalgoE5ElNS0_10empty_typeEbEEZZNS1_14partition_implILS5_5ELb0ES3_mN6hipcub16HIPCUB_304000_NS21CountingInputIteratorIllEEPS6_NSA_22TransformInputIteratorIbN2at6native12_GLOBAL__N_19NonZeroOpIN3c104HalfEEEPKSK_lEENS0_5tupleIJPlS6_EEENSP_IJSD_SD_EEES6_PiJS6_EEE10hipError_tPvRmT3_T4_T5_T6_T7_T9_mT8_P12ihipStream_tbDpT10_ENKUlT_T0_E_clISt17integral_constantIbLb0EES1D_EEDaS18_S19_EUlS18_E_NS1_11comp_targetILNS1_3genE10ELNS1_11target_archE1200ELNS1_3gpuE4ELNS1_3repE0EEENS1_30default_config_static_selectorELNS0_4arch9wavefront6targetE0EEEvT1_,"axG",@progbits,_ZN7rocprim17ROCPRIM_400000_NS6detail17trampoline_kernelINS0_14default_configENS1_25partition_config_selectorILNS1_17partition_subalgoE5ElNS0_10empty_typeEbEEZZNS1_14partition_implILS5_5ELb0ES3_mN6hipcub16HIPCUB_304000_NS21CountingInputIteratorIllEEPS6_NSA_22TransformInputIteratorIbN2at6native12_GLOBAL__N_19NonZeroOpIN3c104HalfEEEPKSK_lEENS0_5tupleIJPlS6_EEENSP_IJSD_SD_EEES6_PiJS6_EEE10hipError_tPvRmT3_T4_T5_T6_T7_T9_mT8_P12ihipStream_tbDpT10_ENKUlT_T0_E_clISt17integral_constantIbLb0EES1D_EEDaS18_S19_EUlS18_E_NS1_11comp_targetILNS1_3genE10ELNS1_11target_archE1200ELNS1_3gpuE4ELNS1_3repE0EEENS1_30default_config_static_selectorELNS0_4arch9wavefront6targetE0EEEvT1_,comdat
	.globl	_ZN7rocprim17ROCPRIM_400000_NS6detail17trampoline_kernelINS0_14default_configENS1_25partition_config_selectorILNS1_17partition_subalgoE5ElNS0_10empty_typeEbEEZZNS1_14partition_implILS5_5ELb0ES3_mN6hipcub16HIPCUB_304000_NS21CountingInputIteratorIllEEPS6_NSA_22TransformInputIteratorIbN2at6native12_GLOBAL__N_19NonZeroOpIN3c104HalfEEEPKSK_lEENS0_5tupleIJPlS6_EEENSP_IJSD_SD_EEES6_PiJS6_EEE10hipError_tPvRmT3_T4_T5_T6_T7_T9_mT8_P12ihipStream_tbDpT10_ENKUlT_T0_E_clISt17integral_constantIbLb0EES1D_EEDaS18_S19_EUlS18_E_NS1_11comp_targetILNS1_3genE10ELNS1_11target_archE1200ELNS1_3gpuE4ELNS1_3repE0EEENS1_30default_config_static_selectorELNS0_4arch9wavefront6targetE0EEEvT1_ ; -- Begin function _ZN7rocprim17ROCPRIM_400000_NS6detail17trampoline_kernelINS0_14default_configENS1_25partition_config_selectorILNS1_17partition_subalgoE5ElNS0_10empty_typeEbEEZZNS1_14partition_implILS5_5ELb0ES3_mN6hipcub16HIPCUB_304000_NS21CountingInputIteratorIllEEPS6_NSA_22TransformInputIteratorIbN2at6native12_GLOBAL__N_19NonZeroOpIN3c104HalfEEEPKSK_lEENS0_5tupleIJPlS6_EEENSP_IJSD_SD_EEES6_PiJS6_EEE10hipError_tPvRmT3_T4_T5_T6_T7_T9_mT8_P12ihipStream_tbDpT10_ENKUlT_T0_E_clISt17integral_constantIbLb0EES1D_EEDaS18_S19_EUlS18_E_NS1_11comp_targetILNS1_3genE10ELNS1_11target_archE1200ELNS1_3gpuE4ELNS1_3repE0EEENS1_30default_config_static_selectorELNS0_4arch9wavefront6targetE0EEEvT1_
	.p2align	8
	.type	_ZN7rocprim17ROCPRIM_400000_NS6detail17trampoline_kernelINS0_14default_configENS1_25partition_config_selectorILNS1_17partition_subalgoE5ElNS0_10empty_typeEbEEZZNS1_14partition_implILS5_5ELb0ES3_mN6hipcub16HIPCUB_304000_NS21CountingInputIteratorIllEEPS6_NSA_22TransformInputIteratorIbN2at6native12_GLOBAL__N_19NonZeroOpIN3c104HalfEEEPKSK_lEENS0_5tupleIJPlS6_EEENSP_IJSD_SD_EEES6_PiJS6_EEE10hipError_tPvRmT3_T4_T5_T6_T7_T9_mT8_P12ihipStream_tbDpT10_ENKUlT_T0_E_clISt17integral_constantIbLb0EES1D_EEDaS18_S19_EUlS18_E_NS1_11comp_targetILNS1_3genE10ELNS1_11target_archE1200ELNS1_3gpuE4ELNS1_3repE0EEENS1_30default_config_static_selectorELNS0_4arch9wavefront6targetE0EEEvT1_,@function
_ZN7rocprim17ROCPRIM_400000_NS6detail17trampoline_kernelINS0_14default_configENS1_25partition_config_selectorILNS1_17partition_subalgoE5ElNS0_10empty_typeEbEEZZNS1_14partition_implILS5_5ELb0ES3_mN6hipcub16HIPCUB_304000_NS21CountingInputIteratorIllEEPS6_NSA_22TransformInputIteratorIbN2at6native12_GLOBAL__N_19NonZeroOpIN3c104HalfEEEPKSK_lEENS0_5tupleIJPlS6_EEENSP_IJSD_SD_EEES6_PiJS6_EEE10hipError_tPvRmT3_T4_T5_T6_T7_T9_mT8_P12ihipStream_tbDpT10_ENKUlT_T0_E_clISt17integral_constantIbLb0EES1D_EEDaS18_S19_EUlS18_E_NS1_11comp_targetILNS1_3genE10ELNS1_11target_archE1200ELNS1_3gpuE4ELNS1_3repE0EEENS1_30default_config_static_selectorELNS0_4arch9wavefront6targetE0EEEvT1_: ; @_ZN7rocprim17ROCPRIM_400000_NS6detail17trampoline_kernelINS0_14default_configENS1_25partition_config_selectorILNS1_17partition_subalgoE5ElNS0_10empty_typeEbEEZZNS1_14partition_implILS5_5ELb0ES3_mN6hipcub16HIPCUB_304000_NS21CountingInputIteratorIllEEPS6_NSA_22TransformInputIteratorIbN2at6native12_GLOBAL__N_19NonZeroOpIN3c104HalfEEEPKSK_lEENS0_5tupleIJPlS6_EEENSP_IJSD_SD_EEES6_PiJS6_EEE10hipError_tPvRmT3_T4_T5_T6_T7_T9_mT8_P12ihipStream_tbDpT10_ENKUlT_T0_E_clISt17integral_constantIbLb0EES1D_EEDaS18_S19_EUlS18_E_NS1_11comp_targetILNS1_3genE10ELNS1_11target_archE1200ELNS1_3gpuE4ELNS1_3repE0EEENS1_30default_config_static_selectorELNS0_4arch9wavefront6targetE0EEEvT1_
; %bb.0:
	.section	.rodata,"a",@progbits
	.p2align	6, 0x0
	.amdhsa_kernel _ZN7rocprim17ROCPRIM_400000_NS6detail17trampoline_kernelINS0_14default_configENS1_25partition_config_selectorILNS1_17partition_subalgoE5ElNS0_10empty_typeEbEEZZNS1_14partition_implILS5_5ELb0ES3_mN6hipcub16HIPCUB_304000_NS21CountingInputIteratorIllEEPS6_NSA_22TransformInputIteratorIbN2at6native12_GLOBAL__N_19NonZeroOpIN3c104HalfEEEPKSK_lEENS0_5tupleIJPlS6_EEENSP_IJSD_SD_EEES6_PiJS6_EEE10hipError_tPvRmT3_T4_T5_T6_T7_T9_mT8_P12ihipStream_tbDpT10_ENKUlT_T0_E_clISt17integral_constantIbLb0EES1D_EEDaS18_S19_EUlS18_E_NS1_11comp_targetILNS1_3genE10ELNS1_11target_archE1200ELNS1_3gpuE4ELNS1_3repE0EEENS1_30default_config_static_selectorELNS0_4arch9wavefront6targetE0EEEvT1_
		.amdhsa_group_segment_fixed_size 0
		.amdhsa_private_segment_fixed_size 0
		.amdhsa_kernarg_size 120
		.amdhsa_user_sgpr_count 15
		.amdhsa_user_sgpr_dispatch_ptr 0
		.amdhsa_user_sgpr_queue_ptr 0
		.amdhsa_user_sgpr_kernarg_segment_ptr 1
		.amdhsa_user_sgpr_dispatch_id 0
		.amdhsa_user_sgpr_private_segment_size 0
		.amdhsa_wavefront_size32 1
		.amdhsa_uses_dynamic_stack 0
		.amdhsa_enable_private_segment 0
		.amdhsa_system_sgpr_workgroup_id_x 1
		.amdhsa_system_sgpr_workgroup_id_y 0
		.amdhsa_system_sgpr_workgroup_id_z 0
		.amdhsa_system_sgpr_workgroup_info 0
		.amdhsa_system_vgpr_workitem_id 0
		.amdhsa_next_free_vgpr 1
		.amdhsa_next_free_sgpr 1
		.amdhsa_reserve_vcc 0
		.amdhsa_float_round_mode_32 0
		.amdhsa_float_round_mode_16_64 0
		.amdhsa_float_denorm_mode_32 3
		.amdhsa_float_denorm_mode_16_64 3
		.amdhsa_dx10_clamp 1
		.amdhsa_ieee_mode 1
		.amdhsa_fp16_overflow 0
		.amdhsa_workgroup_processor_mode 1
		.amdhsa_memory_ordered 1
		.amdhsa_forward_progress 0
		.amdhsa_shared_vgpr_count 0
		.amdhsa_exception_fp_ieee_invalid_op 0
		.amdhsa_exception_fp_denorm_src 0
		.amdhsa_exception_fp_ieee_div_zero 0
		.amdhsa_exception_fp_ieee_overflow 0
		.amdhsa_exception_fp_ieee_underflow 0
		.amdhsa_exception_fp_ieee_inexact 0
		.amdhsa_exception_int_div_zero 0
	.end_amdhsa_kernel
	.section	.text._ZN7rocprim17ROCPRIM_400000_NS6detail17trampoline_kernelINS0_14default_configENS1_25partition_config_selectorILNS1_17partition_subalgoE5ElNS0_10empty_typeEbEEZZNS1_14partition_implILS5_5ELb0ES3_mN6hipcub16HIPCUB_304000_NS21CountingInputIteratorIllEEPS6_NSA_22TransformInputIteratorIbN2at6native12_GLOBAL__N_19NonZeroOpIN3c104HalfEEEPKSK_lEENS0_5tupleIJPlS6_EEENSP_IJSD_SD_EEES6_PiJS6_EEE10hipError_tPvRmT3_T4_T5_T6_T7_T9_mT8_P12ihipStream_tbDpT10_ENKUlT_T0_E_clISt17integral_constantIbLb0EES1D_EEDaS18_S19_EUlS18_E_NS1_11comp_targetILNS1_3genE10ELNS1_11target_archE1200ELNS1_3gpuE4ELNS1_3repE0EEENS1_30default_config_static_selectorELNS0_4arch9wavefront6targetE0EEEvT1_,"axG",@progbits,_ZN7rocprim17ROCPRIM_400000_NS6detail17trampoline_kernelINS0_14default_configENS1_25partition_config_selectorILNS1_17partition_subalgoE5ElNS0_10empty_typeEbEEZZNS1_14partition_implILS5_5ELb0ES3_mN6hipcub16HIPCUB_304000_NS21CountingInputIteratorIllEEPS6_NSA_22TransformInputIteratorIbN2at6native12_GLOBAL__N_19NonZeroOpIN3c104HalfEEEPKSK_lEENS0_5tupleIJPlS6_EEENSP_IJSD_SD_EEES6_PiJS6_EEE10hipError_tPvRmT3_T4_T5_T6_T7_T9_mT8_P12ihipStream_tbDpT10_ENKUlT_T0_E_clISt17integral_constantIbLb0EES1D_EEDaS18_S19_EUlS18_E_NS1_11comp_targetILNS1_3genE10ELNS1_11target_archE1200ELNS1_3gpuE4ELNS1_3repE0EEENS1_30default_config_static_selectorELNS0_4arch9wavefront6targetE0EEEvT1_,comdat
.Lfunc_end871:
	.size	_ZN7rocprim17ROCPRIM_400000_NS6detail17trampoline_kernelINS0_14default_configENS1_25partition_config_selectorILNS1_17partition_subalgoE5ElNS0_10empty_typeEbEEZZNS1_14partition_implILS5_5ELb0ES3_mN6hipcub16HIPCUB_304000_NS21CountingInputIteratorIllEEPS6_NSA_22TransformInputIteratorIbN2at6native12_GLOBAL__N_19NonZeroOpIN3c104HalfEEEPKSK_lEENS0_5tupleIJPlS6_EEENSP_IJSD_SD_EEES6_PiJS6_EEE10hipError_tPvRmT3_T4_T5_T6_T7_T9_mT8_P12ihipStream_tbDpT10_ENKUlT_T0_E_clISt17integral_constantIbLb0EES1D_EEDaS18_S19_EUlS18_E_NS1_11comp_targetILNS1_3genE10ELNS1_11target_archE1200ELNS1_3gpuE4ELNS1_3repE0EEENS1_30default_config_static_selectorELNS0_4arch9wavefront6targetE0EEEvT1_, .Lfunc_end871-_ZN7rocprim17ROCPRIM_400000_NS6detail17trampoline_kernelINS0_14default_configENS1_25partition_config_selectorILNS1_17partition_subalgoE5ElNS0_10empty_typeEbEEZZNS1_14partition_implILS5_5ELb0ES3_mN6hipcub16HIPCUB_304000_NS21CountingInputIteratorIllEEPS6_NSA_22TransformInputIteratorIbN2at6native12_GLOBAL__N_19NonZeroOpIN3c104HalfEEEPKSK_lEENS0_5tupleIJPlS6_EEENSP_IJSD_SD_EEES6_PiJS6_EEE10hipError_tPvRmT3_T4_T5_T6_T7_T9_mT8_P12ihipStream_tbDpT10_ENKUlT_T0_E_clISt17integral_constantIbLb0EES1D_EEDaS18_S19_EUlS18_E_NS1_11comp_targetILNS1_3genE10ELNS1_11target_archE1200ELNS1_3gpuE4ELNS1_3repE0EEENS1_30default_config_static_selectorELNS0_4arch9wavefront6targetE0EEEvT1_
                                        ; -- End function
	.section	.AMDGPU.csdata,"",@progbits
; Kernel info:
; codeLenInByte = 0
; NumSgprs: 0
; NumVgprs: 0
; ScratchSize: 0
; MemoryBound: 0
; FloatMode: 240
; IeeeMode: 1
; LDSByteSize: 0 bytes/workgroup (compile time only)
; SGPRBlocks: 0
; VGPRBlocks: 0
; NumSGPRsForWavesPerEU: 1
; NumVGPRsForWavesPerEU: 1
; Occupancy: 16
; WaveLimiterHint : 0
; COMPUTE_PGM_RSRC2:SCRATCH_EN: 0
; COMPUTE_PGM_RSRC2:USER_SGPR: 15
; COMPUTE_PGM_RSRC2:TRAP_HANDLER: 0
; COMPUTE_PGM_RSRC2:TGID_X_EN: 1
; COMPUTE_PGM_RSRC2:TGID_Y_EN: 0
; COMPUTE_PGM_RSRC2:TGID_Z_EN: 0
; COMPUTE_PGM_RSRC2:TIDIG_COMP_CNT: 0
	.section	.text._ZN7rocprim17ROCPRIM_400000_NS6detail17trampoline_kernelINS0_14default_configENS1_25partition_config_selectorILNS1_17partition_subalgoE5ElNS0_10empty_typeEbEEZZNS1_14partition_implILS5_5ELb0ES3_mN6hipcub16HIPCUB_304000_NS21CountingInputIteratorIllEEPS6_NSA_22TransformInputIteratorIbN2at6native12_GLOBAL__N_19NonZeroOpIN3c104HalfEEEPKSK_lEENS0_5tupleIJPlS6_EEENSP_IJSD_SD_EEES6_PiJS6_EEE10hipError_tPvRmT3_T4_T5_T6_T7_T9_mT8_P12ihipStream_tbDpT10_ENKUlT_T0_E_clISt17integral_constantIbLb0EES1D_EEDaS18_S19_EUlS18_E_NS1_11comp_targetILNS1_3genE9ELNS1_11target_archE1100ELNS1_3gpuE3ELNS1_3repE0EEENS1_30default_config_static_selectorELNS0_4arch9wavefront6targetE0EEEvT1_,"axG",@progbits,_ZN7rocprim17ROCPRIM_400000_NS6detail17trampoline_kernelINS0_14default_configENS1_25partition_config_selectorILNS1_17partition_subalgoE5ElNS0_10empty_typeEbEEZZNS1_14partition_implILS5_5ELb0ES3_mN6hipcub16HIPCUB_304000_NS21CountingInputIteratorIllEEPS6_NSA_22TransformInputIteratorIbN2at6native12_GLOBAL__N_19NonZeroOpIN3c104HalfEEEPKSK_lEENS0_5tupleIJPlS6_EEENSP_IJSD_SD_EEES6_PiJS6_EEE10hipError_tPvRmT3_T4_T5_T6_T7_T9_mT8_P12ihipStream_tbDpT10_ENKUlT_T0_E_clISt17integral_constantIbLb0EES1D_EEDaS18_S19_EUlS18_E_NS1_11comp_targetILNS1_3genE9ELNS1_11target_archE1100ELNS1_3gpuE3ELNS1_3repE0EEENS1_30default_config_static_selectorELNS0_4arch9wavefront6targetE0EEEvT1_,comdat
	.globl	_ZN7rocprim17ROCPRIM_400000_NS6detail17trampoline_kernelINS0_14default_configENS1_25partition_config_selectorILNS1_17partition_subalgoE5ElNS0_10empty_typeEbEEZZNS1_14partition_implILS5_5ELb0ES3_mN6hipcub16HIPCUB_304000_NS21CountingInputIteratorIllEEPS6_NSA_22TransformInputIteratorIbN2at6native12_GLOBAL__N_19NonZeroOpIN3c104HalfEEEPKSK_lEENS0_5tupleIJPlS6_EEENSP_IJSD_SD_EEES6_PiJS6_EEE10hipError_tPvRmT3_T4_T5_T6_T7_T9_mT8_P12ihipStream_tbDpT10_ENKUlT_T0_E_clISt17integral_constantIbLb0EES1D_EEDaS18_S19_EUlS18_E_NS1_11comp_targetILNS1_3genE9ELNS1_11target_archE1100ELNS1_3gpuE3ELNS1_3repE0EEENS1_30default_config_static_selectorELNS0_4arch9wavefront6targetE0EEEvT1_ ; -- Begin function _ZN7rocprim17ROCPRIM_400000_NS6detail17trampoline_kernelINS0_14default_configENS1_25partition_config_selectorILNS1_17partition_subalgoE5ElNS0_10empty_typeEbEEZZNS1_14partition_implILS5_5ELb0ES3_mN6hipcub16HIPCUB_304000_NS21CountingInputIteratorIllEEPS6_NSA_22TransformInputIteratorIbN2at6native12_GLOBAL__N_19NonZeroOpIN3c104HalfEEEPKSK_lEENS0_5tupleIJPlS6_EEENSP_IJSD_SD_EEES6_PiJS6_EEE10hipError_tPvRmT3_T4_T5_T6_T7_T9_mT8_P12ihipStream_tbDpT10_ENKUlT_T0_E_clISt17integral_constantIbLb0EES1D_EEDaS18_S19_EUlS18_E_NS1_11comp_targetILNS1_3genE9ELNS1_11target_archE1100ELNS1_3gpuE3ELNS1_3repE0EEENS1_30default_config_static_selectorELNS0_4arch9wavefront6targetE0EEEvT1_
	.p2align	8
	.type	_ZN7rocprim17ROCPRIM_400000_NS6detail17trampoline_kernelINS0_14default_configENS1_25partition_config_selectorILNS1_17partition_subalgoE5ElNS0_10empty_typeEbEEZZNS1_14partition_implILS5_5ELb0ES3_mN6hipcub16HIPCUB_304000_NS21CountingInputIteratorIllEEPS6_NSA_22TransformInputIteratorIbN2at6native12_GLOBAL__N_19NonZeroOpIN3c104HalfEEEPKSK_lEENS0_5tupleIJPlS6_EEENSP_IJSD_SD_EEES6_PiJS6_EEE10hipError_tPvRmT3_T4_T5_T6_T7_T9_mT8_P12ihipStream_tbDpT10_ENKUlT_T0_E_clISt17integral_constantIbLb0EES1D_EEDaS18_S19_EUlS18_E_NS1_11comp_targetILNS1_3genE9ELNS1_11target_archE1100ELNS1_3gpuE3ELNS1_3repE0EEENS1_30default_config_static_selectorELNS0_4arch9wavefront6targetE0EEEvT1_,@function
_ZN7rocprim17ROCPRIM_400000_NS6detail17trampoline_kernelINS0_14default_configENS1_25partition_config_selectorILNS1_17partition_subalgoE5ElNS0_10empty_typeEbEEZZNS1_14partition_implILS5_5ELb0ES3_mN6hipcub16HIPCUB_304000_NS21CountingInputIteratorIllEEPS6_NSA_22TransformInputIteratorIbN2at6native12_GLOBAL__N_19NonZeroOpIN3c104HalfEEEPKSK_lEENS0_5tupleIJPlS6_EEENSP_IJSD_SD_EEES6_PiJS6_EEE10hipError_tPvRmT3_T4_T5_T6_T7_T9_mT8_P12ihipStream_tbDpT10_ENKUlT_T0_E_clISt17integral_constantIbLb0EES1D_EEDaS18_S19_EUlS18_E_NS1_11comp_targetILNS1_3genE9ELNS1_11target_archE1100ELNS1_3gpuE3ELNS1_3repE0EEENS1_30default_config_static_selectorELNS0_4arch9wavefront6targetE0EEEvT1_: ; @_ZN7rocprim17ROCPRIM_400000_NS6detail17trampoline_kernelINS0_14default_configENS1_25partition_config_selectorILNS1_17partition_subalgoE5ElNS0_10empty_typeEbEEZZNS1_14partition_implILS5_5ELb0ES3_mN6hipcub16HIPCUB_304000_NS21CountingInputIteratorIllEEPS6_NSA_22TransformInputIteratorIbN2at6native12_GLOBAL__N_19NonZeroOpIN3c104HalfEEEPKSK_lEENS0_5tupleIJPlS6_EEENSP_IJSD_SD_EEES6_PiJS6_EEE10hipError_tPvRmT3_T4_T5_T6_T7_T9_mT8_P12ihipStream_tbDpT10_ENKUlT_T0_E_clISt17integral_constantIbLb0EES1D_EEDaS18_S19_EUlS18_E_NS1_11comp_targetILNS1_3genE9ELNS1_11target_archE1100ELNS1_3gpuE3ELNS1_3repE0EEENS1_30default_config_static_selectorELNS0_4arch9wavefront6targetE0EEEvT1_
; %bb.0:
	s_clause 0x4
	s_load_b128 s[8:11], s[0:1], 0x8
	s_load_b128 s[4:7], s[0:1], 0x48
	s_load_b32 s14, s[0:1], 0x70
	s_load_b64 s[2:3], s[0:1], 0x58
	s_load_b64 s[12:13], s[0:1], 0x20
	s_waitcnt lgkmcnt(0)
	s_add_u32 s18, s10, s8
	s_load_b64 s[6:7], s[6:7], 0x0
	s_mul_i32 s17, s14, 0x300
	s_addc_u32 s19, s11, s9
	s_add_i32 s14, s14, -1
	s_add_u32 s8, s10, s17
	s_addc_u32 s9, s11, 0
	s_cmp_eq_u32 s15, s14
	v_cmp_ge_u64_e64 s3, s[8:9], s[2:3]
	s_cselect_b32 s14, -1, 0
	s_mul_i32 s8, s15, 0x300
	s_mov_b32 s9, 0
	s_delay_alu instid0(VALU_DEP_1) | instskip(NEXT) | instid1(SALU_CYCLE_1)
	s_and_b32 s3, s14, s3
	s_xor_b32 s16, s3, -1
	s_mov_b32 s3, -1
	s_and_b32 vcc_lo, exec_lo, s16
	s_cbranch_vccz .LBB872_2
; %bb.1:
	s_add_u32 s3, s18, s8
	s_addc_u32 s20, s19, 0
	v_add_co_u32 v1, s3, s3, v0
	s_delay_alu instid0(VALU_DEP_1) | instskip(SKIP_1) | instid1(VALU_DEP_3)
	v_add_co_ci_u32_e64 v2, null, s20, 0, s3
	v_lshlrev_b32_e32 v13, 3, v0
	v_add_co_u32 v3, vcc_lo, 0x80, v1
	s_delay_alu instid0(VALU_DEP_3)
	v_add_co_ci_u32_e32 v4, vcc_lo, 0, v2, vcc_lo
	v_add_co_u32 v5, vcc_lo, 0x100, v1
	v_add_co_ci_u32_e32 v6, vcc_lo, 0, v2, vcc_lo
	v_add_co_u32 v7, vcc_lo, 0x180, v1
	;; [unrolled: 2-line block ×4, first 2 shown]
	v_add_co_ci_u32_e32 v12, vcc_lo, 0, v2, vcc_lo
	ds_store_2addr_stride64_b64 v13, v[1:2], v[3:4] offset1:2
	ds_store_2addr_stride64_b64 v13, v[5:6], v[7:8] offset0:4 offset1:6
	ds_store_2addr_stride64_b64 v13, v[9:10], v[11:12] offset0:8 offset1:10
	s_waitcnt lgkmcnt(0)
	s_mov_b32 s3, s9
	s_barrier
.LBB872_2:
	v_or_b32_e32 v17, 0x100, v0
	v_or_b32_e32 v16, 0x180, v0
	;; [unrolled: 1-line block ×4, first 2 shown]
	s_and_not1_b32 vcc_lo, exec_lo, s3
	s_cbranch_vccnz .LBB872_4
; %bb.3:
	v_or_b32_e32 v3, 0x80, v0
	s_add_u32 s3, s18, s8
	s_addc_u32 s18, s19, 0
	v_add_co_u32 v1, s19, s3, v0
	s_delay_alu instid0(VALU_DEP_1) | instskip(SKIP_1) | instid1(VALU_DEP_1)
	v_add_co_ci_u32_e64 v2, null, s18, 0, s19
	v_add_co_u32 v3, s19, s3, v3
	v_add_co_ci_u32_e64 v4, null, s18, 0, s19
	v_add_co_u32 v5, s19, s3, v17
	s_delay_alu instid0(VALU_DEP_1) | instskip(SKIP_1) | instid1(VALU_DEP_1)
	v_add_co_ci_u32_e64 v6, null, s18, 0, s19
	v_add_co_u32 v7, s19, s3, v16
	v_add_co_ci_u32_e64 v8, null, s18, 0, s19
	v_add_co_u32 v9, s19, s3, v14
	v_lshlrev_b32_e32 v15, 3, v0
	v_add_co_u32 v11, s3, s3, v13
	v_add_co_ci_u32_e64 v10, null, s18, 0, s19
	v_add_co_ci_u32_e64 v12, null, s18, 0, s3
	ds_store_2addr_stride64_b64 v15, v[1:2], v[3:4] offset1:2
	ds_store_2addr_stride64_b64 v15, v[5:6], v[7:8] offset0:4 offset1:6
	ds_store_2addr_stride64_b64 v15, v[9:10], v[11:12] offset0:8 offset1:10
	s_waitcnt lgkmcnt(0)
	s_barrier
.LBB872_4:
	v_mul_u32_u24_e32 v1, 6, v0
	s_waitcnt lgkmcnt(0)
	buffer_gl0_inv
	s_lshl_b64 s[18:19], s[10:11], 1
	s_delay_alu instid0(SALU_CYCLE_1)
	s_add_u32 s3, s12, s18
	v_lshlrev_b32_e32 v15, 3, v1
	s_addc_u32 s11, s13, s19
	s_lshl_b64 s[8:9], s[8:9], 1
	ds_load_b128 v[9:12], v15
	ds_load_b128 v[5:8], v15 offset:16
	ds_load_b128 v[1:4], v15 offset:32
	s_add_u32 s12, s3, s8
	s_addc_u32 s13, s11, s9
	s_and_b32 vcc_lo, exec_lo, s16
	s_mov_b32 s3, -1
	s_waitcnt lgkmcnt(0)
	s_barrier
	buffer_gl0_inv
	s_cbranch_vccz .LBB872_6
; %bb.5:
	v_lshlrev_b32_e32 v18, 1, v0
	s_mov_b32 s3, 0
	s_clause 0x5
	global_load_u16 v19, v18, s[12:13]
	global_load_u16 v20, v18, s[12:13] offset:256
	global_load_u16 v21, v18, s[12:13] offset:512
	;; [unrolled: 1-line block ×5, first 2 shown]
	s_waitcnt vmcnt(5)
	v_and_b32_e32 v19, 0x7fff, v19
	s_waitcnt vmcnt(4)
	v_and_b32_e32 v20, 0x7fff, v20
	;; [unrolled: 2-line block ×5, first 2 shown]
	v_cmp_ne_u16_e32 vcc_lo, 0, v19
	s_waitcnt vmcnt(0)
	v_and_b32_e32 v18, 0x7fff, v18
	v_cndmask_b32_e64 v19, 0, 1, vcc_lo
	v_cmp_ne_u16_e32 vcc_lo, 0, v20
	v_cndmask_b32_e64 v20, 0, 1, vcc_lo
	v_cmp_ne_u16_e32 vcc_lo, 0, v21
	;; [unrolled: 2-line block ×5, first 2 shown]
	v_cndmask_b32_e64 v18, 0, 1, vcc_lo
	ds_store_b8 v0, v19
	ds_store_b8 v0, v20 offset:128
	ds_store_b8 v0, v21 offset:256
	;; [unrolled: 1-line block ×5, first 2 shown]
	s_waitcnt lgkmcnt(0)
	s_barrier
.LBB872_6:
	s_load_b64 s[8:9], s[0:1], 0x68
	s_and_not1_b32 vcc_lo, exec_lo, s3
	s_cbranch_vccnz .LBB872_20
; %bb.7:
	s_add_i32 s17, s17, s10
	v_dual_mov_b32 v18, 0 :: v_dual_mov_b32 v19, 0
	s_sub_i32 s2, s2, s17
	s_mov_b32 s3, exec_lo
	s_addk_i32 s2, 0x300
	s_delay_alu instid0(SALU_CYCLE_1)
	v_cmpx_gt_u32_e64 s2, v0
	s_cbranch_execz .LBB872_9
; %bb.8:
	v_lshlrev_b32_e32 v19, 1, v0
	global_load_u16 v19, v19, s[12:13]
	s_waitcnt vmcnt(0)
	v_and_b32_e32 v19, 0x7fff, v19
	s_delay_alu instid0(VALU_DEP_1)
	v_cmp_ne_u16_e32 vcc_lo, 0, v19
	v_cndmask_b32_e64 v19, 0, 1, vcc_lo
.LBB872_9:
	s_or_b32 exec_lo, exec_lo, s3
	v_or_b32_e32 v20, 0x80, v0
	s_mov_b32 s3, exec_lo
	s_delay_alu instid0(VALU_DEP_1)
	v_cmpx_gt_u32_e64 s2, v20
	s_cbranch_execz .LBB872_11
; %bb.10:
	v_lshlrev_b32_e32 v18, 1, v0
	global_load_u16 v18, v18, s[12:13] offset:256
	s_waitcnt vmcnt(0)
	v_and_b32_e32 v18, 0x7fff, v18
	s_delay_alu instid0(VALU_DEP_1)
	v_cmp_ne_u16_e32 vcc_lo, 0, v18
	v_cndmask_b32_e64 v18, 0, 1, vcc_lo
.LBB872_11:
	s_or_b32 exec_lo, exec_lo, s3
	v_cmp_gt_u32_e32 vcc_lo, s2, v17
	v_dual_mov_b32 v17, 0 :: v_dual_mov_b32 v20, 0
	s_and_saveexec_b32 s3, vcc_lo
	s_cbranch_execz .LBB872_13
; %bb.12:
	v_lshlrev_b32_e32 v20, 1, v0
	global_load_u16 v20, v20, s[12:13] offset:512
	s_waitcnt vmcnt(0)
	v_and_b32_e32 v20, 0x7fff, v20
	s_delay_alu instid0(VALU_DEP_1)
	v_cmp_ne_u16_e32 vcc_lo, 0, v20
	v_cndmask_b32_e64 v20, 0, 1, vcc_lo
.LBB872_13:
	s_or_b32 exec_lo, exec_lo, s3
	s_delay_alu instid0(SALU_CYCLE_1)
	s_mov_b32 s3, exec_lo
	v_cmpx_gt_u32_e64 s2, v16
	s_cbranch_execz .LBB872_15
; %bb.14:
	v_lshlrev_b32_e32 v16, 1, v0
	global_load_u16 v16, v16, s[12:13] offset:768
	s_waitcnt vmcnt(0)
	v_and_b32_e32 v16, 0x7fff, v16
	s_delay_alu instid0(VALU_DEP_1)
	v_cmp_ne_u16_e32 vcc_lo, 0, v16
	v_cndmask_b32_e64 v17, 0, 1, vcc_lo
.LBB872_15:
	s_or_b32 exec_lo, exec_lo, s3
	v_cmp_gt_u32_e32 vcc_lo, s2, v14
	v_mov_b32_e32 v14, 0
	v_mov_b32_e32 v16, 0
	s_and_saveexec_b32 s3, vcc_lo
	s_cbranch_execz .LBB872_17
; %bb.16:
	v_lshlrev_b32_e32 v16, 1, v0
	global_load_u16 v16, v16, s[12:13] offset:1024
	s_waitcnt vmcnt(0)
	v_and_b32_e32 v16, 0x7fff, v16
	s_delay_alu instid0(VALU_DEP_1)
	v_cmp_ne_u16_e32 vcc_lo, 0, v16
	v_cndmask_b32_e64 v16, 0, 1, vcc_lo
.LBB872_17:
	s_or_b32 exec_lo, exec_lo, s3
	v_cmp_gt_u32_e32 vcc_lo, s2, v13
	s_and_saveexec_b32 s2, vcc_lo
	s_cbranch_execz .LBB872_19
; %bb.18:
	v_lshlrev_b32_e32 v13, 1, v0
	global_load_u16 v13, v13, s[12:13] offset:1280
	s_waitcnt vmcnt(0)
	v_and_b32_e32 v13, 0x7fff, v13
	s_delay_alu instid0(VALU_DEP_1)
	v_cmp_ne_u16_e32 vcc_lo, 0, v13
	v_cndmask_b32_e64 v14, 0, 1, vcc_lo
.LBB872_19:
	s_or_b32 exec_lo, exec_lo, s2
	ds_store_b8 v0, v19
	ds_store_b8 v0, v18 offset:128
	ds_store_b8 v0, v20 offset:256
	;; [unrolled: 1-line block ×5, first 2 shown]
	s_waitcnt lgkmcnt(0)
	s_barrier
.LBB872_20:
	v_mad_i32_i24 v43, 0xffffffd6, v0, v15
	s_waitcnt lgkmcnt(0)
	buffer_gl0_inv
	v_mbcnt_lo_u32_b32 v42, -1, 0
	s_cmp_lg_u32 s15, 0
	s_mov_b32 s3, -1
	ds_load_u16 v36, v43
	ds_load_u16 v33, v43 offset:2
	ds_load_u16 v31, v43 offset:4
	v_mov_b32_e32 v14, 0
	v_and_b32_e32 v44, 15, v42
	s_waitcnt lgkmcnt(0)
	s_barrier
	buffer_gl0_inv
	v_and_b32_e32 v41, 0xff, v36
	v_lshrrev_b16 v34, 8, v36
	v_lshrrev_b16 v35, 8, v33
	v_and_b32_e32 v39, 0xff, v33
	v_lshrrev_b16 v32, 8, v31
	v_and_b32_e32 v37, 0xff, v31
	v_and_b32_e32 v40, 0xffff, v34
	;; [unrolled: 1-line block ×3, first 2 shown]
	s_delay_alu instid0(VALU_DEP_4) | instskip(NEXT) | instid1(VALU_DEP_3)
	v_and_b32_e32 v16, 0xffff, v32
	v_add_co_u32 v13, s2, v40, v41
	s_delay_alu instid0(VALU_DEP_1) | instskip(SKIP_1) | instid1(VALU_DEP_3)
	v_add_co_ci_u32_e64 v15, null, 0, 0, s2
	v_cmp_ne_u32_e64 s2, 0, v44
	v_add_co_u32 v13, vcc_lo, v13, v39
	s_delay_alu instid0(VALU_DEP_3) | instskip(NEXT) | instid1(VALU_DEP_2)
	v_add_co_ci_u32_e32 v15, vcc_lo, 0, v15, vcc_lo
	v_add_co_u32 v13, vcc_lo, v13, v38
	s_delay_alu instid0(VALU_DEP_2) | instskip(NEXT) | instid1(VALU_DEP_2)
	v_add_co_ci_u32_e32 v15, vcc_lo, 0, v15, vcc_lo
	v_add_co_u32 v13, vcc_lo, v13, v37
	s_delay_alu instid0(VALU_DEP_2) | instskip(NEXT) | instid1(VALU_DEP_2)
	v_add_co_ci_u32_e32 v15, vcc_lo, 0, v15, vcc_lo
	v_add_co_u32 v21, vcc_lo, v13, v16
	s_delay_alu instid0(VALU_DEP_2)
	v_add_co_ci_u32_e32 v22, vcc_lo, 0, v15, vcc_lo
	s_cbranch_scc0 .LBB872_84
; %bb.21:
	s_delay_alu instid0(VALU_DEP_2)
	v_mov_b32_e32 v15, v21
	v_mov_b32_dpp v13, v21 row_shr:1 row_mask:0xf bank_mask:0xf
	v_mov_b32_dpp v18, v14 row_shr:1 row_mask:0xf bank_mask:0xf
	v_dual_mov_b32 v17, v21 :: v_dual_mov_b32 v16, v22
	s_and_saveexec_b32 s3, s2
; %bb.22:
	s_delay_alu instid0(VALU_DEP_3) | instskip(SKIP_1) | instid1(VALU_DEP_2)
	v_add_co_u32 v17, vcc_lo, v21, v13
	v_add_co_ci_u32_e32 v14, vcc_lo, 0, v22, vcc_lo
	v_add_co_u32 v13, vcc_lo, 0, v17
	s_delay_alu instid0(VALU_DEP_2) | instskip(NEXT) | instid1(VALU_DEP_1)
	v_add_co_ci_u32_e32 v14, vcc_lo, v18, v14, vcc_lo
	v_dual_mov_b32 v16, v14 :: v_dual_mov_b32 v15, v13
; %bb.23:
	s_or_b32 exec_lo, exec_lo, s3
	v_mov_b32_dpp v13, v17 row_shr:2 row_mask:0xf bank_mask:0xf
	v_mov_b32_dpp v18, v14 row_shr:2 row_mask:0xf bank_mask:0xf
	s_mov_b32 s3, exec_lo
	v_cmpx_lt_u32_e32 1, v44
; %bb.24:
	s_delay_alu instid0(VALU_DEP_3) | instskip(SKIP_1) | instid1(VALU_DEP_2)
	v_add_co_u32 v17, vcc_lo, v15, v13
	v_add_co_ci_u32_e32 v14, vcc_lo, 0, v16, vcc_lo
	v_add_co_u32 v13, vcc_lo, 0, v17
	s_delay_alu instid0(VALU_DEP_2) | instskip(NEXT) | instid1(VALU_DEP_1)
	v_add_co_ci_u32_e32 v14, vcc_lo, v18, v14, vcc_lo
	v_dual_mov_b32 v16, v14 :: v_dual_mov_b32 v15, v13
; %bb.25:
	s_or_b32 exec_lo, exec_lo, s3
	v_mov_b32_dpp v13, v17 row_shr:4 row_mask:0xf bank_mask:0xf
	v_mov_b32_dpp v18, v14 row_shr:4 row_mask:0xf bank_mask:0xf
	s_mov_b32 s3, exec_lo
	v_cmpx_lt_u32_e32 3, v44
	;; [unrolled: 14-line block ×3, first 2 shown]
; %bb.28:
	s_delay_alu instid0(VALU_DEP_3) | instskip(SKIP_1) | instid1(VALU_DEP_2)
	v_add_co_u32 v17, vcc_lo, v15, v18
	v_add_co_ci_u32_e32 v14, vcc_lo, 0, v16, vcc_lo
	v_add_co_u32 v15, vcc_lo, 0, v17
	s_delay_alu instid0(VALU_DEP_2) | instskip(NEXT) | instid1(VALU_DEP_1)
	v_add_co_ci_u32_e32 v16, vcc_lo, v13, v14, vcc_lo
	v_mov_b32_e32 v14, v16
; %bb.29:
	s_or_b32 exec_lo, exec_lo, s3
	ds_swizzle_b32 v13, v17 offset:swizzle(BROADCAST,32,15)
	ds_swizzle_b32 v18, v14 offset:swizzle(BROADCAST,32,15)
	v_and_b32_e32 v19, 16, v42
	s_mov_b32 s3, exec_lo
	s_delay_alu instid0(VALU_DEP_1)
	v_cmpx_ne_u32_e32 0, v19
	s_cbranch_execz .LBB872_31
; %bb.30:
	s_waitcnt lgkmcnt(1)
	v_add_co_u32 v17, vcc_lo, v15, v13
	v_add_co_ci_u32_e32 v14, vcc_lo, 0, v16, vcc_lo
	s_delay_alu instid0(VALU_DEP_2) | instskip(SKIP_1) | instid1(VALU_DEP_2)
	v_add_co_u32 v13, vcc_lo, 0, v17
	s_waitcnt lgkmcnt(0)
	v_add_co_ci_u32_e32 v14, vcc_lo, v18, v14, vcc_lo
	s_delay_alu instid0(VALU_DEP_1)
	v_dual_mov_b32 v16, v14 :: v_dual_mov_b32 v15, v13
.LBB872_31:
	s_or_b32 exec_lo, exec_lo, s3
	s_waitcnt lgkmcnt(0)
	v_or_b32_e32 v18, 31, v0
	v_lshrrev_b32_e32 v13, 5, v0
	s_mov_b32 s3, exec_lo
	s_delay_alu instid0(VALU_DEP_2)
	v_cmpx_eq_u32_e64 v18, v0
	s_cbranch_execz .LBB872_33
; %bb.32:
	s_delay_alu instid0(VALU_DEP_2)
	v_lshlrev_b32_e32 v18, 3, v13
	ds_store_b64 v18, v[15:16]
.LBB872_33:
	s_or_b32 exec_lo, exec_lo, s3
	s_delay_alu instid0(SALU_CYCLE_1)
	s_mov_b32 s3, exec_lo
	s_waitcnt lgkmcnt(0)
	s_barrier
	buffer_gl0_inv
	v_cmpx_gt_u32_e32 4, v0
	s_cbranch_execz .LBB872_39
; %bb.34:
	v_lshlrev_b32_e32 v18, 3, v0
	s_mov_b32 s10, exec_lo
	ds_load_b64 v[15:16], v18
	s_waitcnt lgkmcnt(0)
	v_dual_mov_b32 v20, v15 :: v_dual_and_b32 v19, 3, v42
	v_mov_b32_dpp v24, v15 row_shr:1 row_mask:0xf bank_mask:0xf
	v_mov_b32_dpp v23, v16 row_shr:1 row_mask:0xf bank_mask:0xf
	s_delay_alu instid0(VALU_DEP_3)
	v_cmpx_ne_u32_e32 0, v19
; %bb.35:
	s_delay_alu instid0(VALU_DEP_3) | instskip(SKIP_1) | instid1(VALU_DEP_2)
	v_add_co_u32 v20, vcc_lo, v15, v24
	v_add_co_ci_u32_e32 v16, vcc_lo, 0, v16, vcc_lo
	v_add_co_u32 v15, vcc_lo, 0, v20
	s_delay_alu instid0(VALU_DEP_2)
	v_add_co_ci_u32_e32 v16, vcc_lo, v23, v16, vcc_lo
; %bb.36:
	s_or_b32 exec_lo, exec_lo, s10
	v_mov_b32_dpp v23, v20 row_shr:2 row_mask:0xf bank_mask:0xf
	s_delay_alu instid0(VALU_DEP_2)
	v_mov_b32_dpp v20, v16 row_shr:2 row_mask:0xf bank_mask:0xf
	s_mov_b32 s10, exec_lo
	v_cmpx_lt_u32_e32 1, v19
; %bb.37:
	s_delay_alu instid0(VALU_DEP_3) | instskip(SKIP_1) | instid1(VALU_DEP_2)
	v_add_co_u32 v15, vcc_lo, v15, v23
	v_add_co_ci_u32_e32 v16, vcc_lo, 0, v16, vcc_lo
	v_add_co_u32 v15, vcc_lo, v15, 0
	s_delay_alu instid0(VALU_DEP_2)
	v_add_co_ci_u32_e32 v16, vcc_lo, v16, v20, vcc_lo
; %bb.38:
	s_or_b32 exec_lo, exec_lo, s10
	ds_store_b64 v18, v[15:16]
.LBB872_39:
	s_or_b32 exec_lo, exec_lo, s3
	v_cmp_gt_u32_e32 vcc_lo, 32, v0
	s_mov_b32 s10, exec_lo
	s_waitcnt lgkmcnt(0)
	s_barrier
	buffer_gl0_inv
                                        ; implicit-def: $vgpr23_vgpr24
	v_cmpx_lt_u32_e32 31, v0
	s_cbranch_execz .LBB872_41
; %bb.40:
	v_lshl_add_u32 v13, v13, 3, -8
	ds_load_b64 v[23:24], v13
	s_waitcnt lgkmcnt(0)
	v_add_co_u32 v17, s3, v17, v23
	s_delay_alu instid0(VALU_DEP_1)
	v_add_co_ci_u32_e64 v14, s3, v14, v24, s3
.LBB872_41:
	s_or_b32 exec_lo, exec_lo, s10
	v_add_nc_u32_e32 v13, -1, v42
	s_delay_alu instid0(VALU_DEP_1) | instskip(NEXT) | instid1(VALU_DEP_1)
	v_cmp_gt_i32_e64 s3, 0, v13
	v_cndmask_b32_e64 v13, v13, v42, s3
	v_cmp_eq_u32_e64 s3, 0, v42
	s_delay_alu instid0(VALU_DEP_2)
	v_lshlrev_b32_e32 v13, 2, v13
	ds_bpermute_b32 v29, v13, v17
	ds_bpermute_b32 v30, v13, v14
	s_and_saveexec_b32 s10, vcc_lo
	s_cbranch_execz .LBB872_79
; %bb.42:
	v_mov_b32_e32 v16, 0
	ds_load_b64 v[13:14], v16 offset:24
	s_and_saveexec_b32 s11, s3
	s_cbranch_execz .LBB872_44
; %bb.43:
	s_add_i32 s12, s15, 32
	s_mov_b32 s13, 0
	s_delay_alu instid0(SALU_CYCLE_1) | instskip(NEXT) | instid1(SALU_CYCLE_1)
	s_lshl_b64 s[12:13], s[12:13], 4
	s_add_u32 s12, s8, s12
	s_addc_u32 s13, s9, s13
	s_delay_alu instid0(SALU_CYCLE_1)
	v_dual_mov_b32 v15, 1 :: v_dual_mov_b32 v18, s13
	v_mov_b32_e32 v17, s12
	s_waitcnt lgkmcnt(0)
	;;#ASMSTART
	global_store_dwordx4 v[17:18], v[13:16] off	
s_waitcnt vmcnt(0)
	;;#ASMEND
.LBB872_44:
	s_or_b32 exec_lo, exec_lo, s11
	v_xad_u32 v25, v42, -1, s15
	s_mov_b32 s12, 0
	s_mov_b32 s11, exec_lo
	s_delay_alu instid0(VALU_DEP_1) | instskip(NEXT) | instid1(VALU_DEP_1)
	v_add_nc_u32_e32 v15, 32, v25
	v_lshlrev_b64 v[15:16], 4, v[15:16]
	s_delay_alu instid0(VALU_DEP_1) | instskip(NEXT) | instid1(VALU_DEP_2)
	v_add_co_u32 v15, vcc_lo, s8, v15
	v_add_co_ci_u32_e32 v16, vcc_lo, s9, v16, vcc_lo
	;;#ASMSTART
	global_load_dwordx4 v[17:20], v[15:16] off glc	
s_waitcnt vmcnt(0)
	;;#ASMEND
	v_and_b32_e32 v20, 0xff, v18
	v_and_b32_e32 v26, 0xff00, v18
	v_or3_b32 v17, v17, 0, 0
	v_and_b32_e32 v27, 0xff000000, v18
	v_and_b32_e32 v18, 0xff0000, v18
	s_delay_alu instid0(VALU_DEP_4) | instskip(SKIP_2) | instid1(VALU_DEP_3)
	v_or3_b32 v20, 0, v20, v26
	v_and_b32_e32 v26, 0xff, v19
	v_or3_b32 v17, v17, 0, 0
	v_or3_b32 v18, v20, v18, v27
	s_delay_alu instid0(VALU_DEP_3)
	v_cmpx_eq_u16_e32 0, v26
	s_cbranch_execz .LBB872_47
.LBB872_45:                             ; =>This Inner Loop Header: Depth=1
	;;#ASMSTART
	global_load_dwordx4 v[17:20], v[15:16] off glc	
s_waitcnt vmcnt(0)
	;;#ASMEND
	v_and_b32_e32 v20, 0xff, v19
	s_delay_alu instid0(VALU_DEP_1) | instskip(SKIP_1) | instid1(SALU_CYCLE_1)
	v_cmp_ne_u16_e32 vcc_lo, 0, v20
	s_or_b32 s12, vcc_lo, s12
	s_and_not1_b32 exec_lo, exec_lo, s12
	s_cbranch_execnz .LBB872_45
; %bb.46:
	s_or_b32 exec_lo, exec_lo, s12
.LBB872_47:
	s_delay_alu instid0(SALU_CYCLE_1)
	s_or_b32 exec_lo, exec_lo, s11
	v_cmp_ne_u32_e32 vcc_lo, 31, v42
	v_and_b32_e32 v16, 0xff, v19
	v_lshlrev_b32_e64 v46, v42, -1
	s_mov_b32 s11, exec_lo
	v_add_co_ci_u32_e32 v15, vcc_lo, 0, v42, vcc_lo
	s_delay_alu instid0(VALU_DEP_3) | instskip(NEXT) | instid1(VALU_DEP_2)
	v_cmp_eq_u16_e32 vcc_lo, 2, v16
	v_dual_mov_b32 v16, v17 :: v_dual_lshlrev_b32 v45, 2, v15
	v_and_or_b32 v15, vcc_lo, v46, 0x80000000
	ds_bpermute_b32 v26, v45, v17
	ds_bpermute_b32 v20, v45, v18
	v_ctz_i32_b32_e32 v15, v15
	s_delay_alu instid0(VALU_DEP_1)
	v_cmpx_lt_u32_e64 v42, v15
	s_cbranch_execz .LBB872_49
; %bb.48:
	s_waitcnt lgkmcnt(1)
	v_add_co_u32 v16, vcc_lo, v17, v26
	v_add_co_ci_u32_e32 v18, vcc_lo, 0, v18, vcc_lo
	s_delay_alu instid0(VALU_DEP_2) | instskip(SKIP_1) | instid1(VALU_DEP_2)
	v_add_co_u32 v17, vcc_lo, 0, v16
	s_waitcnt lgkmcnt(0)
	v_add_co_ci_u32_e32 v18, vcc_lo, v20, v18, vcc_lo
.LBB872_49:
	s_or_b32 exec_lo, exec_lo, s11
	v_cmp_gt_u32_e32 vcc_lo, 30, v42
	v_add_nc_u32_e32 v48, 2, v42
	s_mov_b32 s11, exec_lo
	s_waitcnt lgkmcnt(0)
	v_cndmask_b32_e64 v20, 0, 1, vcc_lo
	s_delay_alu instid0(VALU_DEP_1) | instskip(NEXT) | instid1(VALU_DEP_1)
	v_lshlrev_b32_e32 v20, 1, v20
	v_add_lshl_u32 v47, v20, v42, 2
	ds_bpermute_b32 v26, v47, v16
	ds_bpermute_b32 v20, v47, v18
	v_cmpx_le_u32_e64 v48, v15
	s_cbranch_execz .LBB872_51
; %bb.50:
	s_waitcnt lgkmcnt(1)
	v_add_co_u32 v16, vcc_lo, v17, v26
	v_add_co_ci_u32_e32 v18, vcc_lo, 0, v18, vcc_lo
	s_delay_alu instid0(VALU_DEP_2) | instskip(SKIP_1) | instid1(VALU_DEP_2)
	v_add_co_u32 v17, vcc_lo, 0, v16
	s_waitcnt lgkmcnt(0)
	v_add_co_ci_u32_e32 v18, vcc_lo, v20, v18, vcc_lo
.LBB872_51:
	s_or_b32 exec_lo, exec_lo, s11
	v_cmp_gt_u32_e32 vcc_lo, 28, v42
	v_add_nc_u32_e32 v50, 4, v42
	s_mov_b32 s11, exec_lo
	s_waitcnt lgkmcnt(0)
	v_cndmask_b32_e64 v20, 0, 1, vcc_lo
	s_delay_alu instid0(VALU_DEP_1) | instskip(NEXT) | instid1(VALU_DEP_1)
	v_lshlrev_b32_e32 v20, 2, v20
	v_add_lshl_u32 v49, v20, v42, 2
	ds_bpermute_b32 v26, v49, v16
	ds_bpermute_b32 v20, v49, v18
	v_cmpx_le_u32_e64 v50, v15
	;; [unrolled: 22-line block ×4, first 2 shown]
	s_cbranch_execz .LBB872_57
; %bb.56:
	s_waitcnt lgkmcnt(1)
	v_add_co_u32 v15, vcc_lo, v17, v20
	v_add_co_ci_u32_e32 v18, vcc_lo, 0, v18, vcc_lo
	s_delay_alu instid0(VALU_DEP_2) | instskip(SKIP_1) | instid1(VALU_DEP_2)
	v_add_co_u32 v17, vcc_lo, v15, 0
	s_waitcnt lgkmcnt(0)
	v_add_co_ci_u32_e32 v18, vcc_lo, v18, v16, vcc_lo
.LBB872_57:
	s_or_b32 exec_lo, exec_lo, s11
	v_mov_b32_e32 v26, 0
	s_branch .LBB872_59
.LBB872_58:                             ;   in Loop: Header=BB872_59 Depth=1
	s_or_b32 exec_lo, exec_lo, s11
	v_add_co_u32 v17, vcc_lo, v17, v15
	v_subrev_nc_u32_e32 v25, 32, v25
	v_add_co_ci_u32_e32 v18, vcc_lo, v18, v16, vcc_lo
.LBB872_59:                             ; =>This Loop Header: Depth=1
                                        ;     Child Loop BB872_62 Depth 2
	v_and_b32_e32 v15, 0xff, v19
	s_delay_alu instid0(VALU_DEP_1) | instskip(SKIP_2) | instid1(VALU_DEP_1)
	v_cmp_ne_u16_e32 vcc_lo, 2, v15
	v_cndmask_b32_e64 v15, 0, 1, vcc_lo
	;;#ASMSTART
	;;#ASMEND
	v_cmp_ne_u32_e32 vcc_lo, 0, v15
	s_waitcnt lgkmcnt(0)
	v_dual_mov_b32 v15, v17 :: v_dual_mov_b32 v16, v18
	s_cmp_lg_u32 vcc_lo, exec_lo
	s_cbranch_scc1 .LBB872_74
; %bb.60:                               ;   in Loop: Header=BB872_59 Depth=1
	v_lshlrev_b64 v[17:18], 4, v[25:26]
	s_mov_b32 s11, exec_lo
	s_delay_alu instid0(VALU_DEP_1) | instskip(NEXT) | instid1(VALU_DEP_2)
	v_add_co_u32 v27, vcc_lo, s8, v17
	v_add_co_ci_u32_e32 v28, vcc_lo, s9, v18, vcc_lo
	;;#ASMSTART
	global_load_dwordx4 v[17:20], v[27:28] off glc	
s_waitcnt vmcnt(0)
	;;#ASMEND
	v_and_b32_e32 v20, 0xff, v18
	v_and_b32_e32 v55, 0xff00, v18
	v_or3_b32 v17, v17, 0, 0
	v_and_b32_e32 v56, 0xff000000, v18
	v_and_b32_e32 v18, 0xff0000, v18
	s_delay_alu instid0(VALU_DEP_4) | instskip(SKIP_2) | instid1(VALU_DEP_3)
	v_or3_b32 v20, 0, v20, v55
	v_and_b32_e32 v55, 0xff, v19
	v_or3_b32 v17, v17, 0, 0
	v_or3_b32 v18, v20, v18, v56
	s_delay_alu instid0(VALU_DEP_3)
	v_cmpx_eq_u16_e32 0, v55
	s_cbranch_execz .LBB872_64
; %bb.61:                               ;   in Loop: Header=BB872_59 Depth=1
	s_mov_b32 s12, 0
.LBB872_62:                             ;   Parent Loop BB872_59 Depth=1
                                        ; =>  This Inner Loop Header: Depth=2
	;;#ASMSTART
	global_load_dwordx4 v[17:20], v[27:28] off glc	
s_waitcnt vmcnt(0)
	;;#ASMEND
	v_and_b32_e32 v20, 0xff, v19
	s_delay_alu instid0(VALU_DEP_1) | instskip(SKIP_1) | instid1(SALU_CYCLE_1)
	v_cmp_ne_u16_e32 vcc_lo, 0, v20
	s_or_b32 s12, vcc_lo, s12
	s_and_not1_b32 exec_lo, exec_lo, s12
	s_cbranch_execnz .LBB872_62
; %bb.63:                               ;   in Loop: Header=BB872_59 Depth=1
	s_or_b32 exec_lo, exec_lo, s12
.LBB872_64:                             ;   in Loop: Header=BB872_59 Depth=1
	s_delay_alu instid0(SALU_CYCLE_1)
	s_or_b32 exec_lo, exec_lo, s11
	v_dual_mov_b32 v27, v17 :: v_dual_and_b32 v20, 0xff, v19
	ds_bpermute_b32 v55, v45, v17
	ds_bpermute_b32 v28, v45, v18
	s_mov_b32 s11, exec_lo
	v_cmp_eq_u16_e32 vcc_lo, 2, v20
	v_and_or_b32 v20, vcc_lo, v46, 0x80000000
	s_delay_alu instid0(VALU_DEP_1) | instskip(NEXT) | instid1(VALU_DEP_1)
	v_ctz_i32_b32_e32 v20, v20
	v_cmpx_lt_u32_e64 v42, v20
	s_cbranch_execz .LBB872_66
; %bb.65:                               ;   in Loop: Header=BB872_59 Depth=1
	s_waitcnt lgkmcnt(1)
	v_add_co_u32 v27, vcc_lo, v17, v55
	v_add_co_ci_u32_e32 v18, vcc_lo, 0, v18, vcc_lo
	s_delay_alu instid0(VALU_DEP_2) | instskip(SKIP_1) | instid1(VALU_DEP_2)
	v_add_co_u32 v17, vcc_lo, 0, v27
	s_waitcnt lgkmcnt(0)
	v_add_co_ci_u32_e32 v18, vcc_lo, v28, v18, vcc_lo
.LBB872_66:                             ;   in Loop: Header=BB872_59 Depth=1
	s_or_b32 exec_lo, exec_lo, s11
	s_waitcnt lgkmcnt(1)
	ds_bpermute_b32 v55, v47, v27
	s_waitcnt lgkmcnt(1)
	ds_bpermute_b32 v28, v47, v18
	s_mov_b32 s11, exec_lo
	v_cmpx_le_u32_e64 v48, v20
	s_cbranch_execz .LBB872_68
; %bb.67:                               ;   in Loop: Header=BB872_59 Depth=1
	s_waitcnt lgkmcnt(1)
	v_add_co_u32 v27, vcc_lo, v17, v55
	v_add_co_ci_u32_e32 v18, vcc_lo, 0, v18, vcc_lo
	s_delay_alu instid0(VALU_DEP_2) | instskip(SKIP_1) | instid1(VALU_DEP_2)
	v_add_co_u32 v17, vcc_lo, 0, v27
	s_waitcnt lgkmcnt(0)
	v_add_co_ci_u32_e32 v18, vcc_lo, v28, v18, vcc_lo
.LBB872_68:                             ;   in Loop: Header=BB872_59 Depth=1
	s_or_b32 exec_lo, exec_lo, s11
	s_waitcnt lgkmcnt(1)
	ds_bpermute_b32 v55, v49, v27
	s_waitcnt lgkmcnt(1)
	ds_bpermute_b32 v28, v49, v18
	s_mov_b32 s11, exec_lo
	v_cmpx_le_u32_e64 v50, v20
	;; [unrolled: 17-line block ×3, first 2 shown]
	s_cbranch_execz .LBB872_72
; %bb.71:                               ;   in Loop: Header=BB872_59 Depth=1
	s_waitcnt lgkmcnt(1)
	v_add_co_u32 v27, vcc_lo, v17, v55
	v_add_co_ci_u32_e32 v18, vcc_lo, 0, v18, vcc_lo
	s_delay_alu instid0(VALU_DEP_2) | instskip(SKIP_1) | instid1(VALU_DEP_2)
	v_add_co_u32 v17, vcc_lo, 0, v27
	s_waitcnt lgkmcnt(0)
	v_add_co_ci_u32_e32 v18, vcc_lo, v28, v18, vcc_lo
.LBB872_72:                             ;   in Loop: Header=BB872_59 Depth=1
	s_or_b32 exec_lo, exec_lo, s11
	s_waitcnt lgkmcnt(0)
	ds_bpermute_b32 v28, v53, v27
	ds_bpermute_b32 v27, v53, v18
	s_mov_b32 s11, exec_lo
	v_cmpx_le_u32_e64 v54, v20
	s_cbranch_execz .LBB872_58
; %bb.73:                               ;   in Loop: Header=BB872_59 Depth=1
	s_waitcnt lgkmcnt(1)
	v_add_co_u32 v17, vcc_lo, v17, v28
	v_add_co_ci_u32_e32 v18, vcc_lo, 0, v18, vcc_lo
	s_delay_alu instid0(VALU_DEP_2) | instskip(SKIP_1) | instid1(VALU_DEP_2)
	v_add_co_u32 v17, vcc_lo, v17, 0
	s_waitcnt lgkmcnt(0)
	v_add_co_ci_u32_e32 v18, vcc_lo, v18, v27, vcc_lo
	s_branch .LBB872_58
.LBB872_74:                             ;   in Loop: Header=BB872_59 Depth=1
                                        ; implicit-def: $vgpr17_vgpr18
	s_cbranch_execz .LBB872_59
; %bb.75:
	s_and_saveexec_b32 s11, s3
	s_cbranch_execz .LBB872_77
; %bb.76:
	s_add_i32 s12, s15, 32
	s_mov_b32 s13, 0
	v_add_co_u32 v17, vcc_lo, v15, v13
	s_lshl_b64 s[12:13], s[12:13], 4
	v_dual_mov_b32 v19, 2 :: v_dual_mov_b32 v20, 0
	s_add_u32 s12, s8, s12
	s_addc_u32 s13, s9, s13
	v_add_co_ci_u32_e32 v18, vcc_lo, v16, v14, vcc_lo
	v_dual_mov_b32 v26, s13 :: v_dual_mov_b32 v25, s12
	;;#ASMSTART
	global_store_dwordx4 v[25:26], v[17:20] off	
s_waitcnt vmcnt(0)
	;;#ASMEND
	ds_store_b128 v20, v[13:16] offset:6144
.LBB872_77:
	s_or_b32 exec_lo, exec_lo, s11
	v_cmp_eq_u32_e32 vcc_lo, 0, v0
	s_and_b32 exec_lo, exec_lo, vcc_lo
	s_cbranch_execz .LBB872_79
; %bb.78:
	v_mov_b32_e32 v13, 0
	ds_store_b64 v13, v[15:16] offset:24
.LBB872_79:
	s_or_b32 exec_lo, exec_lo, s10
	s_waitcnt lgkmcnt(1)
	v_cndmask_b32_e64 v16, v29, v23, s3
	v_cmp_ne_u32_e32 vcc_lo, 0, v0
	v_mov_b32_e32 v15, 0
	s_waitcnt lgkmcnt(0)
	s_barrier
	buffer_gl0_inv
	v_cndmask_b32_e32 v16, 0, v16, vcc_lo
	ds_load_b64 v[13:14], v15 offset:24
	v_cndmask_b32_e64 v17, v30, v24, s3
	s_waitcnt lgkmcnt(0)
	s_barrier
	buffer_gl0_inv
	v_cndmask_b32_e32 v17, 0, v17, vcc_lo
	v_add_co_u32 v29, vcc_lo, v13, v16
	s_delay_alu instid0(VALU_DEP_2) | instskip(SKIP_3) | instid1(VALU_DEP_2)
	v_add_co_ci_u32_e32 v30, vcc_lo, v14, v17, vcc_lo
	ds_load_b128 v[13:16], v15 offset:6144
	v_add_co_u32 v27, vcc_lo, v29, v41
	v_add_co_ci_u32_e32 v28, vcc_lo, 0, v30, vcc_lo
	v_add_co_u32 v25, vcc_lo, v27, v40
	s_delay_alu instid0(VALU_DEP_2) | instskip(NEXT) | instid1(VALU_DEP_2)
	v_add_co_ci_u32_e32 v26, vcc_lo, 0, v28, vcc_lo
	v_add_co_u32 v23, vcc_lo, v25, v39
	s_delay_alu instid0(VALU_DEP_2) | instskip(NEXT) | instid1(VALU_DEP_2)
	;; [unrolled: 3-line block ×3, first 2 shown]
	v_add_co_ci_u32_e32 v20, vcc_lo, 0, v24, vcc_lo
	v_add_co_u32 v17, vcc_lo, v19, v37
	s_delay_alu instid0(VALU_DEP_2)
	v_add_co_ci_u32_e32 v18, vcc_lo, 0, v20, vcc_lo
	s_load_b64 s[10:11], s[0:1], 0x30
.LBB872_80:
	s_waitcnt lgkmcnt(0)
	v_cmp_gt_u64_e32 vcc_lo, 0x81, v[13:14]
	s_mov_b32 s0, -1
	s_cbranch_vccnz .LBB872_108
.LBB872_81:
	s_and_b32 vcc_lo, exec_lo, s0
	s_cbranch_vccnz .LBB872_127
.LBB872_82:
	v_cmp_eq_u32_e32 vcc_lo, 0, v0
	s_and_b32 s0, vcc_lo, s14
	s_delay_alu instid0(SALU_CYCLE_1)
	s_and_saveexec_b32 s1, s0
	s_cbranch_execnz .LBB872_143
.LBB872_83:
	s_nop 0
	s_sendmsg sendmsg(MSG_DEALLOC_VGPRS)
	s_endpgm
.LBB872_84:
                                        ; kill: def $vgpr13_vgpr14 killed $sgpr0_sgpr1 killed $exec
                                        ; implicit-def: $vgpr17_vgpr18
                                        ; implicit-def: $vgpr19_vgpr20
                                        ; implicit-def: $vgpr23_vgpr24
                                        ; implicit-def: $vgpr25_vgpr26
                                        ; implicit-def: $vgpr27_vgpr28
                                        ; implicit-def: $vgpr29_vgpr30
                                        ; implicit-def: $vgpr15_vgpr16
	s_load_b64 s[10:11], s[0:1], 0x30
	s_and_b32 vcc_lo, exec_lo, s3
	s_cbranch_vccz .LBB872_80
; %bb.85:
	s_waitcnt lgkmcnt(0)
	v_dual_mov_b32 v14, 0 :: v_dual_mov_b32 v15, v21
	v_mov_b32_dpp v16, v21 row_shr:1 row_mask:0xf bank_mask:0xf
	s_delay_alu instid0(VALU_DEP_2)
	v_mov_b32_dpp v13, v14 row_shr:1 row_mask:0xf bank_mask:0xf
	s_and_saveexec_b32 s0, s2
; %bb.86:
	s_delay_alu instid0(VALU_DEP_2) | instskip(SKIP_1) | instid1(VALU_DEP_2)
	v_add_co_u32 v15, vcc_lo, v21, v16
	v_add_co_ci_u32_e32 v14, vcc_lo, 0, v22, vcc_lo
	v_add_co_u32 v21, vcc_lo, 0, v15
	s_delay_alu instid0(VALU_DEP_2) | instskip(NEXT) | instid1(VALU_DEP_1)
	v_add_co_ci_u32_e32 v22, vcc_lo, v13, v14, vcc_lo
	v_mov_b32_e32 v14, v22
; %bb.87:
	s_or_b32 exec_lo, exec_lo, s0
	v_mov_b32_dpp v13, v15 row_shr:2 row_mask:0xf bank_mask:0xf
	s_delay_alu instid0(VALU_DEP_2)
	v_mov_b32_dpp v16, v14 row_shr:2 row_mask:0xf bank_mask:0xf
	s_mov_b32 s0, exec_lo
	v_cmpx_lt_u32_e32 1, v44
; %bb.88:
	s_delay_alu instid0(VALU_DEP_3) | instskip(SKIP_1) | instid1(VALU_DEP_2)
	v_add_co_u32 v15, vcc_lo, v21, v13
	v_add_co_ci_u32_e32 v14, vcc_lo, 0, v22, vcc_lo
	v_add_co_u32 v13, vcc_lo, 0, v15
	s_delay_alu instid0(VALU_DEP_2) | instskip(NEXT) | instid1(VALU_DEP_1)
	v_add_co_ci_u32_e32 v14, vcc_lo, v16, v14, vcc_lo
	v_dual_mov_b32 v22, v14 :: v_dual_mov_b32 v21, v13
; %bb.89:
	s_or_b32 exec_lo, exec_lo, s0
	v_mov_b32_dpp v13, v15 row_shr:4 row_mask:0xf bank_mask:0xf
	v_mov_b32_dpp v16, v14 row_shr:4 row_mask:0xf bank_mask:0xf
	s_mov_b32 s0, exec_lo
	v_cmpx_lt_u32_e32 3, v44
; %bb.90:
	s_delay_alu instid0(VALU_DEP_3) | instskip(SKIP_1) | instid1(VALU_DEP_2)
	v_add_co_u32 v15, vcc_lo, v21, v13
	v_add_co_ci_u32_e32 v14, vcc_lo, 0, v22, vcc_lo
	v_add_co_u32 v13, vcc_lo, 0, v15
	s_delay_alu instid0(VALU_DEP_2) | instskip(NEXT) | instid1(VALU_DEP_1)
	v_add_co_ci_u32_e32 v14, vcc_lo, v16, v14, vcc_lo
	v_dual_mov_b32 v22, v14 :: v_dual_mov_b32 v21, v13
; %bb.91:
	s_or_b32 exec_lo, exec_lo, s0
	v_mov_b32_dpp v16, v15 row_shr:8 row_mask:0xf bank_mask:0xf
	v_mov_b32_dpp v13, v14 row_shr:8 row_mask:0xf bank_mask:0xf
	s_mov_b32 s0, exec_lo
	v_cmpx_lt_u32_e32 7, v44
; %bb.92:
	s_delay_alu instid0(VALU_DEP_3) | instskip(SKIP_1) | instid1(VALU_DEP_2)
	v_add_co_u32 v15, vcc_lo, v21, v16
	v_add_co_ci_u32_e32 v14, vcc_lo, 0, v22, vcc_lo
	v_add_co_u32 v21, vcc_lo, 0, v15
	s_delay_alu instid0(VALU_DEP_2) | instskip(NEXT) | instid1(VALU_DEP_1)
	v_add_co_ci_u32_e32 v22, vcc_lo, v13, v14, vcc_lo
	v_mov_b32_e32 v14, v22
; %bb.93:
	s_or_b32 exec_lo, exec_lo, s0
	ds_swizzle_b32 v15, v15 offset:swizzle(BROADCAST,32,15)
	ds_swizzle_b32 v13, v14 offset:swizzle(BROADCAST,32,15)
	v_and_b32_e32 v14, 16, v42
	s_mov_b32 s0, exec_lo
	s_delay_alu instid0(VALU_DEP_1)
	v_cmpx_ne_u32_e32 0, v14
	s_cbranch_execz .LBB872_95
; %bb.94:
	s_waitcnt lgkmcnt(1)
	v_add_co_u32 v14, vcc_lo, v21, v15
	v_add_co_ci_u32_e32 v15, vcc_lo, 0, v22, vcc_lo
	s_delay_alu instid0(VALU_DEP_2) | instskip(SKIP_1) | instid1(VALU_DEP_2)
	v_add_co_u32 v21, vcc_lo, v14, 0
	s_waitcnt lgkmcnt(0)
	v_add_co_ci_u32_e32 v22, vcc_lo, v15, v13, vcc_lo
.LBB872_95:
	s_or_b32 exec_lo, exec_lo, s0
	s_waitcnt lgkmcnt(0)
	v_or_b32_e32 v13, 31, v0
	v_lshrrev_b32_e32 v15, 5, v0
	s_mov_b32 s0, exec_lo
	s_delay_alu instid0(VALU_DEP_2)
	v_cmpx_eq_u32_e64 v13, v0
	s_cbranch_execz .LBB872_97
; %bb.96:
	s_delay_alu instid0(VALU_DEP_2)
	v_lshlrev_b32_e32 v13, 3, v15
	ds_store_b64 v13, v[21:22]
.LBB872_97:
	s_or_b32 exec_lo, exec_lo, s0
	s_delay_alu instid0(SALU_CYCLE_1)
	s_mov_b32 s0, exec_lo
	s_waitcnt lgkmcnt(0)
	s_barrier
	buffer_gl0_inv
	v_cmpx_gt_u32_e32 4, v0
	s_cbranch_execz .LBB872_103
; %bb.98:
	v_lshlrev_b32_e32 v13, 1, v0
	s_mov_b32 s1, exec_lo
	s_delay_alu instid0(VALU_DEP_1)
	v_add_nc_u32_e32 v16, v43, v13
	ds_load_b64 v[13:14], v16
	s_waitcnt lgkmcnt(0)
	v_dual_mov_b32 v18, v13 :: v_dual_and_b32 v17, 3, v42
	v_mov_b32_dpp v20, v13 row_shr:1 row_mask:0xf bank_mask:0xf
	v_mov_b32_dpp v19, v14 row_shr:1 row_mask:0xf bank_mask:0xf
	s_delay_alu instid0(VALU_DEP_3)
	v_cmpx_ne_u32_e32 0, v17
; %bb.99:
	s_delay_alu instid0(VALU_DEP_3) | instskip(SKIP_1) | instid1(VALU_DEP_2)
	v_add_co_u32 v18, vcc_lo, v13, v20
	v_add_co_ci_u32_e32 v14, vcc_lo, 0, v14, vcc_lo
	v_add_co_u32 v13, vcc_lo, 0, v18
	s_delay_alu instid0(VALU_DEP_2)
	v_add_co_ci_u32_e32 v14, vcc_lo, v19, v14, vcc_lo
; %bb.100:
	s_or_b32 exec_lo, exec_lo, s1
	v_mov_b32_dpp v19, v18 row_shr:2 row_mask:0xf bank_mask:0xf
	s_delay_alu instid0(VALU_DEP_2)
	v_mov_b32_dpp v18, v14 row_shr:2 row_mask:0xf bank_mask:0xf
	s_mov_b32 s1, exec_lo
	v_cmpx_lt_u32_e32 1, v17
; %bb.101:
	s_delay_alu instid0(VALU_DEP_3) | instskip(SKIP_1) | instid1(VALU_DEP_2)
	v_add_co_u32 v13, vcc_lo, v13, v19
	v_add_co_ci_u32_e32 v14, vcc_lo, 0, v14, vcc_lo
	v_add_co_u32 v13, vcc_lo, v13, 0
	s_delay_alu instid0(VALU_DEP_2)
	v_add_co_ci_u32_e32 v14, vcc_lo, v14, v18, vcc_lo
; %bb.102:
	s_or_b32 exec_lo, exec_lo, s1
	ds_store_b64 v16, v[13:14]
.LBB872_103:
	s_or_b32 exec_lo, exec_lo, s0
	v_mov_b32_e32 v17, 0
	v_mov_b32_e32 v18, 0
	s_mov_b32 s0, exec_lo
	s_waitcnt lgkmcnt(0)
	s_barrier
	buffer_gl0_inv
	v_cmpx_lt_u32_e32 31, v0
	s_cbranch_execz .LBB872_105
; %bb.104:
	v_lshl_add_u32 v13, v15, 3, -8
	ds_load_b64 v[17:18], v13
.LBB872_105:
	s_or_b32 exec_lo, exec_lo, s0
	v_dual_mov_b32 v16, 0 :: v_dual_add_nc_u32 v13, -1, v42
	s_delay_alu instid0(VALU_DEP_1) | instskip(SKIP_4) | instid1(VALU_DEP_3)
	v_cmp_gt_i32_e32 vcc_lo, 0, v13
	v_cndmask_b32_e32 v13, v13, v42, vcc_lo
	s_waitcnt lgkmcnt(0)
	v_add_co_u32 v14, vcc_lo, v17, v21
	v_add_co_ci_u32_e32 v15, vcc_lo, v18, v22, vcc_lo
	v_lshlrev_b32_e32 v13, 2, v13
	v_cmp_eq_u32_e32 vcc_lo, 0, v0
	ds_bpermute_b32 v19, v13, v14
	ds_bpermute_b32 v20, v13, v15
	ds_load_b64 v[13:14], v16 offset:24
	s_and_saveexec_b32 s0, vcc_lo
	s_cbranch_execz .LBB872_107
; %bb.106:
	s_add_u32 s2, s8, 0x200
	s_addc_u32 s3, s9, 0
	s_delay_alu instid0(SALU_CYCLE_1)
	v_dual_mov_b32 v15, 2 :: v_dual_mov_b32 v22, s3
	v_mov_b32_e32 v21, s2
	s_waitcnt lgkmcnt(0)
	;;#ASMSTART
	global_store_dwordx4 v[21:22], v[13:16] off	
s_waitcnt vmcnt(0)
	;;#ASMEND
.LBB872_107:
	s_or_b32 exec_lo, exec_lo, s0
	v_cmp_eq_u32_e64 s0, 0, v42
	s_waitcnt lgkmcnt(0)
	s_barrier
	buffer_gl0_inv
	v_cndmask_b32_e64 v15, v19, v17, s0
	v_cndmask_b32_e64 v16, v20, v18, s0
	s_delay_alu instid0(VALU_DEP_2) | instskip(NEXT) | instid1(VALU_DEP_2)
	v_cndmask_b32_e64 v29, v15, 0, vcc_lo
	v_cndmask_b32_e64 v30, v16, 0, vcc_lo
	v_mov_b32_e32 v15, 0
	v_mov_b32_e32 v16, 0
	s_delay_alu instid0(VALU_DEP_4) | instskip(NEXT) | instid1(VALU_DEP_4)
	v_add_co_u32 v27, vcc_lo, v29, v41
	v_add_co_ci_u32_e32 v28, vcc_lo, 0, v30, vcc_lo
	s_delay_alu instid0(VALU_DEP_2) | instskip(NEXT) | instid1(VALU_DEP_2)
	v_add_co_u32 v25, vcc_lo, v27, v40
	v_add_co_ci_u32_e32 v26, vcc_lo, 0, v28, vcc_lo
	s_delay_alu instid0(VALU_DEP_2) | instskip(NEXT) | instid1(VALU_DEP_2)
	;; [unrolled: 3-line block ×4, first 2 shown]
	v_add_co_u32 v17, vcc_lo, v19, v37
	v_add_co_ci_u32_e32 v18, vcc_lo, 0, v20, vcc_lo
	v_cmp_gt_u64_e32 vcc_lo, 0x81, v[13:14]
	s_mov_b32 s0, -1
	s_cbranch_vccz .LBB872_81
.LBB872_108:
	v_add_co_u32 v21, vcc_lo, v15, v13
	v_add_co_ci_u32_e32 v22, vcc_lo, v16, v14, vcc_lo
	s_delay_alu instid0(VALU_DEP_1) | instskip(SKIP_1) | instid1(SALU_CYCLE_1)
	v_cmp_lt_u64_e32 vcc_lo, v[29:30], v[21:22]
	s_or_b32 s1, s16, vcc_lo
	s_and_saveexec_b32 s0, s1
	s_cbranch_execz .LBB872_111
; %bb.109:
	v_and_b32_e32 v37, 1, v36
	s_delay_alu instid0(VALU_DEP_1)
	v_cmp_eq_u32_e32 vcc_lo, 1, v37
	s_and_b32 exec_lo, exec_lo, vcc_lo
	s_cbranch_execz .LBB872_111
; %bb.110:
	v_lshlrev_b64 v[37:38], 3, v[29:30]
	s_lshl_b64 s[2:3], s[6:7], 3
	s_delay_alu instid0(SALU_CYCLE_1) | instskip(SKIP_1) | instid1(VALU_DEP_1)
	s_add_u32 s1, s10, s2
	s_addc_u32 s2, s11, s3
	v_add_co_u32 v37, vcc_lo, s1, v37
	s_delay_alu instid0(VALU_DEP_2)
	v_add_co_ci_u32_e32 v38, vcc_lo, s2, v38, vcc_lo
	global_store_b64 v[37:38], v[9:10], off
.LBB872_111:
	s_or_b32 exec_lo, exec_lo, s0
	v_cmp_lt_u64_e32 vcc_lo, v[27:28], v[21:22]
	s_or_b32 s1, s16, vcc_lo
	s_delay_alu instid0(SALU_CYCLE_1)
	s_and_saveexec_b32 s0, s1
	s_cbranch_execz .LBB872_114
; %bb.112:
	v_and_b32_e32 v30, 1, v34
	s_delay_alu instid0(VALU_DEP_1)
	v_cmp_eq_u32_e32 vcc_lo, 1, v30
	s_and_b32 exec_lo, exec_lo, vcc_lo
	s_cbranch_execz .LBB872_114
; %bb.113:
	v_lshlrev_b64 v[37:38], 3, v[27:28]
	s_lshl_b64 s[2:3], s[6:7], 3
	s_delay_alu instid0(SALU_CYCLE_1) | instskip(SKIP_1) | instid1(VALU_DEP_1)
	s_add_u32 s1, s10, s2
	s_addc_u32 s2, s11, s3
	v_add_co_u32 v37, vcc_lo, s1, v37
	s_delay_alu instid0(VALU_DEP_2)
	v_add_co_ci_u32_e32 v38, vcc_lo, s2, v38, vcc_lo
	global_store_b64 v[37:38], v[11:12], off
.LBB872_114:
	s_or_b32 exec_lo, exec_lo, s0
	v_cmp_lt_u64_e32 vcc_lo, v[25:26], v[21:22]
	s_or_b32 s1, s16, vcc_lo
	s_delay_alu instid0(SALU_CYCLE_1)
	;; [unrolled: 23-line block ×5, first 2 shown]
	s_and_saveexec_b32 s0, s1
	s_cbranch_execz .LBB872_126
; %bb.124:
	v_and_b32_e32 v20, 1, v32
	s_delay_alu instid0(VALU_DEP_1)
	v_cmp_eq_u32_e32 vcc_lo, 1, v20
	s_and_b32 exec_lo, exec_lo, vcc_lo
	s_cbranch_execz .LBB872_126
; %bb.125:
	v_lshlrev_b64 v[20:21], 3, v[17:18]
	s_lshl_b64 s[2:3], s[6:7], 3
	s_delay_alu instid0(SALU_CYCLE_1) | instskip(SKIP_1) | instid1(VALU_DEP_1)
	s_add_u32 s1, s10, s2
	s_addc_u32 s2, s11, s3
	v_add_co_u32 v20, vcc_lo, s1, v20
	s_delay_alu instid0(VALU_DEP_2)
	v_add_co_ci_u32_e32 v21, vcc_lo, s2, v21, vcc_lo
	global_store_b64 v[20:21], v[3:4], off
.LBB872_126:
	s_or_b32 exec_lo, exec_lo, s0
	s_branch .LBB872_82
.LBB872_127:
	v_and_b32_e32 v18, 1, v36
	s_mov_b32 s0, exec_lo
	s_delay_alu instid0(VALU_DEP_1)
	v_cmpx_eq_u32_e32 1, v18
	s_cbranch_execz .LBB872_129
; %bb.128:
	v_sub_nc_u32_e32 v18, v29, v15
	s_delay_alu instid0(VALU_DEP_1)
	v_lshlrev_b32_e32 v18, 3, v18
	ds_store_b64 v18, v[9:10]
.LBB872_129:
	s_or_b32 exec_lo, exec_lo, s0
	v_and_b32_e32 v9, 1, v34
	s_mov_b32 s0, exec_lo
	s_delay_alu instid0(VALU_DEP_1)
	v_cmpx_eq_u32_e32 1, v9
	s_cbranch_execz .LBB872_131
; %bb.130:
	v_sub_nc_u32_e32 v9, v27, v15
	s_delay_alu instid0(VALU_DEP_1)
	v_lshlrev_b32_e32 v9, 3, v9
	ds_store_b64 v9, v[11:12]
.LBB872_131:
	s_or_b32 exec_lo, exec_lo, s0
	;; [unrolled: 12-line block ×6, first 2 shown]
	v_mov_b32_e32 v3, 0
	s_mov_b32 s1, exec_lo
	s_waitcnt lgkmcnt(0)
	s_waitcnt_vscnt null, 0x0
	s_barrier
	buffer_gl0_inv
	v_mov_b32_e32 v1, v3
	s_delay_alu instid0(VALU_DEP_1)
	v_cmpx_gt_u64_e64 v[13:14], v[0:1]
	s_cbranch_execz .LBB872_142
; %bb.140:
	v_lshlrev_b64 v[4:5], 3, v[15:16]
	s_lshl_b64 s[2:3], s[6:7], 3
	v_or_b32_e32 v2, 0x80, v0
	s_delay_alu instid0(VALU_DEP_2) | instskip(NEXT) | instid1(VALU_DEP_3)
	v_add_co_u32 v4, vcc_lo, s10, v4
	v_add_co_ci_u32_e32 v5, vcc_lo, s11, v5, vcc_lo
	s_delay_alu instid0(VALU_DEP_2) | instskip(NEXT) | instid1(VALU_DEP_2)
	v_add_co_u32 v6, vcc_lo, v4, s2
	v_add_co_ci_u32_e32 v7, vcc_lo, s3, v5, vcc_lo
	v_dual_mov_b32 v5, v1 :: v_dual_mov_b32 v4, v0
	s_mov_b32 s2, 0
	.p2align	6
.LBB872_141:                            ; =>This Inner Loop Header: Depth=1
	s_delay_alu instid0(VALU_DEP_1) | instskip(NEXT) | instid1(VALU_DEP_2)
	v_lshlrev_b32_e32 v1, 3, v4
	v_lshlrev_b64 v[10:11], 3, v[4:5]
	v_dual_mov_b32 v5, v3 :: v_dual_mov_b32 v4, v2
	v_cmp_le_u64_e32 vcc_lo, v[13:14], v[2:3]
	v_add_nc_u32_e32 v2, 0x80, v2
	ds_load_b64 v[8:9], v1
	v_add_co_u32 v10, s0, v6, v10
	s_delay_alu instid0(VALU_DEP_1)
	v_add_co_ci_u32_e64 v11, s0, v7, v11, s0
	s_or_b32 s2, vcc_lo, s2
	s_waitcnt lgkmcnt(0)
	global_store_b64 v[10:11], v[8:9], off
	s_and_not1_b32 exec_lo, exec_lo, s2
	s_cbranch_execnz .LBB872_141
.LBB872_142:
	s_or_b32 exec_lo, exec_lo, s1
	v_cmp_eq_u32_e32 vcc_lo, 0, v0
	s_and_b32 s0, vcc_lo, s14
	s_delay_alu instid0(SALU_CYCLE_1)
	s_and_saveexec_b32 s1, s0
	s_cbranch_execz .LBB872_83
.LBB872_143:
	v_add_co_u32 v0, vcc_lo, v15, v13
	v_add_co_ci_u32_e32 v1, vcc_lo, v16, v14, vcc_lo
	v_mov_b32_e32 v2, 0
	s_delay_alu instid0(VALU_DEP_3) | instskip(NEXT) | instid1(VALU_DEP_3)
	v_add_co_u32 v0, vcc_lo, v0, s6
	v_add_co_ci_u32_e32 v1, vcc_lo, s7, v1, vcc_lo
	global_store_b64 v2, v[0:1], s[4:5]
	s_nop 0
	s_sendmsg sendmsg(MSG_DEALLOC_VGPRS)
	s_endpgm
	.section	.rodata,"a",@progbits
	.p2align	6, 0x0
	.amdhsa_kernel _ZN7rocprim17ROCPRIM_400000_NS6detail17trampoline_kernelINS0_14default_configENS1_25partition_config_selectorILNS1_17partition_subalgoE5ElNS0_10empty_typeEbEEZZNS1_14partition_implILS5_5ELb0ES3_mN6hipcub16HIPCUB_304000_NS21CountingInputIteratorIllEEPS6_NSA_22TransformInputIteratorIbN2at6native12_GLOBAL__N_19NonZeroOpIN3c104HalfEEEPKSK_lEENS0_5tupleIJPlS6_EEENSP_IJSD_SD_EEES6_PiJS6_EEE10hipError_tPvRmT3_T4_T5_T6_T7_T9_mT8_P12ihipStream_tbDpT10_ENKUlT_T0_E_clISt17integral_constantIbLb0EES1D_EEDaS18_S19_EUlS18_E_NS1_11comp_targetILNS1_3genE9ELNS1_11target_archE1100ELNS1_3gpuE3ELNS1_3repE0EEENS1_30default_config_static_selectorELNS0_4arch9wavefront6targetE0EEEvT1_
		.amdhsa_group_segment_fixed_size 6160
		.amdhsa_private_segment_fixed_size 0
		.amdhsa_kernarg_size 120
		.amdhsa_user_sgpr_count 15
		.amdhsa_user_sgpr_dispatch_ptr 0
		.amdhsa_user_sgpr_queue_ptr 0
		.amdhsa_user_sgpr_kernarg_segment_ptr 1
		.amdhsa_user_sgpr_dispatch_id 0
		.amdhsa_user_sgpr_private_segment_size 0
		.amdhsa_wavefront_size32 1
		.amdhsa_uses_dynamic_stack 0
		.amdhsa_enable_private_segment 0
		.amdhsa_system_sgpr_workgroup_id_x 1
		.amdhsa_system_sgpr_workgroup_id_y 0
		.amdhsa_system_sgpr_workgroup_id_z 0
		.amdhsa_system_sgpr_workgroup_info 0
		.amdhsa_system_vgpr_workitem_id 0
		.amdhsa_next_free_vgpr 57
		.amdhsa_next_free_sgpr 21
		.amdhsa_reserve_vcc 1
		.amdhsa_float_round_mode_32 0
		.amdhsa_float_round_mode_16_64 0
		.amdhsa_float_denorm_mode_32 3
		.amdhsa_float_denorm_mode_16_64 3
		.amdhsa_dx10_clamp 1
		.amdhsa_ieee_mode 1
		.amdhsa_fp16_overflow 0
		.amdhsa_workgroup_processor_mode 1
		.amdhsa_memory_ordered 1
		.amdhsa_forward_progress 0
		.amdhsa_shared_vgpr_count 0
		.amdhsa_exception_fp_ieee_invalid_op 0
		.amdhsa_exception_fp_denorm_src 0
		.amdhsa_exception_fp_ieee_div_zero 0
		.amdhsa_exception_fp_ieee_overflow 0
		.amdhsa_exception_fp_ieee_underflow 0
		.amdhsa_exception_fp_ieee_inexact 0
		.amdhsa_exception_int_div_zero 0
	.end_amdhsa_kernel
	.section	.text._ZN7rocprim17ROCPRIM_400000_NS6detail17trampoline_kernelINS0_14default_configENS1_25partition_config_selectorILNS1_17partition_subalgoE5ElNS0_10empty_typeEbEEZZNS1_14partition_implILS5_5ELb0ES3_mN6hipcub16HIPCUB_304000_NS21CountingInputIteratorIllEEPS6_NSA_22TransformInputIteratorIbN2at6native12_GLOBAL__N_19NonZeroOpIN3c104HalfEEEPKSK_lEENS0_5tupleIJPlS6_EEENSP_IJSD_SD_EEES6_PiJS6_EEE10hipError_tPvRmT3_T4_T5_T6_T7_T9_mT8_P12ihipStream_tbDpT10_ENKUlT_T0_E_clISt17integral_constantIbLb0EES1D_EEDaS18_S19_EUlS18_E_NS1_11comp_targetILNS1_3genE9ELNS1_11target_archE1100ELNS1_3gpuE3ELNS1_3repE0EEENS1_30default_config_static_selectorELNS0_4arch9wavefront6targetE0EEEvT1_,"axG",@progbits,_ZN7rocprim17ROCPRIM_400000_NS6detail17trampoline_kernelINS0_14default_configENS1_25partition_config_selectorILNS1_17partition_subalgoE5ElNS0_10empty_typeEbEEZZNS1_14partition_implILS5_5ELb0ES3_mN6hipcub16HIPCUB_304000_NS21CountingInputIteratorIllEEPS6_NSA_22TransformInputIteratorIbN2at6native12_GLOBAL__N_19NonZeroOpIN3c104HalfEEEPKSK_lEENS0_5tupleIJPlS6_EEENSP_IJSD_SD_EEES6_PiJS6_EEE10hipError_tPvRmT3_T4_T5_T6_T7_T9_mT8_P12ihipStream_tbDpT10_ENKUlT_T0_E_clISt17integral_constantIbLb0EES1D_EEDaS18_S19_EUlS18_E_NS1_11comp_targetILNS1_3genE9ELNS1_11target_archE1100ELNS1_3gpuE3ELNS1_3repE0EEENS1_30default_config_static_selectorELNS0_4arch9wavefront6targetE0EEEvT1_,comdat
.Lfunc_end872:
	.size	_ZN7rocprim17ROCPRIM_400000_NS6detail17trampoline_kernelINS0_14default_configENS1_25partition_config_selectorILNS1_17partition_subalgoE5ElNS0_10empty_typeEbEEZZNS1_14partition_implILS5_5ELb0ES3_mN6hipcub16HIPCUB_304000_NS21CountingInputIteratorIllEEPS6_NSA_22TransformInputIteratorIbN2at6native12_GLOBAL__N_19NonZeroOpIN3c104HalfEEEPKSK_lEENS0_5tupleIJPlS6_EEENSP_IJSD_SD_EEES6_PiJS6_EEE10hipError_tPvRmT3_T4_T5_T6_T7_T9_mT8_P12ihipStream_tbDpT10_ENKUlT_T0_E_clISt17integral_constantIbLb0EES1D_EEDaS18_S19_EUlS18_E_NS1_11comp_targetILNS1_3genE9ELNS1_11target_archE1100ELNS1_3gpuE3ELNS1_3repE0EEENS1_30default_config_static_selectorELNS0_4arch9wavefront6targetE0EEEvT1_, .Lfunc_end872-_ZN7rocprim17ROCPRIM_400000_NS6detail17trampoline_kernelINS0_14default_configENS1_25partition_config_selectorILNS1_17partition_subalgoE5ElNS0_10empty_typeEbEEZZNS1_14partition_implILS5_5ELb0ES3_mN6hipcub16HIPCUB_304000_NS21CountingInputIteratorIllEEPS6_NSA_22TransformInputIteratorIbN2at6native12_GLOBAL__N_19NonZeroOpIN3c104HalfEEEPKSK_lEENS0_5tupleIJPlS6_EEENSP_IJSD_SD_EEES6_PiJS6_EEE10hipError_tPvRmT3_T4_T5_T6_T7_T9_mT8_P12ihipStream_tbDpT10_ENKUlT_T0_E_clISt17integral_constantIbLb0EES1D_EEDaS18_S19_EUlS18_E_NS1_11comp_targetILNS1_3genE9ELNS1_11target_archE1100ELNS1_3gpuE3ELNS1_3repE0EEENS1_30default_config_static_selectorELNS0_4arch9wavefront6targetE0EEEvT1_
                                        ; -- End function
	.section	.AMDGPU.csdata,"",@progbits
; Kernel info:
; codeLenInByte = 6496
; NumSgprs: 23
; NumVgprs: 57
; ScratchSize: 0
; MemoryBound: 0
; FloatMode: 240
; IeeeMode: 1
; LDSByteSize: 6160 bytes/workgroup (compile time only)
; SGPRBlocks: 2
; VGPRBlocks: 7
; NumSGPRsForWavesPerEU: 23
; NumVGPRsForWavesPerEU: 57
; Occupancy: 16
; WaveLimiterHint : 1
; COMPUTE_PGM_RSRC2:SCRATCH_EN: 0
; COMPUTE_PGM_RSRC2:USER_SGPR: 15
; COMPUTE_PGM_RSRC2:TRAP_HANDLER: 0
; COMPUTE_PGM_RSRC2:TGID_X_EN: 1
; COMPUTE_PGM_RSRC2:TGID_Y_EN: 0
; COMPUTE_PGM_RSRC2:TGID_Z_EN: 0
; COMPUTE_PGM_RSRC2:TIDIG_COMP_CNT: 0
	.section	.text._ZN7rocprim17ROCPRIM_400000_NS6detail17trampoline_kernelINS0_14default_configENS1_25partition_config_selectorILNS1_17partition_subalgoE5ElNS0_10empty_typeEbEEZZNS1_14partition_implILS5_5ELb0ES3_mN6hipcub16HIPCUB_304000_NS21CountingInputIteratorIllEEPS6_NSA_22TransformInputIteratorIbN2at6native12_GLOBAL__N_19NonZeroOpIN3c104HalfEEEPKSK_lEENS0_5tupleIJPlS6_EEENSP_IJSD_SD_EEES6_PiJS6_EEE10hipError_tPvRmT3_T4_T5_T6_T7_T9_mT8_P12ihipStream_tbDpT10_ENKUlT_T0_E_clISt17integral_constantIbLb0EES1D_EEDaS18_S19_EUlS18_E_NS1_11comp_targetILNS1_3genE8ELNS1_11target_archE1030ELNS1_3gpuE2ELNS1_3repE0EEENS1_30default_config_static_selectorELNS0_4arch9wavefront6targetE0EEEvT1_,"axG",@progbits,_ZN7rocprim17ROCPRIM_400000_NS6detail17trampoline_kernelINS0_14default_configENS1_25partition_config_selectorILNS1_17partition_subalgoE5ElNS0_10empty_typeEbEEZZNS1_14partition_implILS5_5ELb0ES3_mN6hipcub16HIPCUB_304000_NS21CountingInputIteratorIllEEPS6_NSA_22TransformInputIteratorIbN2at6native12_GLOBAL__N_19NonZeroOpIN3c104HalfEEEPKSK_lEENS0_5tupleIJPlS6_EEENSP_IJSD_SD_EEES6_PiJS6_EEE10hipError_tPvRmT3_T4_T5_T6_T7_T9_mT8_P12ihipStream_tbDpT10_ENKUlT_T0_E_clISt17integral_constantIbLb0EES1D_EEDaS18_S19_EUlS18_E_NS1_11comp_targetILNS1_3genE8ELNS1_11target_archE1030ELNS1_3gpuE2ELNS1_3repE0EEENS1_30default_config_static_selectorELNS0_4arch9wavefront6targetE0EEEvT1_,comdat
	.globl	_ZN7rocprim17ROCPRIM_400000_NS6detail17trampoline_kernelINS0_14default_configENS1_25partition_config_selectorILNS1_17partition_subalgoE5ElNS0_10empty_typeEbEEZZNS1_14partition_implILS5_5ELb0ES3_mN6hipcub16HIPCUB_304000_NS21CountingInputIteratorIllEEPS6_NSA_22TransformInputIteratorIbN2at6native12_GLOBAL__N_19NonZeroOpIN3c104HalfEEEPKSK_lEENS0_5tupleIJPlS6_EEENSP_IJSD_SD_EEES6_PiJS6_EEE10hipError_tPvRmT3_T4_T5_T6_T7_T9_mT8_P12ihipStream_tbDpT10_ENKUlT_T0_E_clISt17integral_constantIbLb0EES1D_EEDaS18_S19_EUlS18_E_NS1_11comp_targetILNS1_3genE8ELNS1_11target_archE1030ELNS1_3gpuE2ELNS1_3repE0EEENS1_30default_config_static_selectorELNS0_4arch9wavefront6targetE0EEEvT1_ ; -- Begin function _ZN7rocprim17ROCPRIM_400000_NS6detail17trampoline_kernelINS0_14default_configENS1_25partition_config_selectorILNS1_17partition_subalgoE5ElNS0_10empty_typeEbEEZZNS1_14partition_implILS5_5ELb0ES3_mN6hipcub16HIPCUB_304000_NS21CountingInputIteratorIllEEPS6_NSA_22TransformInputIteratorIbN2at6native12_GLOBAL__N_19NonZeroOpIN3c104HalfEEEPKSK_lEENS0_5tupleIJPlS6_EEENSP_IJSD_SD_EEES6_PiJS6_EEE10hipError_tPvRmT3_T4_T5_T6_T7_T9_mT8_P12ihipStream_tbDpT10_ENKUlT_T0_E_clISt17integral_constantIbLb0EES1D_EEDaS18_S19_EUlS18_E_NS1_11comp_targetILNS1_3genE8ELNS1_11target_archE1030ELNS1_3gpuE2ELNS1_3repE0EEENS1_30default_config_static_selectorELNS0_4arch9wavefront6targetE0EEEvT1_
	.p2align	8
	.type	_ZN7rocprim17ROCPRIM_400000_NS6detail17trampoline_kernelINS0_14default_configENS1_25partition_config_selectorILNS1_17partition_subalgoE5ElNS0_10empty_typeEbEEZZNS1_14partition_implILS5_5ELb0ES3_mN6hipcub16HIPCUB_304000_NS21CountingInputIteratorIllEEPS6_NSA_22TransformInputIteratorIbN2at6native12_GLOBAL__N_19NonZeroOpIN3c104HalfEEEPKSK_lEENS0_5tupleIJPlS6_EEENSP_IJSD_SD_EEES6_PiJS6_EEE10hipError_tPvRmT3_T4_T5_T6_T7_T9_mT8_P12ihipStream_tbDpT10_ENKUlT_T0_E_clISt17integral_constantIbLb0EES1D_EEDaS18_S19_EUlS18_E_NS1_11comp_targetILNS1_3genE8ELNS1_11target_archE1030ELNS1_3gpuE2ELNS1_3repE0EEENS1_30default_config_static_selectorELNS0_4arch9wavefront6targetE0EEEvT1_,@function
_ZN7rocprim17ROCPRIM_400000_NS6detail17trampoline_kernelINS0_14default_configENS1_25partition_config_selectorILNS1_17partition_subalgoE5ElNS0_10empty_typeEbEEZZNS1_14partition_implILS5_5ELb0ES3_mN6hipcub16HIPCUB_304000_NS21CountingInputIteratorIllEEPS6_NSA_22TransformInputIteratorIbN2at6native12_GLOBAL__N_19NonZeroOpIN3c104HalfEEEPKSK_lEENS0_5tupleIJPlS6_EEENSP_IJSD_SD_EEES6_PiJS6_EEE10hipError_tPvRmT3_T4_T5_T6_T7_T9_mT8_P12ihipStream_tbDpT10_ENKUlT_T0_E_clISt17integral_constantIbLb0EES1D_EEDaS18_S19_EUlS18_E_NS1_11comp_targetILNS1_3genE8ELNS1_11target_archE1030ELNS1_3gpuE2ELNS1_3repE0EEENS1_30default_config_static_selectorELNS0_4arch9wavefront6targetE0EEEvT1_: ; @_ZN7rocprim17ROCPRIM_400000_NS6detail17trampoline_kernelINS0_14default_configENS1_25partition_config_selectorILNS1_17partition_subalgoE5ElNS0_10empty_typeEbEEZZNS1_14partition_implILS5_5ELb0ES3_mN6hipcub16HIPCUB_304000_NS21CountingInputIteratorIllEEPS6_NSA_22TransformInputIteratorIbN2at6native12_GLOBAL__N_19NonZeroOpIN3c104HalfEEEPKSK_lEENS0_5tupleIJPlS6_EEENSP_IJSD_SD_EEES6_PiJS6_EEE10hipError_tPvRmT3_T4_T5_T6_T7_T9_mT8_P12ihipStream_tbDpT10_ENKUlT_T0_E_clISt17integral_constantIbLb0EES1D_EEDaS18_S19_EUlS18_E_NS1_11comp_targetILNS1_3genE8ELNS1_11target_archE1030ELNS1_3gpuE2ELNS1_3repE0EEENS1_30default_config_static_selectorELNS0_4arch9wavefront6targetE0EEEvT1_
; %bb.0:
	.section	.rodata,"a",@progbits
	.p2align	6, 0x0
	.amdhsa_kernel _ZN7rocprim17ROCPRIM_400000_NS6detail17trampoline_kernelINS0_14default_configENS1_25partition_config_selectorILNS1_17partition_subalgoE5ElNS0_10empty_typeEbEEZZNS1_14partition_implILS5_5ELb0ES3_mN6hipcub16HIPCUB_304000_NS21CountingInputIteratorIllEEPS6_NSA_22TransformInputIteratorIbN2at6native12_GLOBAL__N_19NonZeroOpIN3c104HalfEEEPKSK_lEENS0_5tupleIJPlS6_EEENSP_IJSD_SD_EEES6_PiJS6_EEE10hipError_tPvRmT3_T4_T5_T6_T7_T9_mT8_P12ihipStream_tbDpT10_ENKUlT_T0_E_clISt17integral_constantIbLb0EES1D_EEDaS18_S19_EUlS18_E_NS1_11comp_targetILNS1_3genE8ELNS1_11target_archE1030ELNS1_3gpuE2ELNS1_3repE0EEENS1_30default_config_static_selectorELNS0_4arch9wavefront6targetE0EEEvT1_
		.amdhsa_group_segment_fixed_size 0
		.amdhsa_private_segment_fixed_size 0
		.amdhsa_kernarg_size 120
		.amdhsa_user_sgpr_count 15
		.amdhsa_user_sgpr_dispatch_ptr 0
		.amdhsa_user_sgpr_queue_ptr 0
		.amdhsa_user_sgpr_kernarg_segment_ptr 1
		.amdhsa_user_sgpr_dispatch_id 0
		.amdhsa_user_sgpr_private_segment_size 0
		.amdhsa_wavefront_size32 1
		.amdhsa_uses_dynamic_stack 0
		.amdhsa_enable_private_segment 0
		.amdhsa_system_sgpr_workgroup_id_x 1
		.amdhsa_system_sgpr_workgroup_id_y 0
		.amdhsa_system_sgpr_workgroup_id_z 0
		.amdhsa_system_sgpr_workgroup_info 0
		.amdhsa_system_vgpr_workitem_id 0
		.amdhsa_next_free_vgpr 1
		.amdhsa_next_free_sgpr 1
		.amdhsa_reserve_vcc 0
		.amdhsa_float_round_mode_32 0
		.amdhsa_float_round_mode_16_64 0
		.amdhsa_float_denorm_mode_32 3
		.amdhsa_float_denorm_mode_16_64 3
		.amdhsa_dx10_clamp 1
		.amdhsa_ieee_mode 1
		.amdhsa_fp16_overflow 0
		.amdhsa_workgroup_processor_mode 1
		.amdhsa_memory_ordered 1
		.amdhsa_forward_progress 0
		.amdhsa_shared_vgpr_count 0
		.amdhsa_exception_fp_ieee_invalid_op 0
		.amdhsa_exception_fp_denorm_src 0
		.amdhsa_exception_fp_ieee_div_zero 0
		.amdhsa_exception_fp_ieee_overflow 0
		.amdhsa_exception_fp_ieee_underflow 0
		.amdhsa_exception_fp_ieee_inexact 0
		.amdhsa_exception_int_div_zero 0
	.end_amdhsa_kernel
	.section	.text._ZN7rocprim17ROCPRIM_400000_NS6detail17trampoline_kernelINS0_14default_configENS1_25partition_config_selectorILNS1_17partition_subalgoE5ElNS0_10empty_typeEbEEZZNS1_14partition_implILS5_5ELb0ES3_mN6hipcub16HIPCUB_304000_NS21CountingInputIteratorIllEEPS6_NSA_22TransformInputIteratorIbN2at6native12_GLOBAL__N_19NonZeroOpIN3c104HalfEEEPKSK_lEENS0_5tupleIJPlS6_EEENSP_IJSD_SD_EEES6_PiJS6_EEE10hipError_tPvRmT3_T4_T5_T6_T7_T9_mT8_P12ihipStream_tbDpT10_ENKUlT_T0_E_clISt17integral_constantIbLb0EES1D_EEDaS18_S19_EUlS18_E_NS1_11comp_targetILNS1_3genE8ELNS1_11target_archE1030ELNS1_3gpuE2ELNS1_3repE0EEENS1_30default_config_static_selectorELNS0_4arch9wavefront6targetE0EEEvT1_,"axG",@progbits,_ZN7rocprim17ROCPRIM_400000_NS6detail17trampoline_kernelINS0_14default_configENS1_25partition_config_selectorILNS1_17partition_subalgoE5ElNS0_10empty_typeEbEEZZNS1_14partition_implILS5_5ELb0ES3_mN6hipcub16HIPCUB_304000_NS21CountingInputIteratorIllEEPS6_NSA_22TransformInputIteratorIbN2at6native12_GLOBAL__N_19NonZeroOpIN3c104HalfEEEPKSK_lEENS0_5tupleIJPlS6_EEENSP_IJSD_SD_EEES6_PiJS6_EEE10hipError_tPvRmT3_T4_T5_T6_T7_T9_mT8_P12ihipStream_tbDpT10_ENKUlT_T0_E_clISt17integral_constantIbLb0EES1D_EEDaS18_S19_EUlS18_E_NS1_11comp_targetILNS1_3genE8ELNS1_11target_archE1030ELNS1_3gpuE2ELNS1_3repE0EEENS1_30default_config_static_selectorELNS0_4arch9wavefront6targetE0EEEvT1_,comdat
.Lfunc_end873:
	.size	_ZN7rocprim17ROCPRIM_400000_NS6detail17trampoline_kernelINS0_14default_configENS1_25partition_config_selectorILNS1_17partition_subalgoE5ElNS0_10empty_typeEbEEZZNS1_14partition_implILS5_5ELb0ES3_mN6hipcub16HIPCUB_304000_NS21CountingInputIteratorIllEEPS6_NSA_22TransformInputIteratorIbN2at6native12_GLOBAL__N_19NonZeroOpIN3c104HalfEEEPKSK_lEENS0_5tupleIJPlS6_EEENSP_IJSD_SD_EEES6_PiJS6_EEE10hipError_tPvRmT3_T4_T5_T6_T7_T9_mT8_P12ihipStream_tbDpT10_ENKUlT_T0_E_clISt17integral_constantIbLb0EES1D_EEDaS18_S19_EUlS18_E_NS1_11comp_targetILNS1_3genE8ELNS1_11target_archE1030ELNS1_3gpuE2ELNS1_3repE0EEENS1_30default_config_static_selectorELNS0_4arch9wavefront6targetE0EEEvT1_, .Lfunc_end873-_ZN7rocprim17ROCPRIM_400000_NS6detail17trampoline_kernelINS0_14default_configENS1_25partition_config_selectorILNS1_17partition_subalgoE5ElNS0_10empty_typeEbEEZZNS1_14partition_implILS5_5ELb0ES3_mN6hipcub16HIPCUB_304000_NS21CountingInputIteratorIllEEPS6_NSA_22TransformInputIteratorIbN2at6native12_GLOBAL__N_19NonZeroOpIN3c104HalfEEEPKSK_lEENS0_5tupleIJPlS6_EEENSP_IJSD_SD_EEES6_PiJS6_EEE10hipError_tPvRmT3_T4_T5_T6_T7_T9_mT8_P12ihipStream_tbDpT10_ENKUlT_T0_E_clISt17integral_constantIbLb0EES1D_EEDaS18_S19_EUlS18_E_NS1_11comp_targetILNS1_3genE8ELNS1_11target_archE1030ELNS1_3gpuE2ELNS1_3repE0EEENS1_30default_config_static_selectorELNS0_4arch9wavefront6targetE0EEEvT1_
                                        ; -- End function
	.section	.AMDGPU.csdata,"",@progbits
; Kernel info:
; codeLenInByte = 0
; NumSgprs: 0
; NumVgprs: 0
; ScratchSize: 0
; MemoryBound: 0
; FloatMode: 240
; IeeeMode: 1
; LDSByteSize: 0 bytes/workgroup (compile time only)
; SGPRBlocks: 0
; VGPRBlocks: 0
; NumSGPRsForWavesPerEU: 1
; NumVGPRsForWavesPerEU: 1
; Occupancy: 16
; WaveLimiterHint : 0
; COMPUTE_PGM_RSRC2:SCRATCH_EN: 0
; COMPUTE_PGM_RSRC2:USER_SGPR: 15
; COMPUTE_PGM_RSRC2:TRAP_HANDLER: 0
; COMPUTE_PGM_RSRC2:TGID_X_EN: 1
; COMPUTE_PGM_RSRC2:TGID_Y_EN: 0
; COMPUTE_PGM_RSRC2:TGID_Z_EN: 0
; COMPUTE_PGM_RSRC2:TIDIG_COMP_CNT: 0
	.section	.text._ZN7rocprim17ROCPRIM_400000_NS6detail17trampoline_kernelINS0_14default_configENS1_25partition_config_selectorILNS1_17partition_subalgoE5ElNS0_10empty_typeEbEEZZNS1_14partition_implILS5_5ELb0ES3_mN6hipcub16HIPCUB_304000_NS21CountingInputIteratorIllEEPS6_NSA_22TransformInputIteratorIbN2at6native12_GLOBAL__N_19NonZeroOpIN3c104HalfEEEPKSK_lEENS0_5tupleIJPlS6_EEENSP_IJSD_SD_EEES6_PiJS6_EEE10hipError_tPvRmT3_T4_T5_T6_T7_T9_mT8_P12ihipStream_tbDpT10_ENKUlT_T0_E_clISt17integral_constantIbLb1EES1D_EEDaS18_S19_EUlS18_E_NS1_11comp_targetILNS1_3genE0ELNS1_11target_archE4294967295ELNS1_3gpuE0ELNS1_3repE0EEENS1_30default_config_static_selectorELNS0_4arch9wavefront6targetE0EEEvT1_,"axG",@progbits,_ZN7rocprim17ROCPRIM_400000_NS6detail17trampoline_kernelINS0_14default_configENS1_25partition_config_selectorILNS1_17partition_subalgoE5ElNS0_10empty_typeEbEEZZNS1_14partition_implILS5_5ELb0ES3_mN6hipcub16HIPCUB_304000_NS21CountingInputIteratorIllEEPS6_NSA_22TransformInputIteratorIbN2at6native12_GLOBAL__N_19NonZeroOpIN3c104HalfEEEPKSK_lEENS0_5tupleIJPlS6_EEENSP_IJSD_SD_EEES6_PiJS6_EEE10hipError_tPvRmT3_T4_T5_T6_T7_T9_mT8_P12ihipStream_tbDpT10_ENKUlT_T0_E_clISt17integral_constantIbLb1EES1D_EEDaS18_S19_EUlS18_E_NS1_11comp_targetILNS1_3genE0ELNS1_11target_archE4294967295ELNS1_3gpuE0ELNS1_3repE0EEENS1_30default_config_static_selectorELNS0_4arch9wavefront6targetE0EEEvT1_,comdat
	.globl	_ZN7rocprim17ROCPRIM_400000_NS6detail17trampoline_kernelINS0_14default_configENS1_25partition_config_selectorILNS1_17partition_subalgoE5ElNS0_10empty_typeEbEEZZNS1_14partition_implILS5_5ELb0ES3_mN6hipcub16HIPCUB_304000_NS21CountingInputIteratorIllEEPS6_NSA_22TransformInputIteratorIbN2at6native12_GLOBAL__N_19NonZeroOpIN3c104HalfEEEPKSK_lEENS0_5tupleIJPlS6_EEENSP_IJSD_SD_EEES6_PiJS6_EEE10hipError_tPvRmT3_T4_T5_T6_T7_T9_mT8_P12ihipStream_tbDpT10_ENKUlT_T0_E_clISt17integral_constantIbLb1EES1D_EEDaS18_S19_EUlS18_E_NS1_11comp_targetILNS1_3genE0ELNS1_11target_archE4294967295ELNS1_3gpuE0ELNS1_3repE0EEENS1_30default_config_static_selectorELNS0_4arch9wavefront6targetE0EEEvT1_ ; -- Begin function _ZN7rocprim17ROCPRIM_400000_NS6detail17trampoline_kernelINS0_14default_configENS1_25partition_config_selectorILNS1_17partition_subalgoE5ElNS0_10empty_typeEbEEZZNS1_14partition_implILS5_5ELb0ES3_mN6hipcub16HIPCUB_304000_NS21CountingInputIteratorIllEEPS6_NSA_22TransformInputIteratorIbN2at6native12_GLOBAL__N_19NonZeroOpIN3c104HalfEEEPKSK_lEENS0_5tupleIJPlS6_EEENSP_IJSD_SD_EEES6_PiJS6_EEE10hipError_tPvRmT3_T4_T5_T6_T7_T9_mT8_P12ihipStream_tbDpT10_ENKUlT_T0_E_clISt17integral_constantIbLb1EES1D_EEDaS18_S19_EUlS18_E_NS1_11comp_targetILNS1_3genE0ELNS1_11target_archE4294967295ELNS1_3gpuE0ELNS1_3repE0EEENS1_30default_config_static_selectorELNS0_4arch9wavefront6targetE0EEEvT1_
	.p2align	8
	.type	_ZN7rocprim17ROCPRIM_400000_NS6detail17trampoline_kernelINS0_14default_configENS1_25partition_config_selectorILNS1_17partition_subalgoE5ElNS0_10empty_typeEbEEZZNS1_14partition_implILS5_5ELb0ES3_mN6hipcub16HIPCUB_304000_NS21CountingInputIteratorIllEEPS6_NSA_22TransformInputIteratorIbN2at6native12_GLOBAL__N_19NonZeroOpIN3c104HalfEEEPKSK_lEENS0_5tupleIJPlS6_EEENSP_IJSD_SD_EEES6_PiJS6_EEE10hipError_tPvRmT3_T4_T5_T6_T7_T9_mT8_P12ihipStream_tbDpT10_ENKUlT_T0_E_clISt17integral_constantIbLb1EES1D_EEDaS18_S19_EUlS18_E_NS1_11comp_targetILNS1_3genE0ELNS1_11target_archE4294967295ELNS1_3gpuE0ELNS1_3repE0EEENS1_30default_config_static_selectorELNS0_4arch9wavefront6targetE0EEEvT1_,@function
_ZN7rocprim17ROCPRIM_400000_NS6detail17trampoline_kernelINS0_14default_configENS1_25partition_config_selectorILNS1_17partition_subalgoE5ElNS0_10empty_typeEbEEZZNS1_14partition_implILS5_5ELb0ES3_mN6hipcub16HIPCUB_304000_NS21CountingInputIteratorIllEEPS6_NSA_22TransformInputIteratorIbN2at6native12_GLOBAL__N_19NonZeroOpIN3c104HalfEEEPKSK_lEENS0_5tupleIJPlS6_EEENSP_IJSD_SD_EEES6_PiJS6_EEE10hipError_tPvRmT3_T4_T5_T6_T7_T9_mT8_P12ihipStream_tbDpT10_ENKUlT_T0_E_clISt17integral_constantIbLb1EES1D_EEDaS18_S19_EUlS18_E_NS1_11comp_targetILNS1_3genE0ELNS1_11target_archE4294967295ELNS1_3gpuE0ELNS1_3repE0EEENS1_30default_config_static_selectorELNS0_4arch9wavefront6targetE0EEEvT1_: ; @_ZN7rocprim17ROCPRIM_400000_NS6detail17trampoline_kernelINS0_14default_configENS1_25partition_config_selectorILNS1_17partition_subalgoE5ElNS0_10empty_typeEbEEZZNS1_14partition_implILS5_5ELb0ES3_mN6hipcub16HIPCUB_304000_NS21CountingInputIteratorIllEEPS6_NSA_22TransformInputIteratorIbN2at6native12_GLOBAL__N_19NonZeroOpIN3c104HalfEEEPKSK_lEENS0_5tupleIJPlS6_EEENSP_IJSD_SD_EEES6_PiJS6_EEE10hipError_tPvRmT3_T4_T5_T6_T7_T9_mT8_P12ihipStream_tbDpT10_ENKUlT_T0_E_clISt17integral_constantIbLb1EES1D_EEDaS18_S19_EUlS18_E_NS1_11comp_targetILNS1_3genE0ELNS1_11target_archE4294967295ELNS1_3gpuE0ELNS1_3repE0EEENS1_30default_config_static_selectorELNS0_4arch9wavefront6targetE0EEEvT1_
; %bb.0:
	.section	.rodata,"a",@progbits
	.p2align	6, 0x0
	.amdhsa_kernel _ZN7rocprim17ROCPRIM_400000_NS6detail17trampoline_kernelINS0_14default_configENS1_25partition_config_selectorILNS1_17partition_subalgoE5ElNS0_10empty_typeEbEEZZNS1_14partition_implILS5_5ELb0ES3_mN6hipcub16HIPCUB_304000_NS21CountingInputIteratorIllEEPS6_NSA_22TransformInputIteratorIbN2at6native12_GLOBAL__N_19NonZeroOpIN3c104HalfEEEPKSK_lEENS0_5tupleIJPlS6_EEENSP_IJSD_SD_EEES6_PiJS6_EEE10hipError_tPvRmT3_T4_T5_T6_T7_T9_mT8_P12ihipStream_tbDpT10_ENKUlT_T0_E_clISt17integral_constantIbLb1EES1D_EEDaS18_S19_EUlS18_E_NS1_11comp_targetILNS1_3genE0ELNS1_11target_archE4294967295ELNS1_3gpuE0ELNS1_3repE0EEENS1_30default_config_static_selectorELNS0_4arch9wavefront6targetE0EEEvT1_
		.amdhsa_group_segment_fixed_size 0
		.amdhsa_private_segment_fixed_size 0
		.amdhsa_kernarg_size 136
		.amdhsa_user_sgpr_count 15
		.amdhsa_user_sgpr_dispatch_ptr 0
		.amdhsa_user_sgpr_queue_ptr 0
		.amdhsa_user_sgpr_kernarg_segment_ptr 1
		.amdhsa_user_sgpr_dispatch_id 0
		.amdhsa_user_sgpr_private_segment_size 0
		.amdhsa_wavefront_size32 1
		.amdhsa_uses_dynamic_stack 0
		.amdhsa_enable_private_segment 0
		.amdhsa_system_sgpr_workgroup_id_x 1
		.amdhsa_system_sgpr_workgroup_id_y 0
		.amdhsa_system_sgpr_workgroup_id_z 0
		.amdhsa_system_sgpr_workgroup_info 0
		.amdhsa_system_vgpr_workitem_id 0
		.amdhsa_next_free_vgpr 1
		.amdhsa_next_free_sgpr 1
		.amdhsa_reserve_vcc 0
		.amdhsa_float_round_mode_32 0
		.amdhsa_float_round_mode_16_64 0
		.amdhsa_float_denorm_mode_32 3
		.amdhsa_float_denorm_mode_16_64 3
		.amdhsa_dx10_clamp 1
		.amdhsa_ieee_mode 1
		.amdhsa_fp16_overflow 0
		.amdhsa_workgroup_processor_mode 1
		.amdhsa_memory_ordered 1
		.amdhsa_forward_progress 0
		.amdhsa_shared_vgpr_count 0
		.amdhsa_exception_fp_ieee_invalid_op 0
		.amdhsa_exception_fp_denorm_src 0
		.amdhsa_exception_fp_ieee_div_zero 0
		.amdhsa_exception_fp_ieee_overflow 0
		.amdhsa_exception_fp_ieee_underflow 0
		.amdhsa_exception_fp_ieee_inexact 0
		.amdhsa_exception_int_div_zero 0
	.end_amdhsa_kernel
	.section	.text._ZN7rocprim17ROCPRIM_400000_NS6detail17trampoline_kernelINS0_14default_configENS1_25partition_config_selectorILNS1_17partition_subalgoE5ElNS0_10empty_typeEbEEZZNS1_14partition_implILS5_5ELb0ES3_mN6hipcub16HIPCUB_304000_NS21CountingInputIteratorIllEEPS6_NSA_22TransformInputIteratorIbN2at6native12_GLOBAL__N_19NonZeroOpIN3c104HalfEEEPKSK_lEENS0_5tupleIJPlS6_EEENSP_IJSD_SD_EEES6_PiJS6_EEE10hipError_tPvRmT3_T4_T5_T6_T7_T9_mT8_P12ihipStream_tbDpT10_ENKUlT_T0_E_clISt17integral_constantIbLb1EES1D_EEDaS18_S19_EUlS18_E_NS1_11comp_targetILNS1_3genE0ELNS1_11target_archE4294967295ELNS1_3gpuE0ELNS1_3repE0EEENS1_30default_config_static_selectorELNS0_4arch9wavefront6targetE0EEEvT1_,"axG",@progbits,_ZN7rocprim17ROCPRIM_400000_NS6detail17trampoline_kernelINS0_14default_configENS1_25partition_config_selectorILNS1_17partition_subalgoE5ElNS0_10empty_typeEbEEZZNS1_14partition_implILS5_5ELb0ES3_mN6hipcub16HIPCUB_304000_NS21CountingInputIteratorIllEEPS6_NSA_22TransformInputIteratorIbN2at6native12_GLOBAL__N_19NonZeroOpIN3c104HalfEEEPKSK_lEENS0_5tupleIJPlS6_EEENSP_IJSD_SD_EEES6_PiJS6_EEE10hipError_tPvRmT3_T4_T5_T6_T7_T9_mT8_P12ihipStream_tbDpT10_ENKUlT_T0_E_clISt17integral_constantIbLb1EES1D_EEDaS18_S19_EUlS18_E_NS1_11comp_targetILNS1_3genE0ELNS1_11target_archE4294967295ELNS1_3gpuE0ELNS1_3repE0EEENS1_30default_config_static_selectorELNS0_4arch9wavefront6targetE0EEEvT1_,comdat
.Lfunc_end874:
	.size	_ZN7rocprim17ROCPRIM_400000_NS6detail17trampoline_kernelINS0_14default_configENS1_25partition_config_selectorILNS1_17partition_subalgoE5ElNS0_10empty_typeEbEEZZNS1_14partition_implILS5_5ELb0ES3_mN6hipcub16HIPCUB_304000_NS21CountingInputIteratorIllEEPS6_NSA_22TransformInputIteratorIbN2at6native12_GLOBAL__N_19NonZeroOpIN3c104HalfEEEPKSK_lEENS0_5tupleIJPlS6_EEENSP_IJSD_SD_EEES6_PiJS6_EEE10hipError_tPvRmT3_T4_T5_T6_T7_T9_mT8_P12ihipStream_tbDpT10_ENKUlT_T0_E_clISt17integral_constantIbLb1EES1D_EEDaS18_S19_EUlS18_E_NS1_11comp_targetILNS1_3genE0ELNS1_11target_archE4294967295ELNS1_3gpuE0ELNS1_3repE0EEENS1_30default_config_static_selectorELNS0_4arch9wavefront6targetE0EEEvT1_, .Lfunc_end874-_ZN7rocprim17ROCPRIM_400000_NS6detail17trampoline_kernelINS0_14default_configENS1_25partition_config_selectorILNS1_17partition_subalgoE5ElNS0_10empty_typeEbEEZZNS1_14partition_implILS5_5ELb0ES3_mN6hipcub16HIPCUB_304000_NS21CountingInputIteratorIllEEPS6_NSA_22TransformInputIteratorIbN2at6native12_GLOBAL__N_19NonZeroOpIN3c104HalfEEEPKSK_lEENS0_5tupleIJPlS6_EEENSP_IJSD_SD_EEES6_PiJS6_EEE10hipError_tPvRmT3_T4_T5_T6_T7_T9_mT8_P12ihipStream_tbDpT10_ENKUlT_T0_E_clISt17integral_constantIbLb1EES1D_EEDaS18_S19_EUlS18_E_NS1_11comp_targetILNS1_3genE0ELNS1_11target_archE4294967295ELNS1_3gpuE0ELNS1_3repE0EEENS1_30default_config_static_selectorELNS0_4arch9wavefront6targetE0EEEvT1_
                                        ; -- End function
	.section	.AMDGPU.csdata,"",@progbits
; Kernel info:
; codeLenInByte = 0
; NumSgprs: 0
; NumVgprs: 0
; ScratchSize: 0
; MemoryBound: 0
; FloatMode: 240
; IeeeMode: 1
; LDSByteSize: 0 bytes/workgroup (compile time only)
; SGPRBlocks: 0
; VGPRBlocks: 0
; NumSGPRsForWavesPerEU: 1
; NumVGPRsForWavesPerEU: 1
; Occupancy: 16
; WaveLimiterHint : 0
; COMPUTE_PGM_RSRC2:SCRATCH_EN: 0
; COMPUTE_PGM_RSRC2:USER_SGPR: 15
; COMPUTE_PGM_RSRC2:TRAP_HANDLER: 0
; COMPUTE_PGM_RSRC2:TGID_X_EN: 1
; COMPUTE_PGM_RSRC2:TGID_Y_EN: 0
; COMPUTE_PGM_RSRC2:TGID_Z_EN: 0
; COMPUTE_PGM_RSRC2:TIDIG_COMP_CNT: 0
	.section	.text._ZN7rocprim17ROCPRIM_400000_NS6detail17trampoline_kernelINS0_14default_configENS1_25partition_config_selectorILNS1_17partition_subalgoE5ElNS0_10empty_typeEbEEZZNS1_14partition_implILS5_5ELb0ES3_mN6hipcub16HIPCUB_304000_NS21CountingInputIteratorIllEEPS6_NSA_22TransformInputIteratorIbN2at6native12_GLOBAL__N_19NonZeroOpIN3c104HalfEEEPKSK_lEENS0_5tupleIJPlS6_EEENSP_IJSD_SD_EEES6_PiJS6_EEE10hipError_tPvRmT3_T4_T5_T6_T7_T9_mT8_P12ihipStream_tbDpT10_ENKUlT_T0_E_clISt17integral_constantIbLb1EES1D_EEDaS18_S19_EUlS18_E_NS1_11comp_targetILNS1_3genE5ELNS1_11target_archE942ELNS1_3gpuE9ELNS1_3repE0EEENS1_30default_config_static_selectorELNS0_4arch9wavefront6targetE0EEEvT1_,"axG",@progbits,_ZN7rocprim17ROCPRIM_400000_NS6detail17trampoline_kernelINS0_14default_configENS1_25partition_config_selectorILNS1_17partition_subalgoE5ElNS0_10empty_typeEbEEZZNS1_14partition_implILS5_5ELb0ES3_mN6hipcub16HIPCUB_304000_NS21CountingInputIteratorIllEEPS6_NSA_22TransformInputIteratorIbN2at6native12_GLOBAL__N_19NonZeroOpIN3c104HalfEEEPKSK_lEENS0_5tupleIJPlS6_EEENSP_IJSD_SD_EEES6_PiJS6_EEE10hipError_tPvRmT3_T4_T5_T6_T7_T9_mT8_P12ihipStream_tbDpT10_ENKUlT_T0_E_clISt17integral_constantIbLb1EES1D_EEDaS18_S19_EUlS18_E_NS1_11comp_targetILNS1_3genE5ELNS1_11target_archE942ELNS1_3gpuE9ELNS1_3repE0EEENS1_30default_config_static_selectorELNS0_4arch9wavefront6targetE0EEEvT1_,comdat
	.globl	_ZN7rocprim17ROCPRIM_400000_NS6detail17trampoline_kernelINS0_14default_configENS1_25partition_config_selectorILNS1_17partition_subalgoE5ElNS0_10empty_typeEbEEZZNS1_14partition_implILS5_5ELb0ES3_mN6hipcub16HIPCUB_304000_NS21CountingInputIteratorIllEEPS6_NSA_22TransformInputIteratorIbN2at6native12_GLOBAL__N_19NonZeroOpIN3c104HalfEEEPKSK_lEENS0_5tupleIJPlS6_EEENSP_IJSD_SD_EEES6_PiJS6_EEE10hipError_tPvRmT3_T4_T5_T6_T7_T9_mT8_P12ihipStream_tbDpT10_ENKUlT_T0_E_clISt17integral_constantIbLb1EES1D_EEDaS18_S19_EUlS18_E_NS1_11comp_targetILNS1_3genE5ELNS1_11target_archE942ELNS1_3gpuE9ELNS1_3repE0EEENS1_30default_config_static_selectorELNS0_4arch9wavefront6targetE0EEEvT1_ ; -- Begin function _ZN7rocprim17ROCPRIM_400000_NS6detail17trampoline_kernelINS0_14default_configENS1_25partition_config_selectorILNS1_17partition_subalgoE5ElNS0_10empty_typeEbEEZZNS1_14partition_implILS5_5ELb0ES3_mN6hipcub16HIPCUB_304000_NS21CountingInputIteratorIllEEPS6_NSA_22TransformInputIteratorIbN2at6native12_GLOBAL__N_19NonZeroOpIN3c104HalfEEEPKSK_lEENS0_5tupleIJPlS6_EEENSP_IJSD_SD_EEES6_PiJS6_EEE10hipError_tPvRmT3_T4_T5_T6_T7_T9_mT8_P12ihipStream_tbDpT10_ENKUlT_T0_E_clISt17integral_constantIbLb1EES1D_EEDaS18_S19_EUlS18_E_NS1_11comp_targetILNS1_3genE5ELNS1_11target_archE942ELNS1_3gpuE9ELNS1_3repE0EEENS1_30default_config_static_selectorELNS0_4arch9wavefront6targetE0EEEvT1_
	.p2align	8
	.type	_ZN7rocprim17ROCPRIM_400000_NS6detail17trampoline_kernelINS0_14default_configENS1_25partition_config_selectorILNS1_17partition_subalgoE5ElNS0_10empty_typeEbEEZZNS1_14partition_implILS5_5ELb0ES3_mN6hipcub16HIPCUB_304000_NS21CountingInputIteratorIllEEPS6_NSA_22TransformInputIteratorIbN2at6native12_GLOBAL__N_19NonZeroOpIN3c104HalfEEEPKSK_lEENS0_5tupleIJPlS6_EEENSP_IJSD_SD_EEES6_PiJS6_EEE10hipError_tPvRmT3_T4_T5_T6_T7_T9_mT8_P12ihipStream_tbDpT10_ENKUlT_T0_E_clISt17integral_constantIbLb1EES1D_EEDaS18_S19_EUlS18_E_NS1_11comp_targetILNS1_3genE5ELNS1_11target_archE942ELNS1_3gpuE9ELNS1_3repE0EEENS1_30default_config_static_selectorELNS0_4arch9wavefront6targetE0EEEvT1_,@function
_ZN7rocprim17ROCPRIM_400000_NS6detail17trampoline_kernelINS0_14default_configENS1_25partition_config_selectorILNS1_17partition_subalgoE5ElNS0_10empty_typeEbEEZZNS1_14partition_implILS5_5ELb0ES3_mN6hipcub16HIPCUB_304000_NS21CountingInputIteratorIllEEPS6_NSA_22TransformInputIteratorIbN2at6native12_GLOBAL__N_19NonZeroOpIN3c104HalfEEEPKSK_lEENS0_5tupleIJPlS6_EEENSP_IJSD_SD_EEES6_PiJS6_EEE10hipError_tPvRmT3_T4_T5_T6_T7_T9_mT8_P12ihipStream_tbDpT10_ENKUlT_T0_E_clISt17integral_constantIbLb1EES1D_EEDaS18_S19_EUlS18_E_NS1_11comp_targetILNS1_3genE5ELNS1_11target_archE942ELNS1_3gpuE9ELNS1_3repE0EEENS1_30default_config_static_selectorELNS0_4arch9wavefront6targetE0EEEvT1_: ; @_ZN7rocprim17ROCPRIM_400000_NS6detail17trampoline_kernelINS0_14default_configENS1_25partition_config_selectorILNS1_17partition_subalgoE5ElNS0_10empty_typeEbEEZZNS1_14partition_implILS5_5ELb0ES3_mN6hipcub16HIPCUB_304000_NS21CountingInputIteratorIllEEPS6_NSA_22TransformInputIteratorIbN2at6native12_GLOBAL__N_19NonZeroOpIN3c104HalfEEEPKSK_lEENS0_5tupleIJPlS6_EEENSP_IJSD_SD_EEES6_PiJS6_EEE10hipError_tPvRmT3_T4_T5_T6_T7_T9_mT8_P12ihipStream_tbDpT10_ENKUlT_T0_E_clISt17integral_constantIbLb1EES1D_EEDaS18_S19_EUlS18_E_NS1_11comp_targetILNS1_3genE5ELNS1_11target_archE942ELNS1_3gpuE9ELNS1_3repE0EEENS1_30default_config_static_selectorELNS0_4arch9wavefront6targetE0EEEvT1_
; %bb.0:
	.section	.rodata,"a",@progbits
	.p2align	6, 0x0
	.amdhsa_kernel _ZN7rocprim17ROCPRIM_400000_NS6detail17trampoline_kernelINS0_14default_configENS1_25partition_config_selectorILNS1_17partition_subalgoE5ElNS0_10empty_typeEbEEZZNS1_14partition_implILS5_5ELb0ES3_mN6hipcub16HIPCUB_304000_NS21CountingInputIteratorIllEEPS6_NSA_22TransformInputIteratorIbN2at6native12_GLOBAL__N_19NonZeroOpIN3c104HalfEEEPKSK_lEENS0_5tupleIJPlS6_EEENSP_IJSD_SD_EEES6_PiJS6_EEE10hipError_tPvRmT3_T4_T5_T6_T7_T9_mT8_P12ihipStream_tbDpT10_ENKUlT_T0_E_clISt17integral_constantIbLb1EES1D_EEDaS18_S19_EUlS18_E_NS1_11comp_targetILNS1_3genE5ELNS1_11target_archE942ELNS1_3gpuE9ELNS1_3repE0EEENS1_30default_config_static_selectorELNS0_4arch9wavefront6targetE0EEEvT1_
		.amdhsa_group_segment_fixed_size 0
		.amdhsa_private_segment_fixed_size 0
		.amdhsa_kernarg_size 136
		.amdhsa_user_sgpr_count 15
		.amdhsa_user_sgpr_dispatch_ptr 0
		.amdhsa_user_sgpr_queue_ptr 0
		.amdhsa_user_sgpr_kernarg_segment_ptr 1
		.amdhsa_user_sgpr_dispatch_id 0
		.amdhsa_user_sgpr_private_segment_size 0
		.amdhsa_wavefront_size32 1
		.amdhsa_uses_dynamic_stack 0
		.amdhsa_enable_private_segment 0
		.amdhsa_system_sgpr_workgroup_id_x 1
		.amdhsa_system_sgpr_workgroup_id_y 0
		.amdhsa_system_sgpr_workgroup_id_z 0
		.amdhsa_system_sgpr_workgroup_info 0
		.amdhsa_system_vgpr_workitem_id 0
		.amdhsa_next_free_vgpr 1
		.amdhsa_next_free_sgpr 1
		.amdhsa_reserve_vcc 0
		.amdhsa_float_round_mode_32 0
		.amdhsa_float_round_mode_16_64 0
		.amdhsa_float_denorm_mode_32 3
		.amdhsa_float_denorm_mode_16_64 3
		.amdhsa_dx10_clamp 1
		.amdhsa_ieee_mode 1
		.amdhsa_fp16_overflow 0
		.amdhsa_workgroup_processor_mode 1
		.amdhsa_memory_ordered 1
		.amdhsa_forward_progress 0
		.amdhsa_shared_vgpr_count 0
		.amdhsa_exception_fp_ieee_invalid_op 0
		.amdhsa_exception_fp_denorm_src 0
		.amdhsa_exception_fp_ieee_div_zero 0
		.amdhsa_exception_fp_ieee_overflow 0
		.amdhsa_exception_fp_ieee_underflow 0
		.amdhsa_exception_fp_ieee_inexact 0
		.amdhsa_exception_int_div_zero 0
	.end_amdhsa_kernel
	.section	.text._ZN7rocprim17ROCPRIM_400000_NS6detail17trampoline_kernelINS0_14default_configENS1_25partition_config_selectorILNS1_17partition_subalgoE5ElNS0_10empty_typeEbEEZZNS1_14partition_implILS5_5ELb0ES3_mN6hipcub16HIPCUB_304000_NS21CountingInputIteratorIllEEPS6_NSA_22TransformInputIteratorIbN2at6native12_GLOBAL__N_19NonZeroOpIN3c104HalfEEEPKSK_lEENS0_5tupleIJPlS6_EEENSP_IJSD_SD_EEES6_PiJS6_EEE10hipError_tPvRmT3_T4_T5_T6_T7_T9_mT8_P12ihipStream_tbDpT10_ENKUlT_T0_E_clISt17integral_constantIbLb1EES1D_EEDaS18_S19_EUlS18_E_NS1_11comp_targetILNS1_3genE5ELNS1_11target_archE942ELNS1_3gpuE9ELNS1_3repE0EEENS1_30default_config_static_selectorELNS0_4arch9wavefront6targetE0EEEvT1_,"axG",@progbits,_ZN7rocprim17ROCPRIM_400000_NS6detail17trampoline_kernelINS0_14default_configENS1_25partition_config_selectorILNS1_17partition_subalgoE5ElNS0_10empty_typeEbEEZZNS1_14partition_implILS5_5ELb0ES3_mN6hipcub16HIPCUB_304000_NS21CountingInputIteratorIllEEPS6_NSA_22TransformInputIteratorIbN2at6native12_GLOBAL__N_19NonZeroOpIN3c104HalfEEEPKSK_lEENS0_5tupleIJPlS6_EEENSP_IJSD_SD_EEES6_PiJS6_EEE10hipError_tPvRmT3_T4_T5_T6_T7_T9_mT8_P12ihipStream_tbDpT10_ENKUlT_T0_E_clISt17integral_constantIbLb1EES1D_EEDaS18_S19_EUlS18_E_NS1_11comp_targetILNS1_3genE5ELNS1_11target_archE942ELNS1_3gpuE9ELNS1_3repE0EEENS1_30default_config_static_selectorELNS0_4arch9wavefront6targetE0EEEvT1_,comdat
.Lfunc_end875:
	.size	_ZN7rocprim17ROCPRIM_400000_NS6detail17trampoline_kernelINS0_14default_configENS1_25partition_config_selectorILNS1_17partition_subalgoE5ElNS0_10empty_typeEbEEZZNS1_14partition_implILS5_5ELb0ES3_mN6hipcub16HIPCUB_304000_NS21CountingInputIteratorIllEEPS6_NSA_22TransformInputIteratorIbN2at6native12_GLOBAL__N_19NonZeroOpIN3c104HalfEEEPKSK_lEENS0_5tupleIJPlS6_EEENSP_IJSD_SD_EEES6_PiJS6_EEE10hipError_tPvRmT3_T4_T5_T6_T7_T9_mT8_P12ihipStream_tbDpT10_ENKUlT_T0_E_clISt17integral_constantIbLb1EES1D_EEDaS18_S19_EUlS18_E_NS1_11comp_targetILNS1_3genE5ELNS1_11target_archE942ELNS1_3gpuE9ELNS1_3repE0EEENS1_30default_config_static_selectorELNS0_4arch9wavefront6targetE0EEEvT1_, .Lfunc_end875-_ZN7rocprim17ROCPRIM_400000_NS6detail17trampoline_kernelINS0_14default_configENS1_25partition_config_selectorILNS1_17partition_subalgoE5ElNS0_10empty_typeEbEEZZNS1_14partition_implILS5_5ELb0ES3_mN6hipcub16HIPCUB_304000_NS21CountingInputIteratorIllEEPS6_NSA_22TransformInputIteratorIbN2at6native12_GLOBAL__N_19NonZeroOpIN3c104HalfEEEPKSK_lEENS0_5tupleIJPlS6_EEENSP_IJSD_SD_EEES6_PiJS6_EEE10hipError_tPvRmT3_T4_T5_T6_T7_T9_mT8_P12ihipStream_tbDpT10_ENKUlT_T0_E_clISt17integral_constantIbLb1EES1D_EEDaS18_S19_EUlS18_E_NS1_11comp_targetILNS1_3genE5ELNS1_11target_archE942ELNS1_3gpuE9ELNS1_3repE0EEENS1_30default_config_static_selectorELNS0_4arch9wavefront6targetE0EEEvT1_
                                        ; -- End function
	.section	.AMDGPU.csdata,"",@progbits
; Kernel info:
; codeLenInByte = 0
; NumSgprs: 0
; NumVgprs: 0
; ScratchSize: 0
; MemoryBound: 0
; FloatMode: 240
; IeeeMode: 1
; LDSByteSize: 0 bytes/workgroup (compile time only)
; SGPRBlocks: 0
; VGPRBlocks: 0
; NumSGPRsForWavesPerEU: 1
; NumVGPRsForWavesPerEU: 1
; Occupancy: 16
; WaveLimiterHint : 0
; COMPUTE_PGM_RSRC2:SCRATCH_EN: 0
; COMPUTE_PGM_RSRC2:USER_SGPR: 15
; COMPUTE_PGM_RSRC2:TRAP_HANDLER: 0
; COMPUTE_PGM_RSRC2:TGID_X_EN: 1
; COMPUTE_PGM_RSRC2:TGID_Y_EN: 0
; COMPUTE_PGM_RSRC2:TGID_Z_EN: 0
; COMPUTE_PGM_RSRC2:TIDIG_COMP_CNT: 0
	.section	.text._ZN7rocprim17ROCPRIM_400000_NS6detail17trampoline_kernelINS0_14default_configENS1_25partition_config_selectorILNS1_17partition_subalgoE5ElNS0_10empty_typeEbEEZZNS1_14partition_implILS5_5ELb0ES3_mN6hipcub16HIPCUB_304000_NS21CountingInputIteratorIllEEPS6_NSA_22TransformInputIteratorIbN2at6native12_GLOBAL__N_19NonZeroOpIN3c104HalfEEEPKSK_lEENS0_5tupleIJPlS6_EEENSP_IJSD_SD_EEES6_PiJS6_EEE10hipError_tPvRmT3_T4_T5_T6_T7_T9_mT8_P12ihipStream_tbDpT10_ENKUlT_T0_E_clISt17integral_constantIbLb1EES1D_EEDaS18_S19_EUlS18_E_NS1_11comp_targetILNS1_3genE4ELNS1_11target_archE910ELNS1_3gpuE8ELNS1_3repE0EEENS1_30default_config_static_selectorELNS0_4arch9wavefront6targetE0EEEvT1_,"axG",@progbits,_ZN7rocprim17ROCPRIM_400000_NS6detail17trampoline_kernelINS0_14default_configENS1_25partition_config_selectorILNS1_17partition_subalgoE5ElNS0_10empty_typeEbEEZZNS1_14partition_implILS5_5ELb0ES3_mN6hipcub16HIPCUB_304000_NS21CountingInputIteratorIllEEPS6_NSA_22TransformInputIteratorIbN2at6native12_GLOBAL__N_19NonZeroOpIN3c104HalfEEEPKSK_lEENS0_5tupleIJPlS6_EEENSP_IJSD_SD_EEES6_PiJS6_EEE10hipError_tPvRmT3_T4_T5_T6_T7_T9_mT8_P12ihipStream_tbDpT10_ENKUlT_T0_E_clISt17integral_constantIbLb1EES1D_EEDaS18_S19_EUlS18_E_NS1_11comp_targetILNS1_3genE4ELNS1_11target_archE910ELNS1_3gpuE8ELNS1_3repE0EEENS1_30default_config_static_selectorELNS0_4arch9wavefront6targetE0EEEvT1_,comdat
	.globl	_ZN7rocprim17ROCPRIM_400000_NS6detail17trampoline_kernelINS0_14default_configENS1_25partition_config_selectorILNS1_17partition_subalgoE5ElNS0_10empty_typeEbEEZZNS1_14partition_implILS5_5ELb0ES3_mN6hipcub16HIPCUB_304000_NS21CountingInputIteratorIllEEPS6_NSA_22TransformInputIteratorIbN2at6native12_GLOBAL__N_19NonZeroOpIN3c104HalfEEEPKSK_lEENS0_5tupleIJPlS6_EEENSP_IJSD_SD_EEES6_PiJS6_EEE10hipError_tPvRmT3_T4_T5_T6_T7_T9_mT8_P12ihipStream_tbDpT10_ENKUlT_T0_E_clISt17integral_constantIbLb1EES1D_EEDaS18_S19_EUlS18_E_NS1_11comp_targetILNS1_3genE4ELNS1_11target_archE910ELNS1_3gpuE8ELNS1_3repE0EEENS1_30default_config_static_selectorELNS0_4arch9wavefront6targetE0EEEvT1_ ; -- Begin function _ZN7rocprim17ROCPRIM_400000_NS6detail17trampoline_kernelINS0_14default_configENS1_25partition_config_selectorILNS1_17partition_subalgoE5ElNS0_10empty_typeEbEEZZNS1_14partition_implILS5_5ELb0ES3_mN6hipcub16HIPCUB_304000_NS21CountingInputIteratorIllEEPS6_NSA_22TransformInputIteratorIbN2at6native12_GLOBAL__N_19NonZeroOpIN3c104HalfEEEPKSK_lEENS0_5tupleIJPlS6_EEENSP_IJSD_SD_EEES6_PiJS6_EEE10hipError_tPvRmT3_T4_T5_T6_T7_T9_mT8_P12ihipStream_tbDpT10_ENKUlT_T0_E_clISt17integral_constantIbLb1EES1D_EEDaS18_S19_EUlS18_E_NS1_11comp_targetILNS1_3genE4ELNS1_11target_archE910ELNS1_3gpuE8ELNS1_3repE0EEENS1_30default_config_static_selectorELNS0_4arch9wavefront6targetE0EEEvT1_
	.p2align	8
	.type	_ZN7rocprim17ROCPRIM_400000_NS6detail17trampoline_kernelINS0_14default_configENS1_25partition_config_selectorILNS1_17partition_subalgoE5ElNS0_10empty_typeEbEEZZNS1_14partition_implILS5_5ELb0ES3_mN6hipcub16HIPCUB_304000_NS21CountingInputIteratorIllEEPS6_NSA_22TransformInputIteratorIbN2at6native12_GLOBAL__N_19NonZeroOpIN3c104HalfEEEPKSK_lEENS0_5tupleIJPlS6_EEENSP_IJSD_SD_EEES6_PiJS6_EEE10hipError_tPvRmT3_T4_T5_T6_T7_T9_mT8_P12ihipStream_tbDpT10_ENKUlT_T0_E_clISt17integral_constantIbLb1EES1D_EEDaS18_S19_EUlS18_E_NS1_11comp_targetILNS1_3genE4ELNS1_11target_archE910ELNS1_3gpuE8ELNS1_3repE0EEENS1_30default_config_static_selectorELNS0_4arch9wavefront6targetE0EEEvT1_,@function
_ZN7rocprim17ROCPRIM_400000_NS6detail17trampoline_kernelINS0_14default_configENS1_25partition_config_selectorILNS1_17partition_subalgoE5ElNS0_10empty_typeEbEEZZNS1_14partition_implILS5_5ELb0ES3_mN6hipcub16HIPCUB_304000_NS21CountingInputIteratorIllEEPS6_NSA_22TransformInputIteratorIbN2at6native12_GLOBAL__N_19NonZeroOpIN3c104HalfEEEPKSK_lEENS0_5tupleIJPlS6_EEENSP_IJSD_SD_EEES6_PiJS6_EEE10hipError_tPvRmT3_T4_T5_T6_T7_T9_mT8_P12ihipStream_tbDpT10_ENKUlT_T0_E_clISt17integral_constantIbLb1EES1D_EEDaS18_S19_EUlS18_E_NS1_11comp_targetILNS1_3genE4ELNS1_11target_archE910ELNS1_3gpuE8ELNS1_3repE0EEENS1_30default_config_static_selectorELNS0_4arch9wavefront6targetE0EEEvT1_: ; @_ZN7rocprim17ROCPRIM_400000_NS6detail17trampoline_kernelINS0_14default_configENS1_25partition_config_selectorILNS1_17partition_subalgoE5ElNS0_10empty_typeEbEEZZNS1_14partition_implILS5_5ELb0ES3_mN6hipcub16HIPCUB_304000_NS21CountingInputIteratorIllEEPS6_NSA_22TransformInputIteratorIbN2at6native12_GLOBAL__N_19NonZeroOpIN3c104HalfEEEPKSK_lEENS0_5tupleIJPlS6_EEENSP_IJSD_SD_EEES6_PiJS6_EEE10hipError_tPvRmT3_T4_T5_T6_T7_T9_mT8_P12ihipStream_tbDpT10_ENKUlT_T0_E_clISt17integral_constantIbLb1EES1D_EEDaS18_S19_EUlS18_E_NS1_11comp_targetILNS1_3genE4ELNS1_11target_archE910ELNS1_3gpuE8ELNS1_3repE0EEENS1_30default_config_static_selectorELNS0_4arch9wavefront6targetE0EEEvT1_
; %bb.0:
	.section	.rodata,"a",@progbits
	.p2align	6, 0x0
	.amdhsa_kernel _ZN7rocprim17ROCPRIM_400000_NS6detail17trampoline_kernelINS0_14default_configENS1_25partition_config_selectorILNS1_17partition_subalgoE5ElNS0_10empty_typeEbEEZZNS1_14partition_implILS5_5ELb0ES3_mN6hipcub16HIPCUB_304000_NS21CountingInputIteratorIllEEPS6_NSA_22TransformInputIteratorIbN2at6native12_GLOBAL__N_19NonZeroOpIN3c104HalfEEEPKSK_lEENS0_5tupleIJPlS6_EEENSP_IJSD_SD_EEES6_PiJS6_EEE10hipError_tPvRmT3_T4_T5_T6_T7_T9_mT8_P12ihipStream_tbDpT10_ENKUlT_T0_E_clISt17integral_constantIbLb1EES1D_EEDaS18_S19_EUlS18_E_NS1_11comp_targetILNS1_3genE4ELNS1_11target_archE910ELNS1_3gpuE8ELNS1_3repE0EEENS1_30default_config_static_selectorELNS0_4arch9wavefront6targetE0EEEvT1_
		.amdhsa_group_segment_fixed_size 0
		.amdhsa_private_segment_fixed_size 0
		.amdhsa_kernarg_size 136
		.amdhsa_user_sgpr_count 15
		.amdhsa_user_sgpr_dispatch_ptr 0
		.amdhsa_user_sgpr_queue_ptr 0
		.amdhsa_user_sgpr_kernarg_segment_ptr 1
		.amdhsa_user_sgpr_dispatch_id 0
		.amdhsa_user_sgpr_private_segment_size 0
		.amdhsa_wavefront_size32 1
		.amdhsa_uses_dynamic_stack 0
		.amdhsa_enable_private_segment 0
		.amdhsa_system_sgpr_workgroup_id_x 1
		.amdhsa_system_sgpr_workgroup_id_y 0
		.amdhsa_system_sgpr_workgroup_id_z 0
		.amdhsa_system_sgpr_workgroup_info 0
		.amdhsa_system_vgpr_workitem_id 0
		.amdhsa_next_free_vgpr 1
		.amdhsa_next_free_sgpr 1
		.amdhsa_reserve_vcc 0
		.amdhsa_float_round_mode_32 0
		.amdhsa_float_round_mode_16_64 0
		.amdhsa_float_denorm_mode_32 3
		.amdhsa_float_denorm_mode_16_64 3
		.amdhsa_dx10_clamp 1
		.amdhsa_ieee_mode 1
		.amdhsa_fp16_overflow 0
		.amdhsa_workgroup_processor_mode 1
		.amdhsa_memory_ordered 1
		.amdhsa_forward_progress 0
		.amdhsa_shared_vgpr_count 0
		.amdhsa_exception_fp_ieee_invalid_op 0
		.amdhsa_exception_fp_denorm_src 0
		.amdhsa_exception_fp_ieee_div_zero 0
		.amdhsa_exception_fp_ieee_overflow 0
		.amdhsa_exception_fp_ieee_underflow 0
		.amdhsa_exception_fp_ieee_inexact 0
		.amdhsa_exception_int_div_zero 0
	.end_amdhsa_kernel
	.section	.text._ZN7rocprim17ROCPRIM_400000_NS6detail17trampoline_kernelINS0_14default_configENS1_25partition_config_selectorILNS1_17partition_subalgoE5ElNS0_10empty_typeEbEEZZNS1_14partition_implILS5_5ELb0ES3_mN6hipcub16HIPCUB_304000_NS21CountingInputIteratorIllEEPS6_NSA_22TransformInputIteratorIbN2at6native12_GLOBAL__N_19NonZeroOpIN3c104HalfEEEPKSK_lEENS0_5tupleIJPlS6_EEENSP_IJSD_SD_EEES6_PiJS6_EEE10hipError_tPvRmT3_T4_T5_T6_T7_T9_mT8_P12ihipStream_tbDpT10_ENKUlT_T0_E_clISt17integral_constantIbLb1EES1D_EEDaS18_S19_EUlS18_E_NS1_11comp_targetILNS1_3genE4ELNS1_11target_archE910ELNS1_3gpuE8ELNS1_3repE0EEENS1_30default_config_static_selectorELNS0_4arch9wavefront6targetE0EEEvT1_,"axG",@progbits,_ZN7rocprim17ROCPRIM_400000_NS6detail17trampoline_kernelINS0_14default_configENS1_25partition_config_selectorILNS1_17partition_subalgoE5ElNS0_10empty_typeEbEEZZNS1_14partition_implILS5_5ELb0ES3_mN6hipcub16HIPCUB_304000_NS21CountingInputIteratorIllEEPS6_NSA_22TransformInputIteratorIbN2at6native12_GLOBAL__N_19NonZeroOpIN3c104HalfEEEPKSK_lEENS0_5tupleIJPlS6_EEENSP_IJSD_SD_EEES6_PiJS6_EEE10hipError_tPvRmT3_T4_T5_T6_T7_T9_mT8_P12ihipStream_tbDpT10_ENKUlT_T0_E_clISt17integral_constantIbLb1EES1D_EEDaS18_S19_EUlS18_E_NS1_11comp_targetILNS1_3genE4ELNS1_11target_archE910ELNS1_3gpuE8ELNS1_3repE0EEENS1_30default_config_static_selectorELNS0_4arch9wavefront6targetE0EEEvT1_,comdat
.Lfunc_end876:
	.size	_ZN7rocprim17ROCPRIM_400000_NS6detail17trampoline_kernelINS0_14default_configENS1_25partition_config_selectorILNS1_17partition_subalgoE5ElNS0_10empty_typeEbEEZZNS1_14partition_implILS5_5ELb0ES3_mN6hipcub16HIPCUB_304000_NS21CountingInputIteratorIllEEPS6_NSA_22TransformInputIteratorIbN2at6native12_GLOBAL__N_19NonZeroOpIN3c104HalfEEEPKSK_lEENS0_5tupleIJPlS6_EEENSP_IJSD_SD_EEES6_PiJS6_EEE10hipError_tPvRmT3_T4_T5_T6_T7_T9_mT8_P12ihipStream_tbDpT10_ENKUlT_T0_E_clISt17integral_constantIbLb1EES1D_EEDaS18_S19_EUlS18_E_NS1_11comp_targetILNS1_3genE4ELNS1_11target_archE910ELNS1_3gpuE8ELNS1_3repE0EEENS1_30default_config_static_selectorELNS0_4arch9wavefront6targetE0EEEvT1_, .Lfunc_end876-_ZN7rocprim17ROCPRIM_400000_NS6detail17trampoline_kernelINS0_14default_configENS1_25partition_config_selectorILNS1_17partition_subalgoE5ElNS0_10empty_typeEbEEZZNS1_14partition_implILS5_5ELb0ES3_mN6hipcub16HIPCUB_304000_NS21CountingInputIteratorIllEEPS6_NSA_22TransformInputIteratorIbN2at6native12_GLOBAL__N_19NonZeroOpIN3c104HalfEEEPKSK_lEENS0_5tupleIJPlS6_EEENSP_IJSD_SD_EEES6_PiJS6_EEE10hipError_tPvRmT3_T4_T5_T6_T7_T9_mT8_P12ihipStream_tbDpT10_ENKUlT_T0_E_clISt17integral_constantIbLb1EES1D_EEDaS18_S19_EUlS18_E_NS1_11comp_targetILNS1_3genE4ELNS1_11target_archE910ELNS1_3gpuE8ELNS1_3repE0EEENS1_30default_config_static_selectorELNS0_4arch9wavefront6targetE0EEEvT1_
                                        ; -- End function
	.section	.AMDGPU.csdata,"",@progbits
; Kernel info:
; codeLenInByte = 0
; NumSgprs: 0
; NumVgprs: 0
; ScratchSize: 0
; MemoryBound: 0
; FloatMode: 240
; IeeeMode: 1
; LDSByteSize: 0 bytes/workgroup (compile time only)
; SGPRBlocks: 0
; VGPRBlocks: 0
; NumSGPRsForWavesPerEU: 1
; NumVGPRsForWavesPerEU: 1
; Occupancy: 15
; WaveLimiterHint : 0
; COMPUTE_PGM_RSRC2:SCRATCH_EN: 0
; COMPUTE_PGM_RSRC2:USER_SGPR: 15
; COMPUTE_PGM_RSRC2:TRAP_HANDLER: 0
; COMPUTE_PGM_RSRC2:TGID_X_EN: 1
; COMPUTE_PGM_RSRC2:TGID_Y_EN: 0
; COMPUTE_PGM_RSRC2:TGID_Z_EN: 0
; COMPUTE_PGM_RSRC2:TIDIG_COMP_CNT: 0
	.section	.text._ZN7rocprim17ROCPRIM_400000_NS6detail17trampoline_kernelINS0_14default_configENS1_25partition_config_selectorILNS1_17partition_subalgoE5ElNS0_10empty_typeEbEEZZNS1_14partition_implILS5_5ELb0ES3_mN6hipcub16HIPCUB_304000_NS21CountingInputIteratorIllEEPS6_NSA_22TransformInputIteratorIbN2at6native12_GLOBAL__N_19NonZeroOpIN3c104HalfEEEPKSK_lEENS0_5tupleIJPlS6_EEENSP_IJSD_SD_EEES6_PiJS6_EEE10hipError_tPvRmT3_T4_T5_T6_T7_T9_mT8_P12ihipStream_tbDpT10_ENKUlT_T0_E_clISt17integral_constantIbLb1EES1D_EEDaS18_S19_EUlS18_E_NS1_11comp_targetILNS1_3genE3ELNS1_11target_archE908ELNS1_3gpuE7ELNS1_3repE0EEENS1_30default_config_static_selectorELNS0_4arch9wavefront6targetE0EEEvT1_,"axG",@progbits,_ZN7rocprim17ROCPRIM_400000_NS6detail17trampoline_kernelINS0_14default_configENS1_25partition_config_selectorILNS1_17partition_subalgoE5ElNS0_10empty_typeEbEEZZNS1_14partition_implILS5_5ELb0ES3_mN6hipcub16HIPCUB_304000_NS21CountingInputIteratorIllEEPS6_NSA_22TransformInputIteratorIbN2at6native12_GLOBAL__N_19NonZeroOpIN3c104HalfEEEPKSK_lEENS0_5tupleIJPlS6_EEENSP_IJSD_SD_EEES6_PiJS6_EEE10hipError_tPvRmT3_T4_T5_T6_T7_T9_mT8_P12ihipStream_tbDpT10_ENKUlT_T0_E_clISt17integral_constantIbLb1EES1D_EEDaS18_S19_EUlS18_E_NS1_11comp_targetILNS1_3genE3ELNS1_11target_archE908ELNS1_3gpuE7ELNS1_3repE0EEENS1_30default_config_static_selectorELNS0_4arch9wavefront6targetE0EEEvT1_,comdat
	.globl	_ZN7rocprim17ROCPRIM_400000_NS6detail17trampoline_kernelINS0_14default_configENS1_25partition_config_selectorILNS1_17partition_subalgoE5ElNS0_10empty_typeEbEEZZNS1_14partition_implILS5_5ELb0ES3_mN6hipcub16HIPCUB_304000_NS21CountingInputIteratorIllEEPS6_NSA_22TransformInputIteratorIbN2at6native12_GLOBAL__N_19NonZeroOpIN3c104HalfEEEPKSK_lEENS0_5tupleIJPlS6_EEENSP_IJSD_SD_EEES6_PiJS6_EEE10hipError_tPvRmT3_T4_T5_T6_T7_T9_mT8_P12ihipStream_tbDpT10_ENKUlT_T0_E_clISt17integral_constantIbLb1EES1D_EEDaS18_S19_EUlS18_E_NS1_11comp_targetILNS1_3genE3ELNS1_11target_archE908ELNS1_3gpuE7ELNS1_3repE0EEENS1_30default_config_static_selectorELNS0_4arch9wavefront6targetE0EEEvT1_ ; -- Begin function _ZN7rocprim17ROCPRIM_400000_NS6detail17trampoline_kernelINS0_14default_configENS1_25partition_config_selectorILNS1_17partition_subalgoE5ElNS0_10empty_typeEbEEZZNS1_14partition_implILS5_5ELb0ES3_mN6hipcub16HIPCUB_304000_NS21CountingInputIteratorIllEEPS6_NSA_22TransformInputIteratorIbN2at6native12_GLOBAL__N_19NonZeroOpIN3c104HalfEEEPKSK_lEENS0_5tupleIJPlS6_EEENSP_IJSD_SD_EEES6_PiJS6_EEE10hipError_tPvRmT3_T4_T5_T6_T7_T9_mT8_P12ihipStream_tbDpT10_ENKUlT_T0_E_clISt17integral_constantIbLb1EES1D_EEDaS18_S19_EUlS18_E_NS1_11comp_targetILNS1_3genE3ELNS1_11target_archE908ELNS1_3gpuE7ELNS1_3repE0EEENS1_30default_config_static_selectorELNS0_4arch9wavefront6targetE0EEEvT1_
	.p2align	8
	.type	_ZN7rocprim17ROCPRIM_400000_NS6detail17trampoline_kernelINS0_14default_configENS1_25partition_config_selectorILNS1_17partition_subalgoE5ElNS0_10empty_typeEbEEZZNS1_14partition_implILS5_5ELb0ES3_mN6hipcub16HIPCUB_304000_NS21CountingInputIteratorIllEEPS6_NSA_22TransformInputIteratorIbN2at6native12_GLOBAL__N_19NonZeroOpIN3c104HalfEEEPKSK_lEENS0_5tupleIJPlS6_EEENSP_IJSD_SD_EEES6_PiJS6_EEE10hipError_tPvRmT3_T4_T5_T6_T7_T9_mT8_P12ihipStream_tbDpT10_ENKUlT_T0_E_clISt17integral_constantIbLb1EES1D_EEDaS18_S19_EUlS18_E_NS1_11comp_targetILNS1_3genE3ELNS1_11target_archE908ELNS1_3gpuE7ELNS1_3repE0EEENS1_30default_config_static_selectorELNS0_4arch9wavefront6targetE0EEEvT1_,@function
_ZN7rocprim17ROCPRIM_400000_NS6detail17trampoline_kernelINS0_14default_configENS1_25partition_config_selectorILNS1_17partition_subalgoE5ElNS0_10empty_typeEbEEZZNS1_14partition_implILS5_5ELb0ES3_mN6hipcub16HIPCUB_304000_NS21CountingInputIteratorIllEEPS6_NSA_22TransformInputIteratorIbN2at6native12_GLOBAL__N_19NonZeroOpIN3c104HalfEEEPKSK_lEENS0_5tupleIJPlS6_EEENSP_IJSD_SD_EEES6_PiJS6_EEE10hipError_tPvRmT3_T4_T5_T6_T7_T9_mT8_P12ihipStream_tbDpT10_ENKUlT_T0_E_clISt17integral_constantIbLb1EES1D_EEDaS18_S19_EUlS18_E_NS1_11comp_targetILNS1_3genE3ELNS1_11target_archE908ELNS1_3gpuE7ELNS1_3repE0EEENS1_30default_config_static_selectorELNS0_4arch9wavefront6targetE0EEEvT1_: ; @_ZN7rocprim17ROCPRIM_400000_NS6detail17trampoline_kernelINS0_14default_configENS1_25partition_config_selectorILNS1_17partition_subalgoE5ElNS0_10empty_typeEbEEZZNS1_14partition_implILS5_5ELb0ES3_mN6hipcub16HIPCUB_304000_NS21CountingInputIteratorIllEEPS6_NSA_22TransformInputIteratorIbN2at6native12_GLOBAL__N_19NonZeroOpIN3c104HalfEEEPKSK_lEENS0_5tupleIJPlS6_EEENSP_IJSD_SD_EEES6_PiJS6_EEE10hipError_tPvRmT3_T4_T5_T6_T7_T9_mT8_P12ihipStream_tbDpT10_ENKUlT_T0_E_clISt17integral_constantIbLb1EES1D_EEDaS18_S19_EUlS18_E_NS1_11comp_targetILNS1_3genE3ELNS1_11target_archE908ELNS1_3gpuE7ELNS1_3repE0EEENS1_30default_config_static_selectorELNS0_4arch9wavefront6targetE0EEEvT1_
; %bb.0:
	.section	.rodata,"a",@progbits
	.p2align	6, 0x0
	.amdhsa_kernel _ZN7rocprim17ROCPRIM_400000_NS6detail17trampoline_kernelINS0_14default_configENS1_25partition_config_selectorILNS1_17partition_subalgoE5ElNS0_10empty_typeEbEEZZNS1_14partition_implILS5_5ELb0ES3_mN6hipcub16HIPCUB_304000_NS21CountingInputIteratorIllEEPS6_NSA_22TransformInputIteratorIbN2at6native12_GLOBAL__N_19NonZeroOpIN3c104HalfEEEPKSK_lEENS0_5tupleIJPlS6_EEENSP_IJSD_SD_EEES6_PiJS6_EEE10hipError_tPvRmT3_T4_T5_T6_T7_T9_mT8_P12ihipStream_tbDpT10_ENKUlT_T0_E_clISt17integral_constantIbLb1EES1D_EEDaS18_S19_EUlS18_E_NS1_11comp_targetILNS1_3genE3ELNS1_11target_archE908ELNS1_3gpuE7ELNS1_3repE0EEENS1_30default_config_static_selectorELNS0_4arch9wavefront6targetE0EEEvT1_
		.amdhsa_group_segment_fixed_size 0
		.amdhsa_private_segment_fixed_size 0
		.amdhsa_kernarg_size 136
		.amdhsa_user_sgpr_count 15
		.amdhsa_user_sgpr_dispatch_ptr 0
		.amdhsa_user_sgpr_queue_ptr 0
		.amdhsa_user_sgpr_kernarg_segment_ptr 1
		.amdhsa_user_sgpr_dispatch_id 0
		.amdhsa_user_sgpr_private_segment_size 0
		.amdhsa_wavefront_size32 1
		.amdhsa_uses_dynamic_stack 0
		.amdhsa_enable_private_segment 0
		.amdhsa_system_sgpr_workgroup_id_x 1
		.amdhsa_system_sgpr_workgroup_id_y 0
		.amdhsa_system_sgpr_workgroup_id_z 0
		.amdhsa_system_sgpr_workgroup_info 0
		.amdhsa_system_vgpr_workitem_id 0
		.amdhsa_next_free_vgpr 1
		.amdhsa_next_free_sgpr 1
		.amdhsa_reserve_vcc 0
		.amdhsa_float_round_mode_32 0
		.amdhsa_float_round_mode_16_64 0
		.amdhsa_float_denorm_mode_32 3
		.amdhsa_float_denorm_mode_16_64 3
		.amdhsa_dx10_clamp 1
		.amdhsa_ieee_mode 1
		.amdhsa_fp16_overflow 0
		.amdhsa_workgroup_processor_mode 1
		.amdhsa_memory_ordered 1
		.amdhsa_forward_progress 0
		.amdhsa_shared_vgpr_count 0
		.amdhsa_exception_fp_ieee_invalid_op 0
		.amdhsa_exception_fp_denorm_src 0
		.amdhsa_exception_fp_ieee_div_zero 0
		.amdhsa_exception_fp_ieee_overflow 0
		.amdhsa_exception_fp_ieee_underflow 0
		.amdhsa_exception_fp_ieee_inexact 0
		.amdhsa_exception_int_div_zero 0
	.end_amdhsa_kernel
	.section	.text._ZN7rocprim17ROCPRIM_400000_NS6detail17trampoline_kernelINS0_14default_configENS1_25partition_config_selectorILNS1_17partition_subalgoE5ElNS0_10empty_typeEbEEZZNS1_14partition_implILS5_5ELb0ES3_mN6hipcub16HIPCUB_304000_NS21CountingInputIteratorIllEEPS6_NSA_22TransformInputIteratorIbN2at6native12_GLOBAL__N_19NonZeroOpIN3c104HalfEEEPKSK_lEENS0_5tupleIJPlS6_EEENSP_IJSD_SD_EEES6_PiJS6_EEE10hipError_tPvRmT3_T4_T5_T6_T7_T9_mT8_P12ihipStream_tbDpT10_ENKUlT_T0_E_clISt17integral_constantIbLb1EES1D_EEDaS18_S19_EUlS18_E_NS1_11comp_targetILNS1_3genE3ELNS1_11target_archE908ELNS1_3gpuE7ELNS1_3repE0EEENS1_30default_config_static_selectorELNS0_4arch9wavefront6targetE0EEEvT1_,"axG",@progbits,_ZN7rocprim17ROCPRIM_400000_NS6detail17trampoline_kernelINS0_14default_configENS1_25partition_config_selectorILNS1_17partition_subalgoE5ElNS0_10empty_typeEbEEZZNS1_14partition_implILS5_5ELb0ES3_mN6hipcub16HIPCUB_304000_NS21CountingInputIteratorIllEEPS6_NSA_22TransformInputIteratorIbN2at6native12_GLOBAL__N_19NonZeroOpIN3c104HalfEEEPKSK_lEENS0_5tupleIJPlS6_EEENSP_IJSD_SD_EEES6_PiJS6_EEE10hipError_tPvRmT3_T4_T5_T6_T7_T9_mT8_P12ihipStream_tbDpT10_ENKUlT_T0_E_clISt17integral_constantIbLb1EES1D_EEDaS18_S19_EUlS18_E_NS1_11comp_targetILNS1_3genE3ELNS1_11target_archE908ELNS1_3gpuE7ELNS1_3repE0EEENS1_30default_config_static_selectorELNS0_4arch9wavefront6targetE0EEEvT1_,comdat
.Lfunc_end877:
	.size	_ZN7rocprim17ROCPRIM_400000_NS6detail17trampoline_kernelINS0_14default_configENS1_25partition_config_selectorILNS1_17partition_subalgoE5ElNS0_10empty_typeEbEEZZNS1_14partition_implILS5_5ELb0ES3_mN6hipcub16HIPCUB_304000_NS21CountingInputIteratorIllEEPS6_NSA_22TransformInputIteratorIbN2at6native12_GLOBAL__N_19NonZeroOpIN3c104HalfEEEPKSK_lEENS0_5tupleIJPlS6_EEENSP_IJSD_SD_EEES6_PiJS6_EEE10hipError_tPvRmT3_T4_T5_T6_T7_T9_mT8_P12ihipStream_tbDpT10_ENKUlT_T0_E_clISt17integral_constantIbLb1EES1D_EEDaS18_S19_EUlS18_E_NS1_11comp_targetILNS1_3genE3ELNS1_11target_archE908ELNS1_3gpuE7ELNS1_3repE0EEENS1_30default_config_static_selectorELNS0_4arch9wavefront6targetE0EEEvT1_, .Lfunc_end877-_ZN7rocprim17ROCPRIM_400000_NS6detail17trampoline_kernelINS0_14default_configENS1_25partition_config_selectorILNS1_17partition_subalgoE5ElNS0_10empty_typeEbEEZZNS1_14partition_implILS5_5ELb0ES3_mN6hipcub16HIPCUB_304000_NS21CountingInputIteratorIllEEPS6_NSA_22TransformInputIteratorIbN2at6native12_GLOBAL__N_19NonZeroOpIN3c104HalfEEEPKSK_lEENS0_5tupleIJPlS6_EEENSP_IJSD_SD_EEES6_PiJS6_EEE10hipError_tPvRmT3_T4_T5_T6_T7_T9_mT8_P12ihipStream_tbDpT10_ENKUlT_T0_E_clISt17integral_constantIbLb1EES1D_EEDaS18_S19_EUlS18_E_NS1_11comp_targetILNS1_3genE3ELNS1_11target_archE908ELNS1_3gpuE7ELNS1_3repE0EEENS1_30default_config_static_selectorELNS0_4arch9wavefront6targetE0EEEvT1_
                                        ; -- End function
	.section	.AMDGPU.csdata,"",@progbits
; Kernel info:
; codeLenInByte = 0
; NumSgprs: 0
; NumVgprs: 0
; ScratchSize: 0
; MemoryBound: 0
; FloatMode: 240
; IeeeMode: 1
; LDSByteSize: 0 bytes/workgroup (compile time only)
; SGPRBlocks: 0
; VGPRBlocks: 0
; NumSGPRsForWavesPerEU: 1
; NumVGPRsForWavesPerEU: 1
; Occupancy: 16
; WaveLimiterHint : 0
; COMPUTE_PGM_RSRC2:SCRATCH_EN: 0
; COMPUTE_PGM_RSRC2:USER_SGPR: 15
; COMPUTE_PGM_RSRC2:TRAP_HANDLER: 0
; COMPUTE_PGM_RSRC2:TGID_X_EN: 1
; COMPUTE_PGM_RSRC2:TGID_Y_EN: 0
; COMPUTE_PGM_RSRC2:TGID_Z_EN: 0
; COMPUTE_PGM_RSRC2:TIDIG_COMP_CNT: 0
	.section	.text._ZN7rocprim17ROCPRIM_400000_NS6detail17trampoline_kernelINS0_14default_configENS1_25partition_config_selectorILNS1_17partition_subalgoE5ElNS0_10empty_typeEbEEZZNS1_14partition_implILS5_5ELb0ES3_mN6hipcub16HIPCUB_304000_NS21CountingInputIteratorIllEEPS6_NSA_22TransformInputIteratorIbN2at6native12_GLOBAL__N_19NonZeroOpIN3c104HalfEEEPKSK_lEENS0_5tupleIJPlS6_EEENSP_IJSD_SD_EEES6_PiJS6_EEE10hipError_tPvRmT3_T4_T5_T6_T7_T9_mT8_P12ihipStream_tbDpT10_ENKUlT_T0_E_clISt17integral_constantIbLb1EES1D_EEDaS18_S19_EUlS18_E_NS1_11comp_targetILNS1_3genE2ELNS1_11target_archE906ELNS1_3gpuE6ELNS1_3repE0EEENS1_30default_config_static_selectorELNS0_4arch9wavefront6targetE0EEEvT1_,"axG",@progbits,_ZN7rocprim17ROCPRIM_400000_NS6detail17trampoline_kernelINS0_14default_configENS1_25partition_config_selectorILNS1_17partition_subalgoE5ElNS0_10empty_typeEbEEZZNS1_14partition_implILS5_5ELb0ES3_mN6hipcub16HIPCUB_304000_NS21CountingInputIteratorIllEEPS6_NSA_22TransformInputIteratorIbN2at6native12_GLOBAL__N_19NonZeroOpIN3c104HalfEEEPKSK_lEENS0_5tupleIJPlS6_EEENSP_IJSD_SD_EEES6_PiJS6_EEE10hipError_tPvRmT3_T4_T5_T6_T7_T9_mT8_P12ihipStream_tbDpT10_ENKUlT_T0_E_clISt17integral_constantIbLb1EES1D_EEDaS18_S19_EUlS18_E_NS1_11comp_targetILNS1_3genE2ELNS1_11target_archE906ELNS1_3gpuE6ELNS1_3repE0EEENS1_30default_config_static_selectorELNS0_4arch9wavefront6targetE0EEEvT1_,comdat
	.globl	_ZN7rocprim17ROCPRIM_400000_NS6detail17trampoline_kernelINS0_14default_configENS1_25partition_config_selectorILNS1_17partition_subalgoE5ElNS0_10empty_typeEbEEZZNS1_14partition_implILS5_5ELb0ES3_mN6hipcub16HIPCUB_304000_NS21CountingInputIteratorIllEEPS6_NSA_22TransformInputIteratorIbN2at6native12_GLOBAL__N_19NonZeroOpIN3c104HalfEEEPKSK_lEENS0_5tupleIJPlS6_EEENSP_IJSD_SD_EEES6_PiJS6_EEE10hipError_tPvRmT3_T4_T5_T6_T7_T9_mT8_P12ihipStream_tbDpT10_ENKUlT_T0_E_clISt17integral_constantIbLb1EES1D_EEDaS18_S19_EUlS18_E_NS1_11comp_targetILNS1_3genE2ELNS1_11target_archE906ELNS1_3gpuE6ELNS1_3repE0EEENS1_30default_config_static_selectorELNS0_4arch9wavefront6targetE0EEEvT1_ ; -- Begin function _ZN7rocprim17ROCPRIM_400000_NS6detail17trampoline_kernelINS0_14default_configENS1_25partition_config_selectorILNS1_17partition_subalgoE5ElNS0_10empty_typeEbEEZZNS1_14partition_implILS5_5ELb0ES3_mN6hipcub16HIPCUB_304000_NS21CountingInputIteratorIllEEPS6_NSA_22TransformInputIteratorIbN2at6native12_GLOBAL__N_19NonZeroOpIN3c104HalfEEEPKSK_lEENS0_5tupleIJPlS6_EEENSP_IJSD_SD_EEES6_PiJS6_EEE10hipError_tPvRmT3_T4_T5_T6_T7_T9_mT8_P12ihipStream_tbDpT10_ENKUlT_T0_E_clISt17integral_constantIbLb1EES1D_EEDaS18_S19_EUlS18_E_NS1_11comp_targetILNS1_3genE2ELNS1_11target_archE906ELNS1_3gpuE6ELNS1_3repE0EEENS1_30default_config_static_selectorELNS0_4arch9wavefront6targetE0EEEvT1_
	.p2align	8
	.type	_ZN7rocprim17ROCPRIM_400000_NS6detail17trampoline_kernelINS0_14default_configENS1_25partition_config_selectorILNS1_17partition_subalgoE5ElNS0_10empty_typeEbEEZZNS1_14partition_implILS5_5ELb0ES3_mN6hipcub16HIPCUB_304000_NS21CountingInputIteratorIllEEPS6_NSA_22TransformInputIteratorIbN2at6native12_GLOBAL__N_19NonZeroOpIN3c104HalfEEEPKSK_lEENS0_5tupleIJPlS6_EEENSP_IJSD_SD_EEES6_PiJS6_EEE10hipError_tPvRmT3_T4_T5_T6_T7_T9_mT8_P12ihipStream_tbDpT10_ENKUlT_T0_E_clISt17integral_constantIbLb1EES1D_EEDaS18_S19_EUlS18_E_NS1_11comp_targetILNS1_3genE2ELNS1_11target_archE906ELNS1_3gpuE6ELNS1_3repE0EEENS1_30default_config_static_selectorELNS0_4arch9wavefront6targetE0EEEvT1_,@function
_ZN7rocprim17ROCPRIM_400000_NS6detail17trampoline_kernelINS0_14default_configENS1_25partition_config_selectorILNS1_17partition_subalgoE5ElNS0_10empty_typeEbEEZZNS1_14partition_implILS5_5ELb0ES3_mN6hipcub16HIPCUB_304000_NS21CountingInputIteratorIllEEPS6_NSA_22TransformInputIteratorIbN2at6native12_GLOBAL__N_19NonZeroOpIN3c104HalfEEEPKSK_lEENS0_5tupleIJPlS6_EEENSP_IJSD_SD_EEES6_PiJS6_EEE10hipError_tPvRmT3_T4_T5_T6_T7_T9_mT8_P12ihipStream_tbDpT10_ENKUlT_T0_E_clISt17integral_constantIbLb1EES1D_EEDaS18_S19_EUlS18_E_NS1_11comp_targetILNS1_3genE2ELNS1_11target_archE906ELNS1_3gpuE6ELNS1_3repE0EEENS1_30default_config_static_selectorELNS0_4arch9wavefront6targetE0EEEvT1_: ; @_ZN7rocprim17ROCPRIM_400000_NS6detail17trampoline_kernelINS0_14default_configENS1_25partition_config_selectorILNS1_17partition_subalgoE5ElNS0_10empty_typeEbEEZZNS1_14partition_implILS5_5ELb0ES3_mN6hipcub16HIPCUB_304000_NS21CountingInputIteratorIllEEPS6_NSA_22TransformInputIteratorIbN2at6native12_GLOBAL__N_19NonZeroOpIN3c104HalfEEEPKSK_lEENS0_5tupleIJPlS6_EEENSP_IJSD_SD_EEES6_PiJS6_EEE10hipError_tPvRmT3_T4_T5_T6_T7_T9_mT8_P12ihipStream_tbDpT10_ENKUlT_T0_E_clISt17integral_constantIbLb1EES1D_EEDaS18_S19_EUlS18_E_NS1_11comp_targetILNS1_3genE2ELNS1_11target_archE906ELNS1_3gpuE6ELNS1_3repE0EEENS1_30default_config_static_selectorELNS0_4arch9wavefront6targetE0EEEvT1_
; %bb.0:
	.section	.rodata,"a",@progbits
	.p2align	6, 0x0
	.amdhsa_kernel _ZN7rocprim17ROCPRIM_400000_NS6detail17trampoline_kernelINS0_14default_configENS1_25partition_config_selectorILNS1_17partition_subalgoE5ElNS0_10empty_typeEbEEZZNS1_14partition_implILS5_5ELb0ES3_mN6hipcub16HIPCUB_304000_NS21CountingInputIteratorIllEEPS6_NSA_22TransformInputIteratorIbN2at6native12_GLOBAL__N_19NonZeroOpIN3c104HalfEEEPKSK_lEENS0_5tupleIJPlS6_EEENSP_IJSD_SD_EEES6_PiJS6_EEE10hipError_tPvRmT3_T4_T5_T6_T7_T9_mT8_P12ihipStream_tbDpT10_ENKUlT_T0_E_clISt17integral_constantIbLb1EES1D_EEDaS18_S19_EUlS18_E_NS1_11comp_targetILNS1_3genE2ELNS1_11target_archE906ELNS1_3gpuE6ELNS1_3repE0EEENS1_30default_config_static_selectorELNS0_4arch9wavefront6targetE0EEEvT1_
		.amdhsa_group_segment_fixed_size 0
		.amdhsa_private_segment_fixed_size 0
		.amdhsa_kernarg_size 136
		.amdhsa_user_sgpr_count 15
		.amdhsa_user_sgpr_dispatch_ptr 0
		.amdhsa_user_sgpr_queue_ptr 0
		.amdhsa_user_sgpr_kernarg_segment_ptr 1
		.amdhsa_user_sgpr_dispatch_id 0
		.amdhsa_user_sgpr_private_segment_size 0
		.amdhsa_wavefront_size32 1
		.amdhsa_uses_dynamic_stack 0
		.amdhsa_enable_private_segment 0
		.amdhsa_system_sgpr_workgroup_id_x 1
		.amdhsa_system_sgpr_workgroup_id_y 0
		.amdhsa_system_sgpr_workgroup_id_z 0
		.amdhsa_system_sgpr_workgroup_info 0
		.amdhsa_system_vgpr_workitem_id 0
		.amdhsa_next_free_vgpr 1
		.amdhsa_next_free_sgpr 1
		.amdhsa_reserve_vcc 0
		.amdhsa_float_round_mode_32 0
		.amdhsa_float_round_mode_16_64 0
		.amdhsa_float_denorm_mode_32 3
		.amdhsa_float_denorm_mode_16_64 3
		.amdhsa_dx10_clamp 1
		.amdhsa_ieee_mode 1
		.amdhsa_fp16_overflow 0
		.amdhsa_workgroup_processor_mode 1
		.amdhsa_memory_ordered 1
		.amdhsa_forward_progress 0
		.amdhsa_shared_vgpr_count 0
		.amdhsa_exception_fp_ieee_invalid_op 0
		.amdhsa_exception_fp_denorm_src 0
		.amdhsa_exception_fp_ieee_div_zero 0
		.amdhsa_exception_fp_ieee_overflow 0
		.amdhsa_exception_fp_ieee_underflow 0
		.amdhsa_exception_fp_ieee_inexact 0
		.amdhsa_exception_int_div_zero 0
	.end_amdhsa_kernel
	.section	.text._ZN7rocprim17ROCPRIM_400000_NS6detail17trampoline_kernelINS0_14default_configENS1_25partition_config_selectorILNS1_17partition_subalgoE5ElNS0_10empty_typeEbEEZZNS1_14partition_implILS5_5ELb0ES3_mN6hipcub16HIPCUB_304000_NS21CountingInputIteratorIllEEPS6_NSA_22TransformInputIteratorIbN2at6native12_GLOBAL__N_19NonZeroOpIN3c104HalfEEEPKSK_lEENS0_5tupleIJPlS6_EEENSP_IJSD_SD_EEES6_PiJS6_EEE10hipError_tPvRmT3_T4_T5_T6_T7_T9_mT8_P12ihipStream_tbDpT10_ENKUlT_T0_E_clISt17integral_constantIbLb1EES1D_EEDaS18_S19_EUlS18_E_NS1_11comp_targetILNS1_3genE2ELNS1_11target_archE906ELNS1_3gpuE6ELNS1_3repE0EEENS1_30default_config_static_selectorELNS0_4arch9wavefront6targetE0EEEvT1_,"axG",@progbits,_ZN7rocprim17ROCPRIM_400000_NS6detail17trampoline_kernelINS0_14default_configENS1_25partition_config_selectorILNS1_17partition_subalgoE5ElNS0_10empty_typeEbEEZZNS1_14partition_implILS5_5ELb0ES3_mN6hipcub16HIPCUB_304000_NS21CountingInputIteratorIllEEPS6_NSA_22TransformInputIteratorIbN2at6native12_GLOBAL__N_19NonZeroOpIN3c104HalfEEEPKSK_lEENS0_5tupleIJPlS6_EEENSP_IJSD_SD_EEES6_PiJS6_EEE10hipError_tPvRmT3_T4_T5_T6_T7_T9_mT8_P12ihipStream_tbDpT10_ENKUlT_T0_E_clISt17integral_constantIbLb1EES1D_EEDaS18_S19_EUlS18_E_NS1_11comp_targetILNS1_3genE2ELNS1_11target_archE906ELNS1_3gpuE6ELNS1_3repE0EEENS1_30default_config_static_selectorELNS0_4arch9wavefront6targetE0EEEvT1_,comdat
.Lfunc_end878:
	.size	_ZN7rocprim17ROCPRIM_400000_NS6detail17trampoline_kernelINS0_14default_configENS1_25partition_config_selectorILNS1_17partition_subalgoE5ElNS0_10empty_typeEbEEZZNS1_14partition_implILS5_5ELb0ES3_mN6hipcub16HIPCUB_304000_NS21CountingInputIteratorIllEEPS6_NSA_22TransformInputIteratorIbN2at6native12_GLOBAL__N_19NonZeroOpIN3c104HalfEEEPKSK_lEENS0_5tupleIJPlS6_EEENSP_IJSD_SD_EEES6_PiJS6_EEE10hipError_tPvRmT3_T4_T5_T6_T7_T9_mT8_P12ihipStream_tbDpT10_ENKUlT_T0_E_clISt17integral_constantIbLb1EES1D_EEDaS18_S19_EUlS18_E_NS1_11comp_targetILNS1_3genE2ELNS1_11target_archE906ELNS1_3gpuE6ELNS1_3repE0EEENS1_30default_config_static_selectorELNS0_4arch9wavefront6targetE0EEEvT1_, .Lfunc_end878-_ZN7rocprim17ROCPRIM_400000_NS6detail17trampoline_kernelINS0_14default_configENS1_25partition_config_selectorILNS1_17partition_subalgoE5ElNS0_10empty_typeEbEEZZNS1_14partition_implILS5_5ELb0ES3_mN6hipcub16HIPCUB_304000_NS21CountingInputIteratorIllEEPS6_NSA_22TransformInputIteratorIbN2at6native12_GLOBAL__N_19NonZeroOpIN3c104HalfEEEPKSK_lEENS0_5tupleIJPlS6_EEENSP_IJSD_SD_EEES6_PiJS6_EEE10hipError_tPvRmT3_T4_T5_T6_T7_T9_mT8_P12ihipStream_tbDpT10_ENKUlT_T0_E_clISt17integral_constantIbLb1EES1D_EEDaS18_S19_EUlS18_E_NS1_11comp_targetILNS1_3genE2ELNS1_11target_archE906ELNS1_3gpuE6ELNS1_3repE0EEENS1_30default_config_static_selectorELNS0_4arch9wavefront6targetE0EEEvT1_
                                        ; -- End function
	.section	.AMDGPU.csdata,"",@progbits
; Kernel info:
; codeLenInByte = 0
; NumSgprs: 0
; NumVgprs: 0
; ScratchSize: 0
; MemoryBound: 0
; FloatMode: 240
; IeeeMode: 1
; LDSByteSize: 0 bytes/workgroup (compile time only)
; SGPRBlocks: 0
; VGPRBlocks: 0
; NumSGPRsForWavesPerEU: 1
; NumVGPRsForWavesPerEU: 1
; Occupancy: 16
; WaveLimiterHint : 0
; COMPUTE_PGM_RSRC2:SCRATCH_EN: 0
; COMPUTE_PGM_RSRC2:USER_SGPR: 15
; COMPUTE_PGM_RSRC2:TRAP_HANDLER: 0
; COMPUTE_PGM_RSRC2:TGID_X_EN: 1
; COMPUTE_PGM_RSRC2:TGID_Y_EN: 0
; COMPUTE_PGM_RSRC2:TGID_Z_EN: 0
; COMPUTE_PGM_RSRC2:TIDIG_COMP_CNT: 0
	.section	.text._ZN7rocprim17ROCPRIM_400000_NS6detail17trampoline_kernelINS0_14default_configENS1_25partition_config_selectorILNS1_17partition_subalgoE5ElNS0_10empty_typeEbEEZZNS1_14partition_implILS5_5ELb0ES3_mN6hipcub16HIPCUB_304000_NS21CountingInputIteratorIllEEPS6_NSA_22TransformInputIteratorIbN2at6native12_GLOBAL__N_19NonZeroOpIN3c104HalfEEEPKSK_lEENS0_5tupleIJPlS6_EEENSP_IJSD_SD_EEES6_PiJS6_EEE10hipError_tPvRmT3_T4_T5_T6_T7_T9_mT8_P12ihipStream_tbDpT10_ENKUlT_T0_E_clISt17integral_constantIbLb1EES1D_EEDaS18_S19_EUlS18_E_NS1_11comp_targetILNS1_3genE10ELNS1_11target_archE1200ELNS1_3gpuE4ELNS1_3repE0EEENS1_30default_config_static_selectorELNS0_4arch9wavefront6targetE0EEEvT1_,"axG",@progbits,_ZN7rocprim17ROCPRIM_400000_NS6detail17trampoline_kernelINS0_14default_configENS1_25partition_config_selectorILNS1_17partition_subalgoE5ElNS0_10empty_typeEbEEZZNS1_14partition_implILS5_5ELb0ES3_mN6hipcub16HIPCUB_304000_NS21CountingInputIteratorIllEEPS6_NSA_22TransformInputIteratorIbN2at6native12_GLOBAL__N_19NonZeroOpIN3c104HalfEEEPKSK_lEENS0_5tupleIJPlS6_EEENSP_IJSD_SD_EEES6_PiJS6_EEE10hipError_tPvRmT3_T4_T5_T6_T7_T9_mT8_P12ihipStream_tbDpT10_ENKUlT_T0_E_clISt17integral_constantIbLb1EES1D_EEDaS18_S19_EUlS18_E_NS1_11comp_targetILNS1_3genE10ELNS1_11target_archE1200ELNS1_3gpuE4ELNS1_3repE0EEENS1_30default_config_static_selectorELNS0_4arch9wavefront6targetE0EEEvT1_,comdat
	.globl	_ZN7rocprim17ROCPRIM_400000_NS6detail17trampoline_kernelINS0_14default_configENS1_25partition_config_selectorILNS1_17partition_subalgoE5ElNS0_10empty_typeEbEEZZNS1_14partition_implILS5_5ELb0ES3_mN6hipcub16HIPCUB_304000_NS21CountingInputIteratorIllEEPS6_NSA_22TransformInputIteratorIbN2at6native12_GLOBAL__N_19NonZeroOpIN3c104HalfEEEPKSK_lEENS0_5tupleIJPlS6_EEENSP_IJSD_SD_EEES6_PiJS6_EEE10hipError_tPvRmT3_T4_T5_T6_T7_T9_mT8_P12ihipStream_tbDpT10_ENKUlT_T0_E_clISt17integral_constantIbLb1EES1D_EEDaS18_S19_EUlS18_E_NS1_11comp_targetILNS1_3genE10ELNS1_11target_archE1200ELNS1_3gpuE4ELNS1_3repE0EEENS1_30default_config_static_selectorELNS0_4arch9wavefront6targetE0EEEvT1_ ; -- Begin function _ZN7rocprim17ROCPRIM_400000_NS6detail17trampoline_kernelINS0_14default_configENS1_25partition_config_selectorILNS1_17partition_subalgoE5ElNS0_10empty_typeEbEEZZNS1_14partition_implILS5_5ELb0ES3_mN6hipcub16HIPCUB_304000_NS21CountingInputIteratorIllEEPS6_NSA_22TransformInputIteratorIbN2at6native12_GLOBAL__N_19NonZeroOpIN3c104HalfEEEPKSK_lEENS0_5tupleIJPlS6_EEENSP_IJSD_SD_EEES6_PiJS6_EEE10hipError_tPvRmT3_T4_T5_T6_T7_T9_mT8_P12ihipStream_tbDpT10_ENKUlT_T0_E_clISt17integral_constantIbLb1EES1D_EEDaS18_S19_EUlS18_E_NS1_11comp_targetILNS1_3genE10ELNS1_11target_archE1200ELNS1_3gpuE4ELNS1_3repE0EEENS1_30default_config_static_selectorELNS0_4arch9wavefront6targetE0EEEvT1_
	.p2align	8
	.type	_ZN7rocprim17ROCPRIM_400000_NS6detail17trampoline_kernelINS0_14default_configENS1_25partition_config_selectorILNS1_17partition_subalgoE5ElNS0_10empty_typeEbEEZZNS1_14partition_implILS5_5ELb0ES3_mN6hipcub16HIPCUB_304000_NS21CountingInputIteratorIllEEPS6_NSA_22TransformInputIteratorIbN2at6native12_GLOBAL__N_19NonZeroOpIN3c104HalfEEEPKSK_lEENS0_5tupleIJPlS6_EEENSP_IJSD_SD_EEES6_PiJS6_EEE10hipError_tPvRmT3_T4_T5_T6_T7_T9_mT8_P12ihipStream_tbDpT10_ENKUlT_T0_E_clISt17integral_constantIbLb1EES1D_EEDaS18_S19_EUlS18_E_NS1_11comp_targetILNS1_3genE10ELNS1_11target_archE1200ELNS1_3gpuE4ELNS1_3repE0EEENS1_30default_config_static_selectorELNS0_4arch9wavefront6targetE0EEEvT1_,@function
_ZN7rocprim17ROCPRIM_400000_NS6detail17trampoline_kernelINS0_14default_configENS1_25partition_config_selectorILNS1_17partition_subalgoE5ElNS0_10empty_typeEbEEZZNS1_14partition_implILS5_5ELb0ES3_mN6hipcub16HIPCUB_304000_NS21CountingInputIteratorIllEEPS6_NSA_22TransformInputIteratorIbN2at6native12_GLOBAL__N_19NonZeroOpIN3c104HalfEEEPKSK_lEENS0_5tupleIJPlS6_EEENSP_IJSD_SD_EEES6_PiJS6_EEE10hipError_tPvRmT3_T4_T5_T6_T7_T9_mT8_P12ihipStream_tbDpT10_ENKUlT_T0_E_clISt17integral_constantIbLb1EES1D_EEDaS18_S19_EUlS18_E_NS1_11comp_targetILNS1_3genE10ELNS1_11target_archE1200ELNS1_3gpuE4ELNS1_3repE0EEENS1_30default_config_static_selectorELNS0_4arch9wavefront6targetE0EEEvT1_: ; @_ZN7rocprim17ROCPRIM_400000_NS6detail17trampoline_kernelINS0_14default_configENS1_25partition_config_selectorILNS1_17partition_subalgoE5ElNS0_10empty_typeEbEEZZNS1_14partition_implILS5_5ELb0ES3_mN6hipcub16HIPCUB_304000_NS21CountingInputIteratorIllEEPS6_NSA_22TransformInputIteratorIbN2at6native12_GLOBAL__N_19NonZeroOpIN3c104HalfEEEPKSK_lEENS0_5tupleIJPlS6_EEENSP_IJSD_SD_EEES6_PiJS6_EEE10hipError_tPvRmT3_T4_T5_T6_T7_T9_mT8_P12ihipStream_tbDpT10_ENKUlT_T0_E_clISt17integral_constantIbLb1EES1D_EEDaS18_S19_EUlS18_E_NS1_11comp_targetILNS1_3genE10ELNS1_11target_archE1200ELNS1_3gpuE4ELNS1_3repE0EEENS1_30default_config_static_selectorELNS0_4arch9wavefront6targetE0EEEvT1_
; %bb.0:
	.section	.rodata,"a",@progbits
	.p2align	6, 0x0
	.amdhsa_kernel _ZN7rocprim17ROCPRIM_400000_NS6detail17trampoline_kernelINS0_14default_configENS1_25partition_config_selectorILNS1_17partition_subalgoE5ElNS0_10empty_typeEbEEZZNS1_14partition_implILS5_5ELb0ES3_mN6hipcub16HIPCUB_304000_NS21CountingInputIteratorIllEEPS6_NSA_22TransformInputIteratorIbN2at6native12_GLOBAL__N_19NonZeroOpIN3c104HalfEEEPKSK_lEENS0_5tupleIJPlS6_EEENSP_IJSD_SD_EEES6_PiJS6_EEE10hipError_tPvRmT3_T4_T5_T6_T7_T9_mT8_P12ihipStream_tbDpT10_ENKUlT_T0_E_clISt17integral_constantIbLb1EES1D_EEDaS18_S19_EUlS18_E_NS1_11comp_targetILNS1_3genE10ELNS1_11target_archE1200ELNS1_3gpuE4ELNS1_3repE0EEENS1_30default_config_static_selectorELNS0_4arch9wavefront6targetE0EEEvT1_
		.amdhsa_group_segment_fixed_size 0
		.amdhsa_private_segment_fixed_size 0
		.amdhsa_kernarg_size 136
		.amdhsa_user_sgpr_count 15
		.amdhsa_user_sgpr_dispatch_ptr 0
		.amdhsa_user_sgpr_queue_ptr 0
		.amdhsa_user_sgpr_kernarg_segment_ptr 1
		.amdhsa_user_sgpr_dispatch_id 0
		.amdhsa_user_sgpr_private_segment_size 0
		.amdhsa_wavefront_size32 1
		.amdhsa_uses_dynamic_stack 0
		.amdhsa_enable_private_segment 0
		.amdhsa_system_sgpr_workgroup_id_x 1
		.amdhsa_system_sgpr_workgroup_id_y 0
		.amdhsa_system_sgpr_workgroup_id_z 0
		.amdhsa_system_sgpr_workgroup_info 0
		.amdhsa_system_vgpr_workitem_id 0
		.amdhsa_next_free_vgpr 1
		.amdhsa_next_free_sgpr 1
		.amdhsa_reserve_vcc 0
		.amdhsa_float_round_mode_32 0
		.amdhsa_float_round_mode_16_64 0
		.amdhsa_float_denorm_mode_32 3
		.amdhsa_float_denorm_mode_16_64 3
		.amdhsa_dx10_clamp 1
		.amdhsa_ieee_mode 1
		.amdhsa_fp16_overflow 0
		.amdhsa_workgroup_processor_mode 1
		.amdhsa_memory_ordered 1
		.amdhsa_forward_progress 0
		.amdhsa_shared_vgpr_count 0
		.amdhsa_exception_fp_ieee_invalid_op 0
		.amdhsa_exception_fp_denorm_src 0
		.amdhsa_exception_fp_ieee_div_zero 0
		.amdhsa_exception_fp_ieee_overflow 0
		.amdhsa_exception_fp_ieee_underflow 0
		.amdhsa_exception_fp_ieee_inexact 0
		.amdhsa_exception_int_div_zero 0
	.end_amdhsa_kernel
	.section	.text._ZN7rocprim17ROCPRIM_400000_NS6detail17trampoline_kernelINS0_14default_configENS1_25partition_config_selectorILNS1_17partition_subalgoE5ElNS0_10empty_typeEbEEZZNS1_14partition_implILS5_5ELb0ES3_mN6hipcub16HIPCUB_304000_NS21CountingInputIteratorIllEEPS6_NSA_22TransformInputIteratorIbN2at6native12_GLOBAL__N_19NonZeroOpIN3c104HalfEEEPKSK_lEENS0_5tupleIJPlS6_EEENSP_IJSD_SD_EEES6_PiJS6_EEE10hipError_tPvRmT3_T4_T5_T6_T7_T9_mT8_P12ihipStream_tbDpT10_ENKUlT_T0_E_clISt17integral_constantIbLb1EES1D_EEDaS18_S19_EUlS18_E_NS1_11comp_targetILNS1_3genE10ELNS1_11target_archE1200ELNS1_3gpuE4ELNS1_3repE0EEENS1_30default_config_static_selectorELNS0_4arch9wavefront6targetE0EEEvT1_,"axG",@progbits,_ZN7rocprim17ROCPRIM_400000_NS6detail17trampoline_kernelINS0_14default_configENS1_25partition_config_selectorILNS1_17partition_subalgoE5ElNS0_10empty_typeEbEEZZNS1_14partition_implILS5_5ELb0ES3_mN6hipcub16HIPCUB_304000_NS21CountingInputIteratorIllEEPS6_NSA_22TransformInputIteratorIbN2at6native12_GLOBAL__N_19NonZeroOpIN3c104HalfEEEPKSK_lEENS0_5tupleIJPlS6_EEENSP_IJSD_SD_EEES6_PiJS6_EEE10hipError_tPvRmT3_T4_T5_T6_T7_T9_mT8_P12ihipStream_tbDpT10_ENKUlT_T0_E_clISt17integral_constantIbLb1EES1D_EEDaS18_S19_EUlS18_E_NS1_11comp_targetILNS1_3genE10ELNS1_11target_archE1200ELNS1_3gpuE4ELNS1_3repE0EEENS1_30default_config_static_selectorELNS0_4arch9wavefront6targetE0EEEvT1_,comdat
.Lfunc_end879:
	.size	_ZN7rocprim17ROCPRIM_400000_NS6detail17trampoline_kernelINS0_14default_configENS1_25partition_config_selectorILNS1_17partition_subalgoE5ElNS0_10empty_typeEbEEZZNS1_14partition_implILS5_5ELb0ES3_mN6hipcub16HIPCUB_304000_NS21CountingInputIteratorIllEEPS6_NSA_22TransformInputIteratorIbN2at6native12_GLOBAL__N_19NonZeroOpIN3c104HalfEEEPKSK_lEENS0_5tupleIJPlS6_EEENSP_IJSD_SD_EEES6_PiJS6_EEE10hipError_tPvRmT3_T4_T5_T6_T7_T9_mT8_P12ihipStream_tbDpT10_ENKUlT_T0_E_clISt17integral_constantIbLb1EES1D_EEDaS18_S19_EUlS18_E_NS1_11comp_targetILNS1_3genE10ELNS1_11target_archE1200ELNS1_3gpuE4ELNS1_3repE0EEENS1_30default_config_static_selectorELNS0_4arch9wavefront6targetE0EEEvT1_, .Lfunc_end879-_ZN7rocprim17ROCPRIM_400000_NS6detail17trampoline_kernelINS0_14default_configENS1_25partition_config_selectorILNS1_17partition_subalgoE5ElNS0_10empty_typeEbEEZZNS1_14partition_implILS5_5ELb0ES3_mN6hipcub16HIPCUB_304000_NS21CountingInputIteratorIllEEPS6_NSA_22TransformInputIteratorIbN2at6native12_GLOBAL__N_19NonZeroOpIN3c104HalfEEEPKSK_lEENS0_5tupleIJPlS6_EEENSP_IJSD_SD_EEES6_PiJS6_EEE10hipError_tPvRmT3_T4_T5_T6_T7_T9_mT8_P12ihipStream_tbDpT10_ENKUlT_T0_E_clISt17integral_constantIbLb1EES1D_EEDaS18_S19_EUlS18_E_NS1_11comp_targetILNS1_3genE10ELNS1_11target_archE1200ELNS1_3gpuE4ELNS1_3repE0EEENS1_30default_config_static_selectorELNS0_4arch9wavefront6targetE0EEEvT1_
                                        ; -- End function
	.section	.AMDGPU.csdata,"",@progbits
; Kernel info:
; codeLenInByte = 0
; NumSgprs: 0
; NumVgprs: 0
; ScratchSize: 0
; MemoryBound: 0
; FloatMode: 240
; IeeeMode: 1
; LDSByteSize: 0 bytes/workgroup (compile time only)
; SGPRBlocks: 0
; VGPRBlocks: 0
; NumSGPRsForWavesPerEU: 1
; NumVGPRsForWavesPerEU: 1
; Occupancy: 16
; WaveLimiterHint : 0
; COMPUTE_PGM_RSRC2:SCRATCH_EN: 0
; COMPUTE_PGM_RSRC2:USER_SGPR: 15
; COMPUTE_PGM_RSRC2:TRAP_HANDLER: 0
; COMPUTE_PGM_RSRC2:TGID_X_EN: 1
; COMPUTE_PGM_RSRC2:TGID_Y_EN: 0
; COMPUTE_PGM_RSRC2:TGID_Z_EN: 0
; COMPUTE_PGM_RSRC2:TIDIG_COMP_CNT: 0
	.section	.text._ZN7rocprim17ROCPRIM_400000_NS6detail17trampoline_kernelINS0_14default_configENS1_25partition_config_selectorILNS1_17partition_subalgoE5ElNS0_10empty_typeEbEEZZNS1_14partition_implILS5_5ELb0ES3_mN6hipcub16HIPCUB_304000_NS21CountingInputIteratorIllEEPS6_NSA_22TransformInputIteratorIbN2at6native12_GLOBAL__N_19NonZeroOpIN3c104HalfEEEPKSK_lEENS0_5tupleIJPlS6_EEENSP_IJSD_SD_EEES6_PiJS6_EEE10hipError_tPvRmT3_T4_T5_T6_T7_T9_mT8_P12ihipStream_tbDpT10_ENKUlT_T0_E_clISt17integral_constantIbLb1EES1D_EEDaS18_S19_EUlS18_E_NS1_11comp_targetILNS1_3genE9ELNS1_11target_archE1100ELNS1_3gpuE3ELNS1_3repE0EEENS1_30default_config_static_selectorELNS0_4arch9wavefront6targetE0EEEvT1_,"axG",@progbits,_ZN7rocprim17ROCPRIM_400000_NS6detail17trampoline_kernelINS0_14default_configENS1_25partition_config_selectorILNS1_17partition_subalgoE5ElNS0_10empty_typeEbEEZZNS1_14partition_implILS5_5ELb0ES3_mN6hipcub16HIPCUB_304000_NS21CountingInputIteratorIllEEPS6_NSA_22TransformInputIteratorIbN2at6native12_GLOBAL__N_19NonZeroOpIN3c104HalfEEEPKSK_lEENS0_5tupleIJPlS6_EEENSP_IJSD_SD_EEES6_PiJS6_EEE10hipError_tPvRmT3_T4_T5_T6_T7_T9_mT8_P12ihipStream_tbDpT10_ENKUlT_T0_E_clISt17integral_constantIbLb1EES1D_EEDaS18_S19_EUlS18_E_NS1_11comp_targetILNS1_3genE9ELNS1_11target_archE1100ELNS1_3gpuE3ELNS1_3repE0EEENS1_30default_config_static_selectorELNS0_4arch9wavefront6targetE0EEEvT1_,comdat
	.globl	_ZN7rocprim17ROCPRIM_400000_NS6detail17trampoline_kernelINS0_14default_configENS1_25partition_config_selectorILNS1_17partition_subalgoE5ElNS0_10empty_typeEbEEZZNS1_14partition_implILS5_5ELb0ES3_mN6hipcub16HIPCUB_304000_NS21CountingInputIteratorIllEEPS6_NSA_22TransformInputIteratorIbN2at6native12_GLOBAL__N_19NonZeroOpIN3c104HalfEEEPKSK_lEENS0_5tupleIJPlS6_EEENSP_IJSD_SD_EEES6_PiJS6_EEE10hipError_tPvRmT3_T4_T5_T6_T7_T9_mT8_P12ihipStream_tbDpT10_ENKUlT_T0_E_clISt17integral_constantIbLb1EES1D_EEDaS18_S19_EUlS18_E_NS1_11comp_targetILNS1_3genE9ELNS1_11target_archE1100ELNS1_3gpuE3ELNS1_3repE0EEENS1_30default_config_static_selectorELNS0_4arch9wavefront6targetE0EEEvT1_ ; -- Begin function _ZN7rocprim17ROCPRIM_400000_NS6detail17trampoline_kernelINS0_14default_configENS1_25partition_config_selectorILNS1_17partition_subalgoE5ElNS0_10empty_typeEbEEZZNS1_14partition_implILS5_5ELb0ES3_mN6hipcub16HIPCUB_304000_NS21CountingInputIteratorIllEEPS6_NSA_22TransformInputIteratorIbN2at6native12_GLOBAL__N_19NonZeroOpIN3c104HalfEEEPKSK_lEENS0_5tupleIJPlS6_EEENSP_IJSD_SD_EEES6_PiJS6_EEE10hipError_tPvRmT3_T4_T5_T6_T7_T9_mT8_P12ihipStream_tbDpT10_ENKUlT_T0_E_clISt17integral_constantIbLb1EES1D_EEDaS18_S19_EUlS18_E_NS1_11comp_targetILNS1_3genE9ELNS1_11target_archE1100ELNS1_3gpuE3ELNS1_3repE0EEENS1_30default_config_static_selectorELNS0_4arch9wavefront6targetE0EEEvT1_
	.p2align	8
	.type	_ZN7rocprim17ROCPRIM_400000_NS6detail17trampoline_kernelINS0_14default_configENS1_25partition_config_selectorILNS1_17partition_subalgoE5ElNS0_10empty_typeEbEEZZNS1_14partition_implILS5_5ELb0ES3_mN6hipcub16HIPCUB_304000_NS21CountingInputIteratorIllEEPS6_NSA_22TransformInputIteratorIbN2at6native12_GLOBAL__N_19NonZeroOpIN3c104HalfEEEPKSK_lEENS0_5tupleIJPlS6_EEENSP_IJSD_SD_EEES6_PiJS6_EEE10hipError_tPvRmT3_T4_T5_T6_T7_T9_mT8_P12ihipStream_tbDpT10_ENKUlT_T0_E_clISt17integral_constantIbLb1EES1D_EEDaS18_S19_EUlS18_E_NS1_11comp_targetILNS1_3genE9ELNS1_11target_archE1100ELNS1_3gpuE3ELNS1_3repE0EEENS1_30default_config_static_selectorELNS0_4arch9wavefront6targetE0EEEvT1_,@function
_ZN7rocprim17ROCPRIM_400000_NS6detail17trampoline_kernelINS0_14default_configENS1_25partition_config_selectorILNS1_17partition_subalgoE5ElNS0_10empty_typeEbEEZZNS1_14partition_implILS5_5ELb0ES3_mN6hipcub16HIPCUB_304000_NS21CountingInputIteratorIllEEPS6_NSA_22TransformInputIteratorIbN2at6native12_GLOBAL__N_19NonZeroOpIN3c104HalfEEEPKSK_lEENS0_5tupleIJPlS6_EEENSP_IJSD_SD_EEES6_PiJS6_EEE10hipError_tPvRmT3_T4_T5_T6_T7_T9_mT8_P12ihipStream_tbDpT10_ENKUlT_T0_E_clISt17integral_constantIbLb1EES1D_EEDaS18_S19_EUlS18_E_NS1_11comp_targetILNS1_3genE9ELNS1_11target_archE1100ELNS1_3gpuE3ELNS1_3repE0EEENS1_30default_config_static_selectorELNS0_4arch9wavefront6targetE0EEEvT1_: ; @_ZN7rocprim17ROCPRIM_400000_NS6detail17trampoline_kernelINS0_14default_configENS1_25partition_config_selectorILNS1_17partition_subalgoE5ElNS0_10empty_typeEbEEZZNS1_14partition_implILS5_5ELb0ES3_mN6hipcub16HIPCUB_304000_NS21CountingInputIteratorIllEEPS6_NSA_22TransformInputIteratorIbN2at6native12_GLOBAL__N_19NonZeroOpIN3c104HalfEEEPKSK_lEENS0_5tupleIJPlS6_EEENSP_IJSD_SD_EEES6_PiJS6_EEE10hipError_tPvRmT3_T4_T5_T6_T7_T9_mT8_P12ihipStream_tbDpT10_ENKUlT_T0_E_clISt17integral_constantIbLb1EES1D_EEDaS18_S19_EUlS18_E_NS1_11comp_targetILNS1_3genE9ELNS1_11target_archE1100ELNS1_3gpuE3ELNS1_3repE0EEENS1_30default_config_static_selectorELNS0_4arch9wavefront6targetE0EEEvT1_
; %bb.0:
	s_clause 0x4
	s_load_b64 s[18:19], s[0:1], 0x20
	s_load_b64 s[12:13], s[0:1], 0x30
	;; [unrolled: 1-line block ×3, first 2 shown]
	s_load_b128 s[4:7], s[0:1], 0x48
	s_load_b64 s[14:15], s[0:1], 0x68
	v_cmp_eq_u32_e64 s2, 0, v0
	s_delay_alu instid0(VALU_DEP_1)
	s_and_saveexec_b32 s3, s2
	s_cbranch_execz .LBB880_4
; %bb.1:
	s_mov_b32 s9, exec_lo
	s_mov_b32 s8, exec_lo
	v_mbcnt_lo_u32_b32 v1, s9, 0
                                        ; implicit-def: $vgpr2
	s_delay_alu instid0(VALU_DEP_1)
	v_cmpx_eq_u32_e32 0, v1
	s_cbranch_execz .LBB880_3
; %bb.2:
	s_load_b64 s[10:11], s[0:1], 0x78
	s_bcnt1_i32_b32 s9, s9
	s_delay_alu instid0(SALU_CYCLE_1)
	v_dual_mov_b32 v2, 0 :: v_dual_mov_b32 v3, s9
	s_waitcnt lgkmcnt(0)
	global_atomic_add_u32 v2, v2, v3, s[10:11] glc
.LBB880_3:
	s_or_b32 exec_lo, exec_lo, s8
	s_waitcnt vmcnt(0)
	v_readfirstlane_b32 s8, v2
	s_delay_alu instid0(VALU_DEP_1)
	v_dual_mov_b32 v2, 0 :: v_dual_add_nc_u32 v1, s8, v1
	ds_store_b32 v2, v1
.LBB880_4:
	s_or_b32 exec_lo, exec_lo, s3
	v_mov_b32_e32 v1, 0
	s_clause 0x1
	s_load_b128 s[8:11], s[0:1], 0x8
	s_load_b32 s0, s[0:1], 0x70
	s_waitcnt lgkmcnt(0)
	s_barrier
	buffer_gl0_inv
	ds_load_b32 v3, v1
	s_waitcnt lgkmcnt(0)
	s_barrier
	buffer_gl0_inv
	global_load_b64 v[1:2], v1, s[6:7]
	s_add_u32 s21, s10, s8
	s_mul_i32 s20, s0, 0x300
	s_addc_u32 s22, s11, s9
	s_add_i32 s3, s0, -1
	s_add_u32 s0, s10, s20
	v_readfirstlane_b32 s9, v3
	s_addc_u32 s1, s11, 0
	s_delay_alu instid0(SALU_CYCLE_1) | instskip(SKIP_1) | instid1(VALU_DEP_2)
	v_cmp_ge_u64_e64 s0, s[0:1], s[16:17]
	s_mov_b32 s17, -1
	s_cmp_eq_u32 s9, s3
	s_cselect_b32 s3, -1, 0
	s_delay_alu instid0(VALU_DEP_1) | instid1(SALU_CYCLE_1)
	s_and_b32 s1, s0, s3
	s_mul_i32 s0, s9, 0x300
	s_xor_b32 s8, s1, -1
	s_mov_b32 s1, 0
	s_and_b32 vcc_lo, exec_lo, s8
	s_waitcnt vmcnt(0)
	v_readfirstlane_b32 s6, v1
	v_readfirstlane_b32 s7, v2
	s_cbranch_vccz .LBB880_6
; %bb.5:
	s_add_u32 s17, s0, s21
	s_addc_u32 s23, 0, s22
	v_add_co_u32 v1, s17, s17, v0
	s_delay_alu instid0(VALU_DEP_1) | instskip(SKIP_1) | instid1(VALU_DEP_3)
	v_add_co_ci_u32_e64 v2, null, s23, 0, s17
	v_lshlrev_b32_e32 v13, 3, v0
	v_add_co_u32 v3, vcc_lo, 0x80, v1
	s_delay_alu instid0(VALU_DEP_3)
	v_add_co_ci_u32_e32 v4, vcc_lo, 0, v2, vcc_lo
	v_add_co_u32 v5, vcc_lo, 0x100, v1
	v_add_co_ci_u32_e32 v6, vcc_lo, 0, v2, vcc_lo
	v_add_co_u32 v7, vcc_lo, 0x180, v1
	;; [unrolled: 2-line block ×4, first 2 shown]
	v_add_co_ci_u32_e32 v12, vcc_lo, 0, v2, vcc_lo
	ds_store_2addr_stride64_b64 v13, v[1:2], v[3:4] offset1:2
	ds_store_2addr_stride64_b64 v13, v[5:6], v[7:8] offset0:4 offset1:6
	ds_store_2addr_stride64_b64 v13, v[9:10], v[11:12] offset0:8 offset1:10
	s_waitcnt lgkmcnt(0)
	s_mov_b32 s17, s1
	s_barrier
.LBB880_6:
	v_or_b32_e32 v17, 0x100, v0
	v_or_b32_e32 v16, 0x180, v0
	;; [unrolled: 1-line block ×4, first 2 shown]
	s_and_not1_b32 vcc_lo, exec_lo, s17
	s_cbranch_vccnz .LBB880_8
; %bb.7:
	v_or_b32_e32 v3, 0x80, v0
	s_add_u32 s17, s21, s0
	s_addc_u32 s21, s22, 0
	v_add_co_u32 v1, s22, s17, v0
	s_delay_alu instid0(VALU_DEP_1) | instskip(SKIP_1) | instid1(VALU_DEP_1)
	v_add_co_ci_u32_e64 v2, null, s21, 0, s22
	v_add_co_u32 v3, s22, s17, v3
	v_add_co_ci_u32_e64 v4, null, s21, 0, s22
	v_add_co_u32 v5, s22, s17, v17
	s_delay_alu instid0(VALU_DEP_1) | instskip(SKIP_1) | instid1(VALU_DEP_1)
	v_add_co_ci_u32_e64 v6, null, s21, 0, s22
	v_add_co_u32 v7, s22, s17, v16
	v_add_co_ci_u32_e64 v8, null, s21, 0, s22
	v_add_co_u32 v9, s22, s17, v14
	v_lshlrev_b32_e32 v15, 3, v0
	v_add_co_u32 v11, s17, s17, v13
	v_add_co_ci_u32_e64 v10, null, s21, 0, s22
	v_add_co_ci_u32_e64 v12, null, s21, 0, s17
	ds_store_2addr_stride64_b64 v15, v[1:2], v[3:4] offset1:2
	ds_store_2addr_stride64_b64 v15, v[5:6], v[7:8] offset0:4 offset1:6
	ds_store_2addr_stride64_b64 v15, v[9:10], v[11:12] offset0:8 offset1:10
	s_waitcnt lgkmcnt(0)
	s_barrier
.LBB880_8:
	v_mul_u32_u24_e32 v1, 6, v0
	buffer_gl0_inv
	s_lshl_b64 s[22:23], s[10:11], 1
	s_delay_alu instid0(SALU_CYCLE_1)
	s_add_u32 s11, s18, s22
	v_lshlrev_b32_e32 v15, 3, v1
	s_addc_u32 s17, s19, s23
	s_lshl_b64 s[0:1], s[0:1], 1
	ds_load_b128 v[9:12], v15
	ds_load_b128 v[5:8], v15 offset:16
	ds_load_b128 v[1:4], v15 offset:32
	s_add_u32 s0, s11, s0
	s_addc_u32 s1, s17, s1
	s_and_b32 vcc_lo, exec_lo, s8
	s_mov_b32 s11, -1
	s_waitcnt lgkmcnt(0)
	s_barrier
	buffer_gl0_inv
	s_cbranch_vccz .LBB880_10
; %bb.9:
	v_lshlrev_b32_e32 v18, 1, v0
	s_mov_b32 s11, 0
	s_clause 0x5
	global_load_u16 v19, v18, s[0:1]
	global_load_u16 v20, v18, s[0:1] offset:256
	global_load_u16 v21, v18, s[0:1] offset:512
	global_load_u16 v22, v18, s[0:1] offset:768
	global_load_u16 v23, v18, s[0:1] offset:1024
	global_load_u16 v18, v18, s[0:1] offset:1280
	s_waitcnt vmcnt(5)
	v_and_b32_e32 v19, 0x7fff, v19
	s_waitcnt vmcnt(4)
	v_and_b32_e32 v20, 0x7fff, v20
	;; [unrolled: 2-line block ×5, first 2 shown]
	v_cmp_ne_u16_e32 vcc_lo, 0, v19
	s_waitcnt vmcnt(0)
	v_and_b32_e32 v18, 0x7fff, v18
	v_cndmask_b32_e64 v19, 0, 1, vcc_lo
	v_cmp_ne_u16_e32 vcc_lo, 0, v20
	v_cndmask_b32_e64 v20, 0, 1, vcc_lo
	v_cmp_ne_u16_e32 vcc_lo, 0, v21
	;; [unrolled: 2-line block ×5, first 2 shown]
	v_cndmask_b32_e64 v18, 0, 1, vcc_lo
	ds_store_b8 v0, v19
	ds_store_b8 v0, v20 offset:128
	ds_store_b8 v0, v21 offset:256
	;; [unrolled: 1-line block ×5, first 2 shown]
	s_waitcnt lgkmcnt(0)
	s_barrier
.LBB880_10:
	s_and_not1_b32 vcc_lo, exec_lo, s11
	s_cbranch_vccnz .LBB880_24
; %bb.11:
	s_add_i32 s20, s20, s10
	v_dual_mov_b32 v18, 0 :: v_dual_mov_b32 v19, 0
	s_sub_i32 s10, s16, s20
	s_mov_b32 s11, exec_lo
	s_addk_i32 s10, 0x300
	s_delay_alu instid0(SALU_CYCLE_1)
	v_cmpx_gt_u32_e64 s10, v0
	s_cbranch_execz .LBB880_13
; %bb.12:
	v_lshlrev_b32_e32 v19, 1, v0
	global_load_u16 v19, v19, s[0:1]
	s_waitcnt vmcnt(0)
	v_and_b32_e32 v19, 0x7fff, v19
	s_delay_alu instid0(VALU_DEP_1)
	v_cmp_ne_u16_e32 vcc_lo, 0, v19
	v_cndmask_b32_e64 v19, 0, 1, vcc_lo
.LBB880_13:
	s_or_b32 exec_lo, exec_lo, s11
	v_or_b32_e32 v20, 0x80, v0
	s_mov_b32 s11, exec_lo
	s_delay_alu instid0(VALU_DEP_1)
	v_cmpx_gt_u32_e64 s10, v20
	s_cbranch_execz .LBB880_15
; %bb.14:
	v_lshlrev_b32_e32 v18, 1, v0
	global_load_u16 v18, v18, s[0:1] offset:256
	s_waitcnt vmcnt(0)
	v_and_b32_e32 v18, 0x7fff, v18
	s_delay_alu instid0(VALU_DEP_1)
	v_cmp_ne_u16_e32 vcc_lo, 0, v18
	v_cndmask_b32_e64 v18, 0, 1, vcc_lo
.LBB880_15:
	s_or_b32 exec_lo, exec_lo, s11
	v_cmp_gt_u32_e32 vcc_lo, s10, v17
	v_dual_mov_b32 v17, 0 :: v_dual_mov_b32 v20, 0
	s_and_saveexec_b32 s11, vcc_lo
	s_cbranch_execz .LBB880_17
; %bb.16:
	v_lshlrev_b32_e32 v20, 1, v0
	global_load_u16 v20, v20, s[0:1] offset:512
	s_waitcnt vmcnt(0)
	v_and_b32_e32 v20, 0x7fff, v20
	s_delay_alu instid0(VALU_DEP_1)
	v_cmp_ne_u16_e32 vcc_lo, 0, v20
	v_cndmask_b32_e64 v20, 0, 1, vcc_lo
.LBB880_17:
	s_or_b32 exec_lo, exec_lo, s11
	s_delay_alu instid0(SALU_CYCLE_1)
	s_mov_b32 s11, exec_lo
	v_cmpx_gt_u32_e64 s10, v16
	s_cbranch_execz .LBB880_19
; %bb.18:
	v_lshlrev_b32_e32 v16, 1, v0
	global_load_u16 v16, v16, s[0:1] offset:768
	s_waitcnt vmcnt(0)
	v_and_b32_e32 v16, 0x7fff, v16
	s_delay_alu instid0(VALU_DEP_1)
	v_cmp_ne_u16_e32 vcc_lo, 0, v16
	v_cndmask_b32_e64 v17, 0, 1, vcc_lo
.LBB880_19:
	s_or_b32 exec_lo, exec_lo, s11
	v_cmp_gt_u32_e32 vcc_lo, s10, v14
	v_mov_b32_e32 v14, 0
	v_mov_b32_e32 v16, 0
	s_and_saveexec_b32 s11, vcc_lo
	s_cbranch_execz .LBB880_21
; %bb.20:
	v_lshlrev_b32_e32 v16, 1, v0
	global_load_u16 v16, v16, s[0:1] offset:1024
	s_waitcnt vmcnt(0)
	v_and_b32_e32 v16, 0x7fff, v16
	s_delay_alu instid0(VALU_DEP_1)
	v_cmp_ne_u16_e32 vcc_lo, 0, v16
	v_cndmask_b32_e64 v16, 0, 1, vcc_lo
.LBB880_21:
	s_or_b32 exec_lo, exec_lo, s11
	v_cmp_gt_u32_e32 vcc_lo, s10, v13
	s_and_saveexec_b32 s10, vcc_lo
	s_cbranch_execz .LBB880_23
; %bb.22:
	v_lshlrev_b32_e32 v13, 1, v0
	global_load_u16 v13, v13, s[0:1] offset:1280
	s_waitcnt vmcnt(0)
	v_and_b32_e32 v13, 0x7fff, v13
	s_delay_alu instid0(VALU_DEP_1)
	v_cmp_ne_u16_e32 vcc_lo, 0, v13
	v_cndmask_b32_e64 v14, 0, 1, vcc_lo
.LBB880_23:
	s_or_b32 exec_lo, exec_lo, s10
	ds_store_b8 v0, v19
	ds_store_b8 v0, v18 offset:128
	ds_store_b8 v0, v20 offset:256
	;; [unrolled: 1-line block ×5, first 2 shown]
	s_waitcnt lgkmcnt(0)
	s_barrier
.LBB880_24:
	v_mad_i32_i24 v43, 0xffffffd6, v0, v15
	buffer_gl0_inv
	v_mbcnt_lo_u32_b32 v42, -1, 0
	s_cmp_lg_u32 s9, 0
	s_mov_b32 s1, -1
	ds_load_u16 v36, v43
	ds_load_u16 v33, v43 offset:2
	ds_load_u16 v31, v43 offset:4
	v_mov_b32_e32 v14, 0
	v_and_b32_e32 v44, 15, v42
	s_waitcnt lgkmcnt(0)
	s_barrier
	buffer_gl0_inv
	v_and_b32_e32 v41, 0xff, v36
	v_lshrrev_b16 v34, 8, v36
	v_lshrrev_b16 v35, 8, v33
	v_and_b32_e32 v39, 0xff, v33
	v_lshrrev_b16 v32, 8, v31
	v_and_b32_e32 v37, 0xff, v31
	v_and_b32_e32 v40, 0xffff, v34
	;; [unrolled: 1-line block ×3, first 2 shown]
	s_delay_alu instid0(VALU_DEP_4) | instskip(NEXT) | instid1(VALU_DEP_3)
	v_and_b32_e32 v16, 0xffff, v32
	v_add_co_u32 v13, s0, v40, v41
	s_delay_alu instid0(VALU_DEP_1) | instskip(SKIP_1) | instid1(VALU_DEP_3)
	v_add_co_ci_u32_e64 v15, null, 0, 0, s0
	v_cmp_ne_u32_e64 s0, 0, v44
	v_add_co_u32 v13, vcc_lo, v13, v39
	s_delay_alu instid0(VALU_DEP_3) | instskip(NEXT) | instid1(VALU_DEP_2)
	v_add_co_ci_u32_e32 v15, vcc_lo, 0, v15, vcc_lo
	v_add_co_u32 v13, vcc_lo, v13, v38
	s_delay_alu instid0(VALU_DEP_2) | instskip(NEXT) | instid1(VALU_DEP_2)
	v_add_co_ci_u32_e32 v15, vcc_lo, 0, v15, vcc_lo
	v_add_co_u32 v13, vcc_lo, v13, v37
	s_delay_alu instid0(VALU_DEP_2) | instskip(NEXT) | instid1(VALU_DEP_2)
	v_add_co_ci_u32_e32 v15, vcc_lo, 0, v15, vcc_lo
	v_add_co_u32 v21, vcc_lo, v13, v16
	s_delay_alu instid0(VALU_DEP_2)
	v_add_co_ci_u32_e32 v22, vcc_lo, 0, v15, vcc_lo
	s_cbranch_scc0 .LBB880_93
; %bb.25:
	s_delay_alu instid0(VALU_DEP_2)
	v_mov_b32_e32 v15, v21
	v_mov_b32_dpp v13, v21 row_shr:1 row_mask:0xf bank_mask:0xf
	v_mov_b32_dpp v18, v14 row_shr:1 row_mask:0xf bank_mask:0xf
	v_dual_mov_b32 v17, v21 :: v_dual_mov_b32 v16, v22
	s_and_saveexec_b32 s1, s0
; %bb.26:
	s_delay_alu instid0(VALU_DEP_3) | instskip(SKIP_1) | instid1(VALU_DEP_2)
	v_add_co_u32 v17, vcc_lo, v21, v13
	v_add_co_ci_u32_e32 v14, vcc_lo, 0, v22, vcc_lo
	v_add_co_u32 v13, vcc_lo, 0, v17
	s_delay_alu instid0(VALU_DEP_2) | instskip(NEXT) | instid1(VALU_DEP_1)
	v_add_co_ci_u32_e32 v14, vcc_lo, v18, v14, vcc_lo
	v_dual_mov_b32 v16, v14 :: v_dual_mov_b32 v15, v13
; %bb.27:
	s_or_b32 exec_lo, exec_lo, s1
	v_mov_b32_dpp v13, v17 row_shr:2 row_mask:0xf bank_mask:0xf
	v_mov_b32_dpp v18, v14 row_shr:2 row_mask:0xf bank_mask:0xf
	s_mov_b32 s1, exec_lo
	v_cmpx_lt_u32_e32 1, v44
; %bb.28:
	s_delay_alu instid0(VALU_DEP_3) | instskip(SKIP_1) | instid1(VALU_DEP_2)
	v_add_co_u32 v17, vcc_lo, v15, v13
	v_add_co_ci_u32_e32 v14, vcc_lo, 0, v16, vcc_lo
	v_add_co_u32 v13, vcc_lo, 0, v17
	s_delay_alu instid0(VALU_DEP_2) | instskip(NEXT) | instid1(VALU_DEP_1)
	v_add_co_ci_u32_e32 v14, vcc_lo, v18, v14, vcc_lo
	v_dual_mov_b32 v16, v14 :: v_dual_mov_b32 v15, v13
; %bb.29:
	s_or_b32 exec_lo, exec_lo, s1
	v_mov_b32_dpp v13, v17 row_shr:4 row_mask:0xf bank_mask:0xf
	v_mov_b32_dpp v18, v14 row_shr:4 row_mask:0xf bank_mask:0xf
	s_mov_b32 s1, exec_lo
	v_cmpx_lt_u32_e32 3, v44
	;; [unrolled: 14-line block ×3, first 2 shown]
; %bb.32:
	s_delay_alu instid0(VALU_DEP_3) | instskip(SKIP_1) | instid1(VALU_DEP_2)
	v_add_co_u32 v17, vcc_lo, v15, v18
	v_add_co_ci_u32_e32 v14, vcc_lo, 0, v16, vcc_lo
	v_add_co_u32 v15, vcc_lo, 0, v17
	s_delay_alu instid0(VALU_DEP_2) | instskip(NEXT) | instid1(VALU_DEP_1)
	v_add_co_ci_u32_e32 v16, vcc_lo, v13, v14, vcc_lo
	v_mov_b32_e32 v14, v16
; %bb.33:
	s_or_b32 exec_lo, exec_lo, s1
	ds_swizzle_b32 v13, v17 offset:swizzle(BROADCAST,32,15)
	ds_swizzle_b32 v18, v14 offset:swizzle(BROADCAST,32,15)
	v_and_b32_e32 v19, 16, v42
	s_mov_b32 s1, exec_lo
	s_delay_alu instid0(VALU_DEP_1)
	v_cmpx_ne_u32_e32 0, v19
	s_cbranch_execz .LBB880_35
; %bb.34:
	s_waitcnt lgkmcnt(1)
	v_add_co_u32 v17, vcc_lo, v15, v13
	v_add_co_ci_u32_e32 v14, vcc_lo, 0, v16, vcc_lo
	s_delay_alu instid0(VALU_DEP_2) | instskip(SKIP_1) | instid1(VALU_DEP_2)
	v_add_co_u32 v13, vcc_lo, 0, v17
	s_waitcnt lgkmcnt(0)
	v_add_co_ci_u32_e32 v14, vcc_lo, v18, v14, vcc_lo
	s_delay_alu instid0(VALU_DEP_1)
	v_dual_mov_b32 v16, v14 :: v_dual_mov_b32 v15, v13
.LBB880_35:
	s_or_b32 exec_lo, exec_lo, s1
	s_waitcnt lgkmcnt(0)
	v_or_b32_e32 v18, 31, v0
	v_lshrrev_b32_e32 v13, 5, v0
	s_mov_b32 s1, exec_lo
	s_delay_alu instid0(VALU_DEP_2)
	v_cmpx_eq_u32_e64 v18, v0
	s_cbranch_execz .LBB880_37
; %bb.36:
	s_delay_alu instid0(VALU_DEP_2)
	v_lshlrev_b32_e32 v18, 3, v13
	ds_store_b64 v18, v[15:16]
.LBB880_37:
	s_or_b32 exec_lo, exec_lo, s1
	s_delay_alu instid0(SALU_CYCLE_1)
	s_mov_b32 s1, exec_lo
	s_waitcnt lgkmcnt(0)
	s_barrier
	buffer_gl0_inv
	v_cmpx_gt_u32_e32 4, v0
	s_cbranch_execz .LBB880_43
; %bb.38:
	v_lshlrev_b32_e32 v18, 3, v0
	s_mov_b32 s10, exec_lo
	ds_load_b64 v[15:16], v18
	s_waitcnt lgkmcnt(0)
	v_dual_mov_b32 v20, v15 :: v_dual_and_b32 v19, 3, v42
	v_mov_b32_dpp v24, v15 row_shr:1 row_mask:0xf bank_mask:0xf
	v_mov_b32_dpp v23, v16 row_shr:1 row_mask:0xf bank_mask:0xf
	s_delay_alu instid0(VALU_DEP_3)
	v_cmpx_ne_u32_e32 0, v19
; %bb.39:
	s_delay_alu instid0(VALU_DEP_3) | instskip(SKIP_1) | instid1(VALU_DEP_2)
	v_add_co_u32 v20, vcc_lo, v15, v24
	v_add_co_ci_u32_e32 v16, vcc_lo, 0, v16, vcc_lo
	v_add_co_u32 v15, vcc_lo, 0, v20
	s_delay_alu instid0(VALU_DEP_2)
	v_add_co_ci_u32_e32 v16, vcc_lo, v23, v16, vcc_lo
; %bb.40:
	s_or_b32 exec_lo, exec_lo, s10
	v_mov_b32_dpp v23, v20 row_shr:2 row_mask:0xf bank_mask:0xf
	s_delay_alu instid0(VALU_DEP_2)
	v_mov_b32_dpp v20, v16 row_shr:2 row_mask:0xf bank_mask:0xf
	s_mov_b32 s10, exec_lo
	v_cmpx_lt_u32_e32 1, v19
; %bb.41:
	s_delay_alu instid0(VALU_DEP_3) | instskip(SKIP_1) | instid1(VALU_DEP_2)
	v_add_co_u32 v15, vcc_lo, v15, v23
	v_add_co_ci_u32_e32 v16, vcc_lo, 0, v16, vcc_lo
	v_add_co_u32 v15, vcc_lo, v15, 0
	s_delay_alu instid0(VALU_DEP_2)
	v_add_co_ci_u32_e32 v16, vcc_lo, v16, v20, vcc_lo
; %bb.42:
	s_or_b32 exec_lo, exec_lo, s10
	ds_store_b64 v18, v[15:16]
.LBB880_43:
	s_or_b32 exec_lo, exec_lo, s1
	v_cmp_gt_u32_e32 vcc_lo, 32, v0
	s_mov_b32 s10, exec_lo
	s_waitcnt lgkmcnt(0)
	s_barrier
	buffer_gl0_inv
                                        ; implicit-def: $vgpr23_vgpr24
	v_cmpx_lt_u32_e32 31, v0
	s_cbranch_execz .LBB880_45
; %bb.44:
	v_lshl_add_u32 v13, v13, 3, -8
	ds_load_b64 v[23:24], v13
	s_waitcnt lgkmcnt(0)
	v_add_co_u32 v17, s1, v17, v23
	s_delay_alu instid0(VALU_DEP_1)
	v_add_co_ci_u32_e64 v14, s1, v14, v24, s1
.LBB880_45:
	s_or_b32 exec_lo, exec_lo, s10
	v_add_nc_u32_e32 v13, -1, v42
	s_delay_alu instid0(VALU_DEP_1) | instskip(NEXT) | instid1(VALU_DEP_1)
	v_cmp_gt_i32_e64 s1, 0, v13
	v_cndmask_b32_e64 v13, v13, v42, s1
	v_cmp_eq_u32_e64 s1, 0, v42
	s_delay_alu instid0(VALU_DEP_2)
	v_lshlrev_b32_e32 v13, 2, v13
	ds_bpermute_b32 v29, v13, v17
	ds_bpermute_b32 v30, v13, v14
	s_and_saveexec_b32 s10, vcc_lo
	s_cbranch_execz .LBB880_88
; %bb.46:
	v_mov_b32_e32 v16, 0
	ds_load_b64 v[13:14], v16 offset:24
	s_and_saveexec_b32 s11, s1
	s_cbranch_execz .LBB880_48
; %bb.47:
	s_add_i32 s16, s9, 32
	s_mov_b32 s17, 0
	s_delay_alu instid0(SALU_CYCLE_1) | instskip(NEXT) | instid1(SALU_CYCLE_1)
	s_lshl_b64 s[16:17], s[16:17], 4
	s_add_u32 s16, s14, s16
	s_addc_u32 s17, s15, s17
	s_delay_alu instid0(SALU_CYCLE_1)
	v_dual_mov_b32 v15, 1 :: v_dual_mov_b32 v18, s17
	v_mov_b32_e32 v17, s16
	s_waitcnt lgkmcnt(0)
	;;#ASMSTART
	global_store_dwordx4 v[17:18], v[13:16] off	
s_waitcnt vmcnt(0)
	;;#ASMEND
.LBB880_48:
	s_or_b32 exec_lo, exec_lo, s11
	v_xad_u32 v25, v42, -1, s9
	s_mov_b32 s16, 0
	s_mov_b32 s11, exec_lo
	s_delay_alu instid0(VALU_DEP_1) | instskip(NEXT) | instid1(VALU_DEP_1)
	v_add_nc_u32_e32 v15, 32, v25
	v_lshlrev_b64 v[15:16], 4, v[15:16]
	s_delay_alu instid0(VALU_DEP_1) | instskip(NEXT) | instid1(VALU_DEP_2)
	v_add_co_u32 v15, vcc_lo, s14, v15
	v_add_co_ci_u32_e32 v16, vcc_lo, s15, v16, vcc_lo
	;;#ASMSTART
	global_load_dwordx4 v[17:20], v[15:16] off glc	
s_waitcnt vmcnt(0)
	;;#ASMEND
	v_and_b32_e32 v20, 0xff, v18
	v_and_b32_e32 v26, 0xff00, v18
	v_or3_b32 v17, v17, 0, 0
	v_and_b32_e32 v27, 0xff000000, v18
	v_and_b32_e32 v18, 0xff0000, v18
	s_delay_alu instid0(VALU_DEP_4) | instskip(SKIP_2) | instid1(VALU_DEP_3)
	v_or3_b32 v20, 0, v20, v26
	v_and_b32_e32 v26, 0xff, v19
	v_or3_b32 v17, v17, 0, 0
	v_or3_b32 v18, v20, v18, v27
	s_delay_alu instid0(VALU_DEP_3)
	v_cmpx_eq_u16_e32 0, v26
	s_cbranch_execz .LBB880_54
; %bb.49:
	s_mov_b32 s17, 1
	.p2align	6
.LBB880_50:                             ; =>This Loop Header: Depth=1
                                        ;     Child Loop BB880_51 Depth 2
	s_delay_alu instid0(SALU_CYCLE_1)
	s_max_u32 s18, s17, 1
.LBB880_51:                             ;   Parent Loop BB880_50 Depth=1
                                        ; =>  This Inner Loop Header: Depth=2
	s_delay_alu instid0(SALU_CYCLE_1)
	s_add_i32 s18, s18, -1
	s_sleep 1
	s_cmp_eq_u32 s18, 0
	s_cbranch_scc0 .LBB880_51
; %bb.52:                               ;   in Loop: Header=BB880_50 Depth=1
	;;#ASMSTART
	global_load_dwordx4 v[17:20], v[15:16] off glc	
s_waitcnt vmcnt(0)
	;;#ASMEND
	v_and_b32_e32 v20, 0xff, v19
	s_cmp_lt_u32 s17, 32
	s_cselect_b32 s18, -1, 0
	s_delay_alu instid0(SALU_CYCLE_1) | instskip(NEXT) | instid1(VALU_DEP_1)
	s_cmp_lg_u32 s18, 0
	v_cmp_ne_u16_e32 vcc_lo, 0, v20
	s_addc_u32 s17, s17, 0
	s_or_b32 s16, vcc_lo, s16
	s_delay_alu instid0(SALU_CYCLE_1)
	s_and_not1_b32 exec_lo, exec_lo, s16
	s_cbranch_execnz .LBB880_50
; %bb.53:
	s_or_b32 exec_lo, exec_lo, s16
.LBB880_54:
	s_delay_alu instid0(SALU_CYCLE_1)
	s_or_b32 exec_lo, exec_lo, s11
	v_cmp_ne_u32_e32 vcc_lo, 31, v42
	v_and_b32_e32 v16, 0xff, v19
	v_lshlrev_b32_e64 v46, v42, -1
	s_mov_b32 s11, exec_lo
	v_add_co_ci_u32_e32 v15, vcc_lo, 0, v42, vcc_lo
	s_delay_alu instid0(VALU_DEP_3) | instskip(NEXT) | instid1(VALU_DEP_2)
	v_cmp_eq_u16_e32 vcc_lo, 2, v16
	v_dual_mov_b32 v16, v17 :: v_dual_lshlrev_b32 v45, 2, v15
	v_and_or_b32 v15, vcc_lo, v46, 0x80000000
	ds_bpermute_b32 v26, v45, v17
	ds_bpermute_b32 v20, v45, v18
	v_ctz_i32_b32_e32 v15, v15
	s_delay_alu instid0(VALU_DEP_1)
	v_cmpx_lt_u32_e64 v42, v15
	s_cbranch_execz .LBB880_56
; %bb.55:
	s_waitcnt lgkmcnt(1)
	v_add_co_u32 v16, vcc_lo, v17, v26
	v_add_co_ci_u32_e32 v18, vcc_lo, 0, v18, vcc_lo
	s_delay_alu instid0(VALU_DEP_2) | instskip(SKIP_1) | instid1(VALU_DEP_2)
	v_add_co_u32 v17, vcc_lo, 0, v16
	s_waitcnt lgkmcnt(0)
	v_add_co_ci_u32_e32 v18, vcc_lo, v20, v18, vcc_lo
.LBB880_56:
	s_or_b32 exec_lo, exec_lo, s11
	v_cmp_gt_u32_e32 vcc_lo, 30, v42
	v_add_nc_u32_e32 v48, 2, v42
	s_mov_b32 s11, exec_lo
	s_waitcnt lgkmcnt(0)
	v_cndmask_b32_e64 v20, 0, 1, vcc_lo
	s_delay_alu instid0(VALU_DEP_1) | instskip(NEXT) | instid1(VALU_DEP_1)
	v_lshlrev_b32_e32 v20, 1, v20
	v_add_lshl_u32 v47, v20, v42, 2
	ds_bpermute_b32 v26, v47, v16
	ds_bpermute_b32 v20, v47, v18
	v_cmpx_le_u32_e64 v48, v15
	s_cbranch_execz .LBB880_58
; %bb.57:
	s_waitcnt lgkmcnt(1)
	v_add_co_u32 v16, vcc_lo, v17, v26
	v_add_co_ci_u32_e32 v18, vcc_lo, 0, v18, vcc_lo
	s_delay_alu instid0(VALU_DEP_2) | instskip(SKIP_1) | instid1(VALU_DEP_2)
	v_add_co_u32 v17, vcc_lo, 0, v16
	s_waitcnt lgkmcnt(0)
	v_add_co_ci_u32_e32 v18, vcc_lo, v20, v18, vcc_lo
.LBB880_58:
	s_or_b32 exec_lo, exec_lo, s11
	v_cmp_gt_u32_e32 vcc_lo, 28, v42
	v_add_nc_u32_e32 v50, 4, v42
	s_mov_b32 s11, exec_lo
	s_waitcnt lgkmcnt(0)
	v_cndmask_b32_e64 v20, 0, 1, vcc_lo
	s_delay_alu instid0(VALU_DEP_1) | instskip(NEXT) | instid1(VALU_DEP_1)
	v_lshlrev_b32_e32 v20, 2, v20
	v_add_lshl_u32 v49, v20, v42, 2
	ds_bpermute_b32 v26, v49, v16
	ds_bpermute_b32 v20, v49, v18
	v_cmpx_le_u32_e64 v50, v15
	;; [unrolled: 22-line block ×4, first 2 shown]
	s_cbranch_execz .LBB880_64
; %bb.63:
	s_waitcnt lgkmcnt(1)
	v_add_co_u32 v15, vcc_lo, v17, v20
	v_add_co_ci_u32_e32 v18, vcc_lo, 0, v18, vcc_lo
	s_delay_alu instid0(VALU_DEP_2) | instskip(SKIP_1) | instid1(VALU_DEP_2)
	v_add_co_u32 v17, vcc_lo, v15, 0
	s_waitcnt lgkmcnt(0)
	v_add_co_ci_u32_e32 v18, vcc_lo, v18, v16, vcc_lo
.LBB880_64:
	s_or_b32 exec_lo, exec_lo, s11
	v_mov_b32_e32 v26, 0
	s_branch .LBB880_66
.LBB880_65:                             ;   in Loop: Header=BB880_66 Depth=1
	s_or_b32 exec_lo, exec_lo, s11
	v_add_co_u32 v17, vcc_lo, v17, v15
	v_subrev_nc_u32_e32 v25, 32, v25
	v_add_co_ci_u32_e32 v18, vcc_lo, v18, v16, vcc_lo
.LBB880_66:                             ; =>This Loop Header: Depth=1
                                        ;     Child Loop BB880_69 Depth 2
                                        ;       Child Loop BB880_70 Depth 3
	v_and_b32_e32 v15, 0xff, v19
	s_delay_alu instid0(VALU_DEP_1) | instskip(SKIP_2) | instid1(VALU_DEP_1)
	v_cmp_ne_u16_e32 vcc_lo, 2, v15
	v_cndmask_b32_e64 v15, 0, 1, vcc_lo
	;;#ASMSTART
	;;#ASMEND
	v_cmp_ne_u32_e32 vcc_lo, 0, v15
	s_waitcnt lgkmcnt(0)
	v_dual_mov_b32 v15, v17 :: v_dual_mov_b32 v16, v18
	s_cmp_lg_u32 vcc_lo, exec_lo
	s_cbranch_scc1 .LBB880_83
; %bb.67:                               ;   in Loop: Header=BB880_66 Depth=1
	v_lshlrev_b64 v[17:18], 4, v[25:26]
	s_mov_b32 s11, exec_lo
	s_delay_alu instid0(VALU_DEP_1) | instskip(NEXT) | instid1(VALU_DEP_2)
	v_add_co_u32 v27, vcc_lo, s14, v17
	v_add_co_ci_u32_e32 v28, vcc_lo, s15, v18, vcc_lo
	;;#ASMSTART
	global_load_dwordx4 v[17:20], v[27:28] off glc	
s_waitcnt vmcnt(0)
	;;#ASMEND
	v_and_b32_e32 v20, 0xff, v18
	v_and_b32_e32 v55, 0xff00, v18
	v_or3_b32 v17, v17, 0, 0
	v_and_b32_e32 v56, 0xff000000, v18
	v_and_b32_e32 v18, 0xff0000, v18
	s_delay_alu instid0(VALU_DEP_4) | instskip(SKIP_2) | instid1(VALU_DEP_3)
	v_or3_b32 v20, 0, v20, v55
	v_and_b32_e32 v55, 0xff, v19
	v_or3_b32 v17, v17, 0, 0
	v_or3_b32 v18, v20, v18, v56
	s_delay_alu instid0(VALU_DEP_3)
	v_cmpx_eq_u16_e32 0, v55
	s_cbranch_execz .LBB880_73
; %bb.68:                               ;   in Loop: Header=BB880_66 Depth=1
	s_mov_b32 s17, 1
	s_mov_b32 s16, 0
	.p2align	6
.LBB880_69:                             ;   Parent Loop BB880_66 Depth=1
                                        ; =>  This Loop Header: Depth=2
                                        ;       Child Loop BB880_70 Depth 3
	s_max_u32 s18, s17, 1
.LBB880_70:                             ;   Parent Loop BB880_66 Depth=1
                                        ;     Parent Loop BB880_69 Depth=2
                                        ; =>    This Inner Loop Header: Depth=3
	s_delay_alu instid0(SALU_CYCLE_1)
	s_add_i32 s18, s18, -1
	s_sleep 1
	s_cmp_eq_u32 s18, 0
	s_cbranch_scc0 .LBB880_70
; %bb.71:                               ;   in Loop: Header=BB880_69 Depth=2
	;;#ASMSTART
	global_load_dwordx4 v[17:20], v[27:28] off glc	
s_waitcnt vmcnt(0)
	;;#ASMEND
	v_and_b32_e32 v20, 0xff, v19
	s_cmp_lt_u32 s17, 32
	s_cselect_b32 s18, -1, 0
	s_delay_alu instid0(SALU_CYCLE_1) | instskip(NEXT) | instid1(VALU_DEP_1)
	s_cmp_lg_u32 s18, 0
	v_cmp_ne_u16_e32 vcc_lo, 0, v20
	s_addc_u32 s17, s17, 0
	s_or_b32 s16, vcc_lo, s16
	s_delay_alu instid0(SALU_CYCLE_1)
	s_and_not1_b32 exec_lo, exec_lo, s16
	s_cbranch_execnz .LBB880_69
; %bb.72:                               ;   in Loop: Header=BB880_66 Depth=1
	s_or_b32 exec_lo, exec_lo, s16
.LBB880_73:                             ;   in Loop: Header=BB880_66 Depth=1
	s_delay_alu instid0(SALU_CYCLE_1)
	s_or_b32 exec_lo, exec_lo, s11
	v_dual_mov_b32 v27, v17 :: v_dual_and_b32 v20, 0xff, v19
	ds_bpermute_b32 v55, v45, v17
	ds_bpermute_b32 v28, v45, v18
	s_mov_b32 s11, exec_lo
	v_cmp_eq_u16_e32 vcc_lo, 2, v20
	v_and_or_b32 v20, vcc_lo, v46, 0x80000000
	s_delay_alu instid0(VALU_DEP_1) | instskip(NEXT) | instid1(VALU_DEP_1)
	v_ctz_i32_b32_e32 v20, v20
	v_cmpx_lt_u32_e64 v42, v20
	s_cbranch_execz .LBB880_75
; %bb.74:                               ;   in Loop: Header=BB880_66 Depth=1
	s_waitcnt lgkmcnt(1)
	v_add_co_u32 v27, vcc_lo, v17, v55
	v_add_co_ci_u32_e32 v18, vcc_lo, 0, v18, vcc_lo
	s_delay_alu instid0(VALU_DEP_2) | instskip(SKIP_1) | instid1(VALU_DEP_2)
	v_add_co_u32 v17, vcc_lo, 0, v27
	s_waitcnt lgkmcnt(0)
	v_add_co_ci_u32_e32 v18, vcc_lo, v28, v18, vcc_lo
.LBB880_75:                             ;   in Loop: Header=BB880_66 Depth=1
	s_or_b32 exec_lo, exec_lo, s11
	s_waitcnt lgkmcnt(1)
	ds_bpermute_b32 v55, v47, v27
	s_waitcnt lgkmcnt(1)
	ds_bpermute_b32 v28, v47, v18
	s_mov_b32 s11, exec_lo
	v_cmpx_le_u32_e64 v48, v20
	s_cbranch_execz .LBB880_77
; %bb.76:                               ;   in Loop: Header=BB880_66 Depth=1
	s_waitcnt lgkmcnt(1)
	v_add_co_u32 v27, vcc_lo, v17, v55
	v_add_co_ci_u32_e32 v18, vcc_lo, 0, v18, vcc_lo
	s_delay_alu instid0(VALU_DEP_2) | instskip(SKIP_1) | instid1(VALU_DEP_2)
	v_add_co_u32 v17, vcc_lo, 0, v27
	s_waitcnt lgkmcnt(0)
	v_add_co_ci_u32_e32 v18, vcc_lo, v28, v18, vcc_lo
.LBB880_77:                             ;   in Loop: Header=BB880_66 Depth=1
	s_or_b32 exec_lo, exec_lo, s11
	s_waitcnt lgkmcnt(1)
	ds_bpermute_b32 v55, v49, v27
	s_waitcnt lgkmcnt(1)
	ds_bpermute_b32 v28, v49, v18
	s_mov_b32 s11, exec_lo
	v_cmpx_le_u32_e64 v50, v20
	;; [unrolled: 17-line block ×3, first 2 shown]
	s_cbranch_execz .LBB880_81
; %bb.80:                               ;   in Loop: Header=BB880_66 Depth=1
	s_waitcnt lgkmcnt(1)
	v_add_co_u32 v27, vcc_lo, v17, v55
	v_add_co_ci_u32_e32 v18, vcc_lo, 0, v18, vcc_lo
	s_delay_alu instid0(VALU_DEP_2) | instskip(SKIP_1) | instid1(VALU_DEP_2)
	v_add_co_u32 v17, vcc_lo, 0, v27
	s_waitcnt lgkmcnt(0)
	v_add_co_ci_u32_e32 v18, vcc_lo, v28, v18, vcc_lo
.LBB880_81:                             ;   in Loop: Header=BB880_66 Depth=1
	s_or_b32 exec_lo, exec_lo, s11
	s_waitcnt lgkmcnt(0)
	ds_bpermute_b32 v28, v53, v27
	ds_bpermute_b32 v27, v53, v18
	s_mov_b32 s11, exec_lo
	v_cmpx_le_u32_e64 v54, v20
	s_cbranch_execz .LBB880_65
; %bb.82:                               ;   in Loop: Header=BB880_66 Depth=1
	s_waitcnt lgkmcnt(1)
	v_add_co_u32 v17, vcc_lo, v17, v28
	v_add_co_ci_u32_e32 v18, vcc_lo, 0, v18, vcc_lo
	s_delay_alu instid0(VALU_DEP_2) | instskip(SKIP_1) | instid1(VALU_DEP_2)
	v_add_co_u32 v17, vcc_lo, v17, 0
	s_waitcnt lgkmcnt(0)
	v_add_co_ci_u32_e32 v18, vcc_lo, v18, v27, vcc_lo
	s_branch .LBB880_65
.LBB880_83:                             ;   in Loop: Header=BB880_66 Depth=1
                                        ; implicit-def: $vgpr17_vgpr18
	s_cbranch_execz .LBB880_66
; %bb.84:
	s_and_saveexec_b32 s11, s1
	s_cbranch_execz .LBB880_86
; %bb.85:
	s_add_i32 s16, s9, 32
	s_mov_b32 s17, 0
	v_add_co_u32 v17, vcc_lo, v15, v13
	s_lshl_b64 s[16:17], s[16:17], 4
	v_dual_mov_b32 v19, 2 :: v_dual_mov_b32 v20, 0
	s_add_u32 s16, s14, s16
	s_addc_u32 s17, s15, s17
	v_add_co_ci_u32_e32 v18, vcc_lo, v16, v14, vcc_lo
	v_dual_mov_b32 v26, s17 :: v_dual_mov_b32 v25, s16
	;;#ASMSTART
	global_store_dwordx4 v[25:26], v[17:20] off	
s_waitcnt vmcnt(0)
	;;#ASMEND
	ds_store_b128 v20, v[13:16] offset:6144
.LBB880_86:
	s_or_b32 exec_lo, exec_lo, s11
	s_delay_alu instid0(SALU_CYCLE_1)
	s_and_b32 exec_lo, exec_lo, s2
	s_cbranch_execz .LBB880_88
; %bb.87:
	v_mov_b32_e32 v13, 0
	ds_store_b64 v13, v[15:16] offset:24
.LBB880_88:
	s_or_b32 exec_lo, exec_lo, s10
	v_mov_b32_e32 v15, 0
	s_waitcnt lgkmcnt(0)
	s_barrier
	buffer_gl0_inv
	v_cndmask_b32_e64 v16, v29, v23, s1
	ds_load_b64 v[13:14], v15 offset:24
	v_cndmask_b32_e64 v17, v30, v24, s1
	s_waitcnt lgkmcnt(0)
	s_barrier
	v_cndmask_b32_e64 v16, v16, 0, s2
	buffer_gl0_inv
	v_cndmask_b32_e64 v17, v17, 0, s2
	v_add_co_u32 v29, vcc_lo, v13, v16
	s_delay_alu instid0(VALU_DEP_2) | instskip(SKIP_3) | instid1(VALU_DEP_2)
	v_add_co_ci_u32_e32 v30, vcc_lo, v14, v17, vcc_lo
	ds_load_b128 v[13:16], v15 offset:6144
	v_add_co_u32 v27, vcc_lo, v29, v41
	v_add_co_ci_u32_e32 v28, vcc_lo, 0, v30, vcc_lo
	v_add_co_u32 v25, vcc_lo, v27, v40
	s_delay_alu instid0(VALU_DEP_2) | instskip(NEXT) | instid1(VALU_DEP_2)
	v_add_co_ci_u32_e32 v26, vcc_lo, 0, v28, vcc_lo
	v_add_co_u32 v23, vcc_lo, v25, v39
	s_delay_alu instid0(VALU_DEP_2) | instskip(NEXT) | instid1(VALU_DEP_2)
	;; [unrolled: 3-line block ×3, first 2 shown]
	v_add_co_ci_u32_e32 v20, vcc_lo, 0, v24, vcc_lo
	v_add_co_u32 v17, vcc_lo, v19, v37
	s_delay_alu instid0(VALU_DEP_2)
	v_add_co_ci_u32_e32 v18, vcc_lo, 0, v20, vcc_lo
.LBB880_89:
	s_waitcnt lgkmcnt(0)
	v_cmp_gt_u64_e32 vcc_lo, 0x81, v[13:14]
	s_mov_b32 s0, -1
	s_cbranch_vccnz .LBB880_117
.LBB880_90:
	s_and_b32 vcc_lo, exec_lo, s0
	s_cbranch_vccnz .LBB880_136
.LBB880_91:
	s_and_b32 s0, s2, s3
	s_delay_alu instid0(SALU_CYCLE_1)
	s_and_saveexec_b32 s1, s0
	s_cbranch_execnz .LBB880_152
.LBB880_92:
	s_nop 0
	s_sendmsg sendmsg(MSG_DEALLOC_VGPRS)
	s_endpgm
.LBB880_93:
                                        ; kill: def $vgpr13_vgpr14 killed $sgpr0_sgpr1 killed $exec
                                        ; implicit-def: $vgpr17_vgpr18
                                        ; implicit-def: $vgpr19_vgpr20
                                        ; implicit-def: $vgpr23_vgpr24
                                        ; implicit-def: $vgpr25_vgpr26
                                        ; implicit-def: $vgpr27_vgpr28
                                        ; implicit-def: $vgpr29_vgpr30
                                        ; implicit-def: $vgpr15_vgpr16
	s_and_b32 vcc_lo, exec_lo, s1
	s_cbranch_vccz .LBB880_89
; %bb.94:
	s_waitcnt lgkmcnt(0)
	v_dual_mov_b32 v14, 0 :: v_dual_mov_b32 v15, v21
	v_mov_b32_dpp v16, v21 row_shr:1 row_mask:0xf bank_mask:0xf
	s_delay_alu instid0(VALU_DEP_2)
	v_mov_b32_dpp v13, v14 row_shr:1 row_mask:0xf bank_mask:0xf
	s_and_saveexec_b32 s1, s0
; %bb.95:
	s_delay_alu instid0(VALU_DEP_2) | instskip(SKIP_1) | instid1(VALU_DEP_2)
	v_add_co_u32 v15, vcc_lo, v21, v16
	v_add_co_ci_u32_e32 v14, vcc_lo, 0, v22, vcc_lo
	v_add_co_u32 v21, vcc_lo, 0, v15
	s_delay_alu instid0(VALU_DEP_2) | instskip(NEXT) | instid1(VALU_DEP_1)
	v_add_co_ci_u32_e32 v22, vcc_lo, v13, v14, vcc_lo
	v_mov_b32_e32 v14, v22
; %bb.96:
	s_or_b32 exec_lo, exec_lo, s1
	v_mov_b32_dpp v13, v15 row_shr:2 row_mask:0xf bank_mask:0xf
	s_delay_alu instid0(VALU_DEP_2)
	v_mov_b32_dpp v16, v14 row_shr:2 row_mask:0xf bank_mask:0xf
	s_mov_b32 s0, exec_lo
	v_cmpx_lt_u32_e32 1, v44
; %bb.97:
	s_delay_alu instid0(VALU_DEP_3) | instskip(SKIP_1) | instid1(VALU_DEP_2)
	v_add_co_u32 v15, vcc_lo, v21, v13
	v_add_co_ci_u32_e32 v14, vcc_lo, 0, v22, vcc_lo
	v_add_co_u32 v13, vcc_lo, 0, v15
	s_delay_alu instid0(VALU_DEP_2) | instskip(NEXT) | instid1(VALU_DEP_1)
	v_add_co_ci_u32_e32 v14, vcc_lo, v16, v14, vcc_lo
	v_dual_mov_b32 v22, v14 :: v_dual_mov_b32 v21, v13
; %bb.98:
	s_or_b32 exec_lo, exec_lo, s0
	v_mov_b32_dpp v13, v15 row_shr:4 row_mask:0xf bank_mask:0xf
	v_mov_b32_dpp v16, v14 row_shr:4 row_mask:0xf bank_mask:0xf
	s_mov_b32 s0, exec_lo
	v_cmpx_lt_u32_e32 3, v44
; %bb.99:
	s_delay_alu instid0(VALU_DEP_3) | instskip(SKIP_1) | instid1(VALU_DEP_2)
	v_add_co_u32 v15, vcc_lo, v21, v13
	v_add_co_ci_u32_e32 v14, vcc_lo, 0, v22, vcc_lo
	v_add_co_u32 v13, vcc_lo, 0, v15
	s_delay_alu instid0(VALU_DEP_2) | instskip(NEXT) | instid1(VALU_DEP_1)
	v_add_co_ci_u32_e32 v14, vcc_lo, v16, v14, vcc_lo
	v_dual_mov_b32 v22, v14 :: v_dual_mov_b32 v21, v13
; %bb.100:
	s_or_b32 exec_lo, exec_lo, s0
	v_mov_b32_dpp v16, v15 row_shr:8 row_mask:0xf bank_mask:0xf
	v_mov_b32_dpp v13, v14 row_shr:8 row_mask:0xf bank_mask:0xf
	s_mov_b32 s0, exec_lo
	v_cmpx_lt_u32_e32 7, v44
; %bb.101:
	s_delay_alu instid0(VALU_DEP_3) | instskip(SKIP_1) | instid1(VALU_DEP_2)
	v_add_co_u32 v15, vcc_lo, v21, v16
	v_add_co_ci_u32_e32 v14, vcc_lo, 0, v22, vcc_lo
	v_add_co_u32 v21, vcc_lo, 0, v15
	s_delay_alu instid0(VALU_DEP_2) | instskip(NEXT) | instid1(VALU_DEP_1)
	v_add_co_ci_u32_e32 v22, vcc_lo, v13, v14, vcc_lo
	v_mov_b32_e32 v14, v22
; %bb.102:
	s_or_b32 exec_lo, exec_lo, s0
	ds_swizzle_b32 v15, v15 offset:swizzle(BROADCAST,32,15)
	ds_swizzle_b32 v13, v14 offset:swizzle(BROADCAST,32,15)
	v_and_b32_e32 v14, 16, v42
	s_mov_b32 s0, exec_lo
	s_delay_alu instid0(VALU_DEP_1)
	v_cmpx_ne_u32_e32 0, v14
	s_cbranch_execz .LBB880_104
; %bb.103:
	s_waitcnt lgkmcnt(1)
	v_add_co_u32 v14, vcc_lo, v21, v15
	v_add_co_ci_u32_e32 v15, vcc_lo, 0, v22, vcc_lo
	s_delay_alu instid0(VALU_DEP_2) | instskip(SKIP_1) | instid1(VALU_DEP_2)
	v_add_co_u32 v21, vcc_lo, v14, 0
	s_waitcnt lgkmcnt(0)
	v_add_co_ci_u32_e32 v22, vcc_lo, v15, v13, vcc_lo
.LBB880_104:
	s_or_b32 exec_lo, exec_lo, s0
	s_waitcnt lgkmcnt(0)
	v_or_b32_e32 v13, 31, v0
	v_lshrrev_b32_e32 v15, 5, v0
	s_mov_b32 s0, exec_lo
	s_delay_alu instid0(VALU_DEP_2)
	v_cmpx_eq_u32_e64 v13, v0
	s_cbranch_execz .LBB880_106
; %bb.105:
	s_delay_alu instid0(VALU_DEP_2)
	v_lshlrev_b32_e32 v13, 3, v15
	ds_store_b64 v13, v[21:22]
.LBB880_106:
	s_or_b32 exec_lo, exec_lo, s0
	s_delay_alu instid0(SALU_CYCLE_1)
	s_mov_b32 s0, exec_lo
	s_waitcnt lgkmcnt(0)
	s_barrier
	buffer_gl0_inv
	v_cmpx_gt_u32_e32 4, v0
	s_cbranch_execz .LBB880_112
; %bb.107:
	v_lshlrev_b32_e32 v13, 1, v0
	s_mov_b32 s1, exec_lo
	s_delay_alu instid0(VALU_DEP_1)
	v_add_nc_u32_e32 v16, v43, v13
	ds_load_b64 v[13:14], v16
	s_waitcnt lgkmcnt(0)
	v_dual_mov_b32 v18, v13 :: v_dual_and_b32 v17, 3, v42
	v_mov_b32_dpp v20, v13 row_shr:1 row_mask:0xf bank_mask:0xf
	v_mov_b32_dpp v19, v14 row_shr:1 row_mask:0xf bank_mask:0xf
	s_delay_alu instid0(VALU_DEP_3)
	v_cmpx_ne_u32_e32 0, v17
; %bb.108:
	s_delay_alu instid0(VALU_DEP_3) | instskip(SKIP_1) | instid1(VALU_DEP_2)
	v_add_co_u32 v18, vcc_lo, v13, v20
	v_add_co_ci_u32_e32 v14, vcc_lo, 0, v14, vcc_lo
	v_add_co_u32 v13, vcc_lo, 0, v18
	s_delay_alu instid0(VALU_DEP_2)
	v_add_co_ci_u32_e32 v14, vcc_lo, v19, v14, vcc_lo
; %bb.109:
	s_or_b32 exec_lo, exec_lo, s1
	v_mov_b32_dpp v19, v18 row_shr:2 row_mask:0xf bank_mask:0xf
	s_delay_alu instid0(VALU_DEP_2)
	v_mov_b32_dpp v18, v14 row_shr:2 row_mask:0xf bank_mask:0xf
	s_mov_b32 s1, exec_lo
	v_cmpx_lt_u32_e32 1, v17
; %bb.110:
	s_delay_alu instid0(VALU_DEP_3) | instskip(SKIP_1) | instid1(VALU_DEP_2)
	v_add_co_u32 v13, vcc_lo, v13, v19
	v_add_co_ci_u32_e32 v14, vcc_lo, 0, v14, vcc_lo
	v_add_co_u32 v13, vcc_lo, v13, 0
	s_delay_alu instid0(VALU_DEP_2)
	v_add_co_ci_u32_e32 v14, vcc_lo, v14, v18, vcc_lo
; %bb.111:
	s_or_b32 exec_lo, exec_lo, s1
	ds_store_b64 v16, v[13:14]
.LBB880_112:
	s_or_b32 exec_lo, exec_lo, s0
	v_mov_b32_e32 v17, 0
	v_mov_b32_e32 v18, 0
	s_mov_b32 s0, exec_lo
	s_waitcnt lgkmcnt(0)
	s_barrier
	buffer_gl0_inv
	v_cmpx_lt_u32_e32 31, v0
	s_cbranch_execz .LBB880_114
; %bb.113:
	v_lshl_add_u32 v13, v15, 3, -8
	ds_load_b64 v[17:18], v13
.LBB880_114:
	s_or_b32 exec_lo, exec_lo, s0
	v_dual_mov_b32 v16, 0 :: v_dual_add_nc_u32 v13, -1, v42
	s_delay_alu instid0(VALU_DEP_1) | instskip(SKIP_4) | instid1(VALU_DEP_3)
	v_cmp_gt_i32_e32 vcc_lo, 0, v13
	v_cndmask_b32_e32 v13, v13, v42, vcc_lo
	s_waitcnt lgkmcnt(0)
	v_add_co_u32 v14, vcc_lo, v17, v21
	v_add_co_ci_u32_e32 v15, vcc_lo, v18, v22, vcc_lo
	v_lshlrev_b32_e32 v13, 2, v13
	ds_bpermute_b32 v19, v13, v14
	ds_bpermute_b32 v20, v13, v15
	ds_load_b64 v[13:14], v16 offset:24
	s_and_saveexec_b32 s0, s2
	s_cbranch_execz .LBB880_116
; %bb.115:
	s_add_u32 s10, s14, 0x200
	s_addc_u32 s11, s15, 0
	s_delay_alu instid0(SALU_CYCLE_1)
	v_dual_mov_b32 v15, 2 :: v_dual_mov_b32 v22, s11
	v_mov_b32_e32 v21, s10
	s_waitcnt lgkmcnt(0)
	;;#ASMSTART
	global_store_dwordx4 v[21:22], v[13:16] off	
s_waitcnt vmcnt(0)
	;;#ASMEND
.LBB880_116:
	s_or_b32 exec_lo, exec_lo, s0
	v_cmp_eq_u32_e32 vcc_lo, 0, v42
	s_waitcnt lgkmcnt(0)
	s_barrier
	buffer_gl0_inv
	v_dual_cndmask_b32 v15, v19, v17 :: v_dual_cndmask_b32 v16, v20, v18
	s_delay_alu instid0(VALU_DEP_1) | instskip(NEXT) | instid1(VALU_DEP_2)
	v_cndmask_b32_e64 v29, v15, 0, s2
	v_cndmask_b32_e64 v30, v16, 0, s2
	v_mov_b32_e32 v15, 0
	v_mov_b32_e32 v16, 0
	s_delay_alu instid0(VALU_DEP_4) | instskip(NEXT) | instid1(VALU_DEP_4)
	v_add_co_u32 v27, vcc_lo, v29, v41
	v_add_co_ci_u32_e32 v28, vcc_lo, 0, v30, vcc_lo
	s_delay_alu instid0(VALU_DEP_2) | instskip(NEXT) | instid1(VALU_DEP_2)
	v_add_co_u32 v25, vcc_lo, v27, v40
	v_add_co_ci_u32_e32 v26, vcc_lo, 0, v28, vcc_lo
	s_delay_alu instid0(VALU_DEP_2) | instskip(NEXT) | instid1(VALU_DEP_2)
	;; [unrolled: 3-line block ×4, first 2 shown]
	v_add_co_u32 v17, vcc_lo, v19, v37
	v_add_co_ci_u32_e32 v18, vcc_lo, 0, v20, vcc_lo
	v_cmp_gt_u64_e32 vcc_lo, 0x81, v[13:14]
	s_mov_b32 s0, -1
	s_cbranch_vccz .LBB880_90
.LBB880_117:
	v_add_co_u32 v21, vcc_lo, v15, v13
	v_add_co_ci_u32_e32 v22, vcc_lo, v16, v14, vcc_lo
	s_delay_alu instid0(VALU_DEP_1) | instskip(SKIP_1) | instid1(SALU_CYCLE_1)
	v_cmp_lt_u64_e32 vcc_lo, v[29:30], v[21:22]
	s_or_b32 s1, s8, vcc_lo
	s_and_saveexec_b32 s0, s1
	s_cbranch_execz .LBB880_120
; %bb.118:
	v_and_b32_e32 v37, 1, v36
	s_delay_alu instid0(VALU_DEP_1)
	v_cmp_eq_u32_e32 vcc_lo, 1, v37
	s_and_b32 exec_lo, exec_lo, vcc_lo
	s_cbranch_execz .LBB880_120
; %bb.119:
	v_lshlrev_b64 v[37:38], 3, v[29:30]
	s_lshl_b64 s[10:11], s[6:7], 3
	s_delay_alu instid0(SALU_CYCLE_1) | instskip(SKIP_1) | instid1(VALU_DEP_1)
	s_add_u32 s1, s12, s10
	s_addc_u32 s9, s13, s11
	v_add_co_u32 v37, vcc_lo, s1, v37
	s_delay_alu instid0(VALU_DEP_2)
	v_add_co_ci_u32_e32 v38, vcc_lo, s9, v38, vcc_lo
	global_store_b64 v[37:38], v[9:10], off
.LBB880_120:
	s_or_b32 exec_lo, exec_lo, s0
	v_cmp_lt_u64_e32 vcc_lo, v[27:28], v[21:22]
	s_or_b32 s1, s8, vcc_lo
	s_delay_alu instid0(SALU_CYCLE_1)
	s_and_saveexec_b32 s0, s1
	s_cbranch_execz .LBB880_123
; %bb.121:
	v_and_b32_e32 v30, 1, v34
	s_delay_alu instid0(VALU_DEP_1)
	v_cmp_eq_u32_e32 vcc_lo, 1, v30
	s_and_b32 exec_lo, exec_lo, vcc_lo
	s_cbranch_execz .LBB880_123
; %bb.122:
	v_lshlrev_b64 v[37:38], 3, v[27:28]
	s_lshl_b64 s[10:11], s[6:7], 3
	s_delay_alu instid0(SALU_CYCLE_1) | instskip(SKIP_1) | instid1(VALU_DEP_1)
	s_add_u32 s1, s12, s10
	s_addc_u32 s9, s13, s11
	v_add_co_u32 v37, vcc_lo, s1, v37
	s_delay_alu instid0(VALU_DEP_2)
	v_add_co_ci_u32_e32 v38, vcc_lo, s9, v38, vcc_lo
	global_store_b64 v[37:38], v[11:12], off
.LBB880_123:
	s_or_b32 exec_lo, exec_lo, s0
	v_cmp_lt_u64_e32 vcc_lo, v[25:26], v[21:22]
	s_or_b32 s1, s8, vcc_lo
	s_delay_alu instid0(SALU_CYCLE_1)
	;; [unrolled: 23-line block ×5, first 2 shown]
	s_and_saveexec_b32 s0, s1
	s_cbranch_execz .LBB880_135
; %bb.133:
	v_and_b32_e32 v20, 1, v32
	s_delay_alu instid0(VALU_DEP_1)
	v_cmp_eq_u32_e32 vcc_lo, 1, v20
	s_and_b32 exec_lo, exec_lo, vcc_lo
	s_cbranch_execz .LBB880_135
; %bb.134:
	v_lshlrev_b64 v[20:21], 3, v[17:18]
	s_lshl_b64 s[8:9], s[6:7], 3
	s_delay_alu instid0(SALU_CYCLE_1) | instskip(SKIP_1) | instid1(VALU_DEP_1)
	s_add_u32 s1, s12, s8
	s_addc_u32 s8, s13, s9
	v_add_co_u32 v20, vcc_lo, s1, v20
	s_delay_alu instid0(VALU_DEP_2)
	v_add_co_ci_u32_e32 v21, vcc_lo, s8, v21, vcc_lo
	global_store_b64 v[20:21], v[3:4], off
.LBB880_135:
	s_or_b32 exec_lo, exec_lo, s0
	s_branch .LBB880_91
.LBB880_136:
	v_and_b32_e32 v18, 1, v36
	s_mov_b32 s0, exec_lo
	s_delay_alu instid0(VALU_DEP_1)
	v_cmpx_eq_u32_e32 1, v18
	s_cbranch_execz .LBB880_138
; %bb.137:
	v_sub_nc_u32_e32 v18, v29, v15
	s_delay_alu instid0(VALU_DEP_1)
	v_lshlrev_b32_e32 v18, 3, v18
	ds_store_b64 v18, v[9:10]
.LBB880_138:
	s_or_b32 exec_lo, exec_lo, s0
	v_and_b32_e32 v9, 1, v34
	s_mov_b32 s0, exec_lo
	s_delay_alu instid0(VALU_DEP_1)
	v_cmpx_eq_u32_e32 1, v9
	s_cbranch_execz .LBB880_140
; %bb.139:
	v_sub_nc_u32_e32 v9, v27, v15
	s_delay_alu instid0(VALU_DEP_1)
	v_lshlrev_b32_e32 v9, 3, v9
	ds_store_b64 v9, v[11:12]
.LBB880_140:
	s_or_b32 exec_lo, exec_lo, s0
	;; [unrolled: 12-line block ×6, first 2 shown]
	v_mov_b32_e32 v1, 0
	s_mov_b32 s1, exec_lo
	s_waitcnt lgkmcnt(0)
	s_waitcnt_vscnt null, 0x0
	s_barrier
	buffer_gl0_inv
	v_cmpx_gt_u64_e64 v[13:14], v[0:1]
	s_cbranch_execz .LBB880_151
; %bb.149:
	v_lshlrev_b64 v[4:5], 3, v[15:16]
	s_lshl_b64 s[8:9], s[6:7], 3
	v_dual_mov_b32 v3, v1 :: v_dual_mov_b32 v2, v0
	v_or_b32_e32 v0, 0x80, v0
	s_delay_alu instid0(VALU_DEP_3) | instskip(NEXT) | instid1(VALU_DEP_4)
	v_add_co_u32 v4, vcc_lo, s12, v4
	v_add_co_ci_u32_e32 v5, vcc_lo, s13, v5, vcc_lo
	s_delay_alu instid0(VALU_DEP_2) | instskip(NEXT) | instid1(VALU_DEP_2)
	v_add_co_u32 v4, vcc_lo, v4, s8
	v_add_co_ci_u32_e32 v5, vcc_lo, s9, v5, vcc_lo
	s_mov_b32 s8, 0
	.p2align	6
.LBB880_150:                            ; =>This Inner Loop Header: Depth=1
	v_lshlrev_b32_e32 v6, 3, v2
	v_lshlrev_b64 v[8:9], 3, v[2:3]
	v_mov_b32_e32 v3, v1
	v_cmp_le_u64_e32 vcc_lo, v[13:14], v[0:1]
	v_mov_b32_e32 v2, v0
	ds_load_b64 v[6:7], v6
	v_add_nc_u32_e32 v0, 0x80, v0
	v_add_co_u32 v8, s0, v4, v8
	s_delay_alu instid0(VALU_DEP_1)
	v_add_co_ci_u32_e64 v9, s0, v5, v9, s0
	s_or_b32 s8, vcc_lo, s8
	s_waitcnt lgkmcnt(0)
	global_store_b64 v[8:9], v[6:7], off
	s_and_not1_b32 exec_lo, exec_lo, s8
	s_cbranch_execnz .LBB880_150
.LBB880_151:
	s_or_b32 exec_lo, exec_lo, s1
	s_and_b32 s0, s2, s3
	s_delay_alu instid0(SALU_CYCLE_1)
	s_and_saveexec_b32 s1, s0
	s_cbranch_execz .LBB880_92
.LBB880_152:
	v_add_co_u32 v0, vcc_lo, v15, v13
	v_add_co_ci_u32_e32 v1, vcc_lo, v16, v14, vcc_lo
	v_mov_b32_e32 v2, 0
	s_delay_alu instid0(VALU_DEP_3) | instskip(NEXT) | instid1(VALU_DEP_3)
	v_add_co_u32 v0, vcc_lo, v0, s6
	v_add_co_ci_u32_e32 v1, vcc_lo, s7, v1, vcc_lo
	global_store_b64 v2, v[0:1], s[4:5]
	s_nop 0
	s_sendmsg sendmsg(MSG_DEALLOC_VGPRS)
	s_endpgm
	.section	.rodata,"a",@progbits
	.p2align	6, 0x0
	.amdhsa_kernel _ZN7rocprim17ROCPRIM_400000_NS6detail17trampoline_kernelINS0_14default_configENS1_25partition_config_selectorILNS1_17partition_subalgoE5ElNS0_10empty_typeEbEEZZNS1_14partition_implILS5_5ELb0ES3_mN6hipcub16HIPCUB_304000_NS21CountingInputIteratorIllEEPS6_NSA_22TransformInputIteratorIbN2at6native12_GLOBAL__N_19NonZeroOpIN3c104HalfEEEPKSK_lEENS0_5tupleIJPlS6_EEENSP_IJSD_SD_EEES6_PiJS6_EEE10hipError_tPvRmT3_T4_T5_T6_T7_T9_mT8_P12ihipStream_tbDpT10_ENKUlT_T0_E_clISt17integral_constantIbLb1EES1D_EEDaS18_S19_EUlS18_E_NS1_11comp_targetILNS1_3genE9ELNS1_11target_archE1100ELNS1_3gpuE3ELNS1_3repE0EEENS1_30default_config_static_selectorELNS0_4arch9wavefront6targetE0EEEvT1_
		.amdhsa_group_segment_fixed_size 6160
		.amdhsa_private_segment_fixed_size 0
		.amdhsa_kernarg_size 136
		.amdhsa_user_sgpr_count 15
		.amdhsa_user_sgpr_dispatch_ptr 0
		.amdhsa_user_sgpr_queue_ptr 0
		.amdhsa_user_sgpr_kernarg_segment_ptr 1
		.amdhsa_user_sgpr_dispatch_id 0
		.amdhsa_user_sgpr_private_segment_size 0
		.amdhsa_wavefront_size32 1
		.amdhsa_uses_dynamic_stack 0
		.amdhsa_enable_private_segment 0
		.amdhsa_system_sgpr_workgroup_id_x 1
		.amdhsa_system_sgpr_workgroup_id_y 0
		.amdhsa_system_sgpr_workgroup_id_z 0
		.amdhsa_system_sgpr_workgroup_info 0
		.amdhsa_system_vgpr_workitem_id 0
		.amdhsa_next_free_vgpr 57
		.amdhsa_next_free_sgpr 24
		.amdhsa_reserve_vcc 1
		.amdhsa_float_round_mode_32 0
		.amdhsa_float_round_mode_16_64 0
		.amdhsa_float_denorm_mode_32 3
		.amdhsa_float_denorm_mode_16_64 3
		.amdhsa_dx10_clamp 1
		.amdhsa_ieee_mode 1
		.amdhsa_fp16_overflow 0
		.amdhsa_workgroup_processor_mode 1
		.amdhsa_memory_ordered 1
		.amdhsa_forward_progress 0
		.amdhsa_shared_vgpr_count 0
		.amdhsa_exception_fp_ieee_invalid_op 0
		.amdhsa_exception_fp_denorm_src 0
		.amdhsa_exception_fp_ieee_div_zero 0
		.amdhsa_exception_fp_ieee_overflow 0
		.amdhsa_exception_fp_ieee_underflow 0
		.amdhsa_exception_fp_ieee_inexact 0
		.amdhsa_exception_int_div_zero 0
	.end_amdhsa_kernel
	.section	.text._ZN7rocprim17ROCPRIM_400000_NS6detail17trampoline_kernelINS0_14default_configENS1_25partition_config_selectorILNS1_17partition_subalgoE5ElNS0_10empty_typeEbEEZZNS1_14partition_implILS5_5ELb0ES3_mN6hipcub16HIPCUB_304000_NS21CountingInputIteratorIllEEPS6_NSA_22TransformInputIteratorIbN2at6native12_GLOBAL__N_19NonZeroOpIN3c104HalfEEEPKSK_lEENS0_5tupleIJPlS6_EEENSP_IJSD_SD_EEES6_PiJS6_EEE10hipError_tPvRmT3_T4_T5_T6_T7_T9_mT8_P12ihipStream_tbDpT10_ENKUlT_T0_E_clISt17integral_constantIbLb1EES1D_EEDaS18_S19_EUlS18_E_NS1_11comp_targetILNS1_3genE9ELNS1_11target_archE1100ELNS1_3gpuE3ELNS1_3repE0EEENS1_30default_config_static_selectorELNS0_4arch9wavefront6targetE0EEEvT1_,"axG",@progbits,_ZN7rocprim17ROCPRIM_400000_NS6detail17trampoline_kernelINS0_14default_configENS1_25partition_config_selectorILNS1_17partition_subalgoE5ElNS0_10empty_typeEbEEZZNS1_14partition_implILS5_5ELb0ES3_mN6hipcub16HIPCUB_304000_NS21CountingInputIteratorIllEEPS6_NSA_22TransformInputIteratorIbN2at6native12_GLOBAL__N_19NonZeroOpIN3c104HalfEEEPKSK_lEENS0_5tupleIJPlS6_EEENSP_IJSD_SD_EEES6_PiJS6_EEE10hipError_tPvRmT3_T4_T5_T6_T7_T9_mT8_P12ihipStream_tbDpT10_ENKUlT_T0_E_clISt17integral_constantIbLb1EES1D_EEDaS18_S19_EUlS18_E_NS1_11comp_targetILNS1_3genE9ELNS1_11target_archE1100ELNS1_3gpuE3ELNS1_3repE0EEENS1_30default_config_static_selectorELNS0_4arch9wavefront6targetE0EEEvT1_,comdat
.Lfunc_end880:
	.size	_ZN7rocprim17ROCPRIM_400000_NS6detail17trampoline_kernelINS0_14default_configENS1_25partition_config_selectorILNS1_17partition_subalgoE5ElNS0_10empty_typeEbEEZZNS1_14partition_implILS5_5ELb0ES3_mN6hipcub16HIPCUB_304000_NS21CountingInputIteratorIllEEPS6_NSA_22TransformInputIteratorIbN2at6native12_GLOBAL__N_19NonZeroOpIN3c104HalfEEEPKSK_lEENS0_5tupleIJPlS6_EEENSP_IJSD_SD_EEES6_PiJS6_EEE10hipError_tPvRmT3_T4_T5_T6_T7_T9_mT8_P12ihipStream_tbDpT10_ENKUlT_T0_E_clISt17integral_constantIbLb1EES1D_EEDaS18_S19_EUlS18_E_NS1_11comp_targetILNS1_3genE9ELNS1_11target_archE1100ELNS1_3gpuE3ELNS1_3repE0EEENS1_30default_config_static_selectorELNS0_4arch9wavefront6targetE0EEEvT1_, .Lfunc_end880-_ZN7rocprim17ROCPRIM_400000_NS6detail17trampoline_kernelINS0_14default_configENS1_25partition_config_selectorILNS1_17partition_subalgoE5ElNS0_10empty_typeEbEEZZNS1_14partition_implILS5_5ELb0ES3_mN6hipcub16HIPCUB_304000_NS21CountingInputIteratorIllEEPS6_NSA_22TransformInputIteratorIbN2at6native12_GLOBAL__N_19NonZeroOpIN3c104HalfEEEPKSK_lEENS0_5tupleIJPlS6_EEENSP_IJSD_SD_EEES6_PiJS6_EEE10hipError_tPvRmT3_T4_T5_T6_T7_T9_mT8_P12ihipStream_tbDpT10_ENKUlT_T0_E_clISt17integral_constantIbLb1EES1D_EEDaS18_S19_EUlS18_E_NS1_11comp_targetILNS1_3genE9ELNS1_11target_archE1100ELNS1_3gpuE3ELNS1_3repE0EEENS1_30default_config_static_selectorELNS0_4arch9wavefront6targetE0EEEvT1_
                                        ; -- End function
	.section	.AMDGPU.csdata,"",@progbits
; Kernel info:
; codeLenInByte = 6728
; NumSgprs: 26
; NumVgprs: 57
; ScratchSize: 0
; MemoryBound: 0
; FloatMode: 240
; IeeeMode: 1
; LDSByteSize: 6160 bytes/workgroup (compile time only)
; SGPRBlocks: 3
; VGPRBlocks: 7
; NumSGPRsForWavesPerEU: 26
; NumVGPRsForWavesPerEU: 57
; Occupancy: 16
; WaveLimiterHint : 1
; COMPUTE_PGM_RSRC2:SCRATCH_EN: 0
; COMPUTE_PGM_RSRC2:USER_SGPR: 15
; COMPUTE_PGM_RSRC2:TRAP_HANDLER: 0
; COMPUTE_PGM_RSRC2:TGID_X_EN: 1
; COMPUTE_PGM_RSRC2:TGID_Y_EN: 0
; COMPUTE_PGM_RSRC2:TGID_Z_EN: 0
; COMPUTE_PGM_RSRC2:TIDIG_COMP_CNT: 0
	.section	.text._ZN7rocprim17ROCPRIM_400000_NS6detail17trampoline_kernelINS0_14default_configENS1_25partition_config_selectorILNS1_17partition_subalgoE5ElNS0_10empty_typeEbEEZZNS1_14partition_implILS5_5ELb0ES3_mN6hipcub16HIPCUB_304000_NS21CountingInputIteratorIllEEPS6_NSA_22TransformInputIteratorIbN2at6native12_GLOBAL__N_19NonZeroOpIN3c104HalfEEEPKSK_lEENS0_5tupleIJPlS6_EEENSP_IJSD_SD_EEES6_PiJS6_EEE10hipError_tPvRmT3_T4_T5_T6_T7_T9_mT8_P12ihipStream_tbDpT10_ENKUlT_T0_E_clISt17integral_constantIbLb1EES1D_EEDaS18_S19_EUlS18_E_NS1_11comp_targetILNS1_3genE8ELNS1_11target_archE1030ELNS1_3gpuE2ELNS1_3repE0EEENS1_30default_config_static_selectorELNS0_4arch9wavefront6targetE0EEEvT1_,"axG",@progbits,_ZN7rocprim17ROCPRIM_400000_NS6detail17trampoline_kernelINS0_14default_configENS1_25partition_config_selectorILNS1_17partition_subalgoE5ElNS0_10empty_typeEbEEZZNS1_14partition_implILS5_5ELb0ES3_mN6hipcub16HIPCUB_304000_NS21CountingInputIteratorIllEEPS6_NSA_22TransformInputIteratorIbN2at6native12_GLOBAL__N_19NonZeroOpIN3c104HalfEEEPKSK_lEENS0_5tupleIJPlS6_EEENSP_IJSD_SD_EEES6_PiJS6_EEE10hipError_tPvRmT3_T4_T5_T6_T7_T9_mT8_P12ihipStream_tbDpT10_ENKUlT_T0_E_clISt17integral_constantIbLb1EES1D_EEDaS18_S19_EUlS18_E_NS1_11comp_targetILNS1_3genE8ELNS1_11target_archE1030ELNS1_3gpuE2ELNS1_3repE0EEENS1_30default_config_static_selectorELNS0_4arch9wavefront6targetE0EEEvT1_,comdat
	.globl	_ZN7rocprim17ROCPRIM_400000_NS6detail17trampoline_kernelINS0_14default_configENS1_25partition_config_selectorILNS1_17partition_subalgoE5ElNS0_10empty_typeEbEEZZNS1_14partition_implILS5_5ELb0ES3_mN6hipcub16HIPCUB_304000_NS21CountingInputIteratorIllEEPS6_NSA_22TransformInputIteratorIbN2at6native12_GLOBAL__N_19NonZeroOpIN3c104HalfEEEPKSK_lEENS0_5tupleIJPlS6_EEENSP_IJSD_SD_EEES6_PiJS6_EEE10hipError_tPvRmT3_T4_T5_T6_T7_T9_mT8_P12ihipStream_tbDpT10_ENKUlT_T0_E_clISt17integral_constantIbLb1EES1D_EEDaS18_S19_EUlS18_E_NS1_11comp_targetILNS1_3genE8ELNS1_11target_archE1030ELNS1_3gpuE2ELNS1_3repE0EEENS1_30default_config_static_selectorELNS0_4arch9wavefront6targetE0EEEvT1_ ; -- Begin function _ZN7rocprim17ROCPRIM_400000_NS6detail17trampoline_kernelINS0_14default_configENS1_25partition_config_selectorILNS1_17partition_subalgoE5ElNS0_10empty_typeEbEEZZNS1_14partition_implILS5_5ELb0ES3_mN6hipcub16HIPCUB_304000_NS21CountingInputIteratorIllEEPS6_NSA_22TransformInputIteratorIbN2at6native12_GLOBAL__N_19NonZeroOpIN3c104HalfEEEPKSK_lEENS0_5tupleIJPlS6_EEENSP_IJSD_SD_EEES6_PiJS6_EEE10hipError_tPvRmT3_T4_T5_T6_T7_T9_mT8_P12ihipStream_tbDpT10_ENKUlT_T0_E_clISt17integral_constantIbLb1EES1D_EEDaS18_S19_EUlS18_E_NS1_11comp_targetILNS1_3genE8ELNS1_11target_archE1030ELNS1_3gpuE2ELNS1_3repE0EEENS1_30default_config_static_selectorELNS0_4arch9wavefront6targetE0EEEvT1_
	.p2align	8
	.type	_ZN7rocprim17ROCPRIM_400000_NS6detail17trampoline_kernelINS0_14default_configENS1_25partition_config_selectorILNS1_17partition_subalgoE5ElNS0_10empty_typeEbEEZZNS1_14partition_implILS5_5ELb0ES3_mN6hipcub16HIPCUB_304000_NS21CountingInputIteratorIllEEPS6_NSA_22TransformInputIteratorIbN2at6native12_GLOBAL__N_19NonZeroOpIN3c104HalfEEEPKSK_lEENS0_5tupleIJPlS6_EEENSP_IJSD_SD_EEES6_PiJS6_EEE10hipError_tPvRmT3_T4_T5_T6_T7_T9_mT8_P12ihipStream_tbDpT10_ENKUlT_T0_E_clISt17integral_constantIbLb1EES1D_EEDaS18_S19_EUlS18_E_NS1_11comp_targetILNS1_3genE8ELNS1_11target_archE1030ELNS1_3gpuE2ELNS1_3repE0EEENS1_30default_config_static_selectorELNS0_4arch9wavefront6targetE0EEEvT1_,@function
_ZN7rocprim17ROCPRIM_400000_NS6detail17trampoline_kernelINS0_14default_configENS1_25partition_config_selectorILNS1_17partition_subalgoE5ElNS0_10empty_typeEbEEZZNS1_14partition_implILS5_5ELb0ES3_mN6hipcub16HIPCUB_304000_NS21CountingInputIteratorIllEEPS6_NSA_22TransformInputIteratorIbN2at6native12_GLOBAL__N_19NonZeroOpIN3c104HalfEEEPKSK_lEENS0_5tupleIJPlS6_EEENSP_IJSD_SD_EEES6_PiJS6_EEE10hipError_tPvRmT3_T4_T5_T6_T7_T9_mT8_P12ihipStream_tbDpT10_ENKUlT_T0_E_clISt17integral_constantIbLb1EES1D_EEDaS18_S19_EUlS18_E_NS1_11comp_targetILNS1_3genE8ELNS1_11target_archE1030ELNS1_3gpuE2ELNS1_3repE0EEENS1_30default_config_static_selectorELNS0_4arch9wavefront6targetE0EEEvT1_: ; @_ZN7rocprim17ROCPRIM_400000_NS6detail17trampoline_kernelINS0_14default_configENS1_25partition_config_selectorILNS1_17partition_subalgoE5ElNS0_10empty_typeEbEEZZNS1_14partition_implILS5_5ELb0ES3_mN6hipcub16HIPCUB_304000_NS21CountingInputIteratorIllEEPS6_NSA_22TransformInputIteratorIbN2at6native12_GLOBAL__N_19NonZeroOpIN3c104HalfEEEPKSK_lEENS0_5tupleIJPlS6_EEENSP_IJSD_SD_EEES6_PiJS6_EEE10hipError_tPvRmT3_T4_T5_T6_T7_T9_mT8_P12ihipStream_tbDpT10_ENKUlT_T0_E_clISt17integral_constantIbLb1EES1D_EEDaS18_S19_EUlS18_E_NS1_11comp_targetILNS1_3genE8ELNS1_11target_archE1030ELNS1_3gpuE2ELNS1_3repE0EEENS1_30default_config_static_selectorELNS0_4arch9wavefront6targetE0EEEvT1_
; %bb.0:
	.section	.rodata,"a",@progbits
	.p2align	6, 0x0
	.amdhsa_kernel _ZN7rocprim17ROCPRIM_400000_NS6detail17trampoline_kernelINS0_14default_configENS1_25partition_config_selectorILNS1_17partition_subalgoE5ElNS0_10empty_typeEbEEZZNS1_14partition_implILS5_5ELb0ES3_mN6hipcub16HIPCUB_304000_NS21CountingInputIteratorIllEEPS6_NSA_22TransformInputIteratorIbN2at6native12_GLOBAL__N_19NonZeroOpIN3c104HalfEEEPKSK_lEENS0_5tupleIJPlS6_EEENSP_IJSD_SD_EEES6_PiJS6_EEE10hipError_tPvRmT3_T4_T5_T6_T7_T9_mT8_P12ihipStream_tbDpT10_ENKUlT_T0_E_clISt17integral_constantIbLb1EES1D_EEDaS18_S19_EUlS18_E_NS1_11comp_targetILNS1_3genE8ELNS1_11target_archE1030ELNS1_3gpuE2ELNS1_3repE0EEENS1_30default_config_static_selectorELNS0_4arch9wavefront6targetE0EEEvT1_
		.amdhsa_group_segment_fixed_size 0
		.amdhsa_private_segment_fixed_size 0
		.amdhsa_kernarg_size 136
		.amdhsa_user_sgpr_count 15
		.amdhsa_user_sgpr_dispatch_ptr 0
		.amdhsa_user_sgpr_queue_ptr 0
		.amdhsa_user_sgpr_kernarg_segment_ptr 1
		.amdhsa_user_sgpr_dispatch_id 0
		.amdhsa_user_sgpr_private_segment_size 0
		.amdhsa_wavefront_size32 1
		.amdhsa_uses_dynamic_stack 0
		.amdhsa_enable_private_segment 0
		.amdhsa_system_sgpr_workgroup_id_x 1
		.amdhsa_system_sgpr_workgroup_id_y 0
		.amdhsa_system_sgpr_workgroup_id_z 0
		.amdhsa_system_sgpr_workgroup_info 0
		.amdhsa_system_vgpr_workitem_id 0
		.amdhsa_next_free_vgpr 1
		.amdhsa_next_free_sgpr 1
		.amdhsa_reserve_vcc 0
		.amdhsa_float_round_mode_32 0
		.amdhsa_float_round_mode_16_64 0
		.amdhsa_float_denorm_mode_32 3
		.amdhsa_float_denorm_mode_16_64 3
		.amdhsa_dx10_clamp 1
		.amdhsa_ieee_mode 1
		.amdhsa_fp16_overflow 0
		.amdhsa_workgroup_processor_mode 1
		.amdhsa_memory_ordered 1
		.amdhsa_forward_progress 0
		.amdhsa_shared_vgpr_count 0
		.amdhsa_exception_fp_ieee_invalid_op 0
		.amdhsa_exception_fp_denorm_src 0
		.amdhsa_exception_fp_ieee_div_zero 0
		.amdhsa_exception_fp_ieee_overflow 0
		.amdhsa_exception_fp_ieee_underflow 0
		.amdhsa_exception_fp_ieee_inexact 0
		.amdhsa_exception_int_div_zero 0
	.end_amdhsa_kernel
	.section	.text._ZN7rocprim17ROCPRIM_400000_NS6detail17trampoline_kernelINS0_14default_configENS1_25partition_config_selectorILNS1_17partition_subalgoE5ElNS0_10empty_typeEbEEZZNS1_14partition_implILS5_5ELb0ES3_mN6hipcub16HIPCUB_304000_NS21CountingInputIteratorIllEEPS6_NSA_22TransformInputIteratorIbN2at6native12_GLOBAL__N_19NonZeroOpIN3c104HalfEEEPKSK_lEENS0_5tupleIJPlS6_EEENSP_IJSD_SD_EEES6_PiJS6_EEE10hipError_tPvRmT3_T4_T5_T6_T7_T9_mT8_P12ihipStream_tbDpT10_ENKUlT_T0_E_clISt17integral_constantIbLb1EES1D_EEDaS18_S19_EUlS18_E_NS1_11comp_targetILNS1_3genE8ELNS1_11target_archE1030ELNS1_3gpuE2ELNS1_3repE0EEENS1_30default_config_static_selectorELNS0_4arch9wavefront6targetE0EEEvT1_,"axG",@progbits,_ZN7rocprim17ROCPRIM_400000_NS6detail17trampoline_kernelINS0_14default_configENS1_25partition_config_selectorILNS1_17partition_subalgoE5ElNS0_10empty_typeEbEEZZNS1_14partition_implILS5_5ELb0ES3_mN6hipcub16HIPCUB_304000_NS21CountingInputIteratorIllEEPS6_NSA_22TransformInputIteratorIbN2at6native12_GLOBAL__N_19NonZeroOpIN3c104HalfEEEPKSK_lEENS0_5tupleIJPlS6_EEENSP_IJSD_SD_EEES6_PiJS6_EEE10hipError_tPvRmT3_T4_T5_T6_T7_T9_mT8_P12ihipStream_tbDpT10_ENKUlT_T0_E_clISt17integral_constantIbLb1EES1D_EEDaS18_S19_EUlS18_E_NS1_11comp_targetILNS1_3genE8ELNS1_11target_archE1030ELNS1_3gpuE2ELNS1_3repE0EEENS1_30default_config_static_selectorELNS0_4arch9wavefront6targetE0EEEvT1_,comdat
.Lfunc_end881:
	.size	_ZN7rocprim17ROCPRIM_400000_NS6detail17trampoline_kernelINS0_14default_configENS1_25partition_config_selectorILNS1_17partition_subalgoE5ElNS0_10empty_typeEbEEZZNS1_14partition_implILS5_5ELb0ES3_mN6hipcub16HIPCUB_304000_NS21CountingInputIteratorIllEEPS6_NSA_22TransformInputIteratorIbN2at6native12_GLOBAL__N_19NonZeroOpIN3c104HalfEEEPKSK_lEENS0_5tupleIJPlS6_EEENSP_IJSD_SD_EEES6_PiJS6_EEE10hipError_tPvRmT3_T4_T5_T6_T7_T9_mT8_P12ihipStream_tbDpT10_ENKUlT_T0_E_clISt17integral_constantIbLb1EES1D_EEDaS18_S19_EUlS18_E_NS1_11comp_targetILNS1_3genE8ELNS1_11target_archE1030ELNS1_3gpuE2ELNS1_3repE0EEENS1_30default_config_static_selectorELNS0_4arch9wavefront6targetE0EEEvT1_, .Lfunc_end881-_ZN7rocprim17ROCPRIM_400000_NS6detail17trampoline_kernelINS0_14default_configENS1_25partition_config_selectorILNS1_17partition_subalgoE5ElNS0_10empty_typeEbEEZZNS1_14partition_implILS5_5ELb0ES3_mN6hipcub16HIPCUB_304000_NS21CountingInputIteratorIllEEPS6_NSA_22TransformInputIteratorIbN2at6native12_GLOBAL__N_19NonZeroOpIN3c104HalfEEEPKSK_lEENS0_5tupleIJPlS6_EEENSP_IJSD_SD_EEES6_PiJS6_EEE10hipError_tPvRmT3_T4_T5_T6_T7_T9_mT8_P12ihipStream_tbDpT10_ENKUlT_T0_E_clISt17integral_constantIbLb1EES1D_EEDaS18_S19_EUlS18_E_NS1_11comp_targetILNS1_3genE8ELNS1_11target_archE1030ELNS1_3gpuE2ELNS1_3repE0EEENS1_30default_config_static_selectorELNS0_4arch9wavefront6targetE0EEEvT1_
                                        ; -- End function
	.section	.AMDGPU.csdata,"",@progbits
; Kernel info:
; codeLenInByte = 0
; NumSgprs: 0
; NumVgprs: 0
; ScratchSize: 0
; MemoryBound: 0
; FloatMode: 240
; IeeeMode: 1
; LDSByteSize: 0 bytes/workgroup (compile time only)
; SGPRBlocks: 0
; VGPRBlocks: 0
; NumSGPRsForWavesPerEU: 1
; NumVGPRsForWavesPerEU: 1
; Occupancy: 16
; WaveLimiterHint : 0
; COMPUTE_PGM_RSRC2:SCRATCH_EN: 0
; COMPUTE_PGM_RSRC2:USER_SGPR: 15
; COMPUTE_PGM_RSRC2:TRAP_HANDLER: 0
; COMPUTE_PGM_RSRC2:TGID_X_EN: 1
; COMPUTE_PGM_RSRC2:TGID_Y_EN: 0
; COMPUTE_PGM_RSRC2:TGID_Z_EN: 0
; COMPUTE_PGM_RSRC2:TIDIG_COMP_CNT: 0
	.section	.text._ZN7rocprim17ROCPRIM_400000_NS6detail17trampoline_kernelINS0_14default_configENS1_25partition_config_selectorILNS1_17partition_subalgoE5ElNS0_10empty_typeEbEEZZNS1_14partition_implILS5_5ELb0ES3_mN6hipcub16HIPCUB_304000_NS21CountingInputIteratorIllEEPS6_NSA_22TransformInputIteratorIbN2at6native12_GLOBAL__N_19NonZeroOpIN3c104HalfEEEPKSK_lEENS0_5tupleIJPlS6_EEENSP_IJSD_SD_EEES6_PiJS6_EEE10hipError_tPvRmT3_T4_T5_T6_T7_T9_mT8_P12ihipStream_tbDpT10_ENKUlT_T0_E_clISt17integral_constantIbLb1EES1C_IbLb0EEEEDaS18_S19_EUlS18_E_NS1_11comp_targetILNS1_3genE0ELNS1_11target_archE4294967295ELNS1_3gpuE0ELNS1_3repE0EEENS1_30default_config_static_selectorELNS0_4arch9wavefront6targetE0EEEvT1_,"axG",@progbits,_ZN7rocprim17ROCPRIM_400000_NS6detail17trampoline_kernelINS0_14default_configENS1_25partition_config_selectorILNS1_17partition_subalgoE5ElNS0_10empty_typeEbEEZZNS1_14partition_implILS5_5ELb0ES3_mN6hipcub16HIPCUB_304000_NS21CountingInputIteratorIllEEPS6_NSA_22TransformInputIteratorIbN2at6native12_GLOBAL__N_19NonZeroOpIN3c104HalfEEEPKSK_lEENS0_5tupleIJPlS6_EEENSP_IJSD_SD_EEES6_PiJS6_EEE10hipError_tPvRmT3_T4_T5_T6_T7_T9_mT8_P12ihipStream_tbDpT10_ENKUlT_T0_E_clISt17integral_constantIbLb1EES1C_IbLb0EEEEDaS18_S19_EUlS18_E_NS1_11comp_targetILNS1_3genE0ELNS1_11target_archE4294967295ELNS1_3gpuE0ELNS1_3repE0EEENS1_30default_config_static_selectorELNS0_4arch9wavefront6targetE0EEEvT1_,comdat
	.globl	_ZN7rocprim17ROCPRIM_400000_NS6detail17trampoline_kernelINS0_14default_configENS1_25partition_config_selectorILNS1_17partition_subalgoE5ElNS0_10empty_typeEbEEZZNS1_14partition_implILS5_5ELb0ES3_mN6hipcub16HIPCUB_304000_NS21CountingInputIteratorIllEEPS6_NSA_22TransformInputIteratorIbN2at6native12_GLOBAL__N_19NonZeroOpIN3c104HalfEEEPKSK_lEENS0_5tupleIJPlS6_EEENSP_IJSD_SD_EEES6_PiJS6_EEE10hipError_tPvRmT3_T4_T5_T6_T7_T9_mT8_P12ihipStream_tbDpT10_ENKUlT_T0_E_clISt17integral_constantIbLb1EES1C_IbLb0EEEEDaS18_S19_EUlS18_E_NS1_11comp_targetILNS1_3genE0ELNS1_11target_archE4294967295ELNS1_3gpuE0ELNS1_3repE0EEENS1_30default_config_static_selectorELNS0_4arch9wavefront6targetE0EEEvT1_ ; -- Begin function _ZN7rocprim17ROCPRIM_400000_NS6detail17trampoline_kernelINS0_14default_configENS1_25partition_config_selectorILNS1_17partition_subalgoE5ElNS0_10empty_typeEbEEZZNS1_14partition_implILS5_5ELb0ES3_mN6hipcub16HIPCUB_304000_NS21CountingInputIteratorIllEEPS6_NSA_22TransformInputIteratorIbN2at6native12_GLOBAL__N_19NonZeroOpIN3c104HalfEEEPKSK_lEENS0_5tupleIJPlS6_EEENSP_IJSD_SD_EEES6_PiJS6_EEE10hipError_tPvRmT3_T4_T5_T6_T7_T9_mT8_P12ihipStream_tbDpT10_ENKUlT_T0_E_clISt17integral_constantIbLb1EES1C_IbLb0EEEEDaS18_S19_EUlS18_E_NS1_11comp_targetILNS1_3genE0ELNS1_11target_archE4294967295ELNS1_3gpuE0ELNS1_3repE0EEENS1_30default_config_static_selectorELNS0_4arch9wavefront6targetE0EEEvT1_
	.p2align	8
	.type	_ZN7rocprim17ROCPRIM_400000_NS6detail17trampoline_kernelINS0_14default_configENS1_25partition_config_selectorILNS1_17partition_subalgoE5ElNS0_10empty_typeEbEEZZNS1_14partition_implILS5_5ELb0ES3_mN6hipcub16HIPCUB_304000_NS21CountingInputIteratorIllEEPS6_NSA_22TransformInputIteratorIbN2at6native12_GLOBAL__N_19NonZeroOpIN3c104HalfEEEPKSK_lEENS0_5tupleIJPlS6_EEENSP_IJSD_SD_EEES6_PiJS6_EEE10hipError_tPvRmT3_T4_T5_T6_T7_T9_mT8_P12ihipStream_tbDpT10_ENKUlT_T0_E_clISt17integral_constantIbLb1EES1C_IbLb0EEEEDaS18_S19_EUlS18_E_NS1_11comp_targetILNS1_3genE0ELNS1_11target_archE4294967295ELNS1_3gpuE0ELNS1_3repE0EEENS1_30default_config_static_selectorELNS0_4arch9wavefront6targetE0EEEvT1_,@function
_ZN7rocprim17ROCPRIM_400000_NS6detail17trampoline_kernelINS0_14default_configENS1_25partition_config_selectorILNS1_17partition_subalgoE5ElNS0_10empty_typeEbEEZZNS1_14partition_implILS5_5ELb0ES3_mN6hipcub16HIPCUB_304000_NS21CountingInputIteratorIllEEPS6_NSA_22TransformInputIteratorIbN2at6native12_GLOBAL__N_19NonZeroOpIN3c104HalfEEEPKSK_lEENS0_5tupleIJPlS6_EEENSP_IJSD_SD_EEES6_PiJS6_EEE10hipError_tPvRmT3_T4_T5_T6_T7_T9_mT8_P12ihipStream_tbDpT10_ENKUlT_T0_E_clISt17integral_constantIbLb1EES1C_IbLb0EEEEDaS18_S19_EUlS18_E_NS1_11comp_targetILNS1_3genE0ELNS1_11target_archE4294967295ELNS1_3gpuE0ELNS1_3repE0EEENS1_30default_config_static_selectorELNS0_4arch9wavefront6targetE0EEEvT1_: ; @_ZN7rocprim17ROCPRIM_400000_NS6detail17trampoline_kernelINS0_14default_configENS1_25partition_config_selectorILNS1_17partition_subalgoE5ElNS0_10empty_typeEbEEZZNS1_14partition_implILS5_5ELb0ES3_mN6hipcub16HIPCUB_304000_NS21CountingInputIteratorIllEEPS6_NSA_22TransformInputIteratorIbN2at6native12_GLOBAL__N_19NonZeroOpIN3c104HalfEEEPKSK_lEENS0_5tupleIJPlS6_EEENSP_IJSD_SD_EEES6_PiJS6_EEE10hipError_tPvRmT3_T4_T5_T6_T7_T9_mT8_P12ihipStream_tbDpT10_ENKUlT_T0_E_clISt17integral_constantIbLb1EES1C_IbLb0EEEEDaS18_S19_EUlS18_E_NS1_11comp_targetILNS1_3genE0ELNS1_11target_archE4294967295ELNS1_3gpuE0ELNS1_3repE0EEENS1_30default_config_static_selectorELNS0_4arch9wavefront6targetE0EEEvT1_
; %bb.0:
	.section	.rodata,"a",@progbits
	.p2align	6, 0x0
	.amdhsa_kernel _ZN7rocprim17ROCPRIM_400000_NS6detail17trampoline_kernelINS0_14default_configENS1_25partition_config_selectorILNS1_17partition_subalgoE5ElNS0_10empty_typeEbEEZZNS1_14partition_implILS5_5ELb0ES3_mN6hipcub16HIPCUB_304000_NS21CountingInputIteratorIllEEPS6_NSA_22TransformInputIteratorIbN2at6native12_GLOBAL__N_19NonZeroOpIN3c104HalfEEEPKSK_lEENS0_5tupleIJPlS6_EEENSP_IJSD_SD_EEES6_PiJS6_EEE10hipError_tPvRmT3_T4_T5_T6_T7_T9_mT8_P12ihipStream_tbDpT10_ENKUlT_T0_E_clISt17integral_constantIbLb1EES1C_IbLb0EEEEDaS18_S19_EUlS18_E_NS1_11comp_targetILNS1_3genE0ELNS1_11target_archE4294967295ELNS1_3gpuE0ELNS1_3repE0EEENS1_30default_config_static_selectorELNS0_4arch9wavefront6targetE0EEEvT1_
		.amdhsa_group_segment_fixed_size 0
		.amdhsa_private_segment_fixed_size 0
		.amdhsa_kernarg_size 120
		.amdhsa_user_sgpr_count 15
		.amdhsa_user_sgpr_dispatch_ptr 0
		.amdhsa_user_sgpr_queue_ptr 0
		.amdhsa_user_sgpr_kernarg_segment_ptr 1
		.amdhsa_user_sgpr_dispatch_id 0
		.amdhsa_user_sgpr_private_segment_size 0
		.amdhsa_wavefront_size32 1
		.amdhsa_uses_dynamic_stack 0
		.amdhsa_enable_private_segment 0
		.amdhsa_system_sgpr_workgroup_id_x 1
		.amdhsa_system_sgpr_workgroup_id_y 0
		.amdhsa_system_sgpr_workgroup_id_z 0
		.amdhsa_system_sgpr_workgroup_info 0
		.amdhsa_system_vgpr_workitem_id 0
		.amdhsa_next_free_vgpr 1
		.amdhsa_next_free_sgpr 1
		.amdhsa_reserve_vcc 0
		.amdhsa_float_round_mode_32 0
		.amdhsa_float_round_mode_16_64 0
		.amdhsa_float_denorm_mode_32 3
		.amdhsa_float_denorm_mode_16_64 3
		.amdhsa_dx10_clamp 1
		.amdhsa_ieee_mode 1
		.amdhsa_fp16_overflow 0
		.amdhsa_workgroup_processor_mode 1
		.amdhsa_memory_ordered 1
		.amdhsa_forward_progress 0
		.amdhsa_shared_vgpr_count 0
		.amdhsa_exception_fp_ieee_invalid_op 0
		.amdhsa_exception_fp_denorm_src 0
		.amdhsa_exception_fp_ieee_div_zero 0
		.amdhsa_exception_fp_ieee_overflow 0
		.amdhsa_exception_fp_ieee_underflow 0
		.amdhsa_exception_fp_ieee_inexact 0
		.amdhsa_exception_int_div_zero 0
	.end_amdhsa_kernel
	.section	.text._ZN7rocprim17ROCPRIM_400000_NS6detail17trampoline_kernelINS0_14default_configENS1_25partition_config_selectorILNS1_17partition_subalgoE5ElNS0_10empty_typeEbEEZZNS1_14partition_implILS5_5ELb0ES3_mN6hipcub16HIPCUB_304000_NS21CountingInputIteratorIllEEPS6_NSA_22TransformInputIteratorIbN2at6native12_GLOBAL__N_19NonZeroOpIN3c104HalfEEEPKSK_lEENS0_5tupleIJPlS6_EEENSP_IJSD_SD_EEES6_PiJS6_EEE10hipError_tPvRmT3_T4_T5_T6_T7_T9_mT8_P12ihipStream_tbDpT10_ENKUlT_T0_E_clISt17integral_constantIbLb1EES1C_IbLb0EEEEDaS18_S19_EUlS18_E_NS1_11comp_targetILNS1_3genE0ELNS1_11target_archE4294967295ELNS1_3gpuE0ELNS1_3repE0EEENS1_30default_config_static_selectorELNS0_4arch9wavefront6targetE0EEEvT1_,"axG",@progbits,_ZN7rocprim17ROCPRIM_400000_NS6detail17trampoline_kernelINS0_14default_configENS1_25partition_config_selectorILNS1_17partition_subalgoE5ElNS0_10empty_typeEbEEZZNS1_14partition_implILS5_5ELb0ES3_mN6hipcub16HIPCUB_304000_NS21CountingInputIteratorIllEEPS6_NSA_22TransformInputIteratorIbN2at6native12_GLOBAL__N_19NonZeroOpIN3c104HalfEEEPKSK_lEENS0_5tupleIJPlS6_EEENSP_IJSD_SD_EEES6_PiJS6_EEE10hipError_tPvRmT3_T4_T5_T6_T7_T9_mT8_P12ihipStream_tbDpT10_ENKUlT_T0_E_clISt17integral_constantIbLb1EES1C_IbLb0EEEEDaS18_S19_EUlS18_E_NS1_11comp_targetILNS1_3genE0ELNS1_11target_archE4294967295ELNS1_3gpuE0ELNS1_3repE0EEENS1_30default_config_static_selectorELNS0_4arch9wavefront6targetE0EEEvT1_,comdat
.Lfunc_end882:
	.size	_ZN7rocprim17ROCPRIM_400000_NS6detail17trampoline_kernelINS0_14default_configENS1_25partition_config_selectorILNS1_17partition_subalgoE5ElNS0_10empty_typeEbEEZZNS1_14partition_implILS5_5ELb0ES3_mN6hipcub16HIPCUB_304000_NS21CountingInputIteratorIllEEPS6_NSA_22TransformInputIteratorIbN2at6native12_GLOBAL__N_19NonZeroOpIN3c104HalfEEEPKSK_lEENS0_5tupleIJPlS6_EEENSP_IJSD_SD_EEES6_PiJS6_EEE10hipError_tPvRmT3_T4_T5_T6_T7_T9_mT8_P12ihipStream_tbDpT10_ENKUlT_T0_E_clISt17integral_constantIbLb1EES1C_IbLb0EEEEDaS18_S19_EUlS18_E_NS1_11comp_targetILNS1_3genE0ELNS1_11target_archE4294967295ELNS1_3gpuE0ELNS1_3repE0EEENS1_30default_config_static_selectorELNS0_4arch9wavefront6targetE0EEEvT1_, .Lfunc_end882-_ZN7rocprim17ROCPRIM_400000_NS6detail17trampoline_kernelINS0_14default_configENS1_25partition_config_selectorILNS1_17partition_subalgoE5ElNS0_10empty_typeEbEEZZNS1_14partition_implILS5_5ELb0ES3_mN6hipcub16HIPCUB_304000_NS21CountingInputIteratorIllEEPS6_NSA_22TransformInputIteratorIbN2at6native12_GLOBAL__N_19NonZeroOpIN3c104HalfEEEPKSK_lEENS0_5tupleIJPlS6_EEENSP_IJSD_SD_EEES6_PiJS6_EEE10hipError_tPvRmT3_T4_T5_T6_T7_T9_mT8_P12ihipStream_tbDpT10_ENKUlT_T0_E_clISt17integral_constantIbLb1EES1C_IbLb0EEEEDaS18_S19_EUlS18_E_NS1_11comp_targetILNS1_3genE0ELNS1_11target_archE4294967295ELNS1_3gpuE0ELNS1_3repE0EEENS1_30default_config_static_selectorELNS0_4arch9wavefront6targetE0EEEvT1_
                                        ; -- End function
	.section	.AMDGPU.csdata,"",@progbits
; Kernel info:
; codeLenInByte = 0
; NumSgprs: 0
; NumVgprs: 0
; ScratchSize: 0
; MemoryBound: 0
; FloatMode: 240
; IeeeMode: 1
; LDSByteSize: 0 bytes/workgroup (compile time only)
; SGPRBlocks: 0
; VGPRBlocks: 0
; NumSGPRsForWavesPerEU: 1
; NumVGPRsForWavesPerEU: 1
; Occupancy: 16
; WaveLimiterHint : 0
; COMPUTE_PGM_RSRC2:SCRATCH_EN: 0
; COMPUTE_PGM_RSRC2:USER_SGPR: 15
; COMPUTE_PGM_RSRC2:TRAP_HANDLER: 0
; COMPUTE_PGM_RSRC2:TGID_X_EN: 1
; COMPUTE_PGM_RSRC2:TGID_Y_EN: 0
; COMPUTE_PGM_RSRC2:TGID_Z_EN: 0
; COMPUTE_PGM_RSRC2:TIDIG_COMP_CNT: 0
	.section	.text._ZN7rocprim17ROCPRIM_400000_NS6detail17trampoline_kernelINS0_14default_configENS1_25partition_config_selectorILNS1_17partition_subalgoE5ElNS0_10empty_typeEbEEZZNS1_14partition_implILS5_5ELb0ES3_mN6hipcub16HIPCUB_304000_NS21CountingInputIteratorIllEEPS6_NSA_22TransformInputIteratorIbN2at6native12_GLOBAL__N_19NonZeroOpIN3c104HalfEEEPKSK_lEENS0_5tupleIJPlS6_EEENSP_IJSD_SD_EEES6_PiJS6_EEE10hipError_tPvRmT3_T4_T5_T6_T7_T9_mT8_P12ihipStream_tbDpT10_ENKUlT_T0_E_clISt17integral_constantIbLb1EES1C_IbLb0EEEEDaS18_S19_EUlS18_E_NS1_11comp_targetILNS1_3genE5ELNS1_11target_archE942ELNS1_3gpuE9ELNS1_3repE0EEENS1_30default_config_static_selectorELNS0_4arch9wavefront6targetE0EEEvT1_,"axG",@progbits,_ZN7rocprim17ROCPRIM_400000_NS6detail17trampoline_kernelINS0_14default_configENS1_25partition_config_selectorILNS1_17partition_subalgoE5ElNS0_10empty_typeEbEEZZNS1_14partition_implILS5_5ELb0ES3_mN6hipcub16HIPCUB_304000_NS21CountingInputIteratorIllEEPS6_NSA_22TransformInputIteratorIbN2at6native12_GLOBAL__N_19NonZeroOpIN3c104HalfEEEPKSK_lEENS0_5tupleIJPlS6_EEENSP_IJSD_SD_EEES6_PiJS6_EEE10hipError_tPvRmT3_T4_T5_T6_T7_T9_mT8_P12ihipStream_tbDpT10_ENKUlT_T0_E_clISt17integral_constantIbLb1EES1C_IbLb0EEEEDaS18_S19_EUlS18_E_NS1_11comp_targetILNS1_3genE5ELNS1_11target_archE942ELNS1_3gpuE9ELNS1_3repE0EEENS1_30default_config_static_selectorELNS0_4arch9wavefront6targetE0EEEvT1_,comdat
	.globl	_ZN7rocprim17ROCPRIM_400000_NS6detail17trampoline_kernelINS0_14default_configENS1_25partition_config_selectorILNS1_17partition_subalgoE5ElNS0_10empty_typeEbEEZZNS1_14partition_implILS5_5ELb0ES3_mN6hipcub16HIPCUB_304000_NS21CountingInputIteratorIllEEPS6_NSA_22TransformInputIteratorIbN2at6native12_GLOBAL__N_19NonZeroOpIN3c104HalfEEEPKSK_lEENS0_5tupleIJPlS6_EEENSP_IJSD_SD_EEES6_PiJS6_EEE10hipError_tPvRmT3_T4_T5_T6_T7_T9_mT8_P12ihipStream_tbDpT10_ENKUlT_T0_E_clISt17integral_constantIbLb1EES1C_IbLb0EEEEDaS18_S19_EUlS18_E_NS1_11comp_targetILNS1_3genE5ELNS1_11target_archE942ELNS1_3gpuE9ELNS1_3repE0EEENS1_30default_config_static_selectorELNS0_4arch9wavefront6targetE0EEEvT1_ ; -- Begin function _ZN7rocprim17ROCPRIM_400000_NS6detail17trampoline_kernelINS0_14default_configENS1_25partition_config_selectorILNS1_17partition_subalgoE5ElNS0_10empty_typeEbEEZZNS1_14partition_implILS5_5ELb0ES3_mN6hipcub16HIPCUB_304000_NS21CountingInputIteratorIllEEPS6_NSA_22TransformInputIteratorIbN2at6native12_GLOBAL__N_19NonZeroOpIN3c104HalfEEEPKSK_lEENS0_5tupleIJPlS6_EEENSP_IJSD_SD_EEES6_PiJS6_EEE10hipError_tPvRmT3_T4_T5_T6_T7_T9_mT8_P12ihipStream_tbDpT10_ENKUlT_T0_E_clISt17integral_constantIbLb1EES1C_IbLb0EEEEDaS18_S19_EUlS18_E_NS1_11comp_targetILNS1_3genE5ELNS1_11target_archE942ELNS1_3gpuE9ELNS1_3repE0EEENS1_30default_config_static_selectorELNS0_4arch9wavefront6targetE0EEEvT1_
	.p2align	8
	.type	_ZN7rocprim17ROCPRIM_400000_NS6detail17trampoline_kernelINS0_14default_configENS1_25partition_config_selectorILNS1_17partition_subalgoE5ElNS0_10empty_typeEbEEZZNS1_14partition_implILS5_5ELb0ES3_mN6hipcub16HIPCUB_304000_NS21CountingInputIteratorIllEEPS6_NSA_22TransformInputIteratorIbN2at6native12_GLOBAL__N_19NonZeroOpIN3c104HalfEEEPKSK_lEENS0_5tupleIJPlS6_EEENSP_IJSD_SD_EEES6_PiJS6_EEE10hipError_tPvRmT3_T4_T5_T6_T7_T9_mT8_P12ihipStream_tbDpT10_ENKUlT_T0_E_clISt17integral_constantIbLb1EES1C_IbLb0EEEEDaS18_S19_EUlS18_E_NS1_11comp_targetILNS1_3genE5ELNS1_11target_archE942ELNS1_3gpuE9ELNS1_3repE0EEENS1_30default_config_static_selectorELNS0_4arch9wavefront6targetE0EEEvT1_,@function
_ZN7rocprim17ROCPRIM_400000_NS6detail17trampoline_kernelINS0_14default_configENS1_25partition_config_selectorILNS1_17partition_subalgoE5ElNS0_10empty_typeEbEEZZNS1_14partition_implILS5_5ELb0ES3_mN6hipcub16HIPCUB_304000_NS21CountingInputIteratorIllEEPS6_NSA_22TransformInputIteratorIbN2at6native12_GLOBAL__N_19NonZeroOpIN3c104HalfEEEPKSK_lEENS0_5tupleIJPlS6_EEENSP_IJSD_SD_EEES6_PiJS6_EEE10hipError_tPvRmT3_T4_T5_T6_T7_T9_mT8_P12ihipStream_tbDpT10_ENKUlT_T0_E_clISt17integral_constantIbLb1EES1C_IbLb0EEEEDaS18_S19_EUlS18_E_NS1_11comp_targetILNS1_3genE5ELNS1_11target_archE942ELNS1_3gpuE9ELNS1_3repE0EEENS1_30default_config_static_selectorELNS0_4arch9wavefront6targetE0EEEvT1_: ; @_ZN7rocprim17ROCPRIM_400000_NS6detail17trampoline_kernelINS0_14default_configENS1_25partition_config_selectorILNS1_17partition_subalgoE5ElNS0_10empty_typeEbEEZZNS1_14partition_implILS5_5ELb0ES3_mN6hipcub16HIPCUB_304000_NS21CountingInputIteratorIllEEPS6_NSA_22TransformInputIteratorIbN2at6native12_GLOBAL__N_19NonZeroOpIN3c104HalfEEEPKSK_lEENS0_5tupleIJPlS6_EEENSP_IJSD_SD_EEES6_PiJS6_EEE10hipError_tPvRmT3_T4_T5_T6_T7_T9_mT8_P12ihipStream_tbDpT10_ENKUlT_T0_E_clISt17integral_constantIbLb1EES1C_IbLb0EEEEDaS18_S19_EUlS18_E_NS1_11comp_targetILNS1_3genE5ELNS1_11target_archE942ELNS1_3gpuE9ELNS1_3repE0EEENS1_30default_config_static_selectorELNS0_4arch9wavefront6targetE0EEEvT1_
; %bb.0:
	.section	.rodata,"a",@progbits
	.p2align	6, 0x0
	.amdhsa_kernel _ZN7rocprim17ROCPRIM_400000_NS6detail17trampoline_kernelINS0_14default_configENS1_25partition_config_selectorILNS1_17partition_subalgoE5ElNS0_10empty_typeEbEEZZNS1_14partition_implILS5_5ELb0ES3_mN6hipcub16HIPCUB_304000_NS21CountingInputIteratorIllEEPS6_NSA_22TransformInputIteratorIbN2at6native12_GLOBAL__N_19NonZeroOpIN3c104HalfEEEPKSK_lEENS0_5tupleIJPlS6_EEENSP_IJSD_SD_EEES6_PiJS6_EEE10hipError_tPvRmT3_T4_T5_T6_T7_T9_mT8_P12ihipStream_tbDpT10_ENKUlT_T0_E_clISt17integral_constantIbLb1EES1C_IbLb0EEEEDaS18_S19_EUlS18_E_NS1_11comp_targetILNS1_3genE5ELNS1_11target_archE942ELNS1_3gpuE9ELNS1_3repE0EEENS1_30default_config_static_selectorELNS0_4arch9wavefront6targetE0EEEvT1_
		.amdhsa_group_segment_fixed_size 0
		.amdhsa_private_segment_fixed_size 0
		.amdhsa_kernarg_size 120
		.amdhsa_user_sgpr_count 15
		.amdhsa_user_sgpr_dispatch_ptr 0
		.amdhsa_user_sgpr_queue_ptr 0
		.amdhsa_user_sgpr_kernarg_segment_ptr 1
		.amdhsa_user_sgpr_dispatch_id 0
		.amdhsa_user_sgpr_private_segment_size 0
		.amdhsa_wavefront_size32 1
		.amdhsa_uses_dynamic_stack 0
		.amdhsa_enable_private_segment 0
		.amdhsa_system_sgpr_workgroup_id_x 1
		.amdhsa_system_sgpr_workgroup_id_y 0
		.amdhsa_system_sgpr_workgroup_id_z 0
		.amdhsa_system_sgpr_workgroup_info 0
		.amdhsa_system_vgpr_workitem_id 0
		.amdhsa_next_free_vgpr 1
		.amdhsa_next_free_sgpr 1
		.amdhsa_reserve_vcc 0
		.amdhsa_float_round_mode_32 0
		.amdhsa_float_round_mode_16_64 0
		.amdhsa_float_denorm_mode_32 3
		.amdhsa_float_denorm_mode_16_64 3
		.amdhsa_dx10_clamp 1
		.amdhsa_ieee_mode 1
		.amdhsa_fp16_overflow 0
		.amdhsa_workgroup_processor_mode 1
		.amdhsa_memory_ordered 1
		.amdhsa_forward_progress 0
		.amdhsa_shared_vgpr_count 0
		.amdhsa_exception_fp_ieee_invalid_op 0
		.amdhsa_exception_fp_denorm_src 0
		.amdhsa_exception_fp_ieee_div_zero 0
		.amdhsa_exception_fp_ieee_overflow 0
		.amdhsa_exception_fp_ieee_underflow 0
		.amdhsa_exception_fp_ieee_inexact 0
		.amdhsa_exception_int_div_zero 0
	.end_amdhsa_kernel
	.section	.text._ZN7rocprim17ROCPRIM_400000_NS6detail17trampoline_kernelINS0_14default_configENS1_25partition_config_selectorILNS1_17partition_subalgoE5ElNS0_10empty_typeEbEEZZNS1_14partition_implILS5_5ELb0ES3_mN6hipcub16HIPCUB_304000_NS21CountingInputIteratorIllEEPS6_NSA_22TransformInputIteratorIbN2at6native12_GLOBAL__N_19NonZeroOpIN3c104HalfEEEPKSK_lEENS0_5tupleIJPlS6_EEENSP_IJSD_SD_EEES6_PiJS6_EEE10hipError_tPvRmT3_T4_T5_T6_T7_T9_mT8_P12ihipStream_tbDpT10_ENKUlT_T0_E_clISt17integral_constantIbLb1EES1C_IbLb0EEEEDaS18_S19_EUlS18_E_NS1_11comp_targetILNS1_3genE5ELNS1_11target_archE942ELNS1_3gpuE9ELNS1_3repE0EEENS1_30default_config_static_selectorELNS0_4arch9wavefront6targetE0EEEvT1_,"axG",@progbits,_ZN7rocprim17ROCPRIM_400000_NS6detail17trampoline_kernelINS0_14default_configENS1_25partition_config_selectorILNS1_17partition_subalgoE5ElNS0_10empty_typeEbEEZZNS1_14partition_implILS5_5ELb0ES3_mN6hipcub16HIPCUB_304000_NS21CountingInputIteratorIllEEPS6_NSA_22TransformInputIteratorIbN2at6native12_GLOBAL__N_19NonZeroOpIN3c104HalfEEEPKSK_lEENS0_5tupleIJPlS6_EEENSP_IJSD_SD_EEES6_PiJS6_EEE10hipError_tPvRmT3_T4_T5_T6_T7_T9_mT8_P12ihipStream_tbDpT10_ENKUlT_T0_E_clISt17integral_constantIbLb1EES1C_IbLb0EEEEDaS18_S19_EUlS18_E_NS1_11comp_targetILNS1_3genE5ELNS1_11target_archE942ELNS1_3gpuE9ELNS1_3repE0EEENS1_30default_config_static_selectorELNS0_4arch9wavefront6targetE0EEEvT1_,comdat
.Lfunc_end883:
	.size	_ZN7rocprim17ROCPRIM_400000_NS6detail17trampoline_kernelINS0_14default_configENS1_25partition_config_selectorILNS1_17partition_subalgoE5ElNS0_10empty_typeEbEEZZNS1_14partition_implILS5_5ELb0ES3_mN6hipcub16HIPCUB_304000_NS21CountingInputIteratorIllEEPS6_NSA_22TransformInputIteratorIbN2at6native12_GLOBAL__N_19NonZeroOpIN3c104HalfEEEPKSK_lEENS0_5tupleIJPlS6_EEENSP_IJSD_SD_EEES6_PiJS6_EEE10hipError_tPvRmT3_T4_T5_T6_T7_T9_mT8_P12ihipStream_tbDpT10_ENKUlT_T0_E_clISt17integral_constantIbLb1EES1C_IbLb0EEEEDaS18_S19_EUlS18_E_NS1_11comp_targetILNS1_3genE5ELNS1_11target_archE942ELNS1_3gpuE9ELNS1_3repE0EEENS1_30default_config_static_selectorELNS0_4arch9wavefront6targetE0EEEvT1_, .Lfunc_end883-_ZN7rocprim17ROCPRIM_400000_NS6detail17trampoline_kernelINS0_14default_configENS1_25partition_config_selectorILNS1_17partition_subalgoE5ElNS0_10empty_typeEbEEZZNS1_14partition_implILS5_5ELb0ES3_mN6hipcub16HIPCUB_304000_NS21CountingInputIteratorIllEEPS6_NSA_22TransformInputIteratorIbN2at6native12_GLOBAL__N_19NonZeroOpIN3c104HalfEEEPKSK_lEENS0_5tupleIJPlS6_EEENSP_IJSD_SD_EEES6_PiJS6_EEE10hipError_tPvRmT3_T4_T5_T6_T7_T9_mT8_P12ihipStream_tbDpT10_ENKUlT_T0_E_clISt17integral_constantIbLb1EES1C_IbLb0EEEEDaS18_S19_EUlS18_E_NS1_11comp_targetILNS1_3genE5ELNS1_11target_archE942ELNS1_3gpuE9ELNS1_3repE0EEENS1_30default_config_static_selectorELNS0_4arch9wavefront6targetE0EEEvT1_
                                        ; -- End function
	.section	.AMDGPU.csdata,"",@progbits
; Kernel info:
; codeLenInByte = 0
; NumSgprs: 0
; NumVgprs: 0
; ScratchSize: 0
; MemoryBound: 0
; FloatMode: 240
; IeeeMode: 1
; LDSByteSize: 0 bytes/workgroup (compile time only)
; SGPRBlocks: 0
; VGPRBlocks: 0
; NumSGPRsForWavesPerEU: 1
; NumVGPRsForWavesPerEU: 1
; Occupancy: 16
; WaveLimiterHint : 0
; COMPUTE_PGM_RSRC2:SCRATCH_EN: 0
; COMPUTE_PGM_RSRC2:USER_SGPR: 15
; COMPUTE_PGM_RSRC2:TRAP_HANDLER: 0
; COMPUTE_PGM_RSRC2:TGID_X_EN: 1
; COMPUTE_PGM_RSRC2:TGID_Y_EN: 0
; COMPUTE_PGM_RSRC2:TGID_Z_EN: 0
; COMPUTE_PGM_RSRC2:TIDIG_COMP_CNT: 0
	.section	.text._ZN7rocprim17ROCPRIM_400000_NS6detail17trampoline_kernelINS0_14default_configENS1_25partition_config_selectorILNS1_17partition_subalgoE5ElNS0_10empty_typeEbEEZZNS1_14partition_implILS5_5ELb0ES3_mN6hipcub16HIPCUB_304000_NS21CountingInputIteratorIllEEPS6_NSA_22TransformInputIteratorIbN2at6native12_GLOBAL__N_19NonZeroOpIN3c104HalfEEEPKSK_lEENS0_5tupleIJPlS6_EEENSP_IJSD_SD_EEES6_PiJS6_EEE10hipError_tPvRmT3_T4_T5_T6_T7_T9_mT8_P12ihipStream_tbDpT10_ENKUlT_T0_E_clISt17integral_constantIbLb1EES1C_IbLb0EEEEDaS18_S19_EUlS18_E_NS1_11comp_targetILNS1_3genE4ELNS1_11target_archE910ELNS1_3gpuE8ELNS1_3repE0EEENS1_30default_config_static_selectorELNS0_4arch9wavefront6targetE0EEEvT1_,"axG",@progbits,_ZN7rocprim17ROCPRIM_400000_NS6detail17trampoline_kernelINS0_14default_configENS1_25partition_config_selectorILNS1_17partition_subalgoE5ElNS0_10empty_typeEbEEZZNS1_14partition_implILS5_5ELb0ES3_mN6hipcub16HIPCUB_304000_NS21CountingInputIteratorIllEEPS6_NSA_22TransformInputIteratorIbN2at6native12_GLOBAL__N_19NonZeroOpIN3c104HalfEEEPKSK_lEENS0_5tupleIJPlS6_EEENSP_IJSD_SD_EEES6_PiJS6_EEE10hipError_tPvRmT3_T4_T5_T6_T7_T9_mT8_P12ihipStream_tbDpT10_ENKUlT_T0_E_clISt17integral_constantIbLb1EES1C_IbLb0EEEEDaS18_S19_EUlS18_E_NS1_11comp_targetILNS1_3genE4ELNS1_11target_archE910ELNS1_3gpuE8ELNS1_3repE0EEENS1_30default_config_static_selectorELNS0_4arch9wavefront6targetE0EEEvT1_,comdat
	.globl	_ZN7rocprim17ROCPRIM_400000_NS6detail17trampoline_kernelINS0_14default_configENS1_25partition_config_selectorILNS1_17partition_subalgoE5ElNS0_10empty_typeEbEEZZNS1_14partition_implILS5_5ELb0ES3_mN6hipcub16HIPCUB_304000_NS21CountingInputIteratorIllEEPS6_NSA_22TransformInputIteratorIbN2at6native12_GLOBAL__N_19NonZeroOpIN3c104HalfEEEPKSK_lEENS0_5tupleIJPlS6_EEENSP_IJSD_SD_EEES6_PiJS6_EEE10hipError_tPvRmT3_T4_T5_T6_T7_T9_mT8_P12ihipStream_tbDpT10_ENKUlT_T0_E_clISt17integral_constantIbLb1EES1C_IbLb0EEEEDaS18_S19_EUlS18_E_NS1_11comp_targetILNS1_3genE4ELNS1_11target_archE910ELNS1_3gpuE8ELNS1_3repE0EEENS1_30default_config_static_selectorELNS0_4arch9wavefront6targetE0EEEvT1_ ; -- Begin function _ZN7rocprim17ROCPRIM_400000_NS6detail17trampoline_kernelINS0_14default_configENS1_25partition_config_selectorILNS1_17partition_subalgoE5ElNS0_10empty_typeEbEEZZNS1_14partition_implILS5_5ELb0ES3_mN6hipcub16HIPCUB_304000_NS21CountingInputIteratorIllEEPS6_NSA_22TransformInputIteratorIbN2at6native12_GLOBAL__N_19NonZeroOpIN3c104HalfEEEPKSK_lEENS0_5tupleIJPlS6_EEENSP_IJSD_SD_EEES6_PiJS6_EEE10hipError_tPvRmT3_T4_T5_T6_T7_T9_mT8_P12ihipStream_tbDpT10_ENKUlT_T0_E_clISt17integral_constantIbLb1EES1C_IbLb0EEEEDaS18_S19_EUlS18_E_NS1_11comp_targetILNS1_3genE4ELNS1_11target_archE910ELNS1_3gpuE8ELNS1_3repE0EEENS1_30default_config_static_selectorELNS0_4arch9wavefront6targetE0EEEvT1_
	.p2align	8
	.type	_ZN7rocprim17ROCPRIM_400000_NS6detail17trampoline_kernelINS0_14default_configENS1_25partition_config_selectorILNS1_17partition_subalgoE5ElNS0_10empty_typeEbEEZZNS1_14partition_implILS5_5ELb0ES3_mN6hipcub16HIPCUB_304000_NS21CountingInputIteratorIllEEPS6_NSA_22TransformInputIteratorIbN2at6native12_GLOBAL__N_19NonZeroOpIN3c104HalfEEEPKSK_lEENS0_5tupleIJPlS6_EEENSP_IJSD_SD_EEES6_PiJS6_EEE10hipError_tPvRmT3_T4_T5_T6_T7_T9_mT8_P12ihipStream_tbDpT10_ENKUlT_T0_E_clISt17integral_constantIbLb1EES1C_IbLb0EEEEDaS18_S19_EUlS18_E_NS1_11comp_targetILNS1_3genE4ELNS1_11target_archE910ELNS1_3gpuE8ELNS1_3repE0EEENS1_30default_config_static_selectorELNS0_4arch9wavefront6targetE0EEEvT1_,@function
_ZN7rocprim17ROCPRIM_400000_NS6detail17trampoline_kernelINS0_14default_configENS1_25partition_config_selectorILNS1_17partition_subalgoE5ElNS0_10empty_typeEbEEZZNS1_14partition_implILS5_5ELb0ES3_mN6hipcub16HIPCUB_304000_NS21CountingInputIteratorIllEEPS6_NSA_22TransformInputIteratorIbN2at6native12_GLOBAL__N_19NonZeroOpIN3c104HalfEEEPKSK_lEENS0_5tupleIJPlS6_EEENSP_IJSD_SD_EEES6_PiJS6_EEE10hipError_tPvRmT3_T4_T5_T6_T7_T9_mT8_P12ihipStream_tbDpT10_ENKUlT_T0_E_clISt17integral_constantIbLb1EES1C_IbLb0EEEEDaS18_S19_EUlS18_E_NS1_11comp_targetILNS1_3genE4ELNS1_11target_archE910ELNS1_3gpuE8ELNS1_3repE0EEENS1_30default_config_static_selectorELNS0_4arch9wavefront6targetE0EEEvT1_: ; @_ZN7rocprim17ROCPRIM_400000_NS6detail17trampoline_kernelINS0_14default_configENS1_25partition_config_selectorILNS1_17partition_subalgoE5ElNS0_10empty_typeEbEEZZNS1_14partition_implILS5_5ELb0ES3_mN6hipcub16HIPCUB_304000_NS21CountingInputIteratorIllEEPS6_NSA_22TransformInputIteratorIbN2at6native12_GLOBAL__N_19NonZeroOpIN3c104HalfEEEPKSK_lEENS0_5tupleIJPlS6_EEENSP_IJSD_SD_EEES6_PiJS6_EEE10hipError_tPvRmT3_T4_T5_T6_T7_T9_mT8_P12ihipStream_tbDpT10_ENKUlT_T0_E_clISt17integral_constantIbLb1EES1C_IbLb0EEEEDaS18_S19_EUlS18_E_NS1_11comp_targetILNS1_3genE4ELNS1_11target_archE910ELNS1_3gpuE8ELNS1_3repE0EEENS1_30default_config_static_selectorELNS0_4arch9wavefront6targetE0EEEvT1_
; %bb.0:
	.section	.rodata,"a",@progbits
	.p2align	6, 0x0
	.amdhsa_kernel _ZN7rocprim17ROCPRIM_400000_NS6detail17trampoline_kernelINS0_14default_configENS1_25partition_config_selectorILNS1_17partition_subalgoE5ElNS0_10empty_typeEbEEZZNS1_14partition_implILS5_5ELb0ES3_mN6hipcub16HIPCUB_304000_NS21CountingInputIteratorIllEEPS6_NSA_22TransformInputIteratorIbN2at6native12_GLOBAL__N_19NonZeroOpIN3c104HalfEEEPKSK_lEENS0_5tupleIJPlS6_EEENSP_IJSD_SD_EEES6_PiJS6_EEE10hipError_tPvRmT3_T4_T5_T6_T7_T9_mT8_P12ihipStream_tbDpT10_ENKUlT_T0_E_clISt17integral_constantIbLb1EES1C_IbLb0EEEEDaS18_S19_EUlS18_E_NS1_11comp_targetILNS1_3genE4ELNS1_11target_archE910ELNS1_3gpuE8ELNS1_3repE0EEENS1_30default_config_static_selectorELNS0_4arch9wavefront6targetE0EEEvT1_
		.amdhsa_group_segment_fixed_size 0
		.amdhsa_private_segment_fixed_size 0
		.amdhsa_kernarg_size 120
		.amdhsa_user_sgpr_count 15
		.amdhsa_user_sgpr_dispatch_ptr 0
		.amdhsa_user_sgpr_queue_ptr 0
		.amdhsa_user_sgpr_kernarg_segment_ptr 1
		.amdhsa_user_sgpr_dispatch_id 0
		.amdhsa_user_sgpr_private_segment_size 0
		.amdhsa_wavefront_size32 1
		.amdhsa_uses_dynamic_stack 0
		.amdhsa_enable_private_segment 0
		.amdhsa_system_sgpr_workgroup_id_x 1
		.amdhsa_system_sgpr_workgroup_id_y 0
		.amdhsa_system_sgpr_workgroup_id_z 0
		.amdhsa_system_sgpr_workgroup_info 0
		.amdhsa_system_vgpr_workitem_id 0
		.amdhsa_next_free_vgpr 1
		.amdhsa_next_free_sgpr 1
		.amdhsa_reserve_vcc 0
		.amdhsa_float_round_mode_32 0
		.amdhsa_float_round_mode_16_64 0
		.amdhsa_float_denorm_mode_32 3
		.amdhsa_float_denorm_mode_16_64 3
		.amdhsa_dx10_clamp 1
		.amdhsa_ieee_mode 1
		.amdhsa_fp16_overflow 0
		.amdhsa_workgroup_processor_mode 1
		.amdhsa_memory_ordered 1
		.amdhsa_forward_progress 0
		.amdhsa_shared_vgpr_count 0
		.amdhsa_exception_fp_ieee_invalid_op 0
		.amdhsa_exception_fp_denorm_src 0
		.amdhsa_exception_fp_ieee_div_zero 0
		.amdhsa_exception_fp_ieee_overflow 0
		.amdhsa_exception_fp_ieee_underflow 0
		.amdhsa_exception_fp_ieee_inexact 0
		.amdhsa_exception_int_div_zero 0
	.end_amdhsa_kernel
	.section	.text._ZN7rocprim17ROCPRIM_400000_NS6detail17trampoline_kernelINS0_14default_configENS1_25partition_config_selectorILNS1_17partition_subalgoE5ElNS0_10empty_typeEbEEZZNS1_14partition_implILS5_5ELb0ES3_mN6hipcub16HIPCUB_304000_NS21CountingInputIteratorIllEEPS6_NSA_22TransformInputIteratorIbN2at6native12_GLOBAL__N_19NonZeroOpIN3c104HalfEEEPKSK_lEENS0_5tupleIJPlS6_EEENSP_IJSD_SD_EEES6_PiJS6_EEE10hipError_tPvRmT3_T4_T5_T6_T7_T9_mT8_P12ihipStream_tbDpT10_ENKUlT_T0_E_clISt17integral_constantIbLb1EES1C_IbLb0EEEEDaS18_S19_EUlS18_E_NS1_11comp_targetILNS1_3genE4ELNS1_11target_archE910ELNS1_3gpuE8ELNS1_3repE0EEENS1_30default_config_static_selectorELNS0_4arch9wavefront6targetE0EEEvT1_,"axG",@progbits,_ZN7rocprim17ROCPRIM_400000_NS6detail17trampoline_kernelINS0_14default_configENS1_25partition_config_selectorILNS1_17partition_subalgoE5ElNS0_10empty_typeEbEEZZNS1_14partition_implILS5_5ELb0ES3_mN6hipcub16HIPCUB_304000_NS21CountingInputIteratorIllEEPS6_NSA_22TransformInputIteratorIbN2at6native12_GLOBAL__N_19NonZeroOpIN3c104HalfEEEPKSK_lEENS0_5tupleIJPlS6_EEENSP_IJSD_SD_EEES6_PiJS6_EEE10hipError_tPvRmT3_T4_T5_T6_T7_T9_mT8_P12ihipStream_tbDpT10_ENKUlT_T0_E_clISt17integral_constantIbLb1EES1C_IbLb0EEEEDaS18_S19_EUlS18_E_NS1_11comp_targetILNS1_3genE4ELNS1_11target_archE910ELNS1_3gpuE8ELNS1_3repE0EEENS1_30default_config_static_selectorELNS0_4arch9wavefront6targetE0EEEvT1_,comdat
.Lfunc_end884:
	.size	_ZN7rocprim17ROCPRIM_400000_NS6detail17trampoline_kernelINS0_14default_configENS1_25partition_config_selectorILNS1_17partition_subalgoE5ElNS0_10empty_typeEbEEZZNS1_14partition_implILS5_5ELb0ES3_mN6hipcub16HIPCUB_304000_NS21CountingInputIteratorIllEEPS6_NSA_22TransformInputIteratorIbN2at6native12_GLOBAL__N_19NonZeroOpIN3c104HalfEEEPKSK_lEENS0_5tupleIJPlS6_EEENSP_IJSD_SD_EEES6_PiJS6_EEE10hipError_tPvRmT3_T4_T5_T6_T7_T9_mT8_P12ihipStream_tbDpT10_ENKUlT_T0_E_clISt17integral_constantIbLb1EES1C_IbLb0EEEEDaS18_S19_EUlS18_E_NS1_11comp_targetILNS1_3genE4ELNS1_11target_archE910ELNS1_3gpuE8ELNS1_3repE0EEENS1_30default_config_static_selectorELNS0_4arch9wavefront6targetE0EEEvT1_, .Lfunc_end884-_ZN7rocprim17ROCPRIM_400000_NS6detail17trampoline_kernelINS0_14default_configENS1_25partition_config_selectorILNS1_17partition_subalgoE5ElNS0_10empty_typeEbEEZZNS1_14partition_implILS5_5ELb0ES3_mN6hipcub16HIPCUB_304000_NS21CountingInputIteratorIllEEPS6_NSA_22TransformInputIteratorIbN2at6native12_GLOBAL__N_19NonZeroOpIN3c104HalfEEEPKSK_lEENS0_5tupleIJPlS6_EEENSP_IJSD_SD_EEES6_PiJS6_EEE10hipError_tPvRmT3_T4_T5_T6_T7_T9_mT8_P12ihipStream_tbDpT10_ENKUlT_T0_E_clISt17integral_constantIbLb1EES1C_IbLb0EEEEDaS18_S19_EUlS18_E_NS1_11comp_targetILNS1_3genE4ELNS1_11target_archE910ELNS1_3gpuE8ELNS1_3repE0EEENS1_30default_config_static_selectorELNS0_4arch9wavefront6targetE0EEEvT1_
                                        ; -- End function
	.section	.AMDGPU.csdata,"",@progbits
; Kernel info:
; codeLenInByte = 0
; NumSgprs: 0
; NumVgprs: 0
; ScratchSize: 0
; MemoryBound: 0
; FloatMode: 240
; IeeeMode: 1
; LDSByteSize: 0 bytes/workgroup (compile time only)
; SGPRBlocks: 0
; VGPRBlocks: 0
; NumSGPRsForWavesPerEU: 1
; NumVGPRsForWavesPerEU: 1
; Occupancy: 15
; WaveLimiterHint : 0
; COMPUTE_PGM_RSRC2:SCRATCH_EN: 0
; COMPUTE_PGM_RSRC2:USER_SGPR: 15
; COMPUTE_PGM_RSRC2:TRAP_HANDLER: 0
; COMPUTE_PGM_RSRC2:TGID_X_EN: 1
; COMPUTE_PGM_RSRC2:TGID_Y_EN: 0
; COMPUTE_PGM_RSRC2:TGID_Z_EN: 0
; COMPUTE_PGM_RSRC2:TIDIG_COMP_CNT: 0
	.section	.text._ZN7rocprim17ROCPRIM_400000_NS6detail17trampoline_kernelINS0_14default_configENS1_25partition_config_selectorILNS1_17partition_subalgoE5ElNS0_10empty_typeEbEEZZNS1_14partition_implILS5_5ELb0ES3_mN6hipcub16HIPCUB_304000_NS21CountingInputIteratorIllEEPS6_NSA_22TransformInputIteratorIbN2at6native12_GLOBAL__N_19NonZeroOpIN3c104HalfEEEPKSK_lEENS0_5tupleIJPlS6_EEENSP_IJSD_SD_EEES6_PiJS6_EEE10hipError_tPvRmT3_T4_T5_T6_T7_T9_mT8_P12ihipStream_tbDpT10_ENKUlT_T0_E_clISt17integral_constantIbLb1EES1C_IbLb0EEEEDaS18_S19_EUlS18_E_NS1_11comp_targetILNS1_3genE3ELNS1_11target_archE908ELNS1_3gpuE7ELNS1_3repE0EEENS1_30default_config_static_selectorELNS0_4arch9wavefront6targetE0EEEvT1_,"axG",@progbits,_ZN7rocprim17ROCPRIM_400000_NS6detail17trampoline_kernelINS0_14default_configENS1_25partition_config_selectorILNS1_17partition_subalgoE5ElNS0_10empty_typeEbEEZZNS1_14partition_implILS5_5ELb0ES3_mN6hipcub16HIPCUB_304000_NS21CountingInputIteratorIllEEPS6_NSA_22TransformInputIteratorIbN2at6native12_GLOBAL__N_19NonZeroOpIN3c104HalfEEEPKSK_lEENS0_5tupleIJPlS6_EEENSP_IJSD_SD_EEES6_PiJS6_EEE10hipError_tPvRmT3_T4_T5_T6_T7_T9_mT8_P12ihipStream_tbDpT10_ENKUlT_T0_E_clISt17integral_constantIbLb1EES1C_IbLb0EEEEDaS18_S19_EUlS18_E_NS1_11comp_targetILNS1_3genE3ELNS1_11target_archE908ELNS1_3gpuE7ELNS1_3repE0EEENS1_30default_config_static_selectorELNS0_4arch9wavefront6targetE0EEEvT1_,comdat
	.globl	_ZN7rocprim17ROCPRIM_400000_NS6detail17trampoline_kernelINS0_14default_configENS1_25partition_config_selectorILNS1_17partition_subalgoE5ElNS0_10empty_typeEbEEZZNS1_14partition_implILS5_5ELb0ES3_mN6hipcub16HIPCUB_304000_NS21CountingInputIteratorIllEEPS6_NSA_22TransformInputIteratorIbN2at6native12_GLOBAL__N_19NonZeroOpIN3c104HalfEEEPKSK_lEENS0_5tupleIJPlS6_EEENSP_IJSD_SD_EEES6_PiJS6_EEE10hipError_tPvRmT3_T4_T5_T6_T7_T9_mT8_P12ihipStream_tbDpT10_ENKUlT_T0_E_clISt17integral_constantIbLb1EES1C_IbLb0EEEEDaS18_S19_EUlS18_E_NS1_11comp_targetILNS1_3genE3ELNS1_11target_archE908ELNS1_3gpuE7ELNS1_3repE0EEENS1_30default_config_static_selectorELNS0_4arch9wavefront6targetE0EEEvT1_ ; -- Begin function _ZN7rocprim17ROCPRIM_400000_NS6detail17trampoline_kernelINS0_14default_configENS1_25partition_config_selectorILNS1_17partition_subalgoE5ElNS0_10empty_typeEbEEZZNS1_14partition_implILS5_5ELb0ES3_mN6hipcub16HIPCUB_304000_NS21CountingInputIteratorIllEEPS6_NSA_22TransformInputIteratorIbN2at6native12_GLOBAL__N_19NonZeroOpIN3c104HalfEEEPKSK_lEENS0_5tupleIJPlS6_EEENSP_IJSD_SD_EEES6_PiJS6_EEE10hipError_tPvRmT3_T4_T5_T6_T7_T9_mT8_P12ihipStream_tbDpT10_ENKUlT_T0_E_clISt17integral_constantIbLb1EES1C_IbLb0EEEEDaS18_S19_EUlS18_E_NS1_11comp_targetILNS1_3genE3ELNS1_11target_archE908ELNS1_3gpuE7ELNS1_3repE0EEENS1_30default_config_static_selectorELNS0_4arch9wavefront6targetE0EEEvT1_
	.p2align	8
	.type	_ZN7rocprim17ROCPRIM_400000_NS6detail17trampoline_kernelINS0_14default_configENS1_25partition_config_selectorILNS1_17partition_subalgoE5ElNS0_10empty_typeEbEEZZNS1_14partition_implILS5_5ELb0ES3_mN6hipcub16HIPCUB_304000_NS21CountingInputIteratorIllEEPS6_NSA_22TransformInputIteratorIbN2at6native12_GLOBAL__N_19NonZeroOpIN3c104HalfEEEPKSK_lEENS0_5tupleIJPlS6_EEENSP_IJSD_SD_EEES6_PiJS6_EEE10hipError_tPvRmT3_T4_T5_T6_T7_T9_mT8_P12ihipStream_tbDpT10_ENKUlT_T0_E_clISt17integral_constantIbLb1EES1C_IbLb0EEEEDaS18_S19_EUlS18_E_NS1_11comp_targetILNS1_3genE3ELNS1_11target_archE908ELNS1_3gpuE7ELNS1_3repE0EEENS1_30default_config_static_selectorELNS0_4arch9wavefront6targetE0EEEvT1_,@function
_ZN7rocprim17ROCPRIM_400000_NS6detail17trampoline_kernelINS0_14default_configENS1_25partition_config_selectorILNS1_17partition_subalgoE5ElNS0_10empty_typeEbEEZZNS1_14partition_implILS5_5ELb0ES3_mN6hipcub16HIPCUB_304000_NS21CountingInputIteratorIllEEPS6_NSA_22TransformInputIteratorIbN2at6native12_GLOBAL__N_19NonZeroOpIN3c104HalfEEEPKSK_lEENS0_5tupleIJPlS6_EEENSP_IJSD_SD_EEES6_PiJS6_EEE10hipError_tPvRmT3_T4_T5_T6_T7_T9_mT8_P12ihipStream_tbDpT10_ENKUlT_T0_E_clISt17integral_constantIbLb1EES1C_IbLb0EEEEDaS18_S19_EUlS18_E_NS1_11comp_targetILNS1_3genE3ELNS1_11target_archE908ELNS1_3gpuE7ELNS1_3repE0EEENS1_30default_config_static_selectorELNS0_4arch9wavefront6targetE0EEEvT1_: ; @_ZN7rocprim17ROCPRIM_400000_NS6detail17trampoline_kernelINS0_14default_configENS1_25partition_config_selectorILNS1_17partition_subalgoE5ElNS0_10empty_typeEbEEZZNS1_14partition_implILS5_5ELb0ES3_mN6hipcub16HIPCUB_304000_NS21CountingInputIteratorIllEEPS6_NSA_22TransformInputIteratorIbN2at6native12_GLOBAL__N_19NonZeroOpIN3c104HalfEEEPKSK_lEENS0_5tupleIJPlS6_EEENSP_IJSD_SD_EEES6_PiJS6_EEE10hipError_tPvRmT3_T4_T5_T6_T7_T9_mT8_P12ihipStream_tbDpT10_ENKUlT_T0_E_clISt17integral_constantIbLb1EES1C_IbLb0EEEEDaS18_S19_EUlS18_E_NS1_11comp_targetILNS1_3genE3ELNS1_11target_archE908ELNS1_3gpuE7ELNS1_3repE0EEENS1_30default_config_static_selectorELNS0_4arch9wavefront6targetE0EEEvT1_
; %bb.0:
	.section	.rodata,"a",@progbits
	.p2align	6, 0x0
	.amdhsa_kernel _ZN7rocprim17ROCPRIM_400000_NS6detail17trampoline_kernelINS0_14default_configENS1_25partition_config_selectorILNS1_17partition_subalgoE5ElNS0_10empty_typeEbEEZZNS1_14partition_implILS5_5ELb0ES3_mN6hipcub16HIPCUB_304000_NS21CountingInputIteratorIllEEPS6_NSA_22TransformInputIteratorIbN2at6native12_GLOBAL__N_19NonZeroOpIN3c104HalfEEEPKSK_lEENS0_5tupleIJPlS6_EEENSP_IJSD_SD_EEES6_PiJS6_EEE10hipError_tPvRmT3_T4_T5_T6_T7_T9_mT8_P12ihipStream_tbDpT10_ENKUlT_T0_E_clISt17integral_constantIbLb1EES1C_IbLb0EEEEDaS18_S19_EUlS18_E_NS1_11comp_targetILNS1_3genE3ELNS1_11target_archE908ELNS1_3gpuE7ELNS1_3repE0EEENS1_30default_config_static_selectorELNS0_4arch9wavefront6targetE0EEEvT1_
		.amdhsa_group_segment_fixed_size 0
		.amdhsa_private_segment_fixed_size 0
		.amdhsa_kernarg_size 120
		.amdhsa_user_sgpr_count 15
		.amdhsa_user_sgpr_dispatch_ptr 0
		.amdhsa_user_sgpr_queue_ptr 0
		.amdhsa_user_sgpr_kernarg_segment_ptr 1
		.amdhsa_user_sgpr_dispatch_id 0
		.amdhsa_user_sgpr_private_segment_size 0
		.amdhsa_wavefront_size32 1
		.amdhsa_uses_dynamic_stack 0
		.amdhsa_enable_private_segment 0
		.amdhsa_system_sgpr_workgroup_id_x 1
		.amdhsa_system_sgpr_workgroup_id_y 0
		.amdhsa_system_sgpr_workgroup_id_z 0
		.amdhsa_system_sgpr_workgroup_info 0
		.amdhsa_system_vgpr_workitem_id 0
		.amdhsa_next_free_vgpr 1
		.amdhsa_next_free_sgpr 1
		.amdhsa_reserve_vcc 0
		.amdhsa_float_round_mode_32 0
		.amdhsa_float_round_mode_16_64 0
		.amdhsa_float_denorm_mode_32 3
		.amdhsa_float_denorm_mode_16_64 3
		.amdhsa_dx10_clamp 1
		.amdhsa_ieee_mode 1
		.amdhsa_fp16_overflow 0
		.amdhsa_workgroup_processor_mode 1
		.amdhsa_memory_ordered 1
		.amdhsa_forward_progress 0
		.amdhsa_shared_vgpr_count 0
		.amdhsa_exception_fp_ieee_invalid_op 0
		.amdhsa_exception_fp_denorm_src 0
		.amdhsa_exception_fp_ieee_div_zero 0
		.amdhsa_exception_fp_ieee_overflow 0
		.amdhsa_exception_fp_ieee_underflow 0
		.amdhsa_exception_fp_ieee_inexact 0
		.amdhsa_exception_int_div_zero 0
	.end_amdhsa_kernel
	.section	.text._ZN7rocprim17ROCPRIM_400000_NS6detail17trampoline_kernelINS0_14default_configENS1_25partition_config_selectorILNS1_17partition_subalgoE5ElNS0_10empty_typeEbEEZZNS1_14partition_implILS5_5ELb0ES3_mN6hipcub16HIPCUB_304000_NS21CountingInputIteratorIllEEPS6_NSA_22TransformInputIteratorIbN2at6native12_GLOBAL__N_19NonZeroOpIN3c104HalfEEEPKSK_lEENS0_5tupleIJPlS6_EEENSP_IJSD_SD_EEES6_PiJS6_EEE10hipError_tPvRmT3_T4_T5_T6_T7_T9_mT8_P12ihipStream_tbDpT10_ENKUlT_T0_E_clISt17integral_constantIbLb1EES1C_IbLb0EEEEDaS18_S19_EUlS18_E_NS1_11comp_targetILNS1_3genE3ELNS1_11target_archE908ELNS1_3gpuE7ELNS1_3repE0EEENS1_30default_config_static_selectorELNS0_4arch9wavefront6targetE0EEEvT1_,"axG",@progbits,_ZN7rocprim17ROCPRIM_400000_NS6detail17trampoline_kernelINS0_14default_configENS1_25partition_config_selectorILNS1_17partition_subalgoE5ElNS0_10empty_typeEbEEZZNS1_14partition_implILS5_5ELb0ES3_mN6hipcub16HIPCUB_304000_NS21CountingInputIteratorIllEEPS6_NSA_22TransformInputIteratorIbN2at6native12_GLOBAL__N_19NonZeroOpIN3c104HalfEEEPKSK_lEENS0_5tupleIJPlS6_EEENSP_IJSD_SD_EEES6_PiJS6_EEE10hipError_tPvRmT3_T4_T5_T6_T7_T9_mT8_P12ihipStream_tbDpT10_ENKUlT_T0_E_clISt17integral_constantIbLb1EES1C_IbLb0EEEEDaS18_S19_EUlS18_E_NS1_11comp_targetILNS1_3genE3ELNS1_11target_archE908ELNS1_3gpuE7ELNS1_3repE0EEENS1_30default_config_static_selectorELNS0_4arch9wavefront6targetE0EEEvT1_,comdat
.Lfunc_end885:
	.size	_ZN7rocprim17ROCPRIM_400000_NS6detail17trampoline_kernelINS0_14default_configENS1_25partition_config_selectorILNS1_17partition_subalgoE5ElNS0_10empty_typeEbEEZZNS1_14partition_implILS5_5ELb0ES3_mN6hipcub16HIPCUB_304000_NS21CountingInputIteratorIllEEPS6_NSA_22TransformInputIteratorIbN2at6native12_GLOBAL__N_19NonZeroOpIN3c104HalfEEEPKSK_lEENS0_5tupleIJPlS6_EEENSP_IJSD_SD_EEES6_PiJS6_EEE10hipError_tPvRmT3_T4_T5_T6_T7_T9_mT8_P12ihipStream_tbDpT10_ENKUlT_T0_E_clISt17integral_constantIbLb1EES1C_IbLb0EEEEDaS18_S19_EUlS18_E_NS1_11comp_targetILNS1_3genE3ELNS1_11target_archE908ELNS1_3gpuE7ELNS1_3repE0EEENS1_30default_config_static_selectorELNS0_4arch9wavefront6targetE0EEEvT1_, .Lfunc_end885-_ZN7rocprim17ROCPRIM_400000_NS6detail17trampoline_kernelINS0_14default_configENS1_25partition_config_selectorILNS1_17partition_subalgoE5ElNS0_10empty_typeEbEEZZNS1_14partition_implILS5_5ELb0ES3_mN6hipcub16HIPCUB_304000_NS21CountingInputIteratorIllEEPS6_NSA_22TransformInputIteratorIbN2at6native12_GLOBAL__N_19NonZeroOpIN3c104HalfEEEPKSK_lEENS0_5tupleIJPlS6_EEENSP_IJSD_SD_EEES6_PiJS6_EEE10hipError_tPvRmT3_T4_T5_T6_T7_T9_mT8_P12ihipStream_tbDpT10_ENKUlT_T0_E_clISt17integral_constantIbLb1EES1C_IbLb0EEEEDaS18_S19_EUlS18_E_NS1_11comp_targetILNS1_3genE3ELNS1_11target_archE908ELNS1_3gpuE7ELNS1_3repE0EEENS1_30default_config_static_selectorELNS0_4arch9wavefront6targetE0EEEvT1_
                                        ; -- End function
	.section	.AMDGPU.csdata,"",@progbits
; Kernel info:
; codeLenInByte = 0
; NumSgprs: 0
; NumVgprs: 0
; ScratchSize: 0
; MemoryBound: 0
; FloatMode: 240
; IeeeMode: 1
; LDSByteSize: 0 bytes/workgroup (compile time only)
; SGPRBlocks: 0
; VGPRBlocks: 0
; NumSGPRsForWavesPerEU: 1
; NumVGPRsForWavesPerEU: 1
; Occupancy: 16
; WaveLimiterHint : 0
; COMPUTE_PGM_RSRC2:SCRATCH_EN: 0
; COMPUTE_PGM_RSRC2:USER_SGPR: 15
; COMPUTE_PGM_RSRC2:TRAP_HANDLER: 0
; COMPUTE_PGM_RSRC2:TGID_X_EN: 1
; COMPUTE_PGM_RSRC2:TGID_Y_EN: 0
; COMPUTE_PGM_RSRC2:TGID_Z_EN: 0
; COMPUTE_PGM_RSRC2:TIDIG_COMP_CNT: 0
	.section	.text._ZN7rocprim17ROCPRIM_400000_NS6detail17trampoline_kernelINS0_14default_configENS1_25partition_config_selectorILNS1_17partition_subalgoE5ElNS0_10empty_typeEbEEZZNS1_14partition_implILS5_5ELb0ES3_mN6hipcub16HIPCUB_304000_NS21CountingInputIteratorIllEEPS6_NSA_22TransformInputIteratorIbN2at6native12_GLOBAL__N_19NonZeroOpIN3c104HalfEEEPKSK_lEENS0_5tupleIJPlS6_EEENSP_IJSD_SD_EEES6_PiJS6_EEE10hipError_tPvRmT3_T4_T5_T6_T7_T9_mT8_P12ihipStream_tbDpT10_ENKUlT_T0_E_clISt17integral_constantIbLb1EES1C_IbLb0EEEEDaS18_S19_EUlS18_E_NS1_11comp_targetILNS1_3genE2ELNS1_11target_archE906ELNS1_3gpuE6ELNS1_3repE0EEENS1_30default_config_static_selectorELNS0_4arch9wavefront6targetE0EEEvT1_,"axG",@progbits,_ZN7rocprim17ROCPRIM_400000_NS6detail17trampoline_kernelINS0_14default_configENS1_25partition_config_selectorILNS1_17partition_subalgoE5ElNS0_10empty_typeEbEEZZNS1_14partition_implILS5_5ELb0ES3_mN6hipcub16HIPCUB_304000_NS21CountingInputIteratorIllEEPS6_NSA_22TransformInputIteratorIbN2at6native12_GLOBAL__N_19NonZeroOpIN3c104HalfEEEPKSK_lEENS0_5tupleIJPlS6_EEENSP_IJSD_SD_EEES6_PiJS6_EEE10hipError_tPvRmT3_T4_T5_T6_T7_T9_mT8_P12ihipStream_tbDpT10_ENKUlT_T0_E_clISt17integral_constantIbLb1EES1C_IbLb0EEEEDaS18_S19_EUlS18_E_NS1_11comp_targetILNS1_3genE2ELNS1_11target_archE906ELNS1_3gpuE6ELNS1_3repE0EEENS1_30default_config_static_selectorELNS0_4arch9wavefront6targetE0EEEvT1_,comdat
	.globl	_ZN7rocprim17ROCPRIM_400000_NS6detail17trampoline_kernelINS0_14default_configENS1_25partition_config_selectorILNS1_17partition_subalgoE5ElNS0_10empty_typeEbEEZZNS1_14partition_implILS5_5ELb0ES3_mN6hipcub16HIPCUB_304000_NS21CountingInputIteratorIllEEPS6_NSA_22TransformInputIteratorIbN2at6native12_GLOBAL__N_19NonZeroOpIN3c104HalfEEEPKSK_lEENS0_5tupleIJPlS6_EEENSP_IJSD_SD_EEES6_PiJS6_EEE10hipError_tPvRmT3_T4_T5_T6_T7_T9_mT8_P12ihipStream_tbDpT10_ENKUlT_T0_E_clISt17integral_constantIbLb1EES1C_IbLb0EEEEDaS18_S19_EUlS18_E_NS1_11comp_targetILNS1_3genE2ELNS1_11target_archE906ELNS1_3gpuE6ELNS1_3repE0EEENS1_30default_config_static_selectorELNS0_4arch9wavefront6targetE0EEEvT1_ ; -- Begin function _ZN7rocprim17ROCPRIM_400000_NS6detail17trampoline_kernelINS0_14default_configENS1_25partition_config_selectorILNS1_17partition_subalgoE5ElNS0_10empty_typeEbEEZZNS1_14partition_implILS5_5ELb0ES3_mN6hipcub16HIPCUB_304000_NS21CountingInputIteratorIllEEPS6_NSA_22TransformInputIteratorIbN2at6native12_GLOBAL__N_19NonZeroOpIN3c104HalfEEEPKSK_lEENS0_5tupleIJPlS6_EEENSP_IJSD_SD_EEES6_PiJS6_EEE10hipError_tPvRmT3_T4_T5_T6_T7_T9_mT8_P12ihipStream_tbDpT10_ENKUlT_T0_E_clISt17integral_constantIbLb1EES1C_IbLb0EEEEDaS18_S19_EUlS18_E_NS1_11comp_targetILNS1_3genE2ELNS1_11target_archE906ELNS1_3gpuE6ELNS1_3repE0EEENS1_30default_config_static_selectorELNS0_4arch9wavefront6targetE0EEEvT1_
	.p2align	8
	.type	_ZN7rocprim17ROCPRIM_400000_NS6detail17trampoline_kernelINS0_14default_configENS1_25partition_config_selectorILNS1_17partition_subalgoE5ElNS0_10empty_typeEbEEZZNS1_14partition_implILS5_5ELb0ES3_mN6hipcub16HIPCUB_304000_NS21CountingInputIteratorIllEEPS6_NSA_22TransformInputIteratorIbN2at6native12_GLOBAL__N_19NonZeroOpIN3c104HalfEEEPKSK_lEENS0_5tupleIJPlS6_EEENSP_IJSD_SD_EEES6_PiJS6_EEE10hipError_tPvRmT3_T4_T5_T6_T7_T9_mT8_P12ihipStream_tbDpT10_ENKUlT_T0_E_clISt17integral_constantIbLb1EES1C_IbLb0EEEEDaS18_S19_EUlS18_E_NS1_11comp_targetILNS1_3genE2ELNS1_11target_archE906ELNS1_3gpuE6ELNS1_3repE0EEENS1_30default_config_static_selectorELNS0_4arch9wavefront6targetE0EEEvT1_,@function
_ZN7rocprim17ROCPRIM_400000_NS6detail17trampoline_kernelINS0_14default_configENS1_25partition_config_selectorILNS1_17partition_subalgoE5ElNS0_10empty_typeEbEEZZNS1_14partition_implILS5_5ELb0ES3_mN6hipcub16HIPCUB_304000_NS21CountingInputIteratorIllEEPS6_NSA_22TransformInputIteratorIbN2at6native12_GLOBAL__N_19NonZeroOpIN3c104HalfEEEPKSK_lEENS0_5tupleIJPlS6_EEENSP_IJSD_SD_EEES6_PiJS6_EEE10hipError_tPvRmT3_T4_T5_T6_T7_T9_mT8_P12ihipStream_tbDpT10_ENKUlT_T0_E_clISt17integral_constantIbLb1EES1C_IbLb0EEEEDaS18_S19_EUlS18_E_NS1_11comp_targetILNS1_3genE2ELNS1_11target_archE906ELNS1_3gpuE6ELNS1_3repE0EEENS1_30default_config_static_selectorELNS0_4arch9wavefront6targetE0EEEvT1_: ; @_ZN7rocprim17ROCPRIM_400000_NS6detail17trampoline_kernelINS0_14default_configENS1_25partition_config_selectorILNS1_17partition_subalgoE5ElNS0_10empty_typeEbEEZZNS1_14partition_implILS5_5ELb0ES3_mN6hipcub16HIPCUB_304000_NS21CountingInputIteratorIllEEPS6_NSA_22TransformInputIteratorIbN2at6native12_GLOBAL__N_19NonZeroOpIN3c104HalfEEEPKSK_lEENS0_5tupleIJPlS6_EEENSP_IJSD_SD_EEES6_PiJS6_EEE10hipError_tPvRmT3_T4_T5_T6_T7_T9_mT8_P12ihipStream_tbDpT10_ENKUlT_T0_E_clISt17integral_constantIbLb1EES1C_IbLb0EEEEDaS18_S19_EUlS18_E_NS1_11comp_targetILNS1_3genE2ELNS1_11target_archE906ELNS1_3gpuE6ELNS1_3repE0EEENS1_30default_config_static_selectorELNS0_4arch9wavefront6targetE0EEEvT1_
; %bb.0:
	.section	.rodata,"a",@progbits
	.p2align	6, 0x0
	.amdhsa_kernel _ZN7rocprim17ROCPRIM_400000_NS6detail17trampoline_kernelINS0_14default_configENS1_25partition_config_selectorILNS1_17partition_subalgoE5ElNS0_10empty_typeEbEEZZNS1_14partition_implILS5_5ELb0ES3_mN6hipcub16HIPCUB_304000_NS21CountingInputIteratorIllEEPS6_NSA_22TransformInputIteratorIbN2at6native12_GLOBAL__N_19NonZeroOpIN3c104HalfEEEPKSK_lEENS0_5tupleIJPlS6_EEENSP_IJSD_SD_EEES6_PiJS6_EEE10hipError_tPvRmT3_T4_T5_T6_T7_T9_mT8_P12ihipStream_tbDpT10_ENKUlT_T0_E_clISt17integral_constantIbLb1EES1C_IbLb0EEEEDaS18_S19_EUlS18_E_NS1_11comp_targetILNS1_3genE2ELNS1_11target_archE906ELNS1_3gpuE6ELNS1_3repE0EEENS1_30default_config_static_selectorELNS0_4arch9wavefront6targetE0EEEvT1_
		.amdhsa_group_segment_fixed_size 0
		.amdhsa_private_segment_fixed_size 0
		.amdhsa_kernarg_size 120
		.amdhsa_user_sgpr_count 15
		.amdhsa_user_sgpr_dispatch_ptr 0
		.amdhsa_user_sgpr_queue_ptr 0
		.amdhsa_user_sgpr_kernarg_segment_ptr 1
		.amdhsa_user_sgpr_dispatch_id 0
		.amdhsa_user_sgpr_private_segment_size 0
		.amdhsa_wavefront_size32 1
		.amdhsa_uses_dynamic_stack 0
		.amdhsa_enable_private_segment 0
		.amdhsa_system_sgpr_workgroup_id_x 1
		.amdhsa_system_sgpr_workgroup_id_y 0
		.amdhsa_system_sgpr_workgroup_id_z 0
		.amdhsa_system_sgpr_workgroup_info 0
		.amdhsa_system_vgpr_workitem_id 0
		.amdhsa_next_free_vgpr 1
		.amdhsa_next_free_sgpr 1
		.amdhsa_reserve_vcc 0
		.amdhsa_float_round_mode_32 0
		.amdhsa_float_round_mode_16_64 0
		.amdhsa_float_denorm_mode_32 3
		.amdhsa_float_denorm_mode_16_64 3
		.amdhsa_dx10_clamp 1
		.amdhsa_ieee_mode 1
		.amdhsa_fp16_overflow 0
		.amdhsa_workgroup_processor_mode 1
		.amdhsa_memory_ordered 1
		.amdhsa_forward_progress 0
		.amdhsa_shared_vgpr_count 0
		.amdhsa_exception_fp_ieee_invalid_op 0
		.amdhsa_exception_fp_denorm_src 0
		.amdhsa_exception_fp_ieee_div_zero 0
		.amdhsa_exception_fp_ieee_overflow 0
		.amdhsa_exception_fp_ieee_underflow 0
		.amdhsa_exception_fp_ieee_inexact 0
		.amdhsa_exception_int_div_zero 0
	.end_amdhsa_kernel
	.section	.text._ZN7rocprim17ROCPRIM_400000_NS6detail17trampoline_kernelINS0_14default_configENS1_25partition_config_selectorILNS1_17partition_subalgoE5ElNS0_10empty_typeEbEEZZNS1_14partition_implILS5_5ELb0ES3_mN6hipcub16HIPCUB_304000_NS21CountingInputIteratorIllEEPS6_NSA_22TransformInputIteratorIbN2at6native12_GLOBAL__N_19NonZeroOpIN3c104HalfEEEPKSK_lEENS0_5tupleIJPlS6_EEENSP_IJSD_SD_EEES6_PiJS6_EEE10hipError_tPvRmT3_T4_T5_T6_T7_T9_mT8_P12ihipStream_tbDpT10_ENKUlT_T0_E_clISt17integral_constantIbLb1EES1C_IbLb0EEEEDaS18_S19_EUlS18_E_NS1_11comp_targetILNS1_3genE2ELNS1_11target_archE906ELNS1_3gpuE6ELNS1_3repE0EEENS1_30default_config_static_selectorELNS0_4arch9wavefront6targetE0EEEvT1_,"axG",@progbits,_ZN7rocprim17ROCPRIM_400000_NS6detail17trampoline_kernelINS0_14default_configENS1_25partition_config_selectorILNS1_17partition_subalgoE5ElNS0_10empty_typeEbEEZZNS1_14partition_implILS5_5ELb0ES3_mN6hipcub16HIPCUB_304000_NS21CountingInputIteratorIllEEPS6_NSA_22TransformInputIteratorIbN2at6native12_GLOBAL__N_19NonZeroOpIN3c104HalfEEEPKSK_lEENS0_5tupleIJPlS6_EEENSP_IJSD_SD_EEES6_PiJS6_EEE10hipError_tPvRmT3_T4_T5_T6_T7_T9_mT8_P12ihipStream_tbDpT10_ENKUlT_T0_E_clISt17integral_constantIbLb1EES1C_IbLb0EEEEDaS18_S19_EUlS18_E_NS1_11comp_targetILNS1_3genE2ELNS1_11target_archE906ELNS1_3gpuE6ELNS1_3repE0EEENS1_30default_config_static_selectorELNS0_4arch9wavefront6targetE0EEEvT1_,comdat
.Lfunc_end886:
	.size	_ZN7rocprim17ROCPRIM_400000_NS6detail17trampoline_kernelINS0_14default_configENS1_25partition_config_selectorILNS1_17partition_subalgoE5ElNS0_10empty_typeEbEEZZNS1_14partition_implILS5_5ELb0ES3_mN6hipcub16HIPCUB_304000_NS21CountingInputIteratorIllEEPS6_NSA_22TransformInputIteratorIbN2at6native12_GLOBAL__N_19NonZeroOpIN3c104HalfEEEPKSK_lEENS0_5tupleIJPlS6_EEENSP_IJSD_SD_EEES6_PiJS6_EEE10hipError_tPvRmT3_T4_T5_T6_T7_T9_mT8_P12ihipStream_tbDpT10_ENKUlT_T0_E_clISt17integral_constantIbLb1EES1C_IbLb0EEEEDaS18_S19_EUlS18_E_NS1_11comp_targetILNS1_3genE2ELNS1_11target_archE906ELNS1_3gpuE6ELNS1_3repE0EEENS1_30default_config_static_selectorELNS0_4arch9wavefront6targetE0EEEvT1_, .Lfunc_end886-_ZN7rocprim17ROCPRIM_400000_NS6detail17trampoline_kernelINS0_14default_configENS1_25partition_config_selectorILNS1_17partition_subalgoE5ElNS0_10empty_typeEbEEZZNS1_14partition_implILS5_5ELb0ES3_mN6hipcub16HIPCUB_304000_NS21CountingInputIteratorIllEEPS6_NSA_22TransformInputIteratorIbN2at6native12_GLOBAL__N_19NonZeroOpIN3c104HalfEEEPKSK_lEENS0_5tupleIJPlS6_EEENSP_IJSD_SD_EEES6_PiJS6_EEE10hipError_tPvRmT3_T4_T5_T6_T7_T9_mT8_P12ihipStream_tbDpT10_ENKUlT_T0_E_clISt17integral_constantIbLb1EES1C_IbLb0EEEEDaS18_S19_EUlS18_E_NS1_11comp_targetILNS1_3genE2ELNS1_11target_archE906ELNS1_3gpuE6ELNS1_3repE0EEENS1_30default_config_static_selectorELNS0_4arch9wavefront6targetE0EEEvT1_
                                        ; -- End function
	.section	.AMDGPU.csdata,"",@progbits
; Kernel info:
; codeLenInByte = 0
; NumSgprs: 0
; NumVgprs: 0
; ScratchSize: 0
; MemoryBound: 0
; FloatMode: 240
; IeeeMode: 1
; LDSByteSize: 0 bytes/workgroup (compile time only)
; SGPRBlocks: 0
; VGPRBlocks: 0
; NumSGPRsForWavesPerEU: 1
; NumVGPRsForWavesPerEU: 1
; Occupancy: 16
; WaveLimiterHint : 0
; COMPUTE_PGM_RSRC2:SCRATCH_EN: 0
; COMPUTE_PGM_RSRC2:USER_SGPR: 15
; COMPUTE_PGM_RSRC2:TRAP_HANDLER: 0
; COMPUTE_PGM_RSRC2:TGID_X_EN: 1
; COMPUTE_PGM_RSRC2:TGID_Y_EN: 0
; COMPUTE_PGM_RSRC2:TGID_Z_EN: 0
; COMPUTE_PGM_RSRC2:TIDIG_COMP_CNT: 0
	.section	.text._ZN7rocprim17ROCPRIM_400000_NS6detail17trampoline_kernelINS0_14default_configENS1_25partition_config_selectorILNS1_17partition_subalgoE5ElNS0_10empty_typeEbEEZZNS1_14partition_implILS5_5ELb0ES3_mN6hipcub16HIPCUB_304000_NS21CountingInputIteratorIllEEPS6_NSA_22TransformInputIteratorIbN2at6native12_GLOBAL__N_19NonZeroOpIN3c104HalfEEEPKSK_lEENS0_5tupleIJPlS6_EEENSP_IJSD_SD_EEES6_PiJS6_EEE10hipError_tPvRmT3_T4_T5_T6_T7_T9_mT8_P12ihipStream_tbDpT10_ENKUlT_T0_E_clISt17integral_constantIbLb1EES1C_IbLb0EEEEDaS18_S19_EUlS18_E_NS1_11comp_targetILNS1_3genE10ELNS1_11target_archE1200ELNS1_3gpuE4ELNS1_3repE0EEENS1_30default_config_static_selectorELNS0_4arch9wavefront6targetE0EEEvT1_,"axG",@progbits,_ZN7rocprim17ROCPRIM_400000_NS6detail17trampoline_kernelINS0_14default_configENS1_25partition_config_selectorILNS1_17partition_subalgoE5ElNS0_10empty_typeEbEEZZNS1_14partition_implILS5_5ELb0ES3_mN6hipcub16HIPCUB_304000_NS21CountingInputIteratorIllEEPS6_NSA_22TransformInputIteratorIbN2at6native12_GLOBAL__N_19NonZeroOpIN3c104HalfEEEPKSK_lEENS0_5tupleIJPlS6_EEENSP_IJSD_SD_EEES6_PiJS6_EEE10hipError_tPvRmT3_T4_T5_T6_T7_T9_mT8_P12ihipStream_tbDpT10_ENKUlT_T0_E_clISt17integral_constantIbLb1EES1C_IbLb0EEEEDaS18_S19_EUlS18_E_NS1_11comp_targetILNS1_3genE10ELNS1_11target_archE1200ELNS1_3gpuE4ELNS1_3repE0EEENS1_30default_config_static_selectorELNS0_4arch9wavefront6targetE0EEEvT1_,comdat
	.globl	_ZN7rocprim17ROCPRIM_400000_NS6detail17trampoline_kernelINS0_14default_configENS1_25partition_config_selectorILNS1_17partition_subalgoE5ElNS0_10empty_typeEbEEZZNS1_14partition_implILS5_5ELb0ES3_mN6hipcub16HIPCUB_304000_NS21CountingInputIteratorIllEEPS6_NSA_22TransformInputIteratorIbN2at6native12_GLOBAL__N_19NonZeroOpIN3c104HalfEEEPKSK_lEENS0_5tupleIJPlS6_EEENSP_IJSD_SD_EEES6_PiJS6_EEE10hipError_tPvRmT3_T4_T5_T6_T7_T9_mT8_P12ihipStream_tbDpT10_ENKUlT_T0_E_clISt17integral_constantIbLb1EES1C_IbLb0EEEEDaS18_S19_EUlS18_E_NS1_11comp_targetILNS1_3genE10ELNS1_11target_archE1200ELNS1_3gpuE4ELNS1_3repE0EEENS1_30default_config_static_selectorELNS0_4arch9wavefront6targetE0EEEvT1_ ; -- Begin function _ZN7rocprim17ROCPRIM_400000_NS6detail17trampoline_kernelINS0_14default_configENS1_25partition_config_selectorILNS1_17partition_subalgoE5ElNS0_10empty_typeEbEEZZNS1_14partition_implILS5_5ELb0ES3_mN6hipcub16HIPCUB_304000_NS21CountingInputIteratorIllEEPS6_NSA_22TransformInputIteratorIbN2at6native12_GLOBAL__N_19NonZeroOpIN3c104HalfEEEPKSK_lEENS0_5tupleIJPlS6_EEENSP_IJSD_SD_EEES6_PiJS6_EEE10hipError_tPvRmT3_T4_T5_T6_T7_T9_mT8_P12ihipStream_tbDpT10_ENKUlT_T0_E_clISt17integral_constantIbLb1EES1C_IbLb0EEEEDaS18_S19_EUlS18_E_NS1_11comp_targetILNS1_3genE10ELNS1_11target_archE1200ELNS1_3gpuE4ELNS1_3repE0EEENS1_30default_config_static_selectorELNS0_4arch9wavefront6targetE0EEEvT1_
	.p2align	8
	.type	_ZN7rocprim17ROCPRIM_400000_NS6detail17trampoline_kernelINS0_14default_configENS1_25partition_config_selectorILNS1_17partition_subalgoE5ElNS0_10empty_typeEbEEZZNS1_14partition_implILS5_5ELb0ES3_mN6hipcub16HIPCUB_304000_NS21CountingInputIteratorIllEEPS6_NSA_22TransformInputIteratorIbN2at6native12_GLOBAL__N_19NonZeroOpIN3c104HalfEEEPKSK_lEENS0_5tupleIJPlS6_EEENSP_IJSD_SD_EEES6_PiJS6_EEE10hipError_tPvRmT3_T4_T5_T6_T7_T9_mT8_P12ihipStream_tbDpT10_ENKUlT_T0_E_clISt17integral_constantIbLb1EES1C_IbLb0EEEEDaS18_S19_EUlS18_E_NS1_11comp_targetILNS1_3genE10ELNS1_11target_archE1200ELNS1_3gpuE4ELNS1_3repE0EEENS1_30default_config_static_selectorELNS0_4arch9wavefront6targetE0EEEvT1_,@function
_ZN7rocprim17ROCPRIM_400000_NS6detail17trampoline_kernelINS0_14default_configENS1_25partition_config_selectorILNS1_17partition_subalgoE5ElNS0_10empty_typeEbEEZZNS1_14partition_implILS5_5ELb0ES3_mN6hipcub16HIPCUB_304000_NS21CountingInputIteratorIllEEPS6_NSA_22TransformInputIteratorIbN2at6native12_GLOBAL__N_19NonZeroOpIN3c104HalfEEEPKSK_lEENS0_5tupleIJPlS6_EEENSP_IJSD_SD_EEES6_PiJS6_EEE10hipError_tPvRmT3_T4_T5_T6_T7_T9_mT8_P12ihipStream_tbDpT10_ENKUlT_T0_E_clISt17integral_constantIbLb1EES1C_IbLb0EEEEDaS18_S19_EUlS18_E_NS1_11comp_targetILNS1_3genE10ELNS1_11target_archE1200ELNS1_3gpuE4ELNS1_3repE0EEENS1_30default_config_static_selectorELNS0_4arch9wavefront6targetE0EEEvT1_: ; @_ZN7rocprim17ROCPRIM_400000_NS6detail17trampoline_kernelINS0_14default_configENS1_25partition_config_selectorILNS1_17partition_subalgoE5ElNS0_10empty_typeEbEEZZNS1_14partition_implILS5_5ELb0ES3_mN6hipcub16HIPCUB_304000_NS21CountingInputIteratorIllEEPS6_NSA_22TransformInputIteratorIbN2at6native12_GLOBAL__N_19NonZeroOpIN3c104HalfEEEPKSK_lEENS0_5tupleIJPlS6_EEENSP_IJSD_SD_EEES6_PiJS6_EEE10hipError_tPvRmT3_T4_T5_T6_T7_T9_mT8_P12ihipStream_tbDpT10_ENKUlT_T0_E_clISt17integral_constantIbLb1EES1C_IbLb0EEEEDaS18_S19_EUlS18_E_NS1_11comp_targetILNS1_3genE10ELNS1_11target_archE1200ELNS1_3gpuE4ELNS1_3repE0EEENS1_30default_config_static_selectorELNS0_4arch9wavefront6targetE0EEEvT1_
; %bb.0:
	.section	.rodata,"a",@progbits
	.p2align	6, 0x0
	.amdhsa_kernel _ZN7rocprim17ROCPRIM_400000_NS6detail17trampoline_kernelINS0_14default_configENS1_25partition_config_selectorILNS1_17partition_subalgoE5ElNS0_10empty_typeEbEEZZNS1_14partition_implILS5_5ELb0ES3_mN6hipcub16HIPCUB_304000_NS21CountingInputIteratorIllEEPS6_NSA_22TransformInputIteratorIbN2at6native12_GLOBAL__N_19NonZeroOpIN3c104HalfEEEPKSK_lEENS0_5tupleIJPlS6_EEENSP_IJSD_SD_EEES6_PiJS6_EEE10hipError_tPvRmT3_T4_T5_T6_T7_T9_mT8_P12ihipStream_tbDpT10_ENKUlT_T0_E_clISt17integral_constantIbLb1EES1C_IbLb0EEEEDaS18_S19_EUlS18_E_NS1_11comp_targetILNS1_3genE10ELNS1_11target_archE1200ELNS1_3gpuE4ELNS1_3repE0EEENS1_30default_config_static_selectorELNS0_4arch9wavefront6targetE0EEEvT1_
		.amdhsa_group_segment_fixed_size 0
		.amdhsa_private_segment_fixed_size 0
		.amdhsa_kernarg_size 120
		.amdhsa_user_sgpr_count 15
		.amdhsa_user_sgpr_dispatch_ptr 0
		.amdhsa_user_sgpr_queue_ptr 0
		.amdhsa_user_sgpr_kernarg_segment_ptr 1
		.amdhsa_user_sgpr_dispatch_id 0
		.amdhsa_user_sgpr_private_segment_size 0
		.amdhsa_wavefront_size32 1
		.amdhsa_uses_dynamic_stack 0
		.amdhsa_enable_private_segment 0
		.amdhsa_system_sgpr_workgroup_id_x 1
		.amdhsa_system_sgpr_workgroup_id_y 0
		.amdhsa_system_sgpr_workgroup_id_z 0
		.amdhsa_system_sgpr_workgroup_info 0
		.amdhsa_system_vgpr_workitem_id 0
		.amdhsa_next_free_vgpr 1
		.amdhsa_next_free_sgpr 1
		.amdhsa_reserve_vcc 0
		.amdhsa_float_round_mode_32 0
		.amdhsa_float_round_mode_16_64 0
		.amdhsa_float_denorm_mode_32 3
		.amdhsa_float_denorm_mode_16_64 3
		.amdhsa_dx10_clamp 1
		.amdhsa_ieee_mode 1
		.amdhsa_fp16_overflow 0
		.amdhsa_workgroup_processor_mode 1
		.amdhsa_memory_ordered 1
		.amdhsa_forward_progress 0
		.amdhsa_shared_vgpr_count 0
		.amdhsa_exception_fp_ieee_invalid_op 0
		.amdhsa_exception_fp_denorm_src 0
		.amdhsa_exception_fp_ieee_div_zero 0
		.amdhsa_exception_fp_ieee_overflow 0
		.amdhsa_exception_fp_ieee_underflow 0
		.amdhsa_exception_fp_ieee_inexact 0
		.amdhsa_exception_int_div_zero 0
	.end_amdhsa_kernel
	.section	.text._ZN7rocprim17ROCPRIM_400000_NS6detail17trampoline_kernelINS0_14default_configENS1_25partition_config_selectorILNS1_17partition_subalgoE5ElNS0_10empty_typeEbEEZZNS1_14partition_implILS5_5ELb0ES3_mN6hipcub16HIPCUB_304000_NS21CountingInputIteratorIllEEPS6_NSA_22TransformInputIteratorIbN2at6native12_GLOBAL__N_19NonZeroOpIN3c104HalfEEEPKSK_lEENS0_5tupleIJPlS6_EEENSP_IJSD_SD_EEES6_PiJS6_EEE10hipError_tPvRmT3_T4_T5_T6_T7_T9_mT8_P12ihipStream_tbDpT10_ENKUlT_T0_E_clISt17integral_constantIbLb1EES1C_IbLb0EEEEDaS18_S19_EUlS18_E_NS1_11comp_targetILNS1_3genE10ELNS1_11target_archE1200ELNS1_3gpuE4ELNS1_3repE0EEENS1_30default_config_static_selectorELNS0_4arch9wavefront6targetE0EEEvT1_,"axG",@progbits,_ZN7rocprim17ROCPRIM_400000_NS6detail17trampoline_kernelINS0_14default_configENS1_25partition_config_selectorILNS1_17partition_subalgoE5ElNS0_10empty_typeEbEEZZNS1_14partition_implILS5_5ELb0ES3_mN6hipcub16HIPCUB_304000_NS21CountingInputIteratorIllEEPS6_NSA_22TransformInputIteratorIbN2at6native12_GLOBAL__N_19NonZeroOpIN3c104HalfEEEPKSK_lEENS0_5tupleIJPlS6_EEENSP_IJSD_SD_EEES6_PiJS6_EEE10hipError_tPvRmT3_T4_T5_T6_T7_T9_mT8_P12ihipStream_tbDpT10_ENKUlT_T0_E_clISt17integral_constantIbLb1EES1C_IbLb0EEEEDaS18_S19_EUlS18_E_NS1_11comp_targetILNS1_3genE10ELNS1_11target_archE1200ELNS1_3gpuE4ELNS1_3repE0EEENS1_30default_config_static_selectorELNS0_4arch9wavefront6targetE0EEEvT1_,comdat
.Lfunc_end887:
	.size	_ZN7rocprim17ROCPRIM_400000_NS6detail17trampoline_kernelINS0_14default_configENS1_25partition_config_selectorILNS1_17partition_subalgoE5ElNS0_10empty_typeEbEEZZNS1_14partition_implILS5_5ELb0ES3_mN6hipcub16HIPCUB_304000_NS21CountingInputIteratorIllEEPS6_NSA_22TransformInputIteratorIbN2at6native12_GLOBAL__N_19NonZeroOpIN3c104HalfEEEPKSK_lEENS0_5tupleIJPlS6_EEENSP_IJSD_SD_EEES6_PiJS6_EEE10hipError_tPvRmT3_T4_T5_T6_T7_T9_mT8_P12ihipStream_tbDpT10_ENKUlT_T0_E_clISt17integral_constantIbLb1EES1C_IbLb0EEEEDaS18_S19_EUlS18_E_NS1_11comp_targetILNS1_3genE10ELNS1_11target_archE1200ELNS1_3gpuE4ELNS1_3repE0EEENS1_30default_config_static_selectorELNS0_4arch9wavefront6targetE0EEEvT1_, .Lfunc_end887-_ZN7rocprim17ROCPRIM_400000_NS6detail17trampoline_kernelINS0_14default_configENS1_25partition_config_selectorILNS1_17partition_subalgoE5ElNS0_10empty_typeEbEEZZNS1_14partition_implILS5_5ELb0ES3_mN6hipcub16HIPCUB_304000_NS21CountingInputIteratorIllEEPS6_NSA_22TransformInputIteratorIbN2at6native12_GLOBAL__N_19NonZeroOpIN3c104HalfEEEPKSK_lEENS0_5tupleIJPlS6_EEENSP_IJSD_SD_EEES6_PiJS6_EEE10hipError_tPvRmT3_T4_T5_T6_T7_T9_mT8_P12ihipStream_tbDpT10_ENKUlT_T0_E_clISt17integral_constantIbLb1EES1C_IbLb0EEEEDaS18_S19_EUlS18_E_NS1_11comp_targetILNS1_3genE10ELNS1_11target_archE1200ELNS1_3gpuE4ELNS1_3repE0EEENS1_30default_config_static_selectorELNS0_4arch9wavefront6targetE0EEEvT1_
                                        ; -- End function
	.section	.AMDGPU.csdata,"",@progbits
; Kernel info:
; codeLenInByte = 0
; NumSgprs: 0
; NumVgprs: 0
; ScratchSize: 0
; MemoryBound: 0
; FloatMode: 240
; IeeeMode: 1
; LDSByteSize: 0 bytes/workgroup (compile time only)
; SGPRBlocks: 0
; VGPRBlocks: 0
; NumSGPRsForWavesPerEU: 1
; NumVGPRsForWavesPerEU: 1
; Occupancy: 16
; WaveLimiterHint : 0
; COMPUTE_PGM_RSRC2:SCRATCH_EN: 0
; COMPUTE_PGM_RSRC2:USER_SGPR: 15
; COMPUTE_PGM_RSRC2:TRAP_HANDLER: 0
; COMPUTE_PGM_RSRC2:TGID_X_EN: 1
; COMPUTE_PGM_RSRC2:TGID_Y_EN: 0
; COMPUTE_PGM_RSRC2:TGID_Z_EN: 0
; COMPUTE_PGM_RSRC2:TIDIG_COMP_CNT: 0
	.section	.text._ZN7rocprim17ROCPRIM_400000_NS6detail17trampoline_kernelINS0_14default_configENS1_25partition_config_selectorILNS1_17partition_subalgoE5ElNS0_10empty_typeEbEEZZNS1_14partition_implILS5_5ELb0ES3_mN6hipcub16HIPCUB_304000_NS21CountingInputIteratorIllEEPS6_NSA_22TransformInputIteratorIbN2at6native12_GLOBAL__N_19NonZeroOpIN3c104HalfEEEPKSK_lEENS0_5tupleIJPlS6_EEENSP_IJSD_SD_EEES6_PiJS6_EEE10hipError_tPvRmT3_T4_T5_T6_T7_T9_mT8_P12ihipStream_tbDpT10_ENKUlT_T0_E_clISt17integral_constantIbLb1EES1C_IbLb0EEEEDaS18_S19_EUlS18_E_NS1_11comp_targetILNS1_3genE9ELNS1_11target_archE1100ELNS1_3gpuE3ELNS1_3repE0EEENS1_30default_config_static_selectorELNS0_4arch9wavefront6targetE0EEEvT1_,"axG",@progbits,_ZN7rocprim17ROCPRIM_400000_NS6detail17trampoline_kernelINS0_14default_configENS1_25partition_config_selectorILNS1_17partition_subalgoE5ElNS0_10empty_typeEbEEZZNS1_14partition_implILS5_5ELb0ES3_mN6hipcub16HIPCUB_304000_NS21CountingInputIteratorIllEEPS6_NSA_22TransformInputIteratorIbN2at6native12_GLOBAL__N_19NonZeroOpIN3c104HalfEEEPKSK_lEENS0_5tupleIJPlS6_EEENSP_IJSD_SD_EEES6_PiJS6_EEE10hipError_tPvRmT3_T4_T5_T6_T7_T9_mT8_P12ihipStream_tbDpT10_ENKUlT_T0_E_clISt17integral_constantIbLb1EES1C_IbLb0EEEEDaS18_S19_EUlS18_E_NS1_11comp_targetILNS1_3genE9ELNS1_11target_archE1100ELNS1_3gpuE3ELNS1_3repE0EEENS1_30default_config_static_selectorELNS0_4arch9wavefront6targetE0EEEvT1_,comdat
	.globl	_ZN7rocprim17ROCPRIM_400000_NS6detail17trampoline_kernelINS0_14default_configENS1_25partition_config_selectorILNS1_17partition_subalgoE5ElNS0_10empty_typeEbEEZZNS1_14partition_implILS5_5ELb0ES3_mN6hipcub16HIPCUB_304000_NS21CountingInputIteratorIllEEPS6_NSA_22TransformInputIteratorIbN2at6native12_GLOBAL__N_19NonZeroOpIN3c104HalfEEEPKSK_lEENS0_5tupleIJPlS6_EEENSP_IJSD_SD_EEES6_PiJS6_EEE10hipError_tPvRmT3_T4_T5_T6_T7_T9_mT8_P12ihipStream_tbDpT10_ENKUlT_T0_E_clISt17integral_constantIbLb1EES1C_IbLb0EEEEDaS18_S19_EUlS18_E_NS1_11comp_targetILNS1_3genE9ELNS1_11target_archE1100ELNS1_3gpuE3ELNS1_3repE0EEENS1_30default_config_static_selectorELNS0_4arch9wavefront6targetE0EEEvT1_ ; -- Begin function _ZN7rocprim17ROCPRIM_400000_NS6detail17trampoline_kernelINS0_14default_configENS1_25partition_config_selectorILNS1_17partition_subalgoE5ElNS0_10empty_typeEbEEZZNS1_14partition_implILS5_5ELb0ES3_mN6hipcub16HIPCUB_304000_NS21CountingInputIteratorIllEEPS6_NSA_22TransformInputIteratorIbN2at6native12_GLOBAL__N_19NonZeroOpIN3c104HalfEEEPKSK_lEENS0_5tupleIJPlS6_EEENSP_IJSD_SD_EEES6_PiJS6_EEE10hipError_tPvRmT3_T4_T5_T6_T7_T9_mT8_P12ihipStream_tbDpT10_ENKUlT_T0_E_clISt17integral_constantIbLb1EES1C_IbLb0EEEEDaS18_S19_EUlS18_E_NS1_11comp_targetILNS1_3genE9ELNS1_11target_archE1100ELNS1_3gpuE3ELNS1_3repE0EEENS1_30default_config_static_selectorELNS0_4arch9wavefront6targetE0EEEvT1_
	.p2align	8
	.type	_ZN7rocprim17ROCPRIM_400000_NS6detail17trampoline_kernelINS0_14default_configENS1_25partition_config_selectorILNS1_17partition_subalgoE5ElNS0_10empty_typeEbEEZZNS1_14partition_implILS5_5ELb0ES3_mN6hipcub16HIPCUB_304000_NS21CountingInputIteratorIllEEPS6_NSA_22TransformInputIteratorIbN2at6native12_GLOBAL__N_19NonZeroOpIN3c104HalfEEEPKSK_lEENS0_5tupleIJPlS6_EEENSP_IJSD_SD_EEES6_PiJS6_EEE10hipError_tPvRmT3_T4_T5_T6_T7_T9_mT8_P12ihipStream_tbDpT10_ENKUlT_T0_E_clISt17integral_constantIbLb1EES1C_IbLb0EEEEDaS18_S19_EUlS18_E_NS1_11comp_targetILNS1_3genE9ELNS1_11target_archE1100ELNS1_3gpuE3ELNS1_3repE0EEENS1_30default_config_static_selectorELNS0_4arch9wavefront6targetE0EEEvT1_,@function
_ZN7rocprim17ROCPRIM_400000_NS6detail17trampoline_kernelINS0_14default_configENS1_25partition_config_selectorILNS1_17partition_subalgoE5ElNS0_10empty_typeEbEEZZNS1_14partition_implILS5_5ELb0ES3_mN6hipcub16HIPCUB_304000_NS21CountingInputIteratorIllEEPS6_NSA_22TransformInputIteratorIbN2at6native12_GLOBAL__N_19NonZeroOpIN3c104HalfEEEPKSK_lEENS0_5tupleIJPlS6_EEENSP_IJSD_SD_EEES6_PiJS6_EEE10hipError_tPvRmT3_T4_T5_T6_T7_T9_mT8_P12ihipStream_tbDpT10_ENKUlT_T0_E_clISt17integral_constantIbLb1EES1C_IbLb0EEEEDaS18_S19_EUlS18_E_NS1_11comp_targetILNS1_3genE9ELNS1_11target_archE1100ELNS1_3gpuE3ELNS1_3repE0EEENS1_30default_config_static_selectorELNS0_4arch9wavefront6targetE0EEEvT1_: ; @_ZN7rocprim17ROCPRIM_400000_NS6detail17trampoline_kernelINS0_14default_configENS1_25partition_config_selectorILNS1_17partition_subalgoE5ElNS0_10empty_typeEbEEZZNS1_14partition_implILS5_5ELb0ES3_mN6hipcub16HIPCUB_304000_NS21CountingInputIteratorIllEEPS6_NSA_22TransformInputIteratorIbN2at6native12_GLOBAL__N_19NonZeroOpIN3c104HalfEEEPKSK_lEENS0_5tupleIJPlS6_EEENSP_IJSD_SD_EEES6_PiJS6_EEE10hipError_tPvRmT3_T4_T5_T6_T7_T9_mT8_P12ihipStream_tbDpT10_ENKUlT_T0_E_clISt17integral_constantIbLb1EES1C_IbLb0EEEEDaS18_S19_EUlS18_E_NS1_11comp_targetILNS1_3genE9ELNS1_11target_archE1100ELNS1_3gpuE3ELNS1_3repE0EEENS1_30default_config_static_selectorELNS0_4arch9wavefront6targetE0EEEvT1_
; %bb.0:
	s_clause 0x4
	s_load_b128 s[8:11], s[0:1], 0x8
	s_load_b128 s[4:7], s[0:1], 0x48
	s_load_b32 s14, s[0:1], 0x70
	s_load_b64 s[2:3], s[0:1], 0x58
	s_load_b64 s[12:13], s[0:1], 0x20
	s_waitcnt lgkmcnt(0)
	s_add_u32 s18, s10, s8
	s_load_b64 s[6:7], s[6:7], 0x0
	s_mul_i32 s17, s14, 0x300
	s_addc_u32 s19, s11, s9
	s_add_i32 s14, s14, -1
	s_add_u32 s8, s10, s17
	s_addc_u32 s9, s11, 0
	s_cmp_eq_u32 s15, s14
	v_cmp_ge_u64_e64 s3, s[8:9], s[2:3]
	s_cselect_b32 s14, -1, 0
	s_mul_i32 s8, s15, 0x300
	s_mov_b32 s9, 0
	s_delay_alu instid0(VALU_DEP_1) | instskip(NEXT) | instid1(SALU_CYCLE_1)
	s_and_b32 s3, s14, s3
	s_xor_b32 s16, s3, -1
	s_mov_b32 s3, -1
	s_and_b32 vcc_lo, exec_lo, s16
	s_cbranch_vccz .LBB888_2
; %bb.1:
	s_add_u32 s3, s18, s8
	s_addc_u32 s20, s19, 0
	v_add_co_u32 v1, s3, s3, v0
	s_delay_alu instid0(VALU_DEP_1) | instskip(SKIP_1) | instid1(VALU_DEP_3)
	v_add_co_ci_u32_e64 v2, null, s20, 0, s3
	v_lshlrev_b32_e32 v13, 3, v0
	v_add_co_u32 v3, vcc_lo, 0x80, v1
	s_delay_alu instid0(VALU_DEP_3)
	v_add_co_ci_u32_e32 v4, vcc_lo, 0, v2, vcc_lo
	v_add_co_u32 v5, vcc_lo, 0x100, v1
	v_add_co_ci_u32_e32 v6, vcc_lo, 0, v2, vcc_lo
	v_add_co_u32 v7, vcc_lo, 0x180, v1
	;; [unrolled: 2-line block ×4, first 2 shown]
	v_add_co_ci_u32_e32 v12, vcc_lo, 0, v2, vcc_lo
	ds_store_2addr_stride64_b64 v13, v[1:2], v[3:4] offset1:2
	ds_store_2addr_stride64_b64 v13, v[5:6], v[7:8] offset0:4 offset1:6
	ds_store_2addr_stride64_b64 v13, v[9:10], v[11:12] offset0:8 offset1:10
	s_waitcnt lgkmcnt(0)
	s_mov_b32 s3, s9
	s_barrier
.LBB888_2:
	v_or_b32_e32 v17, 0x100, v0
	v_or_b32_e32 v16, 0x180, v0
	;; [unrolled: 1-line block ×4, first 2 shown]
	s_and_not1_b32 vcc_lo, exec_lo, s3
	s_cbranch_vccnz .LBB888_4
; %bb.3:
	v_or_b32_e32 v3, 0x80, v0
	s_add_u32 s3, s18, s8
	s_addc_u32 s18, s19, 0
	v_add_co_u32 v1, s19, s3, v0
	s_delay_alu instid0(VALU_DEP_1) | instskip(SKIP_1) | instid1(VALU_DEP_1)
	v_add_co_ci_u32_e64 v2, null, s18, 0, s19
	v_add_co_u32 v3, s19, s3, v3
	v_add_co_ci_u32_e64 v4, null, s18, 0, s19
	v_add_co_u32 v5, s19, s3, v17
	s_delay_alu instid0(VALU_DEP_1) | instskip(SKIP_1) | instid1(VALU_DEP_1)
	v_add_co_ci_u32_e64 v6, null, s18, 0, s19
	v_add_co_u32 v7, s19, s3, v16
	v_add_co_ci_u32_e64 v8, null, s18, 0, s19
	v_add_co_u32 v9, s19, s3, v14
	v_lshlrev_b32_e32 v15, 3, v0
	v_add_co_u32 v11, s3, s3, v13
	v_add_co_ci_u32_e64 v10, null, s18, 0, s19
	v_add_co_ci_u32_e64 v12, null, s18, 0, s3
	ds_store_2addr_stride64_b64 v15, v[1:2], v[3:4] offset1:2
	ds_store_2addr_stride64_b64 v15, v[5:6], v[7:8] offset0:4 offset1:6
	ds_store_2addr_stride64_b64 v15, v[9:10], v[11:12] offset0:8 offset1:10
	s_waitcnt lgkmcnt(0)
	s_barrier
.LBB888_4:
	v_mul_u32_u24_e32 v1, 6, v0
	s_waitcnt lgkmcnt(0)
	buffer_gl0_inv
	s_lshl_b64 s[18:19], s[10:11], 1
	s_delay_alu instid0(SALU_CYCLE_1)
	s_add_u32 s3, s12, s18
	v_lshlrev_b32_e32 v15, 3, v1
	s_addc_u32 s11, s13, s19
	s_lshl_b64 s[8:9], s[8:9], 1
	ds_load_b128 v[9:12], v15
	ds_load_b128 v[5:8], v15 offset:16
	ds_load_b128 v[1:4], v15 offset:32
	s_add_u32 s12, s3, s8
	s_addc_u32 s13, s11, s9
	s_and_b32 vcc_lo, exec_lo, s16
	s_mov_b32 s3, -1
	s_waitcnt lgkmcnt(0)
	s_barrier
	buffer_gl0_inv
	s_cbranch_vccz .LBB888_6
; %bb.5:
	v_lshlrev_b32_e32 v18, 1, v0
	s_mov_b32 s3, 0
	s_clause 0x5
	global_load_u16 v19, v18, s[12:13]
	global_load_u16 v20, v18, s[12:13] offset:256
	global_load_u16 v21, v18, s[12:13] offset:512
	;; [unrolled: 1-line block ×5, first 2 shown]
	s_waitcnt vmcnt(5)
	v_and_b32_e32 v19, 0x7fff, v19
	s_waitcnt vmcnt(4)
	v_and_b32_e32 v20, 0x7fff, v20
	;; [unrolled: 2-line block ×5, first 2 shown]
	v_cmp_ne_u16_e32 vcc_lo, 0, v19
	s_waitcnt vmcnt(0)
	v_and_b32_e32 v18, 0x7fff, v18
	v_cndmask_b32_e64 v19, 0, 1, vcc_lo
	v_cmp_ne_u16_e32 vcc_lo, 0, v20
	v_cndmask_b32_e64 v20, 0, 1, vcc_lo
	v_cmp_ne_u16_e32 vcc_lo, 0, v21
	;; [unrolled: 2-line block ×5, first 2 shown]
	v_cndmask_b32_e64 v18, 0, 1, vcc_lo
	ds_store_b8 v0, v19
	ds_store_b8 v0, v20 offset:128
	ds_store_b8 v0, v21 offset:256
	;; [unrolled: 1-line block ×5, first 2 shown]
	s_waitcnt lgkmcnt(0)
	s_barrier
.LBB888_6:
	s_load_b64 s[8:9], s[0:1], 0x68
	s_and_not1_b32 vcc_lo, exec_lo, s3
	s_cbranch_vccnz .LBB888_20
; %bb.7:
	s_add_i32 s17, s17, s10
	v_dual_mov_b32 v18, 0 :: v_dual_mov_b32 v19, 0
	s_sub_i32 s2, s2, s17
	s_mov_b32 s3, exec_lo
	s_addk_i32 s2, 0x300
	s_delay_alu instid0(SALU_CYCLE_1)
	v_cmpx_gt_u32_e64 s2, v0
	s_cbranch_execz .LBB888_9
; %bb.8:
	v_lshlrev_b32_e32 v19, 1, v0
	global_load_u16 v19, v19, s[12:13]
	s_waitcnt vmcnt(0)
	v_and_b32_e32 v19, 0x7fff, v19
	s_delay_alu instid0(VALU_DEP_1)
	v_cmp_ne_u16_e32 vcc_lo, 0, v19
	v_cndmask_b32_e64 v19, 0, 1, vcc_lo
.LBB888_9:
	s_or_b32 exec_lo, exec_lo, s3
	v_or_b32_e32 v20, 0x80, v0
	s_mov_b32 s3, exec_lo
	s_delay_alu instid0(VALU_DEP_1)
	v_cmpx_gt_u32_e64 s2, v20
	s_cbranch_execz .LBB888_11
; %bb.10:
	v_lshlrev_b32_e32 v18, 1, v0
	global_load_u16 v18, v18, s[12:13] offset:256
	s_waitcnt vmcnt(0)
	v_and_b32_e32 v18, 0x7fff, v18
	s_delay_alu instid0(VALU_DEP_1)
	v_cmp_ne_u16_e32 vcc_lo, 0, v18
	v_cndmask_b32_e64 v18, 0, 1, vcc_lo
.LBB888_11:
	s_or_b32 exec_lo, exec_lo, s3
	v_cmp_gt_u32_e32 vcc_lo, s2, v17
	v_dual_mov_b32 v17, 0 :: v_dual_mov_b32 v20, 0
	s_and_saveexec_b32 s3, vcc_lo
	s_cbranch_execz .LBB888_13
; %bb.12:
	v_lshlrev_b32_e32 v20, 1, v0
	global_load_u16 v20, v20, s[12:13] offset:512
	s_waitcnt vmcnt(0)
	v_and_b32_e32 v20, 0x7fff, v20
	s_delay_alu instid0(VALU_DEP_1)
	v_cmp_ne_u16_e32 vcc_lo, 0, v20
	v_cndmask_b32_e64 v20, 0, 1, vcc_lo
.LBB888_13:
	s_or_b32 exec_lo, exec_lo, s3
	s_delay_alu instid0(SALU_CYCLE_1)
	s_mov_b32 s3, exec_lo
	v_cmpx_gt_u32_e64 s2, v16
	s_cbranch_execz .LBB888_15
; %bb.14:
	v_lshlrev_b32_e32 v16, 1, v0
	global_load_u16 v16, v16, s[12:13] offset:768
	s_waitcnt vmcnt(0)
	v_and_b32_e32 v16, 0x7fff, v16
	s_delay_alu instid0(VALU_DEP_1)
	v_cmp_ne_u16_e32 vcc_lo, 0, v16
	v_cndmask_b32_e64 v17, 0, 1, vcc_lo
.LBB888_15:
	s_or_b32 exec_lo, exec_lo, s3
	v_cmp_gt_u32_e32 vcc_lo, s2, v14
	v_mov_b32_e32 v14, 0
	v_mov_b32_e32 v16, 0
	s_and_saveexec_b32 s3, vcc_lo
	s_cbranch_execz .LBB888_17
; %bb.16:
	v_lshlrev_b32_e32 v16, 1, v0
	global_load_u16 v16, v16, s[12:13] offset:1024
	s_waitcnt vmcnt(0)
	v_and_b32_e32 v16, 0x7fff, v16
	s_delay_alu instid0(VALU_DEP_1)
	v_cmp_ne_u16_e32 vcc_lo, 0, v16
	v_cndmask_b32_e64 v16, 0, 1, vcc_lo
.LBB888_17:
	s_or_b32 exec_lo, exec_lo, s3
	v_cmp_gt_u32_e32 vcc_lo, s2, v13
	s_and_saveexec_b32 s2, vcc_lo
	s_cbranch_execz .LBB888_19
; %bb.18:
	v_lshlrev_b32_e32 v13, 1, v0
	global_load_u16 v13, v13, s[12:13] offset:1280
	s_waitcnt vmcnt(0)
	v_and_b32_e32 v13, 0x7fff, v13
	s_delay_alu instid0(VALU_DEP_1)
	v_cmp_ne_u16_e32 vcc_lo, 0, v13
	v_cndmask_b32_e64 v14, 0, 1, vcc_lo
.LBB888_19:
	s_or_b32 exec_lo, exec_lo, s2
	ds_store_b8 v0, v19
	ds_store_b8 v0, v18 offset:128
	ds_store_b8 v0, v20 offset:256
	;; [unrolled: 1-line block ×5, first 2 shown]
	s_waitcnt lgkmcnt(0)
	s_barrier
.LBB888_20:
	v_mad_i32_i24 v43, 0xffffffd6, v0, v15
	s_waitcnt lgkmcnt(0)
	buffer_gl0_inv
	v_mbcnt_lo_u32_b32 v42, -1, 0
	s_cmp_lg_u32 s15, 0
	s_mov_b32 s3, -1
	ds_load_u16 v36, v43
	ds_load_u16 v33, v43 offset:2
	ds_load_u16 v31, v43 offset:4
	v_mov_b32_e32 v14, 0
	v_and_b32_e32 v44, 15, v42
	s_waitcnt lgkmcnt(0)
	s_barrier
	buffer_gl0_inv
	v_and_b32_e32 v41, 0xff, v36
	v_lshrrev_b16 v34, 8, v36
	v_lshrrev_b16 v35, 8, v33
	v_and_b32_e32 v39, 0xff, v33
	v_lshrrev_b16 v32, 8, v31
	v_and_b32_e32 v37, 0xff, v31
	v_and_b32_e32 v40, 0xffff, v34
	;; [unrolled: 1-line block ×3, first 2 shown]
	s_delay_alu instid0(VALU_DEP_4) | instskip(NEXT) | instid1(VALU_DEP_3)
	v_and_b32_e32 v16, 0xffff, v32
	v_add_co_u32 v13, s2, v40, v41
	s_delay_alu instid0(VALU_DEP_1) | instskip(SKIP_1) | instid1(VALU_DEP_3)
	v_add_co_ci_u32_e64 v15, null, 0, 0, s2
	v_cmp_ne_u32_e64 s2, 0, v44
	v_add_co_u32 v13, vcc_lo, v13, v39
	s_delay_alu instid0(VALU_DEP_3) | instskip(NEXT) | instid1(VALU_DEP_2)
	v_add_co_ci_u32_e32 v15, vcc_lo, 0, v15, vcc_lo
	v_add_co_u32 v13, vcc_lo, v13, v38
	s_delay_alu instid0(VALU_DEP_2) | instskip(NEXT) | instid1(VALU_DEP_2)
	v_add_co_ci_u32_e32 v15, vcc_lo, 0, v15, vcc_lo
	v_add_co_u32 v13, vcc_lo, v13, v37
	s_delay_alu instid0(VALU_DEP_2) | instskip(NEXT) | instid1(VALU_DEP_2)
	v_add_co_ci_u32_e32 v15, vcc_lo, 0, v15, vcc_lo
	v_add_co_u32 v21, vcc_lo, v13, v16
	s_delay_alu instid0(VALU_DEP_2)
	v_add_co_ci_u32_e32 v22, vcc_lo, 0, v15, vcc_lo
	s_cbranch_scc0 .LBB888_89
; %bb.21:
	s_delay_alu instid0(VALU_DEP_2)
	v_mov_b32_e32 v15, v21
	v_mov_b32_dpp v13, v21 row_shr:1 row_mask:0xf bank_mask:0xf
	v_mov_b32_dpp v18, v14 row_shr:1 row_mask:0xf bank_mask:0xf
	v_dual_mov_b32 v17, v21 :: v_dual_mov_b32 v16, v22
	s_and_saveexec_b32 s3, s2
; %bb.22:
	s_delay_alu instid0(VALU_DEP_3) | instskip(SKIP_1) | instid1(VALU_DEP_2)
	v_add_co_u32 v17, vcc_lo, v21, v13
	v_add_co_ci_u32_e32 v14, vcc_lo, 0, v22, vcc_lo
	v_add_co_u32 v13, vcc_lo, 0, v17
	s_delay_alu instid0(VALU_DEP_2) | instskip(NEXT) | instid1(VALU_DEP_1)
	v_add_co_ci_u32_e32 v14, vcc_lo, v18, v14, vcc_lo
	v_dual_mov_b32 v16, v14 :: v_dual_mov_b32 v15, v13
; %bb.23:
	s_or_b32 exec_lo, exec_lo, s3
	v_mov_b32_dpp v13, v17 row_shr:2 row_mask:0xf bank_mask:0xf
	v_mov_b32_dpp v18, v14 row_shr:2 row_mask:0xf bank_mask:0xf
	s_mov_b32 s3, exec_lo
	v_cmpx_lt_u32_e32 1, v44
; %bb.24:
	s_delay_alu instid0(VALU_DEP_3) | instskip(SKIP_1) | instid1(VALU_DEP_2)
	v_add_co_u32 v17, vcc_lo, v15, v13
	v_add_co_ci_u32_e32 v14, vcc_lo, 0, v16, vcc_lo
	v_add_co_u32 v13, vcc_lo, 0, v17
	s_delay_alu instid0(VALU_DEP_2) | instskip(NEXT) | instid1(VALU_DEP_1)
	v_add_co_ci_u32_e32 v14, vcc_lo, v18, v14, vcc_lo
	v_dual_mov_b32 v16, v14 :: v_dual_mov_b32 v15, v13
; %bb.25:
	s_or_b32 exec_lo, exec_lo, s3
	v_mov_b32_dpp v13, v17 row_shr:4 row_mask:0xf bank_mask:0xf
	v_mov_b32_dpp v18, v14 row_shr:4 row_mask:0xf bank_mask:0xf
	s_mov_b32 s3, exec_lo
	v_cmpx_lt_u32_e32 3, v44
	;; [unrolled: 14-line block ×3, first 2 shown]
; %bb.28:
	s_delay_alu instid0(VALU_DEP_3) | instskip(SKIP_1) | instid1(VALU_DEP_2)
	v_add_co_u32 v17, vcc_lo, v15, v18
	v_add_co_ci_u32_e32 v14, vcc_lo, 0, v16, vcc_lo
	v_add_co_u32 v15, vcc_lo, 0, v17
	s_delay_alu instid0(VALU_DEP_2) | instskip(NEXT) | instid1(VALU_DEP_1)
	v_add_co_ci_u32_e32 v16, vcc_lo, v13, v14, vcc_lo
	v_mov_b32_e32 v14, v16
; %bb.29:
	s_or_b32 exec_lo, exec_lo, s3
	ds_swizzle_b32 v13, v17 offset:swizzle(BROADCAST,32,15)
	ds_swizzle_b32 v18, v14 offset:swizzle(BROADCAST,32,15)
	v_and_b32_e32 v19, 16, v42
	s_mov_b32 s3, exec_lo
	s_delay_alu instid0(VALU_DEP_1)
	v_cmpx_ne_u32_e32 0, v19
	s_cbranch_execz .LBB888_31
; %bb.30:
	s_waitcnt lgkmcnt(1)
	v_add_co_u32 v17, vcc_lo, v15, v13
	v_add_co_ci_u32_e32 v14, vcc_lo, 0, v16, vcc_lo
	s_delay_alu instid0(VALU_DEP_2) | instskip(SKIP_1) | instid1(VALU_DEP_2)
	v_add_co_u32 v13, vcc_lo, 0, v17
	s_waitcnt lgkmcnt(0)
	v_add_co_ci_u32_e32 v14, vcc_lo, v18, v14, vcc_lo
	s_delay_alu instid0(VALU_DEP_1)
	v_dual_mov_b32 v16, v14 :: v_dual_mov_b32 v15, v13
.LBB888_31:
	s_or_b32 exec_lo, exec_lo, s3
	s_waitcnt lgkmcnt(0)
	v_or_b32_e32 v18, 31, v0
	v_lshrrev_b32_e32 v13, 5, v0
	s_mov_b32 s3, exec_lo
	s_delay_alu instid0(VALU_DEP_2)
	v_cmpx_eq_u32_e64 v18, v0
	s_cbranch_execz .LBB888_33
; %bb.32:
	s_delay_alu instid0(VALU_DEP_2)
	v_lshlrev_b32_e32 v18, 3, v13
	ds_store_b64 v18, v[15:16]
.LBB888_33:
	s_or_b32 exec_lo, exec_lo, s3
	s_delay_alu instid0(SALU_CYCLE_1)
	s_mov_b32 s3, exec_lo
	s_waitcnt lgkmcnt(0)
	s_barrier
	buffer_gl0_inv
	v_cmpx_gt_u32_e32 4, v0
	s_cbranch_execz .LBB888_39
; %bb.34:
	v_lshlrev_b32_e32 v18, 3, v0
	s_mov_b32 s10, exec_lo
	ds_load_b64 v[15:16], v18
	s_waitcnt lgkmcnt(0)
	v_dual_mov_b32 v20, v15 :: v_dual_and_b32 v19, 3, v42
	v_mov_b32_dpp v24, v15 row_shr:1 row_mask:0xf bank_mask:0xf
	v_mov_b32_dpp v23, v16 row_shr:1 row_mask:0xf bank_mask:0xf
	s_delay_alu instid0(VALU_DEP_3)
	v_cmpx_ne_u32_e32 0, v19
; %bb.35:
	s_delay_alu instid0(VALU_DEP_3) | instskip(SKIP_1) | instid1(VALU_DEP_2)
	v_add_co_u32 v20, vcc_lo, v15, v24
	v_add_co_ci_u32_e32 v16, vcc_lo, 0, v16, vcc_lo
	v_add_co_u32 v15, vcc_lo, 0, v20
	s_delay_alu instid0(VALU_DEP_2)
	v_add_co_ci_u32_e32 v16, vcc_lo, v23, v16, vcc_lo
; %bb.36:
	s_or_b32 exec_lo, exec_lo, s10
	v_mov_b32_dpp v23, v20 row_shr:2 row_mask:0xf bank_mask:0xf
	s_delay_alu instid0(VALU_DEP_2)
	v_mov_b32_dpp v20, v16 row_shr:2 row_mask:0xf bank_mask:0xf
	s_mov_b32 s10, exec_lo
	v_cmpx_lt_u32_e32 1, v19
; %bb.37:
	s_delay_alu instid0(VALU_DEP_3) | instskip(SKIP_1) | instid1(VALU_DEP_2)
	v_add_co_u32 v15, vcc_lo, v15, v23
	v_add_co_ci_u32_e32 v16, vcc_lo, 0, v16, vcc_lo
	v_add_co_u32 v15, vcc_lo, v15, 0
	s_delay_alu instid0(VALU_DEP_2)
	v_add_co_ci_u32_e32 v16, vcc_lo, v16, v20, vcc_lo
; %bb.38:
	s_or_b32 exec_lo, exec_lo, s10
	ds_store_b64 v18, v[15:16]
.LBB888_39:
	s_or_b32 exec_lo, exec_lo, s3
	v_cmp_gt_u32_e32 vcc_lo, 32, v0
	s_mov_b32 s10, exec_lo
	s_waitcnt lgkmcnt(0)
	s_barrier
	buffer_gl0_inv
                                        ; implicit-def: $vgpr23_vgpr24
	v_cmpx_lt_u32_e32 31, v0
	s_cbranch_execz .LBB888_41
; %bb.40:
	v_lshl_add_u32 v13, v13, 3, -8
	ds_load_b64 v[23:24], v13
	s_waitcnt lgkmcnt(0)
	v_add_co_u32 v17, s3, v17, v23
	s_delay_alu instid0(VALU_DEP_1)
	v_add_co_ci_u32_e64 v14, s3, v14, v24, s3
.LBB888_41:
	s_or_b32 exec_lo, exec_lo, s10
	v_add_nc_u32_e32 v13, -1, v42
	s_delay_alu instid0(VALU_DEP_1) | instskip(NEXT) | instid1(VALU_DEP_1)
	v_cmp_gt_i32_e64 s3, 0, v13
	v_cndmask_b32_e64 v13, v13, v42, s3
	v_cmp_eq_u32_e64 s3, 0, v42
	s_delay_alu instid0(VALU_DEP_2)
	v_lshlrev_b32_e32 v13, 2, v13
	ds_bpermute_b32 v29, v13, v17
	ds_bpermute_b32 v30, v13, v14
	s_and_saveexec_b32 s10, vcc_lo
	s_cbranch_execz .LBB888_84
; %bb.42:
	v_mov_b32_e32 v16, 0
	ds_load_b64 v[13:14], v16 offset:24
	s_and_saveexec_b32 s11, s3
	s_cbranch_execz .LBB888_44
; %bb.43:
	s_add_i32 s12, s15, 32
	s_mov_b32 s13, 0
	s_delay_alu instid0(SALU_CYCLE_1) | instskip(NEXT) | instid1(SALU_CYCLE_1)
	s_lshl_b64 s[12:13], s[12:13], 4
	s_add_u32 s12, s8, s12
	s_addc_u32 s13, s9, s13
	s_delay_alu instid0(SALU_CYCLE_1)
	v_dual_mov_b32 v15, 1 :: v_dual_mov_b32 v18, s13
	v_mov_b32_e32 v17, s12
	s_waitcnt lgkmcnt(0)
	;;#ASMSTART
	global_store_dwordx4 v[17:18], v[13:16] off	
s_waitcnt vmcnt(0)
	;;#ASMEND
.LBB888_44:
	s_or_b32 exec_lo, exec_lo, s11
	v_xad_u32 v25, v42, -1, s15
	s_mov_b32 s12, 0
	s_mov_b32 s11, exec_lo
	s_delay_alu instid0(VALU_DEP_1) | instskip(NEXT) | instid1(VALU_DEP_1)
	v_add_nc_u32_e32 v15, 32, v25
	v_lshlrev_b64 v[15:16], 4, v[15:16]
	s_delay_alu instid0(VALU_DEP_1) | instskip(NEXT) | instid1(VALU_DEP_2)
	v_add_co_u32 v15, vcc_lo, s8, v15
	v_add_co_ci_u32_e32 v16, vcc_lo, s9, v16, vcc_lo
	;;#ASMSTART
	global_load_dwordx4 v[17:20], v[15:16] off glc	
s_waitcnt vmcnt(0)
	;;#ASMEND
	v_and_b32_e32 v20, 0xff, v18
	v_and_b32_e32 v26, 0xff00, v18
	v_or3_b32 v17, v17, 0, 0
	v_and_b32_e32 v27, 0xff000000, v18
	v_and_b32_e32 v18, 0xff0000, v18
	s_delay_alu instid0(VALU_DEP_4) | instskip(SKIP_2) | instid1(VALU_DEP_3)
	v_or3_b32 v20, 0, v20, v26
	v_and_b32_e32 v26, 0xff, v19
	v_or3_b32 v17, v17, 0, 0
	v_or3_b32 v18, v20, v18, v27
	s_delay_alu instid0(VALU_DEP_3)
	v_cmpx_eq_u16_e32 0, v26
	s_cbranch_execz .LBB888_50
; %bb.45:
	s_mov_b32 s13, 1
	.p2align	6
.LBB888_46:                             ; =>This Loop Header: Depth=1
                                        ;     Child Loop BB888_47 Depth 2
	s_delay_alu instid0(SALU_CYCLE_1)
	s_max_u32 s17, s13, 1
.LBB888_47:                             ;   Parent Loop BB888_46 Depth=1
                                        ; =>  This Inner Loop Header: Depth=2
	s_delay_alu instid0(SALU_CYCLE_1)
	s_add_i32 s17, s17, -1
	s_sleep 1
	s_cmp_eq_u32 s17, 0
	s_cbranch_scc0 .LBB888_47
; %bb.48:                               ;   in Loop: Header=BB888_46 Depth=1
	;;#ASMSTART
	global_load_dwordx4 v[17:20], v[15:16] off glc	
s_waitcnt vmcnt(0)
	;;#ASMEND
	v_and_b32_e32 v20, 0xff, v19
	s_cmp_lt_u32 s13, 32
	s_cselect_b32 s17, -1, 0
	s_delay_alu instid0(SALU_CYCLE_1) | instskip(NEXT) | instid1(VALU_DEP_1)
	s_cmp_lg_u32 s17, 0
	v_cmp_ne_u16_e32 vcc_lo, 0, v20
	s_addc_u32 s13, s13, 0
	s_or_b32 s12, vcc_lo, s12
	s_delay_alu instid0(SALU_CYCLE_1)
	s_and_not1_b32 exec_lo, exec_lo, s12
	s_cbranch_execnz .LBB888_46
; %bb.49:
	s_or_b32 exec_lo, exec_lo, s12
.LBB888_50:
	s_delay_alu instid0(SALU_CYCLE_1)
	s_or_b32 exec_lo, exec_lo, s11
	v_cmp_ne_u32_e32 vcc_lo, 31, v42
	v_and_b32_e32 v16, 0xff, v19
	v_lshlrev_b32_e64 v46, v42, -1
	s_mov_b32 s11, exec_lo
	v_add_co_ci_u32_e32 v15, vcc_lo, 0, v42, vcc_lo
	s_delay_alu instid0(VALU_DEP_3) | instskip(NEXT) | instid1(VALU_DEP_2)
	v_cmp_eq_u16_e32 vcc_lo, 2, v16
	v_dual_mov_b32 v16, v17 :: v_dual_lshlrev_b32 v45, 2, v15
	v_and_or_b32 v15, vcc_lo, v46, 0x80000000
	ds_bpermute_b32 v26, v45, v17
	ds_bpermute_b32 v20, v45, v18
	v_ctz_i32_b32_e32 v15, v15
	s_delay_alu instid0(VALU_DEP_1)
	v_cmpx_lt_u32_e64 v42, v15
	s_cbranch_execz .LBB888_52
; %bb.51:
	s_waitcnt lgkmcnt(1)
	v_add_co_u32 v16, vcc_lo, v17, v26
	v_add_co_ci_u32_e32 v18, vcc_lo, 0, v18, vcc_lo
	s_delay_alu instid0(VALU_DEP_2) | instskip(SKIP_1) | instid1(VALU_DEP_2)
	v_add_co_u32 v17, vcc_lo, 0, v16
	s_waitcnt lgkmcnt(0)
	v_add_co_ci_u32_e32 v18, vcc_lo, v20, v18, vcc_lo
.LBB888_52:
	s_or_b32 exec_lo, exec_lo, s11
	v_cmp_gt_u32_e32 vcc_lo, 30, v42
	v_add_nc_u32_e32 v48, 2, v42
	s_mov_b32 s11, exec_lo
	s_waitcnt lgkmcnt(0)
	v_cndmask_b32_e64 v20, 0, 1, vcc_lo
	s_delay_alu instid0(VALU_DEP_1) | instskip(NEXT) | instid1(VALU_DEP_1)
	v_lshlrev_b32_e32 v20, 1, v20
	v_add_lshl_u32 v47, v20, v42, 2
	ds_bpermute_b32 v26, v47, v16
	ds_bpermute_b32 v20, v47, v18
	v_cmpx_le_u32_e64 v48, v15
	s_cbranch_execz .LBB888_54
; %bb.53:
	s_waitcnt lgkmcnt(1)
	v_add_co_u32 v16, vcc_lo, v17, v26
	v_add_co_ci_u32_e32 v18, vcc_lo, 0, v18, vcc_lo
	s_delay_alu instid0(VALU_DEP_2) | instskip(SKIP_1) | instid1(VALU_DEP_2)
	v_add_co_u32 v17, vcc_lo, 0, v16
	s_waitcnt lgkmcnt(0)
	v_add_co_ci_u32_e32 v18, vcc_lo, v20, v18, vcc_lo
.LBB888_54:
	s_or_b32 exec_lo, exec_lo, s11
	v_cmp_gt_u32_e32 vcc_lo, 28, v42
	v_add_nc_u32_e32 v50, 4, v42
	s_mov_b32 s11, exec_lo
	s_waitcnt lgkmcnt(0)
	v_cndmask_b32_e64 v20, 0, 1, vcc_lo
	s_delay_alu instid0(VALU_DEP_1) | instskip(NEXT) | instid1(VALU_DEP_1)
	v_lshlrev_b32_e32 v20, 2, v20
	v_add_lshl_u32 v49, v20, v42, 2
	ds_bpermute_b32 v26, v49, v16
	ds_bpermute_b32 v20, v49, v18
	v_cmpx_le_u32_e64 v50, v15
	;; [unrolled: 22-line block ×4, first 2 shown]
	s_cbranch_execz .LBB888_60
; %bb.59:
	s_waitcnt lgkmcnt(1)
	v_add_co_u32 v15, vcc_lo, v17, v20
	v_add_co_ci_u32_e32 v18, vcc_lo, 0, v18, vcc_lo
	s_delay_alu instid0(VALU_DEP_2) | instskip(SKIP_1) | instid1(VALU_DEP_2)
	v_add_co_u32 v17, vcc_lo, v15, 0
	s_waitcnt lgkmcnt(0)
	v_add_co_ci_u32_e32 v18, vcc_lo, v18, v16, vcc_lo
.LBB888_60:
	s_or_b32 exec_lo, exec_lo, s11
	v_mov_b32_e32 v26, 0
	s_branch .LBB888_62
.LBB888_61:                             ;   in Loop: Header=BB888_62 Depth=1
	s_or_b32 exec_lo, exec_lo, s11
	v_add_co_u32 v17, vcc_lo, v17, v15
	v_subrev_nc_u32_e32 v25, 32, v25
	v_add_co_ci_u32_e32 v18, vcc_lo, v18, v16, vcc_lo
.LBB888_62:                             ; =>This Loop Header: Depth=1
                                        ;     Child Loop BB888_65 Depth 2
                                        ;       Child Loop BB888_66 Depth 3
	v_and_b32_e32 v15, 0xff, v19
	s_delay_alu instid0(VALU_DEP_1) | instskip(SKIP_2) | instid1(VALU_DEP_1)
	v_cmp_ne_u16_e32 vcc_lo, 2, v15
	v_cndmask_b32_e64 v15, 0, 1, vcc_lo
	;;#ASMSTART
	;;#ASMEND
	v_cmp_ne_u32_e32 vcc_lo, 0, v15
	s_waitcnt lgkmcnt(0)
	v_dual_mov_b32 v15, v17 :: v_dual_mov_b32 v16, v18
	s_cmp_lg_u32 vcc_lo, exec_lo
	s_cbranch_scc1 .LBB888_79
; %bb.63:                               ;   in Loop: Header=BB888_62 Depth=1
	v_lshlrev_b64 v[17:18], 4, v[25:26]
	s_mov_b32 s11, exec_lo
	s_delay_alu instid0(VALU_DEP_1) | instskip(NEXT) | instid1(VALU_DEP_2)
	v_add_co_u32 v27, vcc_lo, s8, v17
	v_add_co_ci_u32_e32 v28, vcc_lo, s9, v18, vcc_lo
	;;#ASMSTART
	global_load_dwordx4 v[17:20], v[27:28] off glc	
s_waitcnt vmcnt(0)
	;;#ASMEND
	v_and_b32_e32 v20, 0xff, v18
	v_and_b32_e32 v55, 0xff00, v18
	v_or3_b32 v17, v17, 0, 0
	v_and_b32_e32 v56, 0xff000000, v18
	v_and_b32_e32 v18, 0xff0000, v18
	s_delay_alu instid0(VALU_DEP_4) | instskip(SKIP_2) | instid1(VALU_DEP_3)
	v_or3_b32 v20, 0, v20, v55
	v_and_b32_e32 v55, 0xff, v19
	v_or3_b32 v17, v17, 0, 0
	v_or3_b32 v18, v20, v18, v56
	s_delay_alu instid0(VALU_DEP_3)
	v_cmpx_eq_u16_e32 0, v55
	s_cbranch_execz .LBB888_69
; %bb.64:                               ;   in Loop: Header=BB888_62 Depth=1
	s_mov_b32 s13, 1
	s_mov_b32 s12, 0
	.p2align	6
.LBB888_65:                             ;   Parent Loop BB888_62 Depth=1
                                        ; =>  This Loop Header: Depth=2
                                        ;       Child Loop BB888_66 Depth 3
	s_max_u32 s17, s13, 1
.LBB888_66:                             ;   Parent Loop BB888_62 Depth=1
                                        ;     Parent Loop BB888_65 Depth=2
                                        ; =>    This Inner Loop Header: Depth=3
	s_delay_alu instid0(SALU_CYCLE_1)
	s_add_i32 s17, s17, -1
	s_sleep 1
	s_cmp_eq_u32 s17, 0
	s_cbranch_scc0 .LBB888_66
; %bb.67:                               ;   in Loop: Header=BB888_65 Depth=2
	;;#ASMSTART
	global_load_dwordx4 v[17:20], v[27:28] off glc	
s_waitcnt vmcnt(0)
	;;#ASMEND
	v_and_b32_e32 v20, 0xff, v19
	s_cmp_lt_u32 s13, 32
	s_cselect_b32 s17, -1, 0
	s_delay_alu instid0(SALU_CYCLE_1) | instskip(NEXT) | instid1(VALU_DEP_1)
	s_cmp_lg_u32 s17, 0
	v_cmp_ne_u16_e32 vcc_lo, 0, v20
	s_addc_u32 s13, s13, 0
	s_or_b32 s12, vcc_lo, s12
	s_delay_alu instid0(SALU_CYCLE_1)
	s_and_not1_b32 exec_lo, exec_lo, s12
	s_cbranch_execnz .LBB888_65
; %bb.68:                               ;   in Loop: Header=BB888_62 Depth=1
	s_or_b32 exec_lo, exec_lo, s12
.LBB888_69:                             ;   in Loop: Header=BB888_62 Depth=1
	s_delay_alu instid0(SALU_CYCLE_1)
	s_or_b32 exec_lo, exec_lo, s11
	v_dual_mov_b32 v27, v17 :: v_dual_and_b32 v20, 0xff, v19
	ds_bpermute_b32 v55, v45, v17
	ds_bpermute_b32 v28, v45, v18
	s_mov_b32 s11, exec_lo
	v_cmp_eq_u16_e32 vcc_lo, 2, v20
	v_and_or_b32 v20, vcc_lo, v46, 0x80000000
	s_delay_alu instid0(VALU_DEP_1) | instskip(NEXT) | instid1(VALU_DEP_1)
	v_ctz_i32_b32_e32 v20, v20
	v_cmpx_lt_u32_e64 v42, v20
	s_cbranch_execz .LBB888_71
; %bb.70:                               ;   in Loop: Header=BB888_62 Depth=1
	s_waitcnt lgkmcnt(1)
	v_add_co_u32 v27, vcc_lo, v17, v55
	v_add_co_ci_u32_e32 v18, vcc_lo, 0, v18, vcc_lo
	s_delay_alu instid0(VALU_DEP_2) | instskip(SKIP_1) | instid1(VALU_DEP_2)
	v_add_co_u32 v17, vcc_lo, 0, v27
	s_waitcnt lgkmcnt(0)
	v_add_co_ci_u32_e32 v18, vcc_lo, v28, v18, vcc_lo
.LBB888_71:                             ;   in Loop: Header=BB888_62 Depth=1
	s_or_b32 exec_lo, exec_lo, s11
	s_waitcnt lgkmcnt(1)
	ds_bpermute_b32 v55, v47, v27
	s_waitcnt lgkmcnt(1)
	ds_bpermute_b32 v28, v47, v18
	s_mov_b32 s11, exec_lo
	v_cmpx_le_u32_e64 v48, v20
	s_cbranch_execz .LBB888_73
; %bb.72:                               ;   in Loop: Header=BB888_62 Depth=1
	s_waitcnt lgkmcnt(1)
	v_add_co_u32 v27, vcc_lo, v17, v55
	v_add_co_ci_u32_e32 v18, vcc_lo, 0, v18, vcc_lo
	s_delay_alu instid0(VALU_DEP_2) | instskip(SKIP_1) | instid1(VALU_DEP_2)
	v_add_co_u32 v17, vcc_lo, 0, v27
	s_waitcnt lgkmcnt(0)
	v_add_co_ci_u32_e32 v18, vcc_lo, v28, v18, vcc_lo
.LBB888_73:                             ;   in Loop: Header=BB888_62 Depth=1
	s_or_b32 exec_lo, exec_lo, s11
	s_waitcnt lgkmcnt(1)
	ds_bpermute_b32 v55, v49, v27
	s_waitcnt lgkmcnt(1)
	ds_bpermute_b32 v28, v49, v18
	s_mov_b32 s11, exec_lo
	v_cmpx_le_u32_e64 v50, v20
	;; [unrolled: 17-line block ×3, first 2 shown]
	s_cbranch_execz .LBB888_77
; %bb.76:                               ;   in Loop: Header=BB888_62 Depth=1
	s_waitcnt lgkmcnt(1)
	v_add_co_u32 v27, vcc_lo, v17, v55
	v_add_co_ci_u32_e32 v18, vcc_lo, 0, v18, vcc_lo
	s_delay_alu instid0(VALU_DEP_2) | instskip(SKIP_1) | instid1(VALU_DEP_2)
	v_add_co_u32 v17, vcc_lo, 0, v27
	s_waitcnt lgkmcnt(0)
	v_add_co_ci_u32_e32 v18, vcc_lo, v28, v18, vcc_lo
.LBB888_77:                             ;   in Loop: Header=BB888_62 Depth=1
	s_or_b32 exec_lo, exec_lo, s11
	s_waitcnt lgkmcnt(0)
	ds_bpermute_b32 v28, v53, v27
	ds_bpermute_b32 v27, v53, v18
	s_mov_b32 s11, exec_lo
	v_cmpx_le_u32_e64 v54, v20
	s_cbranch_execz .LBB888_61
; %bb.78:                               ;   in Loop: Header=BB888_62 Depth=1
	s_waitcnt lgkmcnt(1)
	v_add_co_u32 v17, vcc_lo, v17, v28
	v_add_co_ci_u32_e32 v18, vcc_lo, 0, v18, vcc_lo
	s_delay_alu instid0(VALU_DEP_2) | instskip(SKIP_1) | instid1(VALU_DEP_2)
	v_add_co_u32 v17, vcc_lo, v17, 0
	s_waitcnt lgkmcnt(0)
	v_add_co_ci_u32_e32 v18, vcc_lo, v18, v27, vcc_lo
	s_branch .LBB888_61
.LBB888_79:                             ;   in Loop: Header=BB888_62 Depth=1
                                        ; implicit-def: $vgpr17_vgpr18
	s_cbranch_execz .LBB888_62
; %bb.80:
	s_and_saveexec_b32 s11, s3
	s_cbranch_execz .LBB888_82
; %bb.81:
	s_add_i32 s12, s15, 32
	s_mov_b32 s13, 0
	v_add_co_u32 v17, vcc_lo, v15, v13
	s_lshl_b64 s[12:13], s[12:13], 4
	v_dual_mov_b32 v19, 2 :: v_dual_mov_b32 v20, 0
	s_add_u32 s12, s8, s12
	s_addc_u32 s13, s9, s13
	v_add_co_ci_u32_e32 v18, vcc_lo, v16, v14, vcc_lo
	v_dual_mov_b32 v26, s13 :: v_dual_mov_b32 v25, s12
	;;#ASMSTART
	global_store_dwordx4 v[25:26], v[17:20] off	
s_waitcnt vmcnt(0)
	;;#ASMEND
	ds_store_b128 v20, v[13:16] offset:6144
.LBB888_82:
	s_or_b32 exec_lo, exec_lo, s11
	v_cmp_eq_u32_e32 vcc_lo, 0, v0
	s_and_b32 exec_lo, exec_lo, vcc_lo
	s_cbranch_execz .LBB888_84
; %bb.83:
	v_mov_b32_e32 v13, 0
	ds_store_b64 v13, v[15:16] offset:24
.LBB888_84:
	s_or_b32 exec_lo, exec_lo, s10
	s_waitcnt lgkmcnt(1)
	v_cndmask_b32_e64 v16, v29, v23, s3
	v_cmp_ne_u32_e32 vcc_lo, 0, v0
	v_mov_b32_e32 v15, 0
	s_waitcnt lgkmcnt(0)
	s_barrier
	buffer_gl0_inv
	v_cndmask_b32_e32 v16, 0, v16, vcc_lo
	ds_load_b64 v[13:14], v15 offset:24
	v_cndmask_b32_e64 v17, v30, v24, s3
	s_waitcnt lgkmcnt(0)
	s_barrier
	buffer_gl0_inv
	v_cndmask_b32_e32 v17, 0, v17, vcc_lo
	v_add_co_u32 v29, vcc_lo, v13, v16
	s_delay_alu instid0(VALU_DEP_2) | instskip(SKIP_3) | instid1(VALU_DEP_2)
	v_add_co_ci_u32_e32 v30, vcc_lo, v14, v17, vcc_lo
	ds_load_b128 v[13:16], v15 offset:6144
	v_add_co_u32 v27, vcc_lo, v29, v41
	v_add_co_ci_u32_e32 v28, vcc_lo, 0, v30, vcc_lo
	v_add_co_u32 v25, vcc_lo, v27, v40
	s_delay_alu instid0(VALU_DEP_2) | instskip(NEXT) | instid1(VALU_DEP_2)
	v_add_co_ci_u32_e32 v26, vcc_lo, 0, v28, vcc_lo
	v_add_co_u32 v23, vcc_lo, v25, v39
	s_delay_alu instid0(VALU_DEP_2) | instskip(NEXT) | instid1(VALU_DEP_2)
	;; [unrolled: 3-line block ×3, first 2 shown]
	v_add_co_ci_u32_e32 v20, vcc_lo, 0, v24, vcc_lo
	v_add_co_u32 v17, vcc_lo, v19, v37
	s_delay_alu instid0(VALU_DEP_2)
	v_add_co_ci_u32_e32 v18, vcc_lo, 0, v20, vcc_lo
	s_load_b64 s[10:11], s[0:1], 0x30
.LBB888_85:
	s_waitcnt lgkmcnt(0)
	v_cmp_gt_u64_e32 vcc_lo, 0x81, v[13:14]
	s_mov_b32 s0, -1
	s_cbranch_vccnz .LBB888_113
.LBB888_86:
	s_and_b32 vcc_lo, exec_lo, s0
	s_cbranch_vccnz .LBB888_132
.LBB888_87:
	v_cmp_eq_u32_e32 vcc_lo, 0, v0
	s_and_b32 s0, vcc_lo, s14
	s_delay_alu instid0(SALU_CYCLE_1)
	s_and_saveexec_b32 s1, s0
	s_cbranch_execnz .LBB888_148
.LBB888_88:
	s_nop 0
	s_sendmsg sendmsg(MSG_DEALLOC_VGPRS)
	s_endpgm
.LBB888_89:
                                        ; kill: def $vgpr13_vgpr14 killed $sgpr0_sgpr1 killed $exec
                                        ; implicit-def: $vgpr17_vgpr18
                                        ; implicit-def: $vgpr19_vgpr20
                                        ; implicit-def: $vgpr23_vgpr24
                                        ; implicit-def: $vgpr25_vgpr26
                                        ; implicit-def: $vgpr27_vgpr28
                                        ; implicit-def: $vgpr29_vgpr30
                                        ; implicit-def: $vgpr15_vgpr16
	s_load_b64 s[10:11], s[0:1], 0x30
	s_and_b32 vcc_lo, exec_lo, s3
	s_cbranch_vccz .LBB888_85
; %bb.90:
	s_waitcnt lgkmcnt(0)
	v_dual_mov_b32 v14, 0 :: v_dual_mov_b32 v15, v21
	v_mov_b32_dpp v16, v21 row_shr:1 row_mask:0xf bank_mask:0xf
	s_delay_alu instid0(VALU_DEP_2)
	v_mov_b32_dpp v13, v14 row_shr:1 row_mask:0xf bank_mask:0xf
	s_and_saveexec_b32 s0, s2
; %bb.91:
	s_delay_alu instid0(VALU_DEP_2) | instskip(SKIP_1) | instid1(VALU_DEP_2)
	v_add_co_u32 v15, vcc_lo, v21, v16
	v_add_co_ci_u32_e32 v14, vcc_lo, 0, v22, vcc_lo
	v_add_co_u32 v21, vcc_lo, 0, v15
	s_delay_alu instid0(VALU_DEP_2) | instskip(NEXT) | instid1(VALU_DEP_1)
	v_add_co_ci_u32_e32 v22, vcc_lo, v13, v14, vcc_lo
	v_mov_b32_e32 v14, v22
; %bb.92:
	s_or_b32 exec_lo, exec_lo, s0
	v_mov_b32_dpp v13, v15 row_shr:2 row_mask:0xf bank_mask:0xf
	s_delay_alu instid0(VALU_DEP_2)
	v_mov_b32_dpp v16, v14 row_shr:2 row_mask:0xf bank_mask:0xf
	s_mov_b32 s0, exec_lo
	v_cmpx_lt_u32_e32 1, v44
; %bb.93:
	s_delay_alu instid0(VALU_DEP_3) | instskip(SKIP_1) | instid1(VALU_DEP_2)
	v_add_co_u32 v15, vcc_lo, v21, v13
	v_add_co_ci_u32_e32 v14, vcc_lo, 0, v22, vcc_lo
	v_add_co_u32 v13, vcc_lo, 0, v15
	s_delay_alu instid0(VALU_DEP_2) | instskip(NEXT) | instid1(VALU_DEP_1)
	v_add_co_ci_u32_e32 v14, vcc_lo, v16, v14, vcc_lo
	v_dual_mov_b32 v22, v14 :: v_dual_mov_b32 v21, v13
; %bb.94:
	s_or_b32 exec_lo, exec_lo, s0
	v_mov_b32_dpp v13, v15 row_shr:4 row_mask:0xf bank_mask:0xf
	v_mov_b32_dpp v16, v14 row_shr:4 row_mask:0xf bank_mask:0xf
	s_mov_b32 s0, exec_lo
	v_cmpx_lt_u32_e32 3, v44
; %bb.95:
	s_delay_alu instid0(VALU_DEP_3) | instskip(SKIP_1) | instid1(VALU_DEP_2)
	v_add_co_u32 v15, vcc_lo, v21, v13
	v_add_co_ci_u32_e32 v14, vcc_lo, 0, v22, vcc_lo
	v_add_co_u32 v13, vcc_lo, 0, v15
	s_delay_alu instid0(VALU_DEP_2) | instskip(NEXT) | instid1(VALU_DEP_1)
	v_add_co_ci_u32_e32 v14, vcc_lo, v16, v14, vcc_lo
	v_dual_mov_b32 v22, v14 :: v_dual_mov_b32 v21, v13
; %bb.96:
	s_or_b32 exec_lo, exec_lo, s0
	v_mov_b32_dpp v16, v15 row_shr:8 row_mask:0xf bank_mask:0xf
	v_mov_b32_dpp v13, v14 row_shr:8 row_mask:0xf bank_mask:0xf
	s_mov_b32 s0, exec_lo
	v_cmpx_lt_u32_e32 7, v44
; %bb.97:
	s_delay_alu instid0(VALU_DEP_3) | instskip(SKIP_1) | instid1(VALU_DEP_2)
	v_add_co_u32 v15, vcc_lo, v21, v16
	v_add_co_ci_u32_e32 v14, vcc_lo, 0, v22, vcc_lo
	v_add_co_u32 v21, vcc_lo, 0, v15
	s_delay_alu instid0(VALU_DEP_2) | instskip(NEXT) | instid1(VALU_DEP_1)
	v_add_co_ci_u32_e32 v22, vcc_lo, v13, v14, vcc_lo
	v_mov_b32_e32 v14, v22
; %bb.98:
	s_or_b32 exec_lo, exec_lo, s0
	ds_swizzle_b32 v15, v15 offset:swizzle(BROADCAST,32,15)
	ds_swizzle_b32 v13, v14 offset:swizzle(BROADCAST,32,15)
	v_and_b32_e32 v14, 16, v42
	s_mov_b32 s0, exec_lo
	s_delay_alu instid0(VALU_DEP_1)
	v_cmpx_ne_u32_e32 0, v14
	s_cbranch_execz .LBB888_100
; %bb.99:
	s_waitcnt lgkmcnt(1)
	v_add_co_u32 v14, vcc_lo, v21, v15
	v_add_co_ci_u32_e32 v15, vcc_lo, 0, v22, vcc_lo
	s_delay_alu instid0(VALU_DEP_2) | instskip(SKIP_1) | instid1(VALU_DEP_2)
	v_add_co_u32 v21, vcc_lo, v14, 0
	s_waitcnt lgkmcnt(0)
	v_add_co_ci_u32_e32 v22, vcc_lo, v15, v13, vcc_lo
.LBB888_100:
	s_or_b32 exec_lo, exec_lo, s0
	s_waitcnt lgkmcnt(0)
	v_or_b32_e32 v13, 31, v0
	v_lshrrev_b32_e32 v15, 5, v0
	s_mov_b32 s0, exec_lo
	s_delay_alu instid0(VALU_DEP_2)
	v_cmpx_eq_u32_e64 v13, v0
	s_cbranch_execz .LBB888_102
; %bb.101:
	s_delay_alu instid0(VALU_DEP_2)
	v_lshlrev_b32_e32 v13, 3, v15
	ds_store_b64 v13, v[21:22]
.LBB888_102:
	s_or_b32 exec_lo, exec_lo, s0
	s_delay_alu instid0(SALU_CYCLE_1)
	s_mov_b32 s0, exec_lo
	s_waitcnt lgkmcnt(0)
	s_barrier
	buffer_gl0_inv
	v_cmpx_gt_u32_e32 4, v0
	s_cbranch_execz .LBB888_108
; %bb.103:
	v_lshlrev_b32_e32 v13, 1, v0
	s_mov_b32 s1, exec_lo
	s_delay_alu instid0(VALU_DEP_1)
	v_add_nc_u32_e32 v16, v43, v13
	ds_load_b64 v[13:14], v16
	s_waitcnt lgkmcnt(0)
	v_dual_mov_b32 v18, v13 :: v_dual_and_b32 v17, 3, v42
	v_mov_b32_dpp v20, v13 row_shr:1 row_mask:0xf bank_mask:0xf
	v_mov_b32_dpp v19, v14 row_shr:1 row_mask:0xf bank_mask:0xf
	s_delay_alu instid0(VALU_DEP_3)
	v_cmpx_ne_u32_e32 0, v17
; %bb.104:
	s_delay_alu instid0(VALU_DEP_3) | instskip(SKIP_1) | instid1(VALU_DEP_2)
	v_add_co_u32 v18, vcc_lo, v13, v20
	v_add_co_ci_u32_e32 v14, vcc_lo, 0, v14, vcc_lo
	v_add_co_u32 v13, vcc_lo, 0, v18
	s_delay_alu instid0(VALU_DEP_2)
	v_add_co_ci_u32_e32 v14, vcc_lo, v19, v14, vcc_lo
; %bb.105:
	s_or_b32 exec_lo, exec_lo, s1
	v_mov_b32_dpp v19, v18 row_shr:2 row_mask:0xf bank_mask:0xf
	s_delay_alu instid0(VALU_DEP_2)
	v_mov_b32_dpp v18, v14 row_shr:2 row_mask:0xf bank_mask:0xf
	s_mov_b32 s1, exec_lo
	v_cmpx_lt_u32_e32 1, v17
; %bb.106:
	s_delay_alu instid0(VALU_DEP_3) | instskip(SKIP_1) | instid1(VALU_DEP_2)
	v_add_co_u32 v13, vcc_lo, v13, v19
	v_add_co_ci_u32_e32 v14, vcc_lo, 0, v14, vcc_lo
	v_add_co_u32 v13, vcc_lo, v13, 0
	s_delay_alu instid0(VALU_DEP_2)
	v_add_co_ci_u32_e32 v14, vcc_lo, v14, v18, vcc_lo
; %bb.107:
	s_or_b32 exec_lo, exec_lo, s1
	ds_store_b64 v16, v[13:14]
.LBB888_108:
	s_or_b32 exec_lo, exec_lo, s0
	v_mov_b32_e32 v17, 0
	v_mov_b32_e32 v18, 0
	s_mov_b32 s0, exec_lo
	s_waitcnt lgkmcnt(0)
	s_barrier
	buffer_gl0_inv
	v_cmpx_lt_u32_e32 31, v0
	s_cbranch_execz .LBB888_110
; %bb.109:
	v_lshl_add_u32 v13, v15, 3, -8
	ds_load_b64 v[17:18], v13
.LBB888_110:
	s_or_b32 exec_lo, exec_lo, s0
	v_dual_mov_b32 v16, 0 :: v_dual_add_nc_u32 v13, -1, v42
	s_delay_alu instid0(VALU_DEP_1) | instskip(SKIP_4) | instid1(VALU_DEP_3)
	v_cmp_gt_i32_e32 vcc_lo, 0, v13
	v_cndmask_b32_e32 v13, v13, v42, vcc_lo
	s_waitcnt lgkmcnt(0)
	v_add_co_u32 v14, vcc_lo, v17, v21
	v_add_co_ci_u32_e32 v15, vcc_lo, v18, v22, vcc_lo
	v_lshlrev_b32_e32 v13, 2, v13
	v_cmp_eq_u32_e32 vcc_lo, 0, v0
	ds_bpermute_b32 v19, v13, v14
	ds_bpermute_b32 v20, v13, v15
	ds_load_b64 v[13:14], v16 offset:24
	s_and_saveexec_b32 s0, vcc_lo
	s_cbranch_execz .LBB888_112
; %bb.111:
	s_add_u32 s2, s8, 0x200
	s_addc_u32 s3, s9, 0
	s_delay_alu instid0(SALU_CYCLE_1)
	v_dual_mov_b32 v15, 2 :: v_dual_mov_b32 v22, s3
	v_mov_b32_e32 v21, s2
	s_waitcnt lgkmcnt(0)
	;;#ASMSTART
	global_store_dwordx4 v[21:22], v[13:16] off	
s_waitcnt vmcnt(0)
	;;#ASMEND
.LBB888_112:
	s_or_b32 exec_lo, exec_lo, s0
	v_cmp_eq_u32_e64 s0, 0, v42
	s_waitcnt lgkmcnt(0)
	s_barrier
	buffer_gl0_inv
	v_cndmask_b32_e64 v15, v19, v17, s0
	v_cndmask_b32_e64 v16, v20, v18, s0
	s_delay_alu instid0(VALU_DEP_2) | instskip(NEXT) | instid1(VALU_DEP_2)
	v_cndmask_b32_e64 v29, v15, 0, vcc_lo
	v_cndmask_b32_e64 v30, v16, 0, vcc_lo
	v_mov_b32_e32 v15, 0
	v_mov_b32_e32 v16, 0
	s_delay_alu instid0(VALU_DEP_4) | instskip(NEXT) | instid1(VALU_DEP_4)
	v_add_co_u32 v27, vcc_lo, v29, v41
	v_add_co_ci_u32_e32 v28, vcc_lo, 0, v30, vcc_lo
	s_delay_alu instid0(VALU_DEP_2) | instskip(NEXT) | instid1(VALU_DEP_2)
	v_add_co_u32 v25, vcc_lo, v27, v40
	v_add_co_ci_u32_e32 v26, vcc_lo, 0, v28, vcc_lo
	s_delay_alu instid0(VALU_DEP_2) | instskip(NEXT) | instid1(VALU_DEP_2)
	;; [unrolled: 3-line block ×4, first 2 shown]
	v_add_co_u32 v17, vcc_lo, v19, v37
	v_add_co_ci_u32_e32 v18, vcc_lo, 0, v20, vcc_lo
	v_cmp_gt_u64_e32 vcc_lo, 0x81, v[13:14]
	s_mov_b32 s0, -1
	s_cbranch_vccz .LBB888_86
.LBB888_113:
	v_add_co_u32 v21, vcc_lo, v15, v13
	v_add_co_ci_u32_e32 v22, vcc_lo, v16, v14, vcc_lo
	s_delay_alu instid0(VALU_DEP_1) | instskip(SKIP_1) | instid1(SALU_CYCLE_1)
	v_cmp_lt_u64_e32 vcc_lo, v[29:30], v[21:22]
	s_or_b32 s1, s16, vcc_lo
	s_and_saveexec_b32 s0, s1
	s_cbranch_execz .LBB888_116
; %bb.114:
	v_and_b32_e32 v37, 1, v36
	s_delay_alu instid0(VALU_DEP_1)
	v_cmp_eq_u32_e32 vcc_lo, 1, v37
	s_and_b32 exec_lo, exec_lo, vcc_lo
	s_cbranch_execz .LBB888_116
; %bb.115:
	v_lshlrev_b64 v[37:38], 3, v[29:30]
	s_lshl_b64 s[2:3], s[6:7], 3
	s_delay_alu instid0(SALU_CYCLE_1) | instskip(SKIP_1) | instid1(VALU_DEP_1)
	s_add_u32 s1, s10, s2
	s_addc_u32 s2, s11, s3
	v_add_co_u32 v37, vcc_lo, s1, v37
	s_delay_alu instid0(VALU_DEP_2)
	v_add_co_ci_u32_e32 v38, vcc_lo, s2, v38, vcc_lo
	global_store_b64 v[37:38], v[9:10], off
.LBB888_116:
	s_or_b32 exec_lo, exec_lo, s0
	v_cmp_lt_u64_e32 vcc_lo, v[27:28], v[21:22]
	s_or_b32 s1, s16, vcc_lo
	s_delay_alu instid0(SALU_CYCLE_1)
	s_and_saveexec_b32 s0, s1
	s_cbranch_execz .LBB888_119
; %bb.117:
	v_and_b32_e32 v30, 1, v34
	s_delay_alu instid0(VALU_DEP_1)
	v_cmp_eq_u32_e32 vcc_lo, 1, v30
	s_and_b32 exec_lo, exec_lo, vcc_lo
	s_cbranch_execz .LBB888_119
; %bb.118:
	v_lshlrev_b64 v[37:38], 3, v[27:28]
	s_lshl_b64 s[2:3], s[6:7], 3
	s_delay_alu instid0(SALU_CYCLE_1) | instskip(SKIP_1) | instid1(VALU_DEP_1)
	s_add_u32 s1, s10, s2
	s_addc_u32 s2, s11, s3
	v_add_co_u32 v37, vcc_lo, s1, v37
	s_delay_alu instid0(VALU_DEP_2)
	v_add_co_ci_u32_e32 v38, vcc_lo, s2, v38, vcc_lo
	global_store_b64 v[37:38], v[11:12], off
.LBB888_119:
	s_or_b32 exec_lo, exec_lo, s0
	v_cmp_lt_u64_e32 vcc_lo, v[25:26], v[21:22]
	s_or_b32 s1, s16, vcc_lo
	s_delay_alu instid0(SALU_CYCLE_1)
	;; [unrolled: 23-line block ×5, first 2 shown]
	s_and_saveexec_b32 s0, s1
	s_cbranch_execz .LBB888_131
; %bb.129:
	v_and_b32_e32 v20, 1, v32
	s_delay_alu instid0(VALU_DEP_1)
	v_cmp_eq_u32_e32 vcc_lo, 1, v20
	s_and_b32 exec_lo, exec_lo, vcc_lo
	s_cbranch_execz .LBB888_131
; %bb.130:
	v_lshlrev_b64 v[20:21], 3, v[17:18]
	s_lshl_b64 s[2:3], s[6:7], 3
	s_delay_alu instid0(SALU_CYCLE_1) | instskip(SKIP_1) | instid1(VALU_DEP_1)
	s_add_u32 s1, s10, s2
	s_addc_u32 s2, s11, s3
	v_add_co_u32 v20, vcc_lo, s1, v20
	s_delay_alu instid0(VALU_DEP_2)
	v_add_co_ci_u32_e32 v21, vcc_lo, s2, v21, vcc_lo
	global_store_b64 v[20:21], v[3:4], off
.LBB888_131:
	s_or_b32 exec_lo, exec_lo, s0
	s_branch .LBB888_87
.LBB888_132:
	v_and_b32_e32 v18, 1, v36
	s_mov_b32 s0, exec_lo
	s_delay_alu instid0(VALU_DEP_1)
	v_cmpx_eq_u32_e32 1, v18
	s_cbranch_execz .LBB888_134
; %bb.133:
	v_sub_nc_u32_e32 v18, v29, v15
	s_delay_alu instid0(VALU_DEP_1)
	v_lshlrev_b32_e32 v18, 3, v18
	ds_store_b64 v18, v[9:10]
.LBB888_134:
	s_or_b32 exec_lo, exec_lo, s0
	v_and_b32_e32 v9, 1, v34
	s_mov_b32 s0, exec_lo
	s_delay_alu instid0(VALU_DEP_1)
	v_cmpx_eq_u32_e32 1, v9
	s_cbranch_execz .LBB888_136
; %bb.135:
	v_sub_nc_u32_e32 v9, v27, v15
	s_delay_alu instid0(VALU_DEP_1)
	v_lshlrev_b32_e32 v9, 3, v9
	ds_store_b64 v9, v[11:12]
.LBB888_136:
	s_or_b32 exec_lo, exec_lo, s0
	;; [unrolled: 12-line block ×6, first 2 shown]
	v_mov_b32_e32 v3, 0
	s_mov_b32 s1, exec_lo
	s_waitcnt lgkmcnt(0)
	s_waitcnt_vscnt null, 0x0
	s_barrier
	buffer_gl0_inv
	v_mov_b32_e32 v1, v3
	s_delay_alu instid0(VALU_DEP_1)
	v_cmpx_gt_u64_e64 v[13:14], v[0:1]
	s_cbranch_execz .LBB888_147
; %bb.145:
	v_lshlrev_b64 v[4:5], 3, v[15:16]
	s_lshl_b64 s[2:3], s[6:7], 3
	v_or_b32_e32 v2, 0x80, v0
	s_delay_alu instid0(VALU_DEP_2) | instskip(NEXT) | instid1(VALU_DEP_3)
	v_add_co_u32 v4, vcc_lo, s10, v4
	v_add_co_ci_u32_e32 v5, vcc_lo, s11, v5, vcc_lo
	s_delay_alu instid0(VALU_DEP_2) | instskip(NEXT) | instid1(VALU_DEP_2)
	v_add_co_u32 v6, vcc_lo, v4, s2
	v_add_co_ci_u32_e32 v7, vcc_lo, s3, v5, vcc_lo
	v_dual_mov_b32 v5, v1 :: v_dual_mov_b32 v4, v0
	s_mov_b32 s2, 0
	.p2align	6
.LBB888_146:                            ; =>This Inner Loop Header: Depth=1
	s_delay_alu instid0(VALU_DEP_1) | instskip(NEXT) | instid1(VALU_DEP_2)
	v_lshlrev_b32_e32 v1, 3, v4
	v_lshlrev_b64 v[10:11], 3, v[4:5]
	v_dual_mov_b32 v5, v3 :: v_dual_mov_b32 v4, v2
	v_cmp_le_u64_e32 vcc_lo, v[13:14], v[2:3]
	v_add_nc_u32_e32 v2, 0x80, v2
	ds_load_b64 v[8:9], v1
	v_add_co_u32 v10, s0, v6, v10
	s_delay_alu instid0(VALU_DEP_1)
	v_add_co_ci_u32_e64 v11, s0, v7, v11, s0
	s_or_b32 s2, vcc_lo, s2
	s_waitcnt lgkmcnt(0)
	global_store_b64 v[10:11], v[8:9], off
	s_and_not1_b32 exec_lo, exec_lo, s2
	s_cbranch_execnz .LBB888_146
.LBB888_147:
	s_or_b32 exec_lo, exec_lo, s1
	v_cmp_eq_u32_e32 vcc_lo, 0, v0
	s_and_b32 s0, vcc_lo, s14
	s_delay_alu instid0(SALU_CYCLE_1)
	s_and_saveexec_b32 s1, s0
	s_cbranch_execz .LBB888_88
.LBB888_148:
	v_add_co_u32 v0, vcc_lo, v15, v13
	v_add_co_ci_u32_e32 v1, vcc_lo, v16, v14, vcc_lo
	v_mov_b32_e32 v2, 0
	s_delay_alu instid0(VALU_DEP_3) | instskip(NEXT) | instid1(VALU_DEP_3)
	v_add_co_u32 v0, vcc_lo, v0, s6
	v_add_co_ci_u32_e32 v1, vcc_lo, s7, v1, vcc_lo
	global_store_b64 v2, v[0:1], s[4:5]
	s_nop 0
	s_sendmsg sendmsg(MSG_DEALLOC_VGPRS)
	s_endpgm
	.section	.rodata,"a",@progbits
	.p2align	6, 0x0
	.amdhsa_kernel _ZN7rocprim17ROCPRIM_400000_NS6detail17trampoline_kernelINS0_14default_configENS1_25partition_config_selectorILNS1_17partition_subalgoE5ElNS0_10empty_typeEbEEZZNS1_14partition_implILS5_5ELb0ES3_mN6hipcub16HIPCUB_304000_NS21CountingInputIteratorIllEEPS6_NSA_22TransformInputIteratorIbN2at6native12_GLOBAL__N_19NonZeroOpIN3c104HalfEEEPKSK_lEENS0_5tupleIJPlS6_EEENSP_IJSD_SD_EEES6_PiJS6_EEE10hipError_tPvRmT3_T4_T5_T6_T7_T9_mT8_P12ihipStream_tbDpT10_ENKUlT_T0_E_clISt17integral_constantIbLb1EES1C_IbLb0EEEEDaS18_S19_EUlS18_E_NS1_11comp_targetILNS1_3genE9ELNS1_11target_archE1100ELNS1_3gpuE3ELNS1_3repE0EEENS1_30default_config_static_selectorELNS0_4arch9wavefront6targetE0EEEvT1_
		.amdhsa_group_segment_fixed_size 6160
		.amdhsa_private_segment_fixed_size 0
		.amdhsa_kernarg_size 120
		.amdhsa_user_sgpr_count 15
		.amdhsa_user_sgpr_dispatch_ptr 0
		.amdhsa_user_sgpr_queue_ptr 0
		.amdhsa_user_sgpr_kernarg_segment_ptr 1
		.amdhsa_user_sgpr_dispatch_id 0
		.amdhsa_user_sgpr_private_segment_size 0
		.amdhsa_wavefront_size32 1
		.amdhsa_uses_dynamic_stack 0
		.amdhsa_enable_private_segment 0
		.amdhsa_system_sgpr_workgroup_id_x 1
		.amdhsa_system_sgpr_workgroup_id_y 0
		.amdhsa_system_sgpr_workgroup_id_z 0
		.amdhsa_system_sgpr_workgroup_info 0
		.amdhsa_system_vgpr_workitem_id 0
		.amdhsa_next_free_vgpr 57
		.amdhsa_next_free_sgpr 21
		.amdhsa_reserve_vcc 1
		.amdhsa_float_round_mode_32 0
		.amdhsa_float_round_mode_16_64 0
		.amdhsa_float_denorm_mode_32 3
		.amdhsa_float_denorm_mode_16_64 3
		.amdhsa_dx10_clamp 1
		.amdhsa_ieee_mode 1
		.amdhsa_fp16_overflow 0
		.amdhsa_workgroup_processor_mode 1
		.amdhsa_memory_ordered 1
		.amdhsa_forward_progress 0
		.amdhsa_shared_vgpr_count 0
		.amdhsa_exception_fp_ieee_invalid_op 0
		.amdhsa_exception_fp_denorm_src 0
		.amdhsa_exception_fp_ieee_div_zero 0
		.amdhsa_exception_fp_ieee_overflow 0
		.amdhsa_exception_fp_ieee_underflow 0
		.amdhsa_exception_fp_ieee_inexact 0
		.amdhsa_exception_int_div_zero 0
	.end_amdhsa_kernel
	.section	.text._ZN7rocprim17ROCPRIM_400000_NS6detail17trampoline_kernelINS0_14default_configENS1_25partition_config_selectorILNS1_17partition_subalgoE5ElNS0_10empty_typeEbEEZZNS1_14partition_implILS5_5ELb0ES3_mN6hipcub16HIPCUB_304000_NS21CountingInputIteratorIllEEPS6_NSA_22TransformInputIteratorIbN2at6native12_GLOBAL__N_19NonZeroOpIN3c104HalfEEEPKSK_lEENS0_5tupleIJPlS6_EEENSP_IJSD_SD_EEES6_PiJS6_EEE10hipError_tPvRmT3_T4_T5_T6_T7_T9_mT8_P12ihipStream_tbDpT10_ENKUlT_T0_E_clISt17integral_constantIbLb1EES1C_IbLb0EEEEDaS18_S19_EUlS18_E_NS1_11comp_targetILNS1_3genE9ELNS1_11target_archE1100ELNS1_3gpuE3ELNS1_3repE0EEENS1_30default_config_static_selectorELNS0_4arch9wavefront6targetE0EEEvT1_,"axG",@progbits,_ZN7rocprim17ROCPRIM_400000_NS6detail17trampoline_kernelINS0_14default_configENS1_25partition_config_selectorILNS1_17partition_subalgoE5ElNS0_10empty_typeEbEEZZNS1_14partition_implILS5_5ELb0ES3_mN6hipcub16HIPCUB_304000_NS21CountingInputIteratorIllEEPS6_NSA_22TransformInputIteratorIbN2at6native12_GLOBAL__N_19NonZeroOpIN3c104HalfEEEPKSK_lEENS0_5tupleIJPlS6_EEENSP_IJSD_SD_EEES6_PiJS6_EEE10hipError_tPvRmT3_T4_T5_T6_T7_T9_mT8_P12ihipStream_tbDpT10_ENKUlT_T0_E_clISt17integral_constantIbLb1EES1C_IbLb0EEEEDaS18_S19_EUlS18_E_NS1_11comp_targetILNS1_3genE9ELNS1_11target_archE1100ELNS1_3gpuE3ELNS1_3repE0EEENS1_30default_config_static_selectorELNS0_4arch9wavefront6targetE0EEEvT1_,comdat
.Lfunc_end888:
	.size	_ZN7rocprim17ROCPRIM_400000_NS6detail17trampoline_kernelINS0_14default_configENS1_25partition_config_selectorILNS1_17partition_subalgoE5ElNS0_10empty_typeEbEEZZNS1_14partition_implILS5_5ELb0ES3_mN6hipcub16HIPCUB_304000_NS21CountingInputIteratorIllEEPS6_NSA_22TransformInputIteratorIbN2at6native12_GLOBAL__N_19NonZeroOpIN3c104HalfEEEPKSK_lEENS0_5tupleIJPlS6_EEENSP_IJSD_SD_EEES6_PiJS6_EEE10hipError_tPvRmT3_T4_T5_T6_T7_T9_mT8_P12ihipStream_tbDpT10_ENKUlT_T0_E_clISt17integral_constantIbLb1EES1C_IbLb0EEEEDaS18_S19_EUlS18_E_NS1_11comp_targetILNS1_3genE9ELNS1_11target_archE1100ELNS1_3gpuE3ELNS1_3repE0EEENS1_30default_config_static_selectorELNS0_4arch9wavefront6targetE0EEEvT1_, .Lfunc_end888-_ZN7rocprim17ROCPRIM_400000_NS6detail17trampoline_kernelINS0_14default_configENS1_25partition_config_selectorILNS1_17partition_subalgoE5ElNS0_10empty_typeEbEEZZNS1_14partition_implILS5_5ELb0ES3_mN6hipcub16HIPCUB_304000_NS21CountingInputIteratorIllEEPS6_NSA_22TransformInputIteratorIbN2at6native12_GLOBAL__N_19NonZeroOpIN3c104HalfEEEPKSK_lEENS0_5tupleIJPlS6_EEENSP_IJSD_SD_EEES6_PiJS6_EEE10hipError_tPvRmT3_T4_T5_T6_T7_T9_mT8_P12ihipStream_tbDpT10_ENKUlT_T0_E_clISt17integral_constantIbLb1EES1C_IbLb0EEEEDaS18_S19_EUlS18_E_NS1_11comp_targetILNS1_3genE9ELNS1_11target_archE1100ELNS1_3gpuE3ELNS1_3repE0EEENS1_30default_config_static_selectorELNS0_4arch9wavefront6targetE0EEEvT1_
                                        ; -- End function
	.section	.AMDGPU.csdata,"",@progbits
; Kernel info:
; codeLenInByte = 6596
; NumSgprs: 23
; NumVgprs: 57
; ScratchSize: 0
; MemoryBound: 0
; FloatMode: 240
; IeeeMode: 1
; LDSByteSize: 6160 bytes/workgroup (compile time only)
; SGPRBlocks: 2
; VGPRBlocks: 7
; NumSGPRsForWavesPerEU: 23
; NumVGPRsForWavesPerEU: 57
; Occupancy: 16
; WaveLimiterHint : 1
; COMPUTE_PGM_RSRC2:SCRATCH_EN: 0
; COMPUTE_PGM_RSRC2:USER_SGPR: 15
; COMPUTE_PGM_RSRC2:TRAP_HANDLER: 0
; COMPUTE_PGM_RSRC2:TGID_X_EN: 1
; COMPUTE_PGM_RSRC2:TGID_Y_EN: 0
; COMPUTE_PGM_RSRC2:TGID_Z_EN: 0
; COMPUTE_PGM_RSRC2:TIDIG_COMP_CNT: 0
	.section	.text._ZN7rocprim17ROCPRIM_400000_NS6detail17trampoline_kernelINS0_14default_configENS1_25partition_config_selectorILNS1_17partition_subalgoE5ElNS0_10empty_typeEbEEZZNS1_14partition_implILS5_5ELb0ES3_mN6hipcub16HIPCUB_304000_NS21CountingInputIteratorIllEEPS6_NSA_22TransformInputIteratorIbN2at6native12_GLOBAL__N_19NonZeroOpIN3c104HalfEEEPKSK_lEENS0_5tupleIJPlS6_EEENSP_IJSD_SD_EEES6_PiJS6_EEE10hipError_tPvRmT3_T4_T5_T6_T7_T9_mT8_P12ihipStream_tbDpT10_ENKUlT_T0_E_clISt17integral_constantIbLb1EES1C_IbLb0EEEEDaS18_S19_EUlS18_E_NS1_11comp_targetILNS1_3genE8ELNS1_11target_archE1030ELNS1_3gpuE2ELNS1_3repE0EEENS1_30default_config_static_selectorELNS0_4arch9wavefront6targetE0EEEvT1_,"axG",@progbits,_ZN7rocprim17ROCPRIM_400000_NS6detail17trampoline_kernelINS0_14default_configENS1_25partition_config_selectorILNS1_17partition_subalgoE5ElNS0_10empty_typeEbEEZZNS1_14partition_implILS5_5ELb0ES3_mN6hipcub16HIPCUB_304000_NS21CountingInputIteratorIllEEPS6_NSA_22TransformInputIteratorIbN2at6native12_GLOBAL__N_19NonZeroOpIN3c104HalfEEEPKSK_lEENS0_5tupleIJPlS6_EEENSP_IJSD_SD_EEES6_PiJS6_EEE10hipError_tPvRmT3_T4_T5_T6_T7_T9_mT8_P12ihipStream_tbDpT10_ENKUlT_T0_E_clISt17integral_constantIbLb1EES1C_IbLb0EEEEDaS18_S19_EUlS18_E_NS1_11comp_targetILNS1_3genE8ELNS1_11target_archE1030ELNS1_3gpuE2ELNS1_3repE0EEENS1_30default_config_static_selectorELNS0_4arch9wavefront6targetE0EEEvT1_,comdat
	.globl	_ZN7rocprim17ROCPRIM_400000_NS6detail17trampoline_kernelINS0_14default_configENS1_25partition_config_selectorILNS1_17partition_subalgoE5ElNS0_10empty_typeEbEEZZNS1_14partition_implILS5_5ELb0ES3_mN6hipcub16HIPCUB_304000_NS21CountingInputIteratorIllEEPS6_NSA_22TransformInputIteratorIbN2at6native12_GLOBAL__N_19NonZeroOpIN3c104HalfEEEPKSK_lEENS0_5tupleIJPlS6_EEENSP_IJSD_SD_EEES6_PiJS6_EEE10hipError_tPvRmT3_T4_T5_T6_T7_T9_mT8_P12ihipStream_tbDpT10_ENKUlT_T0_E_clISt17integral_constantIbLb1EES1C_IbLb0EEEEDaS18_S19_EUlS18_E_NS1_11comp_targetILNS1_3genE8ELNS1_11target_archE1030ELNS1_3gpuE2ELNS1_3repE0EEENS1_30default_config_static_selectorELNS0_4arch9wavefront6targetE0EEEvT1_ ; -- Begin function _ZN7rocprim17ROCPRIM_400000_NS6detail17trampoline_kernelINS0_14default_configENS1_25partition_config_selectorILNS1_17partition_subalgoE5ElNS0_10empty_typeEbEEZZNS1_14partition_implILS5_5ELb0ES3_mN6hipcub16HIPCUB_304000_NS21CountingInputIteratorIllEEPS6_NSA_22TransformInputIteratorIbN2at6native12_GLOBAL__N_19NonZeroOpIN3c104HalfEEEPKSK_lEENS0_5tupleIJPlS6_EEENSP_IJSD_SD_EEES6_PiJS6_EEE10hipError_tPvRmT3_T4_T5_T6_T7_T9_mT8_P12ihipStream_tbDpT10_ENKUlT_T0_E_clISt17integral_constantIbLb1EES1C_IbLb0EEEEDaS18_S19_EUlS18_E_NS1_11comp_targetILNS1_3genE8ELNS1_11target_archE1030ELNS1_3gpuE2ELNS1_3repE0EEENS1_30default_config_static_selectorELNS0_4arch9wavefront6targetE0EEEvT1_
	.p2align	8
	.type	_ZN7rocprim17ROCPRIM_400000_NS6detail17trampoline_kernelINS0_14default_configENS1_25partition_config_selectorILNS1_17partition_subalgoE5ElNS0_10empty_typeEbEEZZNS1_14partition_implILS5_5ELb0ES3_mN6hipcub16HIPCUB_304000_NS21CountingInputIteratorIllEEPS6_NSA_22TransformInputIteratorIbN2at6native12_GLOBAL__N_19NonZeroOpIN3c104HalfEEEPKSK_lEENS0_5tupleIJPlS6_EEENSP_IJSD_SD_EEES6_PiJS6_EEE10hipError_tPvRmT3_T4_T5_T6_T7_T9_mT8_P12ihipStream_tbDpT10_ENKUlT_T0_E_clISt17integral_constantIbLb1EES1C_IbLb0EEEEDaS18_S19_EUlS18_E_NS1_11comp_targetILNS1_3genE8ELNS1_11target_archE1030ELNS1_3gpuE2ELNS1_3repE0EEENS1_30default_config_static_selectorELNS0_4arch9wavefront6targetE0EEEvT1_,@function
_ZN7rocprim17ROCPRIM_400000_NS6detail17trampoline_kernelINS0_14default_configENS1_25partition_config_selectorILNS1_17partition_subalgoE5ElNS0_10empty_typeEbEEZZNS1_14partition_implILS5_5ELb0ES3_mN6hipcub16HIPCUB_304000_NS21CountingInputIteratorIllEEPS6_NSA_22TransformInputIteratorIbN2at6native12_GLOBAL__N_19NonZeroOpIN3c104HalfEEEPKSK_lEENS0_5tupleIJPlS6_EEENSP_IJSD_SD_EEES6_PiJS6_EEE10hipError_tPvRmT3_T4_T5_T6_T7_T9_mT8_P12ihipStream_tbDpT10_ENKUlT_T0_E_clISt17integral_constantIbLb1EES1C_IbLb0EEEEDaS18_S19_EUlS18_E_NS1_11comp_targetILNS1_3genE8ELNS1_11target_archE1030ELNS1_3gpuE2ELNS1_3repE0EEENS1_30default_config_static_selectorELNS0_4arch9wavefront6targetE0EEEvT1_: ; @_ZN7rocprim17ROCPRIM_400000_NS6detail17trampoline_kernelINS0_14default_configENS1_25partition_config_selectorILNS1_17partition_subalgoE5ElNS0_10empty_typeEbEEZZNS1_14partition_implILS5_5ELb0ES3_mN6hipcub16HIPCUB_304000_NS21CountingInputIteratorIllEEPS6_NSA_22TransformInputIteratorIbN2at6native12_GLOBAL__N_19NonZeroOpIN3c104HalfEEEPKSK_lEENS0_5tupleIJPlS6_EEENSP_IJSD_SD_EEES6_PiJS6_EEE10hipError_tPvRmT3_T4_T5_T6_T7_T9_mT8_P12ihipStream_tbDpT10_ENKUlT_T0_E_clISt17integral_constantIbLb1EES1C_IbLb0EEEEDaS18_S19_EUlS18_E_NS1_11comp_targetILNS1_3genE8ELNS1_11target_archE1030ELNS1_3gpuE2ELNS1_3repE0EEENS1_30default_config_static_selectorELNS0_4arch9wavefront6targetE0EEEvT1_
; %bb.0:
	.section	.rodata,"a",@progbits
	.p2align	6, 0x0
	.amdhsa_kernel _ZN7rocprim17ROCPRIM_400000_NS6detail17trampoline_kernelINS0_14default_configENS1_25partition_config_selectorILNS1_17partition_subalgoE5ElNS0_10empty_typeEbEEZZNS1_14partition_implILS5_5ELb0ES3_mN6hipcub16HIPCUB_304000_NS21CountingInputIteratorIllEEPS6_NSA_22TransformInputIteratorIbN2at6native12_GLOBAL__N_19NonZeroOpIN3c104HalfEEEPKSK_lEENS0_5tupleIJPlS6_EEENSP_IJSD_SD_EEES6_PiJS6_EEE10hipError_tPvRmT3_T4_T5_T6_T7_T9_mT8_P12ihipStream_tbDpT10_ENKUlT_T0_E_clISt17integral_constantIbLb1EES1C_IbLb0EEEEDaS18_S19_EUlS18_E_NS1_11comp_targetILNS1_3genE8ELNS1_11target_archE1030ELNS1_3gpuE2ELNS1_3repE0EEENS1_30default_config_static_selectorELNS0_4arch9wavefront6targetE0EEEvT1_
		.amdhsa_group_segment_fixed_size 0
		.amdhsa_private_segment_fixed_size 0
		.amdhsa_kernarg_size 120
		.amdhsa_user_sgpr_count 15
		.amdhsa_user_sgpr_dispatch_ptr 0
		.amdhsa_user_sgpr_queue_ptr 0
		.amdhsa_user_sgpr_kernarg_segment_ptr 1
		.amdhsa_user_sgpr_dispatch_id 0
		.amdhsa_user_sgpr_private_segment_size 0
		.amdhsa_wavefront_size32 1
		.amdhsa_uses_dynamic_stack 0
		.amdhsa_enable_private_segment 0
		.amdhsa_system_sgpr_workgroup_id_x 1
		.amdhsa_system_sgpr_workgroup_id_y 0
		.amdhsa_system_sgpr_workgroup_id_z 0
		.amdhsa_system_sgpr_workgroup_info 0
		.amdhsa_system_vgpr_workitem_id 0
		.amdhsa_next_free_vgpr 1
		.amdhsa_next_free_sgpr 1
		.amdhsa_reserve_vcc 0
		.amdhsa_float_round_mode_32 0
		.amdhsa_float_round_mode_16_64 0
		.amdhsa_float_denorm_mode_32 3
		.amdhsa_float_denorm_mode_16_64 3
		.amdhsa_dx10_clamp 1
		.amdhsa_ieee_mode 1
		.amdhsa_fp16_overflow 0
		.amdhsa_workgroup_processor_mode 1
		.amdhsa_memory_ordered 1
		.amdhsa_forward_progress 0
		.amdhsa_shared_vgpr_count 0
		.amdhsa_exception_fp_ieee_invalid_op 0
		.amdhsa_exception_fp_denorm_src 0
		.amdhsa_exception_fp_ieee_div_zero 0
		.amdhsa_exception_fp_ieee_overflow 0
		.amdhsa_exception_fp_ieee_underflow 0
		.amdhsa_exception_fp_ieee_inexact 0
		.amdhsa_exception_int_div_zero 0
	.end_amdhsa_kernel
	.section	.text._ZN7rocprim17ROCPRIM_400000_NS6detail17trampoline_kernelINS0_14default_configENS1_25partition_config_selectorILNS1_17partition_subalgoE5ElNS0_10empty_typeEbEEZZNS1_14partition_implILS5_5ELb0ES3_mN6hipcub16HIPCUB_304000_NS21CountingInputIteratorIllEEPS6_NSA_22TransformInputIteratorIbN2at6native12_GLOBAL__N_19NonZeroOpIN3c104HalfEEEPKSK_lEENS0_5tupleIJPlS6_EEENSP_IJSD_SD_EEES6_PiJS6_EEE10hipError_tPvRmT3_T4_T5_T6_T7_T9_mT8_P12ihipStream_tbDpT10_ENKUlT_T0_E_clISt17integral_constantIbLb1EES1C_IbLb0EEEEDaS18_S19_EUlS18_E_NS1_11comp_targetILNS1_3genE8ELNS1_11target_archE1030ELNS1_3gpuE2ELNS1_3repE0EEENS1_30default_config_static_selectorELNS0_4arch9wavefront6targetE0EEEvT1_,"axG",@progbits,_ZN7rocprim17ROCPRIM_400000_NS6detail17trampoline_kernelINS0_14default_configENS1_25partition_config_selectorILNS1_17partition_subalgoE5ElNS0_10empty_typeEbEEZZNS1_14partition_implILS5_5ELb0ES3_mN6hipcub16HIPCUB_304000_NS21CountingInputIteratorIllEEPS6_NSA_22TransformInputIteratorIbN2at6native12_GLOBAL__N_19NonZeroOpIN3c104HalfEEEPKSK_lEENS0_5tupleIJPlS6_EEENSP_IJSD_SD_EEES6_PiJS6_EEE10hipError_tPvRmT3_T4_T5_T6_T7_T9_mT8_P12ihipStream_tbDpT10_ENKUlT_T0_E_clISt17integral_constantIbLb1EES1C_IbLb0EEEEDaS18_S19_EUlS18_E_NS1_11comp_targetILNS1_3genE8ELNS1_11target_archE1030ELNS1_3gpuE2ELNS1_3repE0EEENS1_30default_config_static_selectorELNS0_4arch9wavefront6targetE0EEEvT1_,comdat
.Lfunc_end889:
	.size	_ZN7rocprim17ROCPRIM_400000_NS6detail17trampoline_kernelINS0_14default_configENS1_25partition_config_selectorILNS1_17partition_subalgoE5ElNS0_10empty_typeEbEEZZNS1_14partition_implILS5_5ELb0ES3_mN6hipcub16HIPCUB_304000_NS21CountingInputIteratorIllEEPS6_NSA_22TransformInputIteratorIbN2at6native12_GLOBAL__N_19NonZeroOpIN3c104HalfEEEPKSK_lEENS0_5tupleIJPlS6_EEENSP_IJSD_SD_EEES6_PiJS6_EEE10hipError_tPvRmT3_T4_T5_T6_T7_T9_mT8_P12ihipStream_tbDpT10_ENKUlT_T0_E_clISt17integral_constantIbLb1EES1C_IbLb0EEEEDaS18_S19_EUlS18_E_NS1_11comp_targetILNS1_3genE8ELNS1_11target_archE1030ELNS1_3gpuE2ELNS1_3repE0EEENS1_30default_config_static_selectorELNS0_4arch9wavefront6targetE0EEEvT1_, .Lfunc_end889-_ZN7rocprim17ROCPRIM_400000_NS6detail17trampoline_kernelINS0_14default_configENS1_25partition_config_selectorILNS1_17partition_subalgoE5ElNS0_10empty_typeEbEEZZNS1_14partition_implILS5_5ELb0ES3_mN6hipcub16HIPCUB_304000_NS21CountingInputIteratorIllEEPS6_NSA_22TransformInputIteratorIbN2at6native12_GLOBAL__N_19NonZeroOpIN3c104HalfEEEPKSK_lEENS0_5tupleIJPlS6_EEENSP_IJSD_SD_EEES6_PiJS6_EEE10hipError_tPvRmT3_T4_T5_T6_T7_T9_mT8_P12ihipStream_tbDpT10_ENKUlT_T0_E_clISt17integral_constantIbLb1EES1C_IbLb0EEEEDaS18_S19_EUlS18_E_NS1_11comp_targetILNS1_3genE8ELNS1_11target_archE1030ELNS1_3gpuE2ELNS1_3repE0EEENS1_30default_config_static_selectorELNS0_4arch9wavefront6targetE0EEEvT1_
                                        ; -- End function
	.section	.AMDGPU.csdata,"",@progbits
; Kernel info:
; codeLenInByte = 0
; NumSgprs: 0
; NumVgprs: 0
; ScratchSize: 0
; MemoryBound: 0
; FloatMode: 240
; IeeeMode: 1
; LDSByteSize: 0 bytes/workgroup (compile time only)
; SGPRBlocks: 0
; VGPRBlocks: 0
; NumSGPRsForWavesPerEU: 1
; NumVGPRsForWavesPerEU: 1
; Occupancy: 16
; WaveLimiterHint : 0
; COMPUTE_PGM_RSRC2:SCRATCH_EN: 0
; COMPUTE_PGM_RSRC2:USER_SGPR: 15
; COMPUTE_PGM_RSRC2:TRAP_HANDLER: 0
; COMPUTE_PGM_RSRC2:TGID_X_EN: 1
; COMPUTE_PGM_RSRC2:TGID_Y_EN: 0
; COMPUTE_PGM_RSRC2:TGID_Z_EN: 0
; COMPUTE_PGM_RSRC2:TIDIG_COMP_CNT: 0
	.section	.text._ZN7rocprim17ROCPRIM_400000_NS6detail17trampoline_kernelINS0_14default_configENS1_25partition_config_selectorILNS1_17partition_subalgoE5ElNS0_10empty_typeEbEEZZNS1_14partition_implILS5_5ELb0ES3_mN6hipcub16HIPCUB_304000_NS21CountingInputIteratorIllEEPS6_NSA_22TransformInputIteratorIbN2at6native12_GLOBAL__N_19NonZeroOpIN3c104HalfEEEPKSK_lEENS0_5tupleIJPlS6_EEENSP_IJSD_SD_EEES6_PiJS6_EEE10hipError_tPvRmT3_T4_T5_T6_T7_T9_mT8_P12ihipStream_tbDpT10_ENKUlT_T0_E_clISt17integral_constantIbLb0EES1C_IbLb1EEEEDaS18_S19_EUlS18_E_NS1_11comp_targetILNS1_3genE0ELNS1_11target_archE4294967295ELNS1_3gpuE0ELNS1_3repE0EEENS1_30default_config_static_selectorELNS0_4arch9wavefront6targetE0EEEvT1_,"axG",@progbits,_ZN7rocprim17ROCPRIM_400000_NS6detail17trampoline_kernelINS0_14default_configENS1_25partition_config_selectorILNS1_17partition_subalgoE5ElNS0_10empty_typeEbEEZZNS1_14partition_implILS5_5ELb0ES3_mN6hipcub16HIPCUB_304000_NS21CountingInputIteratorIllEEPS6_NSA_22TransformInputIteratorIbN2at6native12_GLOBAL__N_19NonZeroOpIN3c104HalfEEEPKSK_lEENS0_5tupleIJPlS6_EEENSP_IJSD_SD_EEES6_PiJS6_EEE10hipError_tPvRmT3_T4_T5_T6_T7_T9_mT8_P12ihipStream_tbDpT10_ENKUlT_T0_E_clISt17integral_constantIbLb0EES1C_IbLb1EEEEDaS18_S19_EUlS18_E_NS1_11comp_targetILNS1_3genE0ELNS1_11target_archE4294967295ELNS1_3gpuE0ELNS1_3repE0EEENS1_30default_config_static_selectorELNS0_4arch9wavefront6targetE0EEEvT1_,comdat
	.globl	_ZN7rocprim17ROCPRIM_400000_NS6detail17trampoline_kernelINS0_14default_configENS1_25partition_config_selectorILNS1_17partition_subalgoE5ElNS0_10empty_typeEbEEZZNS1_14partition_implILS5_5ELb0ES3_mN6hipcub16HIPCUB_304000_NS21CountingInputIteratorIllEEPS6_NSA_22TransformInputIteratorIbN2at6native12_GLOBAL__N_19NonZeroOpIN3c104HalfEEEPKSK_lEENS0_5tupleIJPlS6_EEENSP_IJSD_SD_EEES6_PiJS6_EEE10hipError_tPvRmT3_T4_T5_T6_T7_T9_mT8_P12ihipStream_tbDpT10_ENKUlT_T0_E_clISt17integral_constantIbLb0EES1C_IbLb1EEEEDaS18_S19_EUlS18_E_NS1_11comp_targetILNS1_3genE0ELNS1_11target_archE4294967295ELNS1_3gpuE0ELNS1_3repE0EEENS1_30default_config_static_selectorELNS0_4arch9wavefront6targetE0EEEvT1_ ; -- Begin function _ZN7rocprim17ROCPRIM_400000_NS6detail17trampoline_kernelINS0_14default_configENS1_25partition_config_selectorILNS1_17partition_subalgoE5ElNS0_10empty_typeEbEEZZNS1_14partition_implILS5_5ELb0ES3_mN6hipcub16HIPCUB_304000_NS21CountingInputIteratorIllEEPS6_NSA_22TransformInputIteratorIbN2at6native12_GLOBAL__N_19NonZeroOpIN3c104HalfEEEPKSK_lEENS0_5tupleIJPlS6_EEENSP_IJSD_SD_EEES6_PiJS6_EEE10hipError_tPvRmT3_T4_T5_T6_T7_T9_mT8_P12ihipStream_tbDpT10_ENKUlT_T0_E_clISt17integral_constantIbLb0EES1C_IbLb1EEEEDaS18_S19_EUlS18_E_NS1_11comp_targetILNS1_3genE0ELNS1_11target_archE4294967295ELNS1_3gpuE0ELNS1_3repE0EEENS1_30default_config_static_selectorELNS0_4arch9wavefront6targetE0EEEvT1_
	.p2align	8
	.type	_ZN7rocprim17ROCPRIM_400000_NS6detail17trampoline_kernelINS0_14default_configENS1_25partition_config_selectorILNS1_17partition_subalgoE5ElNS0_10empty_typeEbEEZZNS1_14partition_implILS5_5ELb0ES3_mN6hipcub16HIPCUB_304000_NS21CountingInputIteratorIllEEPS6_NSA_22TransformInputIteratorIbN2at6native12_GLOBAL__N_19NonZeroOpIN3c104HalfEEEPKSK_lEENS0_5tupleIJPlS6_EEENSP_IJSD_SD_EEES6_PiJS6_EEE10hipError_tPvRmT3_T4_T5_T6_T7_T9_mT8_P12ihipStream_tbDpT10_ENKUlT_T0_E_clISt17integral_constantIbLb0EES1C_IbLb1EEEEDaS18_S19_EUlS18_E_NS1_11comp_targetILNS1_3genE0ELNS1_11target_archE4294967295ELNS1_3gpuE0ELNS1_3repE0EEENS1_30default_config_static_selectorELNS0_4arch9wavefront6targetE0EEEvT1_,@function
_ZN7rocprim17ROCPRIM_400000_NS6detail17trampoline_kernelINS0_14default_configENS1_25partition_config_selectorILNS1_17partition_subalgoE5ElNS0_10empty_typeEbEEZZNS1_14partition_implILS5_5ELb0ES3_mN6hipcub16HIPCUB_304000_NS21CountingInputIteratorIllEEPS6_NSA_22TransformInputIteratorIbN2at6native12_GLOBAL__N_19NonZeroOpIN3c104HalfEEEPKSK_lEENS0_5tupleIJPlS6_EEENSP_IJSD_SD_EEES6_PiJS6_EEE10hipError_tPvRmT3_T4_T5_T6_T7_T9_mT8_P12ihipStream_tbDpT10_ENKUlT_T0_E_clISt17integral_constantIbLb0EES1C_IbLb1EEEEDaS18_S19_EUlS18_E_NS1_11comp_targetILNS1_3genE0ELNS1_11target_archE4294967295ELNS1_3gpuE0ELNS1_3repE0EEENS1_30default_config_static_selectorELNS0_4arch9wavefront6targetE0EEEvT1_: ; @_ZN7rocprim17ROCPRIM_400000_NS6detail17trampoline_kernelINS0_14default_configENS1_25partition_config_selectorILNS1_17partition_subalgoE5ElNS0_10empty_typeEbEEZZNS1_14partition_implILS5_5ELb0ES3_mN6hipcub16HIPCUB_304000_NS21CountingInputIteratorIllEEPS6_NSA_22TransformInputIteratorIbN2at6native12_GLOBAL__N_19NonZeroOpIN3c104HalfEEEPKSK_lEENS0_5tupleIJPlS6_EEENSP_IJSD_SD_EEES6_PiJS6_EEE10hipError_tPvRmT3_T4_T5_T6_T7_T9_mT8_P12ihipStream_tbDpT10_ENKUlT_T0_E_clISt17integral_constantIbLb0EES1C_IbLb1EEEEDaS18_S19_EUlS18_E_NS1_11comp_targetILNS1_3genE0ELNS1_11target_archE4294967295ELNS1_3gpuE0ELNS1_3repE0EEENS1_30default_config_static_selectorELNS0_4arch9wavefront6targetE0EEEvT1_
; %bb.0:
	.section	.rodata,"a",@progbits
	.p2align	6, 0x0
	.amdhsa_kernel _ZN7rocprim17ROCPRIM_400000_NS6detail17trampoline_kernelINS0_14default_configENS1_25partition_config_selectorILNS1_17partition_subalgoE5ElNS0_10empty_typeEbEEZZNS1_14partition_implILS5_5ELb0ES3_mN6hipcub16HIPCUB_304000_NS21CountingInputIteratorIllEEPS6_NSA_22TransformInputIteratorIbN2at6native12_GLOBAL__N_19NonZeroOpIN3c104HalfEEEPKSK_lEENS0_5tupleIJPlS6_EEENSP_IJSD_SD_EEES6_PiJS6_EEE10hipError_tPvRmT3_T4_T5_T6_T7_T9_mT8_P12ihipStream_tbDpT10_ENKUlT_T0_E_clISt17integral_constantIbLb0EES1C_IbLb1EEEEDaS18_S19_EUlS18_E_NS1_11comp_targetILNS1_3genE0ELNS1_11target_archE4294967295ELNS1_3gpuE0ELNS1_3repE0EEENS1_30default_config_static_selectorELNS0_4arch9wavefront6targetE0EEEvT1_
		.amdhsa_group_segment_fixed_size 0
		.amdhsa_private_segment_fixed_size 0
		.amdhsa_kernarg_size 136
		.amdhsa_user_sgpr_count 15
		.amdhsa_user_sgpr_dispatch_ptr 0
		.amdhsa_user_sgpr_queue_ptr 0
		.amdhsa_user_sgpr_kernarg_segment_ptr 1
		.amdhsa_user_sgpr_dispatch_id 0
		.amdhsa_user_sgpr_private_segment_size 0
		.amdhsa_wavefront_size32 1
		.amdhsa_uses_dynamic_stack 0
		.amdhsa_enable_private_segment 0
		.amdhsa_system_sgpr_workgroup_id_x 1
		.amdhsa_system_sgpr_workgroup_id_y 0
		.amdhsa_system_sgpr_workgroup_id_z 0
		.amdhsa_system_sgpr_workgroup_info 0
		.amdhsa_system_vgpr_workitem_id 0
		.amdhsa_next_free_vgpr 1
		.amdhsa_next_free_sgpr 1
		.amdhsa_reserve_vcc 0
		.amdhsa_float_round_mode_32 0
		.amdhsa_float_round_mode_16_64 0
		.amdhsa_float_denorm_mode_32 3
		.amdhsa_float_denorm_mode_16_64 3
		.amdhsa_dx10_clamp 1
		.amdhsa_ieee_mode 1
		.amdhsa_fp16_overflow 0
		.amdhsa_workgroup_processor_mode 1
		.amdhsa_memory_ordered 1
		.amdhsa_forward_progress 0
		.amdhsa_shared_vgpr_count 0
		.amdhsa_exception_fp_ieee_invalid_op 0
		.amdhsa_exception_fp_denorm_src 0
		.amdhsa_exception_fp_ieee_div_zero 0
		.amdhsa_exception_fp_ieee_overflow 0
		.amdhsa_exception_fp_ieee_underflow 0
		.amdhsa_exception_fp_ieee_inexact 0
		.amdhsa_exception_int_div_zero 0
	.end_amdhsa_kernel
	.section	.text._ZN7rocprim17ROCPRIM_400000_NS6detail17trampoline_kernelINS0_14default_configENS1_25partition_config_selectorILNS1_17partition_subalgoE5ElNS0_10empty_typeEbEEZZNS1_14partition_implILS5_5ELb0ES3_mN6hipcub16HIPCUB_304000_NS21CountingInputIteratorIllEEPS6_NSA_22TransformInputIteratorIbN2at6native12_GLOBAL__N_19NonZeroOpIN3c104HalfEEEPKSK_lEENS0_5tupleIJPlS6_EEENSP_IJSD_SD_EEES6_PiJS6_EEE10hipError_tPvRmT3_T4_T5_T6_T7_T9_mT8_P12ihipStream_tbDpT10_ENKUlT_T0_E_clISt17integral_constantIbLb0EES1C_IbLb1EEEEDaS18_S19_EUlS18_E_NS1_11comp_targetILNS1_3genE0ELNS1_11target_archE4294967295ELNS1_3gpuE0ELNS1_3repE0EEENS1_30default_config_static_selectorELNS0_4arch9wavefront6targetE0EEEvT1_,"axG",@progbits,_ZN7rocprim17ROCPRIM_400000_NS6detail17trampoline_kernelINS0_14default_configENS1_25partition_config_selectorILNS1_17partition_subalgoE5ElNS0_10empty_typeEbEEZZNS1_14partition_implILS5_5ELb0ES3_mN6hipcub16HIPCUB_304000_NS21CountingInputIteratorIllEEPS6_NSA_22TransformInputIteratorIbN2at6native12_GLOBAL__N_19NonZeroOpIN3c104HalfEEEPKSK_lEENS0_5tupleIJPlS6_EEENSP_IJSD_SD_EEES6_PiJS6_EEE10hipError_tPvRmT3_T4_T5_T6_T7_T9_mT8_P12ihipStream_tbDpT10_ENKUlT_T0_E_clISt17integral_constantIbLb0EES1C_IbLb1EEEEDaS18_S19_EUlS18_E_NS1_11comp_targetILNS1_3genE0ELNS1_11target_archE4294967295ELNS1_3gpuE0ELNS1_3repE0EEENS1_30default_config_static_selectorELNS0_4arch9wavefront6targetE0EEEvT1_,comdat
.Lfunc_end890:
	.size	_ZN7rocprim17ROCPRIM_400000_NS6detail17trampoline_kernelINS0_14default_configENS1_25partition_config_selectorILNS1_17partition_subalgoE5ElNS0_10empty_typeEbEEZZNS1_14partition_implILS5_5ELb0ES3_mN6hipcub16HIPCUB_304000_NS21CountingInputIteratorIllEEPS6_NSA_22TransformInputIteratorIbN2at6native12_GLOBAL__N_19NonZeroOpIN3c104HalfEEEPKSK_lEENS0_5tupleIJPlS6_EEENSP_IJSD_SD_EEES6_PiJS6_EEE10hipError_tPvRmT3_T4_T5_T6_T7_T9_mT8_P12ihipStream_tbDpT10_ENKUlT_T0_E_clISt17integral_constantIbLb0EES1C_IbLb1EEEEDaS18_S19_EUlS18_E_NS1_11comp_targetILNS1_3genE0ELNS1_11target_archE4294967295ELNS1_3gpuE0ELNS1_3repE0EEENS1_30default_config_static_selectorELNS0_4arch9wavefront6targetE0EEEvT1_, .Lfunc_end890-_ZN7rocprim17ROCPRIM_400000_NS6detail17trampoline_kernelINS0_14default_configENS1_25partition_config_selectorILNS1_17partition_subalgoE5ElNS0_10empty_typeEbEEZZNS1_14partition_implILS5_5ELb0ES3_mN6hipcub16HIPCUB_304000_NS21CountingInputIteratorIllEEPS6_NSA_22TransformInputIteratorIbN2at6native12_GLOBAL__N_19NonZeroOpIN3c104HalfEEEPKSK_lEENS0_5tupleIJPlS6_EEENSP_IJSD_SD_EEES6_PiJS6_EEE10hipError_tPvRmT3_T4_T5_T6_T7_T9_mT8_P12ihipStream_tbDpT10_ENKUlT_T0_E_clISt17integral_constantIbLb0EES1C_IbLb1EEEEDaS18_S19_EUlS18_E_NS1_11comp_targetILNS1_3genE0ELNS1_11target_archE4294967295ELNS1_3gpuE0ELNS1_3repE0EEENS1_30default_config_static_selectorELNS0_4arch9wavefront6targetE0EEEvT1_
                                        ; -- End function
	.section	.AMDGPU.csdata,"",@progbits
; Kernel info:
; codeLenInByte = 0
; NumSgprs: 0
; NumVgprs: 0
; ScratchSize: 0
; MemoryBound: 0
; FloatMode: 240
; IeeeMode: 1
; LDSByteSize: 0 bytes/workgroup (compile time only)
; SGPRBlocks: 0
; VGPRBlocks: 0
; NumSGPRsForWavesPerEU: 1
; NumVGPRsForWavesPerEU: 1
; Occupancy: 16
; WaveLimiterHint : 0
; COMPUTE_PGM_RSRC2:SCRATCH_EN: 0
; COMPUTE_PGM_RSRC2:USER_SGPR: 15
; COMPUTE_PGM_RSRC2:TRAP_HANDLER: 0
; COMPUTE_PGM_RSRC2:TGID_X_EN: 1
; COMPUTE_PGM_RSRC2:TGID_Y_EN: 0
; COMPUTE_PGM_RSRC2:TGID_Z_EN: 0
; COMPUTE_PGM_RSRC2:TIDIG_COMP_CNT: 0
	.section	.text._ZN7rocprim17ROCPRIM_400000_NS6detail17trampoline_kernelINS0_14default_configENS1_25partition_config_selectorILNS1_17partition_subalgoE5ElNS0_10empty_typeEbEEZZNS1_14partition_implILS5_5ELb0ES3_mN6hipcub16HIPCUB_304000_NS21CountingInputIteratorIllEEPS6_NSA_22TransformInputIteratorIbN2at6native12_GLOBAL__N_19NonZeroOpIN3c104HalfEEEPKSK_lEENS0_5tupleIJPlS6_EEENSP_IJSD_SD_EEES6_PiJS6_EEE10hipError_tPvRmT3_T4_T5_T6_T7_T9_mT8_P12ihipStream_tbDpT10_ENKUlT_T0_E_clISt17integral_constantIbLb0EES1C_IbLb1EEEEDaS18_S19_EUlS18_E_NS1_11comp_targetILNS1_3genE5ELNS1_11target_archE942ELNS1_3gpuE9ELNS1_3repE0EEENS1_30default_config_static_selectorELNS0_4arch9wavefront6targetE0EEEvT1_,"axG",@progbits,_ZN7rocprim17ROCPRIM_400000_NS6detail17trampoline_kernelINS0_14default_configENS1_25partition_config_selectorILNS1_17partition_subalgoE5ElNS0_10empty_typeEbEEZZNS1_14partition_implILS5_5ELb0ES3_mN6hipcub16HIPCUB_304000_NS21CountingInputIteratorIllEEPS6_NSA_22TransformInputIteratorIbN2at6native12_GLOBAL__N_19NonZeroOpIN3c104HalfEEEPKSK_lEENS0_5tupleIJPlS6_EEENSP_IJSD_SD_EEES6_PiJS6_EEE10hipError_tPvRmT3_T4_T5_T6_T7_T9_mT8_P12ihipStream_tbDpT10_ENKUlT_T0_E_clISt17integral_constantIbLb0EES1C_IbLb1EEEEDaS18_S19_EUlS18_E_NS1_11comp_targetILNS1_3genE5ELNS1_11target_archE942ELNS1_3gpuE9ELNS1_3repE0EEENS1_30default_config_static_selectorELNS0_4arch9wavefront6targetE0EEEvT1_,comdat
	.globl	_ZN7rocprim17ROCPRIM_400000_NS6detail17trampoline_kernelINS0_14default_configENS1_25partition_config_selectorILNS1_17partition_subalgoE5ElNS0_10empty_typeEbEEZZNS1_14partition_implILS5_5ELb0ES3_mN6hipcub16HIPCUB_304000_NS21CountingInputIteratorIllEEPS6_NSA_22TransformInputIteratorIbN2at6native12_GLOBAL__N_19NonZeroOpIN3c104HalfEEEPKSK_lEENS0_5tupleIJPlS6_EEENSP_IJSD_SD_EEES6_PiJS6_EEE10hipError_tPvRmT3_T4_T5_T6_T7_T9_mT8_P12ihipStream_tbDpT10_ENKUlT_T0_E_clISt17integral_constantIbLb0EES1C_IbLb1EEEEDaS18_S19_EUlS18_E_NS1_11comp_targetILNS1_3genE5ELNS1_11target_archE942ELNS1_3gpuE9ELNS1_3repE0EEENS1_30default_config_static_selectorELNS0_4arch9wavefront6targetE0EEEvT1_ ; -- Begin function _ZN7rocprim17ROCPRIM_400000_NS6detail17trampoline_kernelINS0_14default_configENS1_25partition_config_selectorILNS1_17partition_subalgoE5ElNS0_10empty_typeEbEEZZNS1_14partition_implILS5_5ELb0ES3_mN6hipcub16HIPCUB_304000_NS21CountingInputIteratorIllEEPS6_NSA_22TransformInputIteratorIbN2at6native12_GLOBAL__N_19NonZeroOpIN3c104HalfEEEPKSK_lEENS0_5tupleIJPlS6_EEENSP_IJSD_SD_EEES6_PiJS6_EEE10hipError_tPvRmT3_T4_T5_T6_T7_T9_mT8_P12ihipStream_tbDpT10_ENKUlT_T0_E_clISt17integral_constantIbLb0EES1C_IbLb1EEEEDaS18_S19_EUlS18_E_NS1_11comp_targetILNS1_3genE5ELNS1_11target_archE942ELNS1_3gpuE9ELNS1_3repE0EEENS1_30default_config_static_selectorELNS0_4arch9wavefront6targetE0EEEvT1_
	.p2align	8
	.type	_ZN7rocprim17ROCPRIM_400000_NS6detail17trampoline_kernelINS0_14default_configENS1_25partition_config_selectorILNS1_17partition_subalgoE5ElNS0_10empty_typeEbEEZZNS1_14partition_implILS5_5ELb0ES3_mN6hipcub16HIPCUB_304000_NS21CountingInputIteratorIllEEPS6_NSA_22TransformInputIteratorIbN2at6native12_GLOBAL__N_19NonZeroOpIN3c104HalfEEEPKSK_lEENS0_5tupleIJPlS6_EEENSP_IJSD_SD_EEES6_PiJS6_EEE10hipError_tPvRmT3_T4_T5_T6_T7_T9_mT8_P12ihipStream_tbDpT10_ENKUlT_T0_E_clISt17integral_constantIbLb0EES1C_IbLb1EEEEDaS18_S19_EUlS18_E_NS1_11comp_targetILNS1_3genE5ELNS1_11target_archE942ELNS1_3gpuE9ELNS1_3repE0EEENS1_30default_config_static_selectorELNS0_4arch9wavefront6targetE0EEEvT1_,@function
_ZN7rocprim17ROCPRIM_400000_NS6detail17trampoline_kernelINS0_14default_configENS1_25partition_config_selectorILNS1_17partition_subalgoE5ElNS0_10empty_typeEbEEZZNS1_14partition_implILS5_5ELb0ES3_mN6hipcub16HIPCUB_304000_NS21CountingInputIteratorIllEEPS6_NSA_22TransformInputIteratorIbN2at6native12_GLOBAL__N_19NonZeroOpIN3c104HalfEEEPKSK_lEENS0_5tupleIJPlS6_EEENSP_IJSD_SD_EEES6_PiJS6_EEE10hipError_tPvRmT3_T4_T5_T6_T7_T9_mT8_P12ihipStream_tbDpT10_ENKUlT_T0_E_clISt17integral_constantIbLb0EES1C_IbLb1EEEEDaS18_S19_EUlS18_E_NS1_11comp_targetILNS1_3genE5ELNS1_11target_archE942ELNS1_3gpuE9ELNS1_3repE0EEENS1_30default_config_static_selectorELNS0_4arch9wavefront6targetE0EEEvT1_: ; @_ZN7rocprim17ROCPRIM_400000_NS6detail17trampoline_kernelINS0_14default_configENS1_25partition_config_selectorILNS1_17partition_subalgoE5ElNS0_10empty_typeEbEEZZNS1_14partition_implILS5_5ELb0ES3_mN6hipcub16HIPCUB_304000_NS21CountingInputIteratorIllEEPS6_NSA_22TransformInputIteratorIbN2at6native12_GLOBAL__N_19NonZeroOpIN3c104HalfEEEPKSK_lEENS0_5tupleIJPlS6_EEENSP_IJSD_SD_EEES6_PiJS6_EEE10hipError_tPvRmT3_T4_T5_T6_T7_T9_mT8_P12ihipStream_tbDpT10_ENKUlT_T0_E_clISt17integral_constantIbLb0EES1C_IbLb1EEEEDaS18_S19_EUlS18_E_NS1_11comp_targetILNS1_3genE5ELNS1_11target_archE942ELNS1_3gpuE9ELNS1_3repE0EEENS1_30default_config_static_selectorELNS0_4arch9wavefront6targetE0EEEvT1_
; %bb.0:
	.section	.rodata,"a",@progbits
	.p2align	6, 0x0
	.amdhsa_kernel _ZN7rocprim17ROCPRIM_400000_NS6detail17trampoline_kernelINS0_14default_configENS1_25partition_config_selectorILNS1_17partition_subalgoE5ElNS0_10empty_typeEbEEZZNS1_14partition_implILS5_5ELb0ES3_mN6hipcub16HIPCUB_304000_NS21CountingInputIteratorIllEEPS6_NSA_22TransformInputIteratorIbN2at6native12_GLOBAL__N_19NonZeroOpIN3c104HalfEEEPKSK_lEENS0_5tupleIJPlS6_EEENSP_IJSD_SD_EEES6_PiJS6_EEE10hipError_tPvRmT3_T4_T5_T6_T7_T9_mT8_P12ihipStream_tbDpT10_ENKUlT_T0_E_clISt17integral_constantIbLb0EES1C_IbLb1EEEEDaS18_S19_EUlS18_E_NS1_11comp_targetILNS1_3genE5ELNS1_11target_archE942ELNS1_3gpuE9ELNS1_3repE0EEENS1_30default_config_static_selectorELNS0_4arch9wavefront6targetE0EEEvT1_
		.amdhsa_group_segment_fixed_size 0
		.amdhsa_private_segment_fixed_size 0
		.amdhsa_kernarg_size 136
		.amdhsa_user_sgpr_count 15
		.amdhsa_user_sgpr_dispatch_ptr 0
		.amdhsa_user_sgpr_queue_ptr 0
		.amdhsa_user_sgpr_kernarg_segment_ptr 1
		.amdhsa_user_sgpr_dispatch_id 0
		.amdhsa_user_sgpr_private_segment_size 0
		.amdhsa_wavefront_size32 1
		.amdhsa_uses_dynamic_stack 0
		.amdhsa_enable_private_segment 0
		.amdhsa_system_sgpr_workgroup_id_x 1
		.amdhsa_system_sgpr_workgroup_id_y 0
		.amdhsa_system_sgpr_workgroup_id_z 0
		.amdhsa_system_sgpr_workgroup_info 0
		.amdhsa_system_vgpr_workitem_id 0
		.amdhsa_next_free_vgpr 1
		.amdhsa_next_free_sgpr 1
		.amdhsa_reserve_vcc 0
		.amdhsa_float_round_mode_32 0
		.amdhsa_float_round_mode_16_64 0
		.amdhsa_float_denorm_mode_32 3
		.amdhsa_float_denorm_mode_16_64 3
		.amdhsa_dx10_clamp 1
		.amdhsa_ieee_mode 1
		.amdhsa_fp16_overflow 0
		.amdhsa_workgroup_processor_mode 1
		.amdhsa_memory_ordered 1
		.amdhsa_forward_progress 0
		.amdhsa_shared_vgpr_count 0
		.amdhsa_exception_fp_ieee_invalid_op 0
		.amdhsa_exception_fp_denorm_src 0
		.amdhsa_exception_fp_ieee_div_zero 0
		.amdhsa_exception_fp_ieee_overflow 0
		.amdhsa_exception_fp_ieee_underflow 0
		.amdhsa_exception_fp_ieee_inexact 0
		.amdhsa_exception_int_div_zero 0
	.end_amdhsa_kernel
	.section	.text._ZN7rocprim17ROCPRIM_400000_NS6detail17trampoline_kernelINS0_14default_configENS1_25partition_config_selectorILNS1_17partition_subalgoE5ElNS0_10empty_typeEbEEZZNS1_14partition_implILS5_5ELb0ES3_mN6hipcub16HIPCUB_304000_NS21CountingInputIteratorIllEEPS6_NSA_22TransformInputIteratorIbN2at6native12_GLOBAL__N_19NonZeroOpIN3c104HalfEEEPKSK_lEENS0_5tupleIJPlS6_EEENSP_IJSD_SD_EEES6_PiJS6_EEE10hipError_tPvRmT3_T4_T5_T6_T7_T9_mT8_P12ihipStream_tbDpT10_ENKUlT_T0_E_clISt17integral_constantIbLb0EES1C_IbLb1EEEEDaS18_S19_EUlS18_E_NS1_11comp_targetILNS1_3genE5ELNS1_11target_archE942ELNS1_3gpuE9ELNS1_3repE0EEENS1_30default_config_static_selectorELNS0_4arch9wavefront6targetE0EEEvT1_,"axG",@progbits,_ZN7rocprim17ROCPRIM_400000_NS6detail17trampoline_kernelINS0_14default_configENS1_25partition_config_selectorILNS1_17partition_subalgoE5ElNS0_10empty_typeEbEEZZNS1_14partition_implILS5_5ELb0ES3_mN6hipcub16HIPCUB_304000_NS21CountingInputIteratorIllEEPS6_NSA_22TransformInputIteratorIbN2at6native12_GLOBAL__N_19NonZeroOpIN3c104HalfEEEPKSK_lEENS0_5tupleIJPlS6_EEENSP_IJSD_SD_EEES6_PiJS6_EEE10hipError_tPvRmT3_T4_T5_T6_T7_T9_mT8_P12ihipStream_tbDpT10_ENKUlT_T0_E_clISt17integral_constantIbLb0EES1C_IbLb1EEEEDaS18_S19_EUlS18_E_NS1_11comp_targetILNS1_3genE5ELNS1_11target_archE942ELNS1_3gpuE9ELNS1_3repE0EEENS1_30default_config_static_selectorELNS0_4arch9wavefront6targetE0EEEvT1_,comdat
.Lfunc_end891:
	.size	_ZN7rocprim17ROCPRIM_400000_NS6detail17trampoline_kernelINS0_14default_configENS1_25partition_config_selectorILNS1_17partition_subalgoE5ElNS0_10empty_typeEbEEZZNS1_14partition_implILS5_5ELb0ES3_mN6hipcub16HIPCUB_304000_NS21CountingInputIteratorIllEEPS6_NSA_22TransformInputIteratorIbN2at6native12_GLOBAL__N_19NonZeroOpIN3c104HalfEEEPKSK_lEENS0_5tupleIJPlS6_EEENSP_IJSD_SD_EEES6_PiJS6_EEE10hipError_tPvRmT3_T4_T5_T6_T7_T9_mT8_P12ihipStream_tbDpT10_ENKUlT_T0_E_clISt17integral_constantIbLb0EES1C_IbLb1EEEEDaS18_S19_EUlS18_E_NS1_11comp_targetILNS1_3genE5ELNS1_11target_archE942ELNS1_3gpuE9ELNS1_3repE0EEENS1_30default_config_static_selectorELNS0_4arch9wavefront6targetE0EEEvT1_, .Lfunc_end891-_ZN7rocprim17ROCPRIM_400000_NS6detail17trampoline_kernelINS0_14default_configENS1_25partition_config_selectorILNS1_17partition_subalgoE5ElNS0_10empty_typeEbEEZZNS1_14partition_implILS5_5ELb0ES3_mN6hipcub16HIPCUB_304000_NS21CountingInputIteratorIllEEPS6_NSA_22TransformInputIteratorIbN2at6native12_GLOBAL__N_19NonZeroOpIN3c104HalfEEEPKSK_lEENS0_5tupleIJPlS6_EEENSP_IJSD_SD_EEES6_PiJS6_EEE10hipError_tPvRmT3_T4_T5_T6_T7_T9_mT8_P12ihipStream_tbDpT10_ENKUlT_T0_E_clISt17integral_constantIbLb0EES1C_IbLb1EEEEDaS18_S19_EUlS18_E_NS1_11comp_targetILNS1_3genE5ELNS1_11target_archE942ELNS1_3gpuE9ELNS1_3repE0EEENS1_30default_config_static_selectorELNS0_4arch9wavefront6targetE0EEEvT1_
                                        ; -- End function
	.section	.AMDGPU.csdata,"",@progbits
; Kernel info:
; codeLenInByte = 0
; NumSgprs: 0
; NumVgprs: 0
; ScratchSize: 0
; MemoryBound: 0
; FloatMode: 240
; IeeeMode: 1
; LDSByteSize: 0 bytes/workgroup (compile time only)
; SGPRBlocks: 0
; VGPRBlocks: 0
; NumSGPRsForWavesPerEU: 1
; NumVGPRsForWavesPerEU: 1
; Occupancy: 16
; WaveLimiterHint : 0
; COMPUTE_PGM_RSRC2:SCRATCH_EN: 0
; COMPUTE_PGM_RSRC2:USER_SGPR: 15
; COMPUTE_PGM_RSRC2:TRAP_HANDLER: 0
; COMPUTE_PGM_RSRC2:TGID_X_EN: 1
; COMPUTE_PGM_RSRC2:TGID_Y_EN: 0
; COMPUTE_PGM_RSRC2:TGID_Z_EN: 0
; COMPUTE_PGM_RSRC2:TIDIG_COMP_CNT: 0
	.section	.text._ZN7rocprim17ROCPRIM_400000_NS6detail17trampoline_kernelINS0_14default_configENS1_25partition_config_selectorILNS1_17partition_subalgoE5ElNS0_10empty_typeEbEEZZNS1_14partition_implILS5_5ELb0ES3_mN6hipcub16HIPCUB_304000_NS21CountingInputIteratorIllEEPS6_NSA_22TransformInputIteratorIbN2at6native12_GLOBAL__N_19NonZeroOpIN3c104HalfEEEPKSK_lEENS0_5tupleIJPlS6_EEENSP_IJSD_SD_EEES6_PiJS6_EEE10hipError_tPvRmT3_T4_T5_T6_T7_T9_mT8_P12ihipStream_tbDpT10_ENKUlT_T0_E_clISt17integral_constantIbLb0EES1C_IbLb1EEEEDaS18_S19_EUlS18_E_NS1_11comp_targetILNS1_3genE4ELNS1_11target_archE910ELNS1_3gpuE8ELNS1_3repE0EEENS1_30default_config_static_selectorELNS0_4arch9wavefront6targetE0EEEvT1_,"axG",@progbits,_ZN7rocprim17ROCPRIM_400000_NS6detail17trampoline_kernelINS0_14default_configENS1_25partition_config_selectorILNS1_17partition_subalgoE5ElNS0_10empty_typeEbEEZZNS1_14partition_implILS5_5ELb0ES3_mN6hipcub16HIPCUB_304000_NS21CountingInputIteratorIllEEPS6_NSA_22TransformInputIteratorIbN2at6native12_GLOBAL__N_19NonZeroOpIN3c104HalfEEEPKSK_lEENS0_5tupleIJPlS6_EEENSP_IJSD_SD_EEES6_PiJS6_EEE10hipError_tPvRmT3_T4_T5_T6_T7_T9_mT8_P12ihipStream_tbDpT10_ENKUlT_T0_E_clISt17integral_constantIbLb0EES1C_IbLb1EEEEDaS18_S19_EUlS18_E_NS1_11comp_targetILNS1_3genE4ELNS1_11target_archE910ELNS1_3gpuE8ELNS1_3repE0EEENS1_30default_config_static_selectorELNS0_4arch9wavefront6targetE0EEEvT1_,comdat
	.globl	_ZN7rocprim17ROCPRIM_400000_NS6detail17trampoline_kernelINS0_14default_configENS1_25partition_config_selectorILNS1_17partition_subalgoE5ElNS0_10empty_typeEbEEZZNS1_14partition_implILS5_5ELb0ES3_mN6hipcub16HIPCUB_304000_NS21CountingInputIteratorIllEEPS6_NSA_22TransformInputIteratorIbN2at6native12_GLOBAL__N_19NonZeroOpIN3c104HalfEEEPKSK_lEENS0_5tupleIJPlS6_EEENSP_IJSD_SD_EEES6_PiJS6_EEE10hipError_tPvRmT3_T4_T5_T6_T7_T9_mT8_P12ihipStream_tbDpT10_ENKUlT_T0_E_clISt17integral_constantIbLb0EES1C_IbLb1EEEEDaS18_S19_EUlS18_E_NS1_11comp_targetILNS1_3genE4ELNS1_11target_archE910ELNS1_3gpuE8ELNS1_3repE0EEENS1_30default_config_static_selectorELNS0_4arch9wavefront6targetE0EEEvT1_ ; -- Begin function _ZN7rocprim17ROCPRIM_400000_NS6detail17trampoline_kernelINS0_14default_configENS1_25partition_config_selectorILNS1_17partition_subalgoE5ElNS0_10empty_typeEbEEZZNS1_14partition_implILS5_5ELb0ES3_mN6hipcub16HIPCUB_304000_NS21CountingInputIteratorIllEEPS6_NSA_22TransformInputIteratorIbN2at6native12_GLOBAL__N_19NonZeroOpIN3c104HalfEEEPKSK_lEENS0_5tupleIJPlS6_EEENSP_IJSD_SD_EEES6_PiJS6_EEE10hipError_tPvRmT3_T4_T5_T6_T7_T9_mT8_P12ihipStream_tbDpT10_ENKUlT_T0_E_clISt17integral_constantIbLb0EES1C_IbLb1EEEEDaS18_S19_EUlS18_E_NS1_11comp_targetILNS1_3genE4ELNS1_11target_archE910ELNS1_3gpuE8ELNS1_3repE0EEENS1_30default_config_static_selectorELNS0_4arch9wavefront6targetE0EEEvT1_
	.p2align	8
	.type	_ZN7rocprim17ROCPRIM_400000_NS6detail17trampoline_kernelINS0_14default_configENS1_25partition_config_selectorILNS1_17partition_subalgoE5ElNS0_10empty_typeEbEEZZNS1_14partition_implILS5_5ELb0ES3_mN6hipcub16HIPCUB_304000_NS21CountingInputIteratorIllEEPS6_NSA_22TransformInputIteratorIbN2at6native12_GLOBAL__N_19NonZeroOpIN3c104HalfEEEPKSK_lEENS0_5tupleIJPlS6_EEENSP_IJSD_SD_EEES6_PiJS6_EEE10hipError_tPvRmT3_T4_T5_T6_T7_T9_mT8_P12ihipStream_tbDpT10_ENKUlT_T0_E_clISt17integral_constantIbLb0EES1C_IbLb1EEEEDaS18_S19_EUlS18_E_NS1_11comp_targetILNS1_3genE4ELNS1_11target_archE910ELNS1_3gpuE8ELNS1_3repE0EEENS1_30default_config_static_selectorELNS0_4arch9wavefront6targetE0EEEvT1_,@function
_ZN7rocprim17ROCPRIM_400000_NS6detail17trampoline_kernelINS0_14default_configENS1_25partition_config_selectorILNS1_17partition_subalgoE5ElNS0_10empty_typeEbEEZZNS1_14partition_implILS5_5ELb0ES3_mN6hipcub16HIPCUB_304000_NS21CountingInputIteratorIllEEPS6_NSA_22TransformInputIteratorIbN2at6native12_GLOBAL__N_19NonZeroOpIN3c104HalfEEEPKSK_lEENS0_5tupleIJPlS6_EEENSP_IJSD_SD_EEES6_PiJS6_EEE10hipError_tPvRmT3_T4_T5_T6_T7_T9_mT8_P12ihipStream_tbDpT10_ENKUlT_T0_E_clISt17integral_constantIbLb0EES1C_IbLb1EEEEDaS18_S19_EUlS18_E_NS1_11comp_targetILNS1_3genE4ELNS1_11target_archE910ELNS1_3gpuE8ELNS1_3repE0EEENS1_30default_config_static_selectorELNS0_4arch9wavefront6targetE0EEEvT1_: ; @_ZN7rocprim17ROCPRIM_400000_NS6detail17trampoline_kernelINS0_14default_configENS1_25partition_config_selectorILNS1_17partition_subalgoE5ElNS0_10empty_typeEbEEZZNS1_14partition_implILS5_5ELb0ES3_mN6hipcub16HIPCUB_304000_NS21CountingInputIteratorIllEEPS6_NSA_22TransformInputIteratorIbN2at6native12_GLOBAL__N_19NonZeroOpIN3c104HalfEEEPKSK_lEENS0_5tupleIJPlS6_EEENSP_IJSD_SD_EEES6_PiJS6_EEE10hipError_tPvRmT3_T4_T5_T6_T7_T9_mT8_P12ihipStream_tbDpT10_ENKUlT_T0_E_clISt17integral_constantIbLb0EES1C_IbLb1EEEEDaS18_S19_EUlS18_E_NS1_11comp_targetILNS1_3genE4ELNS1_11target_archE910ELNS1_3gpuE8ELNS1_3repE0EEENS1_30default_config_static_selectorELNS0_4arch9wavefront6targetE0EEEvT1_
; %bb.0:
	.section	.rodata,"a",@progbits
	.p2align	6, 0x0
	.amdhsa_kernel _ZN7rocprim17ROCPRIM_400000_NS6detail17trampoline_kernelINS0_14default_configENS1_25partition_config_selectorILNS1_17partition_subalgoE5ElNS0_10empty_typeEbEEZZNS1_14partition_implILS5_5ELb0ES3_mN6hipcub16HIPCUB_304000_NS21CountingInputIteratorIllEEPS6_NSA_22TransformInputIteratorIbN2at6native12_GLOBAL__N_19NonZeroOpIN3c104HalfEEEPKSK_lEENS0_5tupleIJPlS6_EEENSP_IJSD_SD_EEES6_PiJS6_EEE10hipError_tPvRmT3_T4_T5_T6_T7_T9_mT8_P12ihipStream_tbDpT10_ENKUlT_T0_E_clISt17integral_constantIbLb0EES1C_IbLb1EEEEDaS18_S19_EUlS18_E_NS1_11comp_targetILNS1_3genE4ELNS1_11target_archE910ELNS1_3gpuE8ELNS1_3repE0EEENS1_30default_config_static_selectorELNS0_4arch9wavefront6targetE0EEEvT1_
		.amdhsa_group_segment_fixed_size 0
		.amdhsa_private_segment_fixed_size 0
		.amdhsa_kernarg_size 136
		.amdhsa_user_sgpr_count 15
		.amdhsa_user_sgpr_dispatch_ptr 0
		.amdhsa_user_sgpr_queue_ptr 0
		.amdhsa_user_sgpr_kernarg_segment_ptr 1
		.amdhsa_user_sgpr_dispatch_id 0
		.amdhsa_user_sgpr_private_segment_size 0
		.amdhsa_wavefront_size32 1
		.amdhsa_uses_dynamic_stack 0
		.amdhsa_enable_private_segment 0
		.amdhsa_system_sgpr_workgroup_id_x 1
		.amdhsa_system_sgpr_workgroup_id_y 0
		.amdhsa_system_sgpr_workgroup_id_z 0
		.amdhsa_system_sgpr_workgroup_info 0
		.amdhsa_system_vgpr_workitem_id 0
		.amdhsa_next_free_vgpr 1
		.amdhsa_next_free_sgpr 1
		.amdhsa_reserve_vcc 0
		.amdhsa_float_round_mode_32 0
		.amdhsa_float_round_mode_16_64 0
		.amdhsa_float_denorm_mode_32 3
		.amdhsa_float_denorm_mode_16_64 3
		.amdhsa_dx10_clamp 1
		.amdhsa_ieee_mode 1
		.amdhsa_fp16_overflow 0
		.amdhsa_workgroup_processor_mode 1
		.amdhsa_memory_ordered 1
		.amdhsa_forward_progress 0
		.amdhsa_shared_vgpr_count 0
		.amdhsa_exception_fp_ieee_invalid_op 0
		.amdhsa_exception_fp_denorm_src 0
		.amdhsa_exception_fp_ieee_div_zero 0
		.amdhsa_exception_fp_ieee_overflow 0
		.amdhsa_exception_fp_ieee_underflow 0
		.amdhsa_exception_fp_ieee_inexact 0
		.amdhsa_exception_int_div_zero 0
	.end_amdhsa_kernel
	.section	.text._ZN7rocprim17ROCPRIM_400000_NS6detail17trampoline_kernelINS0_14default_configENS1_25partition_config_selectorILNS1_17partition_subalgoE5ElNS0_10empty_typeEbEEZZNS1_14partition_implILS5_5ELb0ES3_mN6hipcub16HIPCUB_304000_NS21CountingInputIteratorIllEEPS6_NSA_22TransformInputIteratorIbN2at6native12_GLOBAL__N_19NonZeroOpIN3c104HalfEEEPKSK_lEENS0_5tupleIJPlS6_EEENSP_IJSD_SD_EEES6_PiJS6_EEE10hipError_tPvRmT3_T4_T5_T6_T7_T9_mT8_P12ihipStream_tbDpT10_ENKUlT_T0_E_clISt17integral_constantIbLb0EES1C_IbLb1EEEEDaS18_S19_EUlS18_E_NS1_11comp_targetILNS1_3genE4ELNS1_11target_archE910ELNS1_3gpuE8ELNS1_3repE0EEENS1_30default_config_static_selectorELNS0_4arch9wavefront6targetE0EEEvT1_,"axG",@progbits,_ZN7rocprim17ROCPRIM_400000_NS6detail17trampoline_kernelINS0_14default_configENS1_25partition_config_selectorILNS1_17partition_subalgoE5ElNS0_10empty_typeEbEEZZNS1_14partition_implILS5_5ELb0ES3_mN6hipcub16HIPCUB_304000_NS21CountingInputIteratorIllEEPS6_NSA_22TransformInputIteratorIbN2at6native12_GLOBAL__N_19NonZeroOpIN3c104HalfEEEPKSK_lEENS0_5tupleIJPlS6_EEENSP_IJSD_SD_EEES6_PiJS6_EEE10hipError_tPvRmT3_T4_T5_T6_T7_T9_mT8_P12ihipStream_tbDpT10_ENKUlT_T0_E_clISt17integral_constantIbLb0EES1C_IbLb1EEEEDaS18_S19_EUlS18_E_NS1_11comp_targetILNS1_3genE4ELNS1_11target_archE910ELNS1_3gpuE8ELNS1_3repE0EEENS1_30default_config_static_selectorELNS0_4arch9wavefront6targetE0EEEvT1_,comdat
.Lfunc_end892:
	.size	_ZN7rocprim17ROCPRIM_400000_NS6detail17trampoline_kernelINS0_14default_configENS1_25partition_config_selectorILNS1_17partition_subalgoE5ElNS0_10empty_typeEbEEZZNS1_14partition_implILS5_5ELb0ES3_mN6hipcub16HIPCUB_304000_NS21CountingInputIteratorIllEEPS6_NSA_22TransformInputIteratorIbN2at6native12_GLOBAL__N_19NonZeroOpIN3c104HalfEEEPKSK_lEENS0_5tupleIJPlS6_EEENSP_IJSD_SD_EEES6_PiJS6_EEE10hipError_tPvRmT3_T4_T5_T6_T7_T9_mT8_P12ihipStream_tbDpT10_ENKUlT_T0_E_clISt17integral_constantIbLb0EES1C_IbLb1EEEEDaS18_S19_EUlS18_E_NS1_11comp_targetILNS1_3genE4ELNS1_11target_archE910ELNS1_3gpuE8ELNS1_3repE0EEENS1_30default_config_static_selectorELNS0_4arch9wavefront6targetE0EEEvT1_, .Lfunc_end892-_ZN7rocprim17ROCPRIM_400000_NS6detail17trampoline_kernelINS0_14default_configENS1_25partition_config_selectorILNS1_17partition_subalgoE5ElNS0_10empty_typeEbEEZZNS1_14partition_implILS5_5ELb0ES3_mN6hipcub16HIPCUB_304000_NS21CountingInputIteratorIllEEPS6_NSA_22TransformInputIteratorIbN2at6native12_GLOBAL__N_19NonZeroOpIN3c104HalfEEEPKSK_lEENS0_5tupleIJPlS6_EEENSP_IJSD_SD_EEES6_PiJS6_EEE10hipError_tPvRmT3_T4_T5_T6_T7_T9_mT8_P12ihipStream_tbDpT10_ENKUlT_T0_E_clISt17integral_constantIbLb0EES1C_IbLb1EEEEDaS18_S19_EUlS18_E_NS1_11comp_targetILNS1_3genE4ELNS1_11target_archE910ELNS1_3gpuE8ELNS1_3repE0EEENS1_30default_config_static_selectorELNS0_4arch9wavefront6targetE0EEEvT1_
                                        ; -- End function
	.section	.AMDGPU.csdata,"",@progbits
; Kernel info:
; codeLenInByte = 0
; NumSgprs: 0
; NumVgprs: 0
; ScratchSize: 0
; MemoryBound: 0
; FloatMode: 240
; IeeeMode: 1
; LDSByteSize: 0 bytes/workgroup (compile time only)
; SGPRBlocks: 0
; VGPRBlocks: 0
; NumSGPRsForWavesPerEU: 1
; NumVGPRsForWavesPerEU: 1
; Occupancy: 15
; WaveLimiterHint : 0
; COMPUTE_PGM_RSRC2:SCRATCH_EN: 0
; COMPUTE_PGM_RSRC2:USER_SGPR: 15
; COMPUTE_PGM_RSRC2:TRAP_HANDLER: 0
; COMPUTE_PGM_RSRC2:TGID_X_EN: 1
; COMPUTE_PGM_RSRC2:TGID_Y_EN: 0
; COMPUTE_PGM_RSRC2:TGID_Z_EN: 0
; COMPUTE_PGM_RSRC2:TIDIG_COMP_CNT: 0
	.section	.text._ZN7rocprim17ROCPRIM_400000_NS6detail17trampoline_kernelINS0_14default_configENS1_25partition_config_selectorILNS1_17partition_subalgoE5ElNS0_10empty_typeEbEEZZNS1_14partition_implILS5_5ELb0ES3_mN6hipcub16HIPCUB_304000_NS21CountingInputIteratorIllEEPS6_NSA_22TransformInputIteratorIbN2at6native12_GLOBAL__N_19NonZeroOpIN3c104HalfEEEPKSK_lEENS0_5tupleIJPlS6_EEENSP_IJSD_SD_EEES6_PiJS6_EEE10hipError_tPvRmT3_T4_T5_T6_T7_T9_mT8_P12ihipStream_tbDpT10_ENKUlT_T0_E_clISt17integral_constantIbLb0EES1C_IbLb1EEEEDaS18_S19_EUlS18_E_NS1_11comp_targetILNS1_3genE3ELNS1_11target_archE908ELNS1_3gpuE7ELNS1_3repE0EEENS1_30default_config_static_selectorELNS0_4arch9wavefront6targetE0EEEvT1_,"axG",@progbits,_ZN7rocprim17ROCPRIM_400000_NS6detail17trampoline_kernelINS0_14default_configENS1_25partition_config_selectorILNS1_17partition_subalgoE5ElNS0_10empty_typeEbEEZZNS1_14partition_implILS5_5ELb0ES3_mN6hipcub16HIPCUB_304000_NS21CountingInputIteratorIllEEPS6_NSA_22TransformInputIteratorIbN2at6native12_GLOBAL__N_19NonZeroOpIN3c104HalfEEEPKSK_lEENS0_5tupleIJPlS6_EEENSP_IJSD_SD_EEES6_PiJS6_EEE10hipError_tPvRmT3_T4_T5_T6_T7_T9_mT8_P12ihipStream_tbDpT10_ENKUlT_T0_E_clISt17integral_constantIbLb0EES1C_IbLb1EEEEDaS18_S19_EUlS18_E_NS1_11comp_targetILNS1_3genE3ELNS1_11target_archE908ELNS1_3gpuE7ELNS1_3repE0EEENS1_30default_config_static_selectorELNS0_4arch9wavefront6targetE0EEEvT1_,comdat
	.globl	_ZN7rocprim17ROCPRIM_400000_NS6detail17trampoline_kernelINS0_14default_configENS1_25partition_config_selectorILNS1_17partition_subalgoE5ElNS0_10empty_typeEbEEZZNS1_14partition_implILS5_5ELb0ES3_mN6hipcub16HIPCUB_304000_NS21CountingInputIteratorIllEEPS6_NSA_22TransformInputIteratorIbN2at6native12_GLOBAL__N_19NonZeroOpIN3c104HalfEEEPKSK_lEENS0_5tupleIJPlS6_EEENSP_IJSD_SD_EEES6_PiJS6_EEE10hipError_tPvRmT3_T4_T5_T6_T7_T9_mT8_P12ihipStream_tbDpT10_ENKUlT_T0_E_clISt17integral_constantIbLb0EES1C_IbLb1EEEEDaS18_S19_EUlS18_E_NS1_11comp_targetILNS1_3genE3ELNS1_11target_archE908ELNS1_3gpuE7ELNS1_3repE0EEENS1_30default_config_static_selectorELNS0_4arch9wavefront6targetE0EEEvT1_ ; -- Begin function _ZN7rocprim17ROCPRIM_400000_NS6detail17trampoline_kernelINS0_14default_configENS1_25partition_config_selectorILNS1_17partition_subalgoE5ElNS0_10empty_typeEbEEZZNS1_14partition_implILS5_5ELb0ES3_mN6hipcub16HIPCUB_304000_NS21CountingInputIteratorIllEEPS6_NSA_22TransformInputIteratorIbN2at6native12_GLOBAL__N_19NonZeroOpIN3c104HalfEEEPKSK_lEENS0_5tupleIJPlS6_EEENSP_IJSD_SD_EEES6_PiJS6_EEE10hipError_tPvRmT3_T4_T5_T6_T7_T9_mT8_P12ihipStream_tbDpT10_ENKUlT_T0_E_clISt17integral_constantIbLb0EES1C_IbLb1EEEEDaS18_S19_EUlS18_E_NS1_11comp_targetILNS1_3genE3ELNS1_11target_archE908ELNS1_3gpuE7ELNS1_3repE0EEENS1_30default_config_static_selectorELNS0_4arch9wavefront6targetE0EEEvT1_
	.p2align	8
	.type	_ZN7rocprim17ROCPRIM_400000_NS6detail17trampoline_kernelINS0_14default_configENS1_25partition_config_selectorILNS1_17partition_subalgoE5ElNS0_10empty_typeEbEEZZNS1_14partition_implILS5_5ELb0ES3_mN6hipcub16HIPCUB_304000_NS21CountingInputIteratorIllEEPS6_NSA_22TransformInputIteratorIbN2at6native12_GLOBAL__N_19NonZeroOpIN3c104HalfEEEPKSK_lEENS0_5tupleIJPlS6_EEENSP_IJSD_SD_EEES6_PiJS6_EEE10hipError_tPvRmT3_T4_T5_T6_T7_T9_mT8_P12ihipStream_tbDpT10_ENKUlT_T0_E_clISt17integral_constantIbLb0EES1C_IbLb1EEEEDaS18_S19_EUlS18_E_NS1_11comp_targetILNS1_3genE3ELNS1_11target_archE908ELNS1_3gpuE7ELNS1_3repE0EEENS1_30default_config_static_selectorELNS0_4arch9wavefront6targetE0EEEvT1_,@function
_ZN7rocprim17ROCPRIM_400000_NS6detail17trampoline_kernelINS0_14default_configENS1_25partition_config_selectorILNS1_17partition_subalgoE5ElNS0_10empty_typeEbEEZZNS1_14partition_implILS5_5ELb0ES3_mN6hipcub16HIPCUB_304000_NS21CountingInputIteratorIllEEPS6_NSA_22TransformInputIteratorIbN2at6native12_GLOBAL__N_19NonZeroOpIN3c104HalfEEEPKSK_lEENS0_5tupleIJPlS6_EEENSP_IJSD_SD_EEES6_PiJS6_EEE10hipError_tPvRmT3_T4_T5_T6_T7_T9_mT8_P12ihipStream_tbDpT10_ENKUlT_T0_E_clISt17integral_constantIbLb0EES1C_IbLb1EEEEDaS18_S19_EUlS18_E_NS1_11comp_targetILNS1_3genE3ELNS1_11target_archE908ELNS1_3gpuE7ELNS1_3repE0EEENS1_30default_config_static_selectorELNS0_4arch9wavefront6targetE0EEEvT1_: ; @_ZN7rocprim17ROCPRIM_400000_NS6detail17trampoline_kernelINS0_14default_configENS1_25partition_config_selectorILNS1_17partition_subalgoE5ElNS0_10empty_typeEbEEZZNS1_14partition_implILS5_5ELb0ES3_mN6hipcub16HIPCUB_304000_NS21CountingInputIteratorIllEEPS6_NSA_22TransformInputIteratorIbN2at6native12_GLOBAL__N_19NonZeroOpIN3c104HalfEEEPKSK_lEENS0_5tupleIJPlS6_EEENSP_IJSD_SD_EEES6_PiJS6_EEE10hipError_tPvRmT3_T4_T5_T6_T7_T9_mT8_P12ihipStream_tbDpT10_ENKUlT_T0_E_clISt17integral_constantIbLb0EES1C_IbLb1EEEEDaS18_S19_EUlS18_E_NS1_11comp_targetILNS1_3genE3ELNS1_11target_archE908ELNS1_3gpuE7ELNS1_3repE0EEENS1_30default_config_static_selectorELNS0_4arch9wavefront6targetE0EEEvT1_
; %bb.0:
	.section	.rodata,"a",@progbits
	.p2align	6, 0x0
	.amdhsa_kernel _ZN7rocprim17ROCPRIM_400000_NS6detail17trampoline_kernelINS0_14default_configENS1_25partition_config_selectorILNS1_17partition_subalgoE5ElNS0_10empty_typeEbEEZZNS1_14partition_implILS5_5ELb0ES3_mN6hipcub16HIPCUB_304000_NS21CountingInputIteratorIllEEPS6_NSA_22TransformInputIteratorIbN2at6native12_GLOBAL__N_19NonZeroOpIN3c104HalfEEEPKSK_lEENS0_5tupleIJPlS6_EEENSP_IJSD_SD_EEES6_PiJS6_EEE10hipError_tPvRmT3_T4_T5_T6_T7_T9_mT8_P12ihipStream_tbDpT10_ENKUlT_T0_E_clISt17integral_constantIbLb0EES1C_IbLb1EEEEDaS18_S19_EUlS18_E_NS1_11comp_targetILNS1_3genE3ELNS1_11target_archE908ELNS1_3gpuE7ELNS1_3repE0EEENS1_30default_config_static_selectorELNS0_4arch9wavefront6targetE0EEEvT1_
		.amdhsa_group_segment_fixed_size 0
		.amdhsa_private_segment_fixed_size 0
		.amdhsa_kernarg_size 136
		.amdhsa_user_sgpr_count 15
		.amdhsa_user_sgpr_dispatch_ptr 0
		.amdhsa_user_sgpr_queue_ptr 0
		.amdhsa_user_sgpr_kernarg_segment_ptr 1
		.amdhsa_user_sgpr_dispatch_id 0
		.amdhsa_user_sgpr_private_segment_size 0
		.amdhsa_wavefront_size32 1
		.amdhsa_uses_dynamic_stack 0
		.amdhsa_enable_private_segment 0
		.amdhsa_system_sgpr_workgroup_id_x 1
		.amdhsa_system_sgpr_workgroup_id_y 0
		.amdhsa_system_sgpr_workgroup_id_z 0
		.amdhsa_system_sgpr_workgroup_info 0
		.amdhsa_system_vgpr_workitem_id 0
		.amdhsa_next_free_vgpr 1
		.amdhsa_next_free_sgpr 1
		.amdhsa_reserve_vcc 0
		.amdhsa_float_round_mode_32 0
		.amdhsa_float_round_mode_16_64 0
		.amdhsa_float_denorm_mode_32 3
		.amdhsa_float_denorm_mode_16_64 3
		.amdhsa_dx10_clamp 1
		.amdhsa_ieee_mode 1
		.amdhsa_fp16_overflow 0
		.amdhsa_workgroup_processor_mode 1
		.amdhsa_memory_ordered 1
		.amdhsa_forward_progress 0
		.amdhsa_shared_vgpr_count 0
		.amdhsa_exception_fp_ieee_invalid_op 0
		.amdhsa_exception_fp_denorm_src 0
		.amdhsa_exception_fp_ieee_div_zero 0
		.amdhsa_exception_fp_ieee_overflow 0
		.amdhsa_exception_fp_ieee_underflow 0
		.amdhsa_exception_fp_ieee_inexact 0
		.amdhsa_exception_int_div_zero 0
	.end_amdhsa_kernel
	.section	.text._ZN7rocprim17ROCPRIM_400000_NS6detail17trampoline_kernelINS0_14default_configENS1_25partition_config_selectorILNS1_17partition_subalgoE5ElNS0_10empty_typeEbEEZZNS1_14partition_implILS5_5ELb0ES3_mN6hipcub16HIPCUB_304000_NS21CountingInputIteratorIllEEPS6_NSA_22TransformInputIteratorIbN2at6native12_GLOBAL__N_19NonZeroOpIN3c104HalfEEEPKSK_lEENS0_5tupleIJPlS6_EEENSP_IJSD_SD_EEES6_PiJS6_EEE10hipError_tPvRmT3_T4_T5_T6_T7_T9_mT8_P12ihipStream_tbDpT10_ENKUlT_T0_E_clISt17integral_constantIbLb0EES1C_IbLb1EEEEDaS18_S19_EUlS18_E_NS1_11comp_targetILNS1_3genE3ELNS1_11target_archE908ELNS1_3gpuE7ELNS1_3repE0EEENS1_30default_config_static_selectorELNS0_4arch9wavefront6targetE0EEEvT1_,"axG",@progbits,_ZN7rocprim17ROCPRIM_400000_NS6detail17trampoline_kernelINS0_14default_configENS1_25partition_config_selectorILNS1_17partition_subalgoE5ElNS0_10empty_typeEbEEZZNS1_14partition_implILS5_5ELb0ES3_mN6hipcub16HIPCUB_304000_NS21CountingInputIteratorIllEEPS6_NSA_22TransformInputIteratorIbN2at6native12_GLOBAL__N_19NonZeroOpIN3c104HalfEEEPKSK_lEENS0_5tupleIJPlS6_EEENSP_IJSD_SD_EEES6_PiJS6_EEE10hipError_tPvRmT3_T4_T5_T6_T7_T9_mT8_P12ihipStream_tbDpT10_ENKUlT_T0_E_clISt17integral_constantIbLb0EES1C_IbLb1EEEEDaS18_S19_EUlS18_E_NS1_11comp_targetILNS1_3genE3ELNS1_11target_archE908ELNS1_3gpuE7ELNS1_3repE0EEENS1_30default_config_static_selectorELNS0_4arch9wavefront6targetE0EEEvT1_,comdat
.Lfunc_end893:
	.size	_ZN7rocprim17ROCPRIM_400000_NS6detail17trampoline_kernelINS0_14default_configENS1_25partition_config_selectorILNS1_17partition_subalgoE5ElNS0_10empty_typeEbEEZZNS1_14partition_implILS5_5ELb0ES3_mN6hipcub16HIPCUB_304000_NS21CountingInputIteratorIllEEPS6_NSA_22TransformInputIteratorIbN2at6native12_GLOBAL__N_19NonZeroOpIN3c104HalfEEEPKSK_lEENS0_5tupleIJPlS6_EEENSP_IJSD_SD_EEES6_PiJS6_EEE10hipError_tPvRmT3_T4_T5_T6_T7_T9_mT8_P12ihipStream_tbDpT10_ENKUlT_T0_E_clISt17integral_constantIbLb0EES1C_IbLb1EEEEDaS18_S19_EUlS18_E_NS1_11comp_targetILNS1_3genE3ELNS1_11target_archE908ELNS1_3gpuE7ELNS1_3repE0EEENS1_30default_config_static_selectorELNS0_4arch9wavefront6targetE0EEEvT1_, .Lfunc_end893-_ZN7rocprim17ROCPRIM_400000_NS6detail17trampoline_kernelINS0_14default_configENS1_25partition_config_selectorILNS1_17partition_subalgoE5ElNS0_10empty_typeEbEEZZNS1_14partition_implILS5_5ELb0ES3_mN6hipcub16HIPCUB_304000_NS21CountingInputIteratorIllEEPS6_NSA_22TransformInputIteratorIbN2at6native12_GLOBAL__N_19NonZeroOpIN3c104HalfEEEPKSK_lEENS0_5tupleIJPlS6_EEENSP_IJSD_SD_EEES6_PiJS6_EEE10hipError_tPvRmT3_T4_T5_T6_T7_T9_mT8_P12ihipStream_tbDpT10_ENKUlT_T0_E_clISt17integral_constantIbLb0EES1C_IbLb1EEEEDaS18_S19_EUlS18_E_NS1_11comp_targetILNS1_3genE3ELNS1_11target_archE908ELNS1_3gpuE7ELNS1_3repE0EEENS1_30default_config_static_selectorELNS0_4arch9wavefront6targetE0EEEvT1_
                                        ; -- End function
	.section	.AMDGPU.csdata,"",@progbits
; Kernel info:
; codeLenInByte = 0
; NumSgprs: 0
; NumVgprs: 0
; ScratchSize: 0
; MemoryBound: 0
; FloatMode: 240
; IeeeMode: 1
; LDSByteSize: 0 bytes/workgroup (compile time only)
; SGPRBlocks: 0
; VGPRBlocks: 0
; NumSGPRsForWavesPerEU: 1
; NumVGPRsForWavesPerEU: 1
; Occupancy: 16
; WaveLimiterHint : 0
; COMPUTE_PGM_RSRC2:SCRATCH_EN: 0
; COMPUTE_PGM_RSRC2:USER_SGPR: 15
; COMPUTE_PGM_RSRC2:TRAP_HANDLER: 0
; COMPUTE_PGM_RSRC2:TGID_X_EN: 1
; COMPUTE_PGM_RSRC2:TGID_Y_EN: 0
; COMPUTE_PGM_RSRC2:TGID_Z_EN: 0
; COMPUTE_PGM_RSRC2:TIDIG_COMP_CNT: 0
	.section	.text._ZN7rocprim17ROCPRIM_400000_NS6detail17trampoline_kernelINS0_14default_configENS1_25partition_config_selectorILNS1_17partition_subalgoE5ElNS0_10empty_typeEbEEZZNS1_14partition_implILS5_5ELb0ES3_mN6hipcub16HIPCUB_304000_NS21CountingInputIteratorIllEEPS6_NSA_22TransformInputIteratorIbN2at6native12_GLOBAL__N_19NonZeroOpIN3c104HalfEEEPKSK_lEENS0_5tupleIJPlS6_EEENSP_IJSD_SD_EEES6_PiJS6_EEE10hipError_tPvRmT3_T4_T5_T6_T7_T9_mT8_P12ihipStream_tbDpT10_ENKUlT_T0_E_clISt17integral_constantIbLb0EES1C_IbLb1EEEEDaS18_S19_EUlS18_E_NS1_11comp_targetILNS1_3genE2ELNS1_11target_archE906ELNS1_3gpuE6ELNS1_3repE0EEENS1_30default_config_static_selectorELNS0_4arch9wavefront6targetE0EEEvT1_,"axG",@progbits,_ZN7rocprim17ROCPRIM_400000_NS6detail17trampoline_kernelINS0_14default_configENS1_25partition_config_selectorILNS1_17partition_subalgoE5ElNS0_10empty_typeEbEEZZNS1_14partition_implILS5_5ELb0ES3_mN6hipcub16HIPCUB_304000_NS21CountingInputIteratorIllEEPS6_NSA_22TransformInputIteratorIbN2at6native12_GLOBAL__N_19NonZeroOpIN3c104HalfEEEPKSK_lEENS0_5tupleIJPlS6_EEENSP_IJSD_SD_EEES6_PiJS6_EEE10hipError_tPvRmT3_T4_T5_T6_T7_T9_mT8_P12ihipStream_tbDpT10_ENKUlT_T0_E_clISt17integral_constantIbLb0EES1C_IbLb1EEEEDaS18_S19_EUlS18_E_NS1_11comp_targetILNS1_3genE2ELNS1_11target_archE906ELNS1_3gpuE6ELNS1_3repE0EEENS1_30default_config_static_selectorELNS0_4arch9wavefront6targetE0EEEvT1_,comdat
	.globl	_ZN7rocprim17ROCPRIM_400000_NS6detail17trampoline_kernelINS0_14default_configENS1_25partition_config_selectorILNS1_17partition_subalgoE5ElNS0_10empty_typeEbEEZZNS1_14partition_implILS5_5ELb0ES3_mN6hipcub16HIPCUB_304000_NS21CountingInputIteratorIllEEPS6_NSA_22TransformInputIteratorIbN2at6native12_GLOBAL__N_19NonZeroOpIN3c104HalfEEEPKSK_lEENS0_5tupleIJPlS6_EEENSP_IJSD_SD_EEES6_PiJS6_EEE10hipError_tPvRmT3_T4_T5_T6_T7_T9_mT8_P12ihipStream_tbDpT10_ENKUlT_T0_E_clISt17integral_constantIbLb0EES1C_IbLb1EEEEDaS18_S19_EUlS18_E_NS1_11comp_targetILNS1_3genE2ELNS1_11target_archE906ELNS1_3gpuE6ELNS1_3repE0EEENS1_30default_config_static_selectorELNS0_4arch9wavefront6targetE0EEEvT1_ ; -- Begin function _ZN7rocprim17ROCPRIM_400000_NS6detail17trampoline_kernelINS0_14default_configENS1_25partition_config_selectorILNS1_17partition_subalgoE5ElNS0_10empty_typeEbEEZZNS1_14partition_implILS5_5ELb0ES3_mN6hipcub16HIPCUB_304000_NS21CountingInputIteratorIllEEPS6_NSA_22TransformInputIteratorIbN2at6native12_GLOBAL__N_19NonZeroOpIN3c104HalfEEEPKSK_lEENS0_5tupleIJPlS6_EEENSP_IJSD_SD_EEES6_PiJS6_EEE10hipError_tPvRmT3_T4_T5_T6_T7_T9_mT8_P12ihipStream_tbDpT10_ENKUlT_T0_E_clISt17integral_constantIbLb0EES1C_IbLb1EEEEDaS18_S19_EUlS18_E_NS1_11comp_targetILNS1_3genE2ELNS1_11target_archE906ELNS1_3gpuE6ELNS1_3repE0EEENS1_30default_config_static_selectorELNS0_4arch9wavefront6targetE0EEEvT1_
	.p2align	8
	.type	_ZN7rocprim17ROCPRIM_400000_NS6detail17trampoline_kernelINS0_14default_configENS1_25partition_config_selectorILNS1_17partition_subalgoE5ElNS0_10empty_typeEbEEZZNS1_14partition_implILS5_5ELb0ES3_mN6hipcub16HIPCUB_304000_NS21CountingInputIteratorIllEEPS6_NSA_22TransformInputIteratorIbN2at6native12_GLOBAL__N_19NonZeroOpIN3c104HalfEEEPKSK_lEENS0_5tupleIJPlS6_EEENSP_IJSD_SD_EEES6_PiJS6_EEE10hipError_tPvRmT3_T4_T5_T6_T7_T9_mT8_P12ihipStream_tbDpT10_ENKUlT_T0_E_clISt17integral_constantIbLb0EES1C_IbLb1EEEEDaS18_S19_EUlS18_E_NS1_11comp_targetILNS1_3genE2ELNS1_11target_archE906ELNS1_3gpuE6ELNS1_3repE0EEENS1_30default_config_static_selectorELNS0_4arch9wavefront6targetE0EEEvT1_,@function
_ZN7rocprim17ROCPRIM_400000_NS6detail17trampoline_kernelINS0_14default_configENS1_25partition_config_selectorILNS1_17partition_subalgoE5ElNS0_10empty_typeEbEEZZNS1_14partition_implILS5_5ELb0ES3_mN6hipcub16HIPCUB_304000_NS21CountingInputIteratorIllEEPS6_NSA_22TransformInputIteratorIbN2at6native12_GLOBAL__N_19NonZeroOpIN3c104HalfEEEPKSK_lEENS0_5tupleIJPlS6_EEENSP_IJSD_SD_EEES6_PiJS6_EEE10hipError_tPvRmT3_T4_T5_T6_T7_T9_mT8_P12ihipStream_tbDpT10_ENKUlT_T0_E_clISt17integral_constantIbLb0EES1C_IbLb1EEEEDaS18_S19_EUlS18_E_NS1_11comp_targetILNS1_3genE2ELNS1_11target_archE906ELNS1_3gpuE6ELNS1_3repE0EEENS1_30default_config_static_selectorELNS0_4arch9wavefront6targetE0EEEvT1_: ; @_ZN7rocprim17ROCPRIM_400000_NS6detail17trampoline_kernelINS0_14default_configENS1_25partition_config_selectorILNS1_17partition_subalgoE5ElNS0_10empty_typeEbEEZZNS1_14partition_implILS5_5ELb0ES3_mN6hipcub16HIPCUB_304000_NS21CountingInputIteratorIllEEPS6_NSA_22TransformInputIteratorIbN2at6native12_GLOBAL__N_19NonZeroOpIN3c104HalfEEEPKSK_lEENS0_5tupleIJPlS6_EEENSP_IJSD_SD_EEES6_PiJS6_EEE10hipError_tPvRmT3_T4_T5_T6_T7_T9_mT8_P12ihipStream_tbDpT10_ENKUlT_T0_E_clISt17integral_constantIbLb0EES1C_IbLb1EEEEDaS18_S19_EUlS18_E_NS1_11comp_targetILNS1_3genE2ELNS1_11target_archE906ELNS1_3gpuE6ELNS1_3repE0EEENS1_30default_config_static_selectorELNS0_4arch9wavefront6targetE0EEEvT1_
; %bb.0:
	.section	.rodata,"a",@progbits
	.p2align	6, 0x0
	.amdhsa_kernel _ZN7rocprim17ROCPRIM_400000_NS6detail17trampoline_kernelINS0_14default_configENS1_25partition_config_selectorILNS1_17partition_subalgoE5ElNS0_10empty_typeEbEEZZNS1_14partition_implILS5_5ELb0ES3_mN6hipcub16HIPCUB_304000_NS21CountingInputIteratorIllEEPS6_NSA_22TransformInputIteratorIbN2at6native12_GLOBAL__N_19NonZeroOpIN3c104HalfEEEPKSK_lEENS0_5tupleIJPlS6_EEENSP_IJSD_SD_EEES6_PiJS6_EEE10hipError_tPvRmT3_T4_T5_T6_T7_T9_mT8_P12ihipStream_tbDpT10_ENKUlT_T0_E_clISt17integral_constantIbLb0EES1C_IbLb1EEEEDaS18_S19_EUlS18_E_NS1_11comp_targetILNS1_3genE2ELNS1_11target_archE906ELNS1_3gpuE6ELNS1_3repE0EEENS1_30default_config_static_selectorELNS0_4arch9wavefront6targetE0EEEvT1_
		.amdhsa_group_segment_fixed_size 0
		.amdhsa_private_segment_fixed_size 0
		.amdhsa_kernarg_size 136
		.amdhsa_user_sgpr_count 15
		.amdhsa_user_sgpr_dispatch_ptr 0
		.amdhsa_user_sgpr_queue_ptr 0
		.amdhsa_user_sgpr_kernarg_segment_ptr 1
		.amdhsa_user_sgpr_dispatch_id 0
		.amdhsa_user_sgpr_private_segment_size 0
		.amdhsa_wavefront_size32 1
		.amdhsa_uses_dynamic_stack 0
		.amdhsa_enable_private_segment 0
		.amdhsa_system_sgpr_workgroup_id_x 1
		.amdhsa_system_sgpr_workgroup_id_y 0
		.amdhsa_system_sgpr_workgroup_id_z 0
		.amdhsa_system_sgpr_workgroup_info 0
		.amdhsa_system_vgpr_workitem_id 0
		.amdhsa_next_free_vgpr 1
		.amdhsa_next_free_sgpr 1
		.amdhsa_reserve_vcc 0
		.amdhsa_float_round_mode_32 0
		.amdhsa_float_round_mode_16_64 0
		.amdhsa_float_denorm_mode_32 3
		.amdhsa_float_denorm_mode_16_64 3
		.amdhsa_dx10_clamp 1
		.amdhsa_ieee_mode 1
		.amdhsa_fp16_overflow 0
		.amdhsa_workgroup_processor_mode 1
		.amdhsa_memory_ordered 1
		.amdhsa_forward_progress 0
		.amdhsa_shared_vgpr_count 0
		.amdhsa_exception_fp_ieee_invalid_op 0
		.amdhsa_exception_fp_denorm_src 0
		.amdhsa_exception_fp_ieee_div_zero 0
		.amdhsa_exception_fp_ieee_overflow 0
		.amdhsa_exception_fp_ieee_underflow 0
		.amdhsa_exception_fp_ieee_inexact 0
		.amdhsa_exception_int_div_zero 0
	.end_amdhsa_kernel
	.section	.text._ZN7rocprim17ROCPRIM_400000_NS6detail17trampoline_kernelINS0_14default_configENS1_25partition_config_selectorILNS1_17partition_subalgoE5ElNS0_10empty_typeEbEEZZNS1_14partition_implILS5_5ELb0ES3_mN6hipcub16HIPCUB_304000_NS21CountingInputIteratorIllEEPS6_NSA_22TransformInputIteratorIbN2at6native12_GLOBAL__N_19NonZeroOpIN3c104HalfEEEPKSK_lEENS0_5tupleIJPlS6_EEENSP_IJSD_SD_EEES6_PiJS6_EEE10hipError_tPvRmT3_T4_T5_T6_T7_T9_mT8_P12ihipStream_tbDpT10_ENKUlT_T0_E_clISt17integral_constantIbLb0EES1C_IbLb1EEEEDaS18_S19_EUlS18_E_NS1_11comp_targetILNS1_3genE2ELNS1_11target_archE906ELNS1_3gpuE6ELNS1_3repE0EEENS1_30default_config_static_selectorELNS0_4arch9wavefront6targetE0EEEvT1_,"axG",@progbits,_ZN7rocprim17ROCPRIM_400000_NS6detail17trampoline_kernelINS0_14default_configENS1_25partition_config_selectorILNS1_17partition_subalgoE5ElNS0_10empty_typeEbEEZZNS1_14partition_implILS5_5ELb0ES3_mN6hipcub16HIPCUB_304000_NS21CountingInputIteratorIllEEPS6_NSA_22TransformInputIteratorIbN2at6native12_GLOBAL__N_19NonZeroOpIN3c104HalfEEEPKSK_lEENS0_5tupleIJPlS6_EEENSP_IJSD_SD_EEES6_PiJS6_EEE10hipError_tPvRmT3_T4_T5_T6_T7_T9_mT8_P12ihipStream_tbDpT10_ENKUlT_T0_E_clISt17integral_constantIbLb0EES1C_IbLb1EEEEDaS18_S19_EUlS18_E_NS1_11comp_targetILNS1_3genE2ELNS1_11target_archE906ELNS1_3gpuE6ELNS1_3repE0EEENS1_30default_config_static_selectorELNS0_4arch9wavefront6targetE0EEEvT1_,comdat
.Lfunc_end894:
	.size	_ZN7rocprim17ROCPRIM_400000_NS6detail17trampoline_kernelINS0_14default_configENS1_25partition_config_selectorILNS1_17partition_subalgoE5ElNS0_10empty_typeEbEEZZNS1_14partition_implILS5_5ELb0ES3_mN6hipcub16HIPCUB_304000_NS21CountingInputIteratorIllEEPS6_NSA_22TransformInputIteratorIbN2at6native12_GLOBAL__N_19NonZeroOpIN3c104HalfEEEPKSK_lEENS0_5tupleIJPlS6_EEENSP_IJSD_SD_EEES6_PiJS6_EEE10hipError_tPvRmT3_T4_T5_T6_T7_T9_mT8_P12ihipStream_tbDpT10_ENKUlT_T0_E_clISt17integral_constantIbLb0EES1C_IbLb1EEEEDaS18_S19_EUlS18_E_NS1_11comp_targetILNS1_3genE2ELNS1_11target_archE906ELNS1_3gpuE6ELNS1_3repE0EEENS1_30default_config_static_selectorELNS0_4arch9wavefront6targetE0EEEvT1_, .Lfunc_end894-_ZN7rocprim17ROCPRIM_400000_NS6detail17trampoline_kernelINS0_14default_configENS1_25partition_config_selectorILNS1_17partition_subalgoE5ElNS0_10empty_typeEbEEZZNS1_14partition_implILS5_5ELb0ES3_mN6hipcub16HIPCUB_304000_NS21CountingInputIteratorIllEEPS6_NSA_22TransformInputIteratorIbN2at6native12_GLOBAL__N_19NonZeroOpIN3c104HalfEEEPKSK_lEENS0_5tupleIJPlS6_EEENSP_IJSD_SD_EEES6_PiJS6_EEE10hipError_tPvRmT3_T4_T5_T6_T7_T9_mT8_P12ihipStream_tbDpT10_ENKUlT_T0_E_clISt17integral_constantIbLb0EES1C_IbLb1EEEEDaS18_S19_EUlS18_E_NS1_11comp_targetILNS1_3genE2ELNS1_11target_archE906ELNS1_3gpuE6ELNS1_3repE0EEENS1_30default_config_static_selectorELNS0_4arch9wavefront6targetE0EEEvT1_
                                        ; -- End function
	.section	.AMDGPU.csdata,"",@progbits
; Kernel info:
; codeLenInByte = 0
; NumSgprs: 0
; NumVgprs: 0
; ScratchSize: 0
; MemoryBound: 0
; FloatMode: 240
; IeeeMode: 1
; LDSByteSize: 0 bytes/workgroup (compile time only)
; SGPRBlocks: 0
; VGPRBlocks: 0
; NumSGPRsForWavesPerEU: 1
; NumVGPRsForWavesPerEU: 1
; Occupancy: 16
; WaveLimiterHint : 0
; COMPUTE_PGM_RSRC2:SCRATCH_EN: 0
; COMPUTE_PGM_RSRC2:USER_SGPR: 15
; COMPUTE_PGM_RSRC2:TRAP_HANDLER: 0
; COMPUTE_PGM_RSRC2:TGID_X_EN: 1
; COMPUTE_PGM_RSRC2:TGID_Y_EN: 0
; COMPUTE_PGM_RSRC2:TGID_Z_EN: 0
; COMPUTE_PGM_RSRC2:TIDIG_COMP_CNT: 0
	.section	.text._ZN7rocprim17ROCPRIM_400000_NS6detail17trampoline_kernelINS0_14default_configENS1_25partition_config_selectorILNS1_17partition_subalgoE5ElNS0_10empty_typeEbEEZZNS1_14partition_implILS5_5ELb0ES3_mN6hipcub16HIPCUB_304000_NS21CountingInputIteratorIllEEPS6_NSA_22TransformInputIteratorIbN2at6native12_GLOBAL__N_19NonZeroOpIN3c104HalfEEEPKSK_lEENS0_5tupleIJPlS6_EEENSP_IJSD_SD_EEES6_PiJS6_EEE10hipError_tPvRmT3_T4_T5_T6_T7_T9_mT8_P12ihipStream_tbDpT10_ENKUlT_T0_E_clISt17integral_constantIbLb0EES1C_IbLb1EEEEDaS18_S19_EUlS18_E_NS1_11comp_targetILNS1_3genE10ELNS1_11target_archE1200ELNS1_3gpuE4ELNS1_3repE0EEENS1_30default_config_static_selectorELNS0_4arch9wavefront6targetE0EEEvT1_,"axG",@progbits,_ZN7rocprim17ROCPRIM_400000_NS6detail17trampoline_kernelINS0_14default_configENS1_25partition_config_selectorILNS1_17partition_subalgoE5ElNS0_10empty_typeEbEEZZNS1_14partition_implILS5_5ELb0ES3_mN6hipcub16HIPCUB_304000_NS21CountingInputIteratorIllEEPS6_NSA_22TransformInputIteratorIbN2at6native12_GLOBAL__N_19NonZeroOpIN3c104HalfEEEPKSK_lEENS0_5tupleIJPlS6_EEENSP_IJSD_SD_EEES6_PiJS6_EEE10hipError_tPvRmT3_T4_T5_T6_T7_T9_mT8_P12ihipStream_tbDpT10_ENKUlT_T0_E_clISt17integral_constantIbLb0EES1C_IbLb1EEEEDaS18_S19_EUlS18_E_NS1_11comp_targetILNS1_3genE10ELNS1_11target_archE1200ELNS1_3gpuE4ELNS1_3repE0EEENS1_30default_config_static_selectorELNS0_4arch9wavefront6targetE0EEEvT1_,comdat
	.globl	_ZN7rocprim17ROCPRIM_400000_NS6detail17trampoline_kernelINS0_14default_configENS1_25partition_config_selectorILNS1_17partition_subalgoE5ElNS0_10empty_typeEbEEZZNS1_14partition_implILS5_5ELb0ES3_mN6hipcub16HIPCUB_304000_NS21CountingInputIteratorIllEEPS6_NSA_22TransformInputIteratorIbN2at6native12_GLOBAL__N_19NonZeroOpIN3c104HalfEEEPKSK_lEENS0_5tupleIJPlS6_EEENSP_IJSD_SD_EEES6_PiJS6_EEE10hipError_tPvRmT3_T4_T5_T6_T7_T9_mT8_P12ihipStream_tbDpT10_ENKUlT_T0_E_clISt17integral_constantIbLb0EES1C_IbLb1EEEEDaS18_S19_EUlS18_E_NS1_11comp_targetILNS1_3genE10ELNS1_11target_archE1200ELNS1_3gpuE4ELNS1_3repE0EEENS1_30default_config_static_selectorELNS0_4arch9wavefront6targetE0EEEvT1_ ; -- Begin function _ZN7rocprim17ROCPRIM_400000_NS6detail17trampoline_kernelINS0_14default_configENS1_25partition_config_selectorILNS1_17partition_subalgoE5ElNS0_10empty_typeEbEEZZNS1_14partition_implILS5_5ELb0ES3_mN6hipcub16HIPCUB_304000_NS21CountingInputIteratorIllEEPS6_NSA_22TransformInputIteratorIbN2at6native12_GLOBAL__N_19NonZeroOpIN3c104HalfEEEPKSK_lEENS0_5tupleIJPlS6_EEENSP_IJSD_SD_EEES6_PiJS6_EEE10hipError_tPvRmT3_T4_T5_T6_T7_T9_mT8_P12ihipStream_tbDpT10_ENKUlT_T0_E_clISt17integral_constantIbLb0EES1C_IbLb1EEEEDaS18_S19_EUlS18_E_NS1_11comp_targetILNS1_3genE10ELNS1_11target_archE1200ELNS1_3gpuE4ELNS1_3repE0EEENS1_30default_config_static_selectorELNS0_4arch9wavefront6targetE0EEEvT1_
	.p2align	8
	.type	_ZN7rocprim17ROCPRIM_400000_NS6detail17trampoline_kernelINS0_14default_configENS1_25partition_config_selectorILNS1_17partition_subalgoE5ElNS0_10empty_typeEbEEZZNS1_14partition_implILS5_5ELb0ES3_mN6hipcub16HIPCUB_304000_NS21CountingInputIteratorIllEEPS6_NSA_22TransformInputIteratorIbN2at6native12_GLOBAL__N_19NonZeroOpIN3c104HalfEEEPKSK_lEENS0_5tupleIJPlS6_EEENSP_IJSD_SD_EEES6_PiJS6_EEE10hipError_tPvRmT3_T4_T5_T6_T7_T9_mT8_P12ihipStream_tbDpT10_ENKUlT_T0_E_clISt17integral_constantIbLb0EES1C_IbLb1EEEEDaS18_S19_EUlS18_E_NS1_11comp_targetILNS1_3genE10ELNS1_11target_archE1200ELNS1_3gpuE4ELNS1_3repE0EEENS1_30default_config_static_selectorELNS0_4arch9wavefront6targetE0EEEvT1_,@function
_ZN7rocprim17ROCPRIM_400000_NS6detail17trampoline_kernelINS0_14default_configENS1_25partition_config_selectorILNS1_17partition_subalgoE5ElNS0_10empty_typeEbEEZZNS1_14partition_implILS5_5ELb0ES3_mN6hipcub16HIPCUB_304000_NS21CountingInputIteratorIllEEPS6_NSA_22TransformInputIteratorIbN2at6native12_GLOBAL__N_19NonZeroOpIN3c104HalfEEEPKSK_lEENS0_5tupleIJPlS6_EEENSP_IJSD_SD_EEES6_PiJS6_EEE10hipError_tPvRmT3_T4_T5_T6_T7_T9_mT8_P12ihipStream_tbDpT10_ENKUlT_T0_E_clISt17integral_constantIbLb0EES1C_IbLb1EEEEDaS18_S19_EUlS18_E_NS1_11comp_targetILNS1_3genE10ELNS1_11target_archE1200ELNS1_3gpuE4ELNS1_3repE0EEENS1_30default_config_static_selectorELNS0_4arch9wavefront6targetE0EEEvT1_: ; @_ZN7rocprim17ROCPRIM_400000_NS6detail17trampoline_kernelINS0_14default_configENS1_25partition_config_selectorILNS1_17partition_subalgoE5ElNS0_10empty_typeEbEEZZNS1_14partition_implILS5_5ELb0ES3_mN6hipcub16HIPCUB_304000_NS21CountingInputIteratorIllEEPS6_NSA_22TransformInputIteratorIbN2at6native12_GLOBAL__N_19NonZeroOpIN3c104HalfEEEPKSK_lEENS0_5tupleIJPlS6_EEENSP_IJSD_SD_EEES6_PiJS6_EEE10hipError_tPvRmT3_T4_T5_T6_T7_T9_mT8_P12ihipStream_tbDpT10_ENKUlT_T0_E_clISt17integral_constantIbLb0EES1C_IbLb1EEEEDaS18_S19_EUlS18_E_NS1_11comp_targetILNS1_3genE10ELNS1_11target_archE1200ELNS1_3gpuE4ELNS1_3repE0EEENS1_30default_config_static_selectorELNS0_4arch9wavefront6targetE0EEEvT1_
; %bb.0:
	.section	.rodata,"a",@progbits
	.p2align	6, 0x0
	.amdhsa_kernel _ZN7rocprim17ROCPRIM_400000_NS6detail17trampoline_kernelINS0_14default_configENS1_25partition_config_selectorILNS1_17partition_subalgoE5ElNS0_10empty_typeEbEEZZNS1_14partition_implILS5_5ELb0ES3_mN6hipcub16HIPCUB_304000_NS21CountingInputIteratorIllEEPS6_NSA_22TransformInputIteratorIbN2at6native12_GLOBAL__N_19NonZeroOpIN3c104HalfEEEPKSK_lEENS0_5tupleIJPlS6_EEENSP_IJSD_SD_EEES6_PiJS6_EEE10hipError_tPvRmT3_T4_T5_T6_T7_T9_mT8_P12ihipStream_tbDpT10_ENKUlT_T0_E_clISt17integral_constantIbLb0EES1C_IbLb1EEEEDaS18_S19_EUlS18_E_NS1_11comp_targetILNS1_3genE10ELNS1_11target_archE1200ELNS1_3gpuE4ELNS1_3repE0EEENS1_30default_config_static_selectorELNS0_4arch9wavefront6targetE0EEEvT1_
		.amdhsa_group_segment_fixed_size 0
		.amdhsa_private_segment_fixed_size 0
		.amdhsa_kernarg_size 136
		.amdhsa_user_sgpr_count 15
		.amdhsa_user_sgpr_dispatch_ptr 0
		.amdhsa_user_sgpr_queue_ptr 0
		.amdhsa_user_sgpr_kernarg_segment_ptr 1
		.amdhsa_user_sgpr_dispatch_id 0
		.amdhsa_user_sgpr_private_segment_size 0
		.amdhsa_wavefront_size32 1
		.amdhsa_uses_dynamic_stack 0
		.amdhsa_enable_private_segment 0
		.amdhsa_system_sgpr_workgroup_id_x 1
		.amdhsa_system_sgpr_workgroup_id_y 0
		.amdhsa_system_sgpr_workgroup_id_z 0
		.amdhsa_system_sgpr_workgroup_info 0
		.amdhsa_system_vgpr_workitem_id 0
		.amdhsa_next_free_vgpr 1
		.amdhsa_next_free_sgpr 1
		.amdhsa_reserve_vcc 0
		.amdhsa_float_round_mode_32 0
		.amdhsa_float_round_mode_16_64 0
		.amdhsa_float_denorm_mode_32 3
		.amdhsa_float_denorm_mode_16_64 3
		.amdhsa_dx10_clamp 1
		.amdhsa_ieee_mode 1
		.amdhsa_fp16_overflow 0
		.amdhsa_workgroup_processor_mode 1
		.amdhsa_memory_ordered 1
		.amdhsa_forward_progress 0
		.amdhsa_shared_vgpr_count 0
		.amdhsa_exception_fp_ieee_invalid_op 0
		.amdhsa_exception_fp_denorm_src 0
		.amdhsa_exception_fp_ieee_div_zero 0
		.amdhsa_exception_fp_ieee_overflow 0
		.amdhsa_exception_fp_ieee_underflow 0
		.amdhsa_exception_fp_ieee_inexact 0
		.amdhsa_exception_int_div_zero 0
	.end_amdhsa_kernel
	.section	.text._ZN7rocprim17ROCPRIM_400000_NS6detail17trampoline_kernelINS0_14default_configENS1_25partition_config_selectorILNS1_17partition_subalgoE5ElNS0_10empty_typeEbEEZZNS1_14partition_implILS5_5ELb0ES3_mN6hipcub16HIPCUB_304000_NS21CountingInputIteratorIllEEPS6_NSA_22TransformInputIteratorIbN2at6native12_GLOBAL__N_19NonZeroOpIN3c104HalfEEEPKSK_lEENS0_5tupleIJPlS6_EEENSP_IJSD_SD_EEES6_PiJS6_EEE10hipError_tPvRmT3_T4_T5_T6_T7_T9_mT8_P12ihipStream_tbDpT10_ENKUlT_T0_E_clISt17integral_constantIbLb0EES1C_IbLb1EEEEDaS18_S19_EUlS18_E_NS1_11comp_targetILNS1_3genE10ELNS1_11target_archE1200ELNS1_3gpuE4ELNS1_3repE0EEENS1_30default_config_static_selectorELNS0_4arch9wavefront6targetE0EEEvT1_,"axG",@progbits,_ZN7rocprim17ROCPRIM_400000_NS6detail17trampoline_kernelINS0_14default_configENS1_25partition_config_selectorILNS1_17partition_subalgoE5ElNS0_10empty_typeEbEEZZNS1_14partition_implILS5_5ELb0ES3_mN6hipcub16HIPCUB_304000_NS21CountingInputIteratorIllEEPS6_NSA_22TransformInputIteratorIbN2at6native12_GLOBAL__N_19NonZeroOpIN3c104HalfEEEPKSK_lEENS0_5tupleIJPlS6_EEENSP_IJSD_SD_EEES6_PiJS6_EEE10hipError_tPvRmT3_T4_T5_T6_T7_T9_mT8_P12ihipStream_tbDpT10_ENKUlT_T0_E_clISt17integral_constantIbLb0EES1C_IbLb1EEEEDaS18_S19_EUlS18_E_NS1_11comp_targetILNS1_3genE10ELNS1_11target_archE1200ELNS1_3gpuE4ELNS1_3repE0EEENS1_30default_config_static_selectorELNS0_4arch9wavefront6targetE0EEEvT1_,comdat
.Lfunc_end895:
	.size	_ZN7rocprim17ROCPRIM_400000_NS6detail17trampoline_kernelINS0_14default_configENS1_25partition_config_selectorILNS1_17partition_subalgoE5ElNS0_10empty_typeEbEEZZNS1_14partition_implILS5_5ELb0ES3_mN6hipcub16HIPCUB_304000_NS21CountingInputIteratorIllEEPS6_NSA_22TransformInputIteratorIbN2at6native12_GLOBAL__N_19NonZeroOpIN3c104HalfEEEPKSK_lEENS0_5tupleIJPlS6_EEENSP_IJSD_SD_EEES6_PiJS6_EEE10hipError_tPvRmT3_T4_T5_T6_T7_T9_mT8_P12ihipStream_tbDpT10_ENKUlT_T0_E_clISt17integral_constantIbLb0EES1C_IbLb1EEEEDaS18_S19_EUlS18_E_NS1_11comp_targetILNS1_3genE10ELNS1_11target_archE1200ELNS1_3gpuE4ELNS1_3repE0EEENS1_30default_config_static_selectorELNS0_4arch9wavefront6targetE0EEEvT1_, .Lfunc_end895-_ZN7rocprim17ROCPRIM_400000_NS6detail17trampoline_kernelINS0_14default_configENS1_25partition_config_selectorILNS1_17partition_subalgoE5ElNS0_10empty_typeEbEEZZNS1_14partition_implILS5_5ELb0ES3_mN6hipcub16HIPCUB_304000_NS21CountingInputIteratorIllEEPS6_NSA_22TransformInputIteratorIbN2at6native12_GLOBAL__N_19NonZeroOpIN3c104HalfEEEPKSK_lEENS0_5tupleIJPlS6_EEENSP_IJSD_SD_EEES6_PiJS6_EEE10hipError_tPvRmT3_T4_T5_T6_T7_T9_mT8_P12ihipStream_tbDpT10_ENKUlT_T0_E_clISt17integral_constantIbLb0EES1C_IbLb1EEEEDaS18_S19_EUlS18_E_NS1_11comp_targetILNS1_3genE10ELNS1_11target_archE1200ELNS1_3gpuE4ELNS1_3repE0EEENS1_30default_config_static_selectorELNS0_4arch9wavefront6targetE0EEEvT1_
                                        ; -- End function
	.section	.AMDGPU.csdata,"",@progbits
; Kernel info:
; codeLenInByte = 0
; NumSgprs: 0
; NumVgprs: 0
; ScratchSize: 0
; MemoryBound: 0
; FloatMode: 240
; IeeeMode: 1
; LDSByteSize: 0 bytes/workgroup (compile time only)
; SGPRBlocks: 0
; VGPRBlocks: 0
; NumSGPRsForWavesPerEU: 1
; NumVGPRsForWavesPerEU: 1
; Occupancy: 16
; WaveLimiterHint : 0
; COMPUTE_PGM_RSRC2:SCRATCH_EN: 0
; COMPUTE_PGM_RSRC2:USER_SGPR: 15
; COMPUTE_PGM_RSRC2:TRAP_HANDLER: 0
; COMPUTE_PGM_RSRC2:TGID_X_EN: 1
; COMPUTE_PGM_RSRC2:TGID_Y_EN: 0
; COMPUTE_PGM_RSRC2:TGID_Z_EN: 0
; COMPUTE_PGM_RSRC2:TIDIG_COMP_CNT: 0
	.section	.text._ZN7rocprim17ROCPRIM_400000_NS6detail17trampoline_kernelINS0_14default_configENS1_25partition_config_selectorILNS1_17partition_subalgoE5ElNS0_10empty_typeEbEEZZNS1_14partition_implILS5_5ELb0ES3_mN6hipcub16HIPCUB_304000_NS21CountingInputIteratorIllEEPS6_NSA_22TransformInputIteratorIbN2at6native12_GLOBAL__N_19NonZeroOpIN3c104HalfEEEPKSK_lEENS0_5tupleIJPlS6_EEENSP_IJSD_SD_EEES6_PiJS6_EEE10hipError_tPvRmT3_T4_T5_T6_T7_T9_mT8_P12ihipStream_tbDpT10_ENKUlT_T0_E_clISt17integral_constantIbLb0EES1C_IbLb1EEEEDaS18_S19_EUlS18_E_NS1_11comp_targetILNS1_3genE9ELNS1_11target_archE1100ELNS1_3gpuE3ELNS1_3repE0EEENS1_30default_config_static_selectorELNS0_4arch9wavefront6targetE0EEEvT1_,"axG",@progbits,_ZN7rocprim17ROCPRIM_400000_NS6detail17trampoline_kernelINS0_14default_configENS1_25partition_config_selectorILNS1_17partition_subalgoE5ElNS0_10empty_typeEbEEZZNS1_14partition_implILS5_5ELb0ES3_mN6hipcub16HIPCUB_304000_NS21CountingInputIteratorIllEEPS6_NSA_22TransformInputIteratorIbN2at6native12_GLOBAL__N_19NonZeroOpIN3c104HalfEEEPKSK_lEENS0_5tupleIJPlS6_EEENSP_IJSD_SD_EEES6_PiJS6_EEE10hipError_tPvRmT3_T4_T5_T6_T7_T9_mT8_P12ihipStream_tbDpT10_ENKUlT_T0_E_clISt17integral_constantIbLb0EES1C_IbLb1EEEEDaS18_S19_EUlS18_E_NS1_11comp_targetILNS1_3genE9ELNS1_11target_archE1100ELNS1_3gpuE3ELNS1_3repE0EEENS1_30default_config_static_selectorELNS0_4arch9wavefront6targetE0EEEvT1_,comdat
	.globl	_ZN7rocprim17ROCPRIM_400000_NS6detail17trampoline_kernelINS0_14default_configENS1_25partition_config_selectorILNS1_17partition_subalgoE5ElNS0_10empty_typeEbEEZZNS1_14partition_implILS5_5ELb0ES3_mN6hipcub16HIPCUB_304000_NS21CountingInputIteratorIllEEPS6_NSA_22TransformInputIteratorIbN2at6native12_GLOBAL__N_19NonZeroOpIN3c104HalfEEEPKSK_lEENS0_5tupleIJPlS6_EEENSP_IJSD_SD_EEES6_PiJS6_EEE10hipError_tPvRmT3_T4_T5_T6_T7_T9_mT8_P12ihipStream_tbDpT10_ENKUlT_T0_E_clISt17integral_constantIbLb0EES1C_IbLb1EEEEDaS18_S19_EUlS18_E_NS1_11comp_targetILNS1_3genE9ELNS1_11target_archE1100ELNS1_3gpuE3ELNS1_3repE0EEENS1_30default_config_static_selectorELNS0_4arch9wavefront6targetE0EEEvT1_ ; -- Begin function _ZN7rocprim17ROCPRIM_400000_NS6detail17trampoline_kernelINS0_14default_configENS1_25partition_config_selectorILNS1_17partition_subalgoE5ElNS0_10empty_typeEbEEZZNS1_14partition_implILS5_5ELb0ES3_mN6hipcub16HIPCUB_304000_NS21CountingInputIteratorIllEEPS6_NSA_22TransformInputIteratorIbN2at6native12_GLOBAL__N_19NonZeroOpIN3c104HalfEEEPKSK_lEENS0_5tupleIJPlS6_EEENSP_IJSD_SD_EEES6_PiJS6_EEE10hipError_tPvRmT3_T4_T5_T6_T7_T9_mT8_P12ihipStream_tbDpT10_ENKUlT_T0_E_clISt17integral_constantIbLb0EES1C_IbLb1EEEEDaS18_S19_EUlS18_E_NS1_11comp_targetILNS1_3genE9ELNS1_11target_archE1100ELNS1_3gpuE3ELNS1_3repE0EEENS1_30default_config_static_selectorELNS0_4arch9wavefront6targetE0EEEvT1_
	.p2align	8
	.type	_ZN7rocprim17ROCPRIM_400000_NS6detail17trampoline_kernelINS0_14default_configENS1_25partition_config_selectorILNS1_17partition_subalgoE5ElNS0_10empty_typeEbEEZZNS1_14partition_implILS5_5ELb0ES3_mN6hipcub16HIPCUB_304000_NS21CountingInputIteratorIllEEPS6_NSA_22TransformInputIteratorIbN2at6native12_GLOBAL__N_19NonZeroOpIN3c104HalfEEEPKSK_lEENS0_5tupleIJPlS6_EEENSP_IJSD_SD_EEES6_PiJS6_EEE10hipError_tPvRmT3_T4_T5_T6_T7_T9_mT8_P12ihipStream_tbDpT10_ENKUlT_T0_E_clISt17integral_constantIbLb0EES1C_IbLb1EEEEDaS18_S19_EUlS18_E_NS1_11comp_targetILNS1_3genE9ELNS1_11target_archE1100ELNS1_3gpuE3ELNS1_3repE0EEENS1_30default_config_static_selectorELNS0_4arch9wavefront6targetE0EEEvT1_,@function
_ZN7rocprim17ROCPRIM_400000_NS6detail17trampoline_kernelINS0_14default_configENS1_25partition_config_selectorILNS1_17partition_subalgoE5ElNS0_10empty_typeEbEEZZNS1_14partition_implILS5_5ELb0ES3_mN6hipcub16HIPCUB_304000_NS21CountingInputIteratorIllEEPS6_NSA_22TransformInputIteratorIbN2at6native12_GLOBAL__N_19NonZeroOpIN3c104HalfEEEPKSK_lEENS0_5tupleIJPlS6_EEENSP_IJSD_SD_EEES6_PiJS6_EEE10hipError_tPvRmT3_T4_T5_T6_T7_T9_mT8_P12ihipStream_tbDpT10_ENKUlT_T0_E_clISt17integral_constantIbLb0EES1C_IbLb1EEEEDaS18_S19_EUlS18_E_NS1_11comp_targetILNS1_3genE9ELNS1_11target_archE1100ELNS1_3gpuE3ELNS1_3repE0EEENS1_30default_config_static_selectorELNS0_4arch9wavefront6targetE0EEEvT1_: ; @_ZN7rocprim17ROCPRIM_400000_NS6detail17trampoline_kernelINS0_14default_configENS1_25partition_config_selectorILNS1_17partition_subalgoE5ElNS0_10empty_typeEbEEZZNS1_14partition_implILS5_5ELb0ES3_mN6hipcub16HIPCUB_304000_NS21CountingInputIteratorIllEEPS6_NSA_22TransformInputIteratorIbN2at6native12_GLOBAL__N_19NonZeroOpIN3c104HalfEEEPKSK_lEENS0_5tupleIJPlS6_EEENSP_IJSD_SD_EEES6_PiJS6_EEE10hipError_tPvRmT3_T4_T5_T6_T7_T9_mT8_P12ihipStream_tbDpT10_ENKUlT_T0_E_clISt17integral_constantIbLb0EES1C_IbLb1EEEEDaS18_S19_EUlS18_E_NS1_11comp_targetILNS1_3genE9ELNS1_11target_archE1100ELNS1_3gpuE3ELNS1_3repE0EEENS1_30default_config_static_selectorELNS0_4arch9wavefront6targetE0EEEvT1_
; %bb.0:
	s_clause 0x4
	s_load_b64 s[18:19], s[0:1], 0x20
	s_load_b64 s[12:13], s[0:1], 0x30
	;; [unrolled: 1-line block ×3, first 2 shown]
	s_load_b128 s[4:7], s[0:1], 0x48
	s_load_b64 s[14:15], s[0:1], 0x68
	v_cmp_eq_u32_e64 s2, 0, v0
	s_delay_alu instid0(VALU_DEP_1)
	s_and_saveexec_b32 s3, s2
	s_cbranch_execz .LBB896_4
; %bb.1:
	s_mov_b32 s9, exec_lo
	s_mov_b32 s8, exec_lo
	v_mbcnt_lo_u32_b32 v1, s9, 0
                                        ; implicit-def: $vgpr2
	s_delay_alu instid0(VALU_DEP_1)
	v_cmpx_eq_u32_e32 0, v1
	s_cbranch_execz .LBB896_3
; %bb.2:
	s_load_b64 s[10:11], s[0:1], 0x78
	s_bcnt1_i32_b32 s9, s9
	s_delay_alu instid0(SALU_CYCLE_1)
	v_dual_mov_b32 v2, 0 :: v_dual_mov_b32 v3, s9
	s_waitcnt lgkmcnt(0)
	global_atomic_add_u32 v2, v2, v3, s[10:11] glc
.LBB896_3:
	s_or_b32 exec_lo, exec_lo, s8
	s_waitcnt vmcnt(0)
	v_readfirstlane_b32 s8, v2
	s_delay_alu instid0(VALU_DEP_1)
	v_dual_mov_b32 v2, 0 :: v_dual_add_nc_u32 v1, s8, v1
	ds_store_b32 v2, v1
.LBB896_4:
	s_or_b32 exec_lo, exec_lo, s3
	v_mov_b32_e32 v1, 0
	s_clause 0x1
	s_load_b128 s[8:11], s[0:1], 0x8
	s_load_b32 s0, s[0:1], 0x70
	s_waitcnt lgkmcnt(0)
	s_barrier
	buffer_gl0_inv
	ds_load_b32 v3, v1
	s_waitcnt lgkmcnt(0)
	s_barrier
	buffer_gl0_inv
	global_load_b64 v[1:2], v1, s[6:7]
	s_add_u32 s21, s10, s8
	s_mul_i32 s20, s0, 0x300
	s_addc_u32 s22, s11, s9
	s_add_i32 s3, s0, -1
	s_add_u32 s0, s10, s20
	v_readfirstlane_b32 s9, v3
	s_addc_u32 s1, s11, 0
	s_delay_alu instid0(SALU_CYCLE_1) | instskip(SKIP_1) | instid1(VALU_DEP_2)
	v_cmp_ge_u64_e64 s0, s[0:1], s[16:17]
	s_mov_b32 s17, -1
	s_cmp_eq_u32 s9, s3
	s_cselect_b32 s3, -1, 0
	s_delay_alu instid0(VALU_DEP_1) | instid1(SALU_CYCLE_1)
	s_and_b32 s1, s0, s3
	s_mul_i32 s0, s9, 0x300
	s_xor_b32 s8, s1, -1
	s_mov_b32 s1, 0
	s_and_b32 vcc_lo, exec_lo, s8
	s_waitcnt vmcnt(0)
	v_readfirstlane_b32 s6, v1
	v_readfirstlane_b32 s7, v2
	s_cbranch_vccz .LBB896_6
; %bb.5:
	s_add_u32 s17, s0, s21
	s_addc_u32 s23, 0, s22
	v_add_co_u32 v1, s17, s17, v0
	s_delay_alu instid0(VALU_DEP_1) | instskip(SKIP_1) | instid1(VALU_DEP_3)
	v_add_co_ci_u32_e64 v2, null, s23, 0, s17
	v_lshlrev_b32_e32 v13, 3, v0
	v_add_co_u32 v3, vcc_lo, 0x80, v1
	s_delay_alu instid0(VALU_DEP_3)
	v_add_co_ci_u32_e32 v4, vcc_lo, 0, v2, vcc_lo
	v_add_co_u32 v5, vcc_lo, 0x100, v1
	v_add_co_ci_u32_e32 v6, vcc_lo, 0, v2, vcc_lo
	v_add_co_u32 v7, vcc_lo, 0x180, v1
	v_add_co_ci_u32_e32 v8, vcc_lo, 0, v2, vcc_lo
	v_add_co_u32 v9, vcc_lo, 0x200, v1
	v_add_co_ci_u32_e32 v10, vcc_lo, 0, v2, vcc_lo
	v_add_co_u32 v11, vcc_lo, 0x280, v1
	v_add_co_ci_u32_e32 v12, vcc_lo, 0, v2, vcc_lo
	ds_store_2addr_stride64_b64 v13, v[1:2], v[3:4] offset1:2
	ds_store_2addr_stride64_b64 v13, v[5:6], v[7:8] offset0:4 offset1:6
	ds_store_2addr_stride64_b64 v13, v[9:10], v[11:12] offset0:8 offset1:10
	s_waitcnt lgkmcnt(0)
	s_mov_b32 s17, s1
	s_barrier
.LBB896_6:
	v_or_b32_e32 v17, 0x100, v0
	v_or_b32_e32 v16, 0x180, v0
	;; [unrolled: 1-line block ×4, first 2 shown]
	s_and_not1_b32 vcc_lo, exec_lo, s17
	s_cbranch_vccnz .LBB896_8
; %bb.7:
	v_or_b32_e32 v3, 0x80, v0
	s_add_u32 s17, s21, s0
	s_addc_u32 s21, s22, 0
	v_add_co_u32 v1, s22, s17, v0
	s_delay_alu instid0(VALU_DEP_1) | instskip(SKIP_1) | instid1(VALU_DEP_1)
	v_add_co_ci_u32_e64 v2, null, s21, 0, s22
	v_add_co_u32 v3, s22, s17, v3
	v_add_co_ci_u32_e64 v4, null, s21, 0, s22
	v_add_co_u32 v5, s22, s17, v17
	s_delay_alu instid0(VALU_DEP_1) | instskip(SKIP_1) | instid1(VALU_DEP_1)
	v_add_co_ci_u32_e64 v6, null, s21, 0, s22
	v_add_co_u32 v7, s22, s17, v16
	v_add_co_ci_u32_e64 v8, null, s21, 0, s22
	v_add_co_u32 v9, s22, s17, v14
	v_lshlrev_b32_e32 v15, 3, v0
	v_add_co_u32 v11, s17, s17, v13
	v_add_co_ci_u32_e64 v10, null, s21, 0, s22
	v_add_co_ci_u32_e64 v12, null, s21, 0, s17
	ds_store_2addr_stride64_b64 v15, v[1:2], v[3:4] offset1:2
	ds_store_2addr_stride64_b64 v15, v[5:6], v[7:8] offset0:4 offset1:6
	ds_store_2addr_stride64_b64 v15, v[9:10], v[11:12] offset0:8 offset1:10
	s_waitcnt lgkmcnt(0)
	s_barrier
.LBB896_8:
	v_mul_u32_u24_e32 v1, 6, v0
	buffer_gl0_inv
	s_lshl_b64 s[22:23], s[10:11], 1
	s_delay_alu instid0(SALU_CYCLE_1)
	s_add_u32 s11, s18, s22
	v_lshlrev_b32_e32 v15, 3, v1
	s_addc_u32 s17, s19, s23
	s_lshl_b64 s[0:1], s[0:1], 1
	ds_load_b128 v[9:12], v15
	ds_load_b128 v[5:8], v15 offset:16
	ds_load_b128 v[1:4], v15 offset:32
	s_add_u32 s0, s11, s0
	s_addc_u32 s1, s17, s1
	s_and_b32 vcc_lo, exec_lo, s8
	s_mov_b32 s11, -1
	s_waitcnt lgkmcnt(0)
	s_barrier
	buffer_gl0_inv
	s_cbranch_vccz .LBB896_10
; %bb.9:
	v_lshlrev_b32_e32 v18, 1, v0
	s_mov_b32 s11, 0
	s_clause 0x5
	global_load_u16 v19, v18, s[0:1]
	global_load_u16 v20, v18, s[0:1] offset:256
	global_load_u16 v21, v18, s[0:1] offset:512
	;; [unrolled: 1-line block ×5, first 2 shown]
	s_waitcnt vmcnt(5)
	v_and_b32_e32 v19, 0x7fff, v19
	s_waitcnt vmcnt(4)
	v_and_b32_e32 v20, 0x7fff, v20
	;; [unrolled: 2-line block ×5, first 2 shown]
	v_cmp_ne_u16_e32 vcc_lo, 0, v19
	s_waitcnt vmcnt(0)
	v_and_b32_e32 v18, 0x7fff, v18
	v_cndmask_b32_e64 v19, 0, 1, vcc_lo
	v_cmp_ne_u16_e32 vcc_lo, 0, v20
	v_cndmask_b32_e64 v20, 0, 1, vcc_lo
	v_cmp_ne_u16_e32 vcc_lo, 0, v21
	;; [unrolled: 2-line block ×5, first 2 shown]
	v_cndmask_b32_e64 v18, 0, 1, vcc_lo
	ds_store_b8 v0, v19
	ds_store_b8 v0, v20 offset:128
	ds_store_b8 v0, v21 offset:256
	;; [unrolled: 1-line block ×5, first 2 shown]
	s_waitcnt lgkmcnt(0)
	s_barrier
.LBB896_10:
	s_and_not1_b32 vcc_lo, exec_lo, s11
	s_cbranch_vccnz .LBB896_24
; %bb.11:
	s_add_i32 s20, s20, s10
	v_dual_mov_b32 v18, 0 :: v_dual_mov_b32 v19, 0
	s_sub_i32 s10, s16, s20
	s_mov_b32 s11, exec_lo
	s_addk_i32 s10, 0x300
	s_delay_alu instid0(SALU_CYCLE_1)
	v_cmpx_gt_u32_e64 s10, v0
	s_cbranch_execz .LBB896_13
; %bb.12:
	v_lshlrev_b32_e32 v19, 1, v0
	global_load_u16 v19, v19, s[0:1]
	s_waitcnt vmcnt(0)
	v_and_b32_e32 v19, 0x7fff, v19
	s_delay_alu instid0(VALU_DEP_1)
	v_cmp_ne_u16_e32 vcc_lo, 0, v19
	v_cndmask_b32_e64 v19, 0, 1, vcc_lo
.LBB896_13:
	s_or_b32 exec_lo, exec_lo, s11
	v_or_b32_e32 v20, 0x80, v0
	s_mov_b32 s11, exec_lo
	s_delay_alu instid0(VALU_DEP_1)
	v_cmpx_gt_u32_e64 s10, v20
	s_cbranch_execz .LBB896_15
; %bb.14:
	v_lshlrev_b32_e32 v18, 1, v0
	global_load_u16 v18, v18, s[0:1] offset:256
	s_waitcnt vmcnt(0)
	v_and_b32_e32 v18, 0x7fff, v18
	s_delay_alu instid0(VALU_DEP_1)
	v_cmp_ne_u16_e32 vcc_lo, 0, v18
	v_cndmask_b32_e64 v18, 0, 1, vcc_lo
.LBB896_15:
	s_or_b32 exec_lo, exec_lo, s11
	v_cmp_gt_u32_e32 vcc_lo, s10, v17
	v_dual_mov_b32 v17, 0 :: v_dual_mov_b32 v20, 0
	s_and_saveexec_b32 s11, vcc_lo
	s_cbranch_execz .LBB896_17
; %bb.16:
	v_lshlrev_b32_e32 v20, 1, v0
	global_load_u16 v20, v20, s[0:1] offset:512
	s_waitcnt vmcnt(0)
	v_and_b32_e32 v20, 0x7fff, v20
	s_delay_alu instid0(VALU_DEP_1)
	v_cmp_ne_u16_e32 vcc_lo, 0, v20
	v_cndmask_b32_e64 v20, 0, 1, vcc_lo
.LBB896_17:
	s_or_b32 exec_lo, exec_lo, s11
	s_delay_alu instid0(SALU_CYCLE_1)
	s_mov_b32 s11, exec_lo
	v_cmpx_gt_u32_e64 s10, v16
	s_cbranch_execz .LBB896_19
; %bb.18:
	v_lshlrev_b32_e32 v16, 1, v0
	global_load_u16 v16, v16, s[0:1] offset:768
	s_waitcnt vmcnt(0)
	v_and_b32_e32 v16, 0x7fff, v16
	s_delay_alu instid0(VALU_DEP_1)
	v_cmp_ne_u16_e32 vcc_lo, 0, v16
	v_cndmask_b32_e64 v17, 0, 1, vcc_lo
.LBB896_19:
	s_or_b32 exec_lo, exec_lo, s11
	v_cmp_gt_u32_e32 vcc_lo, s10, v14
	v_mov_b32_e32 v14, 0
	v_mov_b32_e32 v16, 0
	s_and_saveexec_b32 s11, vcc_lo
	s_cbranch_execz .LBB896_21
; %bb.20:
	v_lshlrev_b32_e32 v16, 1, v0
	global_load_u16 v16, v16, s[0:1] offset:1024
	s_waitcnt vmcnt(0)
	v_and_b32_e32 v16, 0x7fff, v16
	s_delay_alu instid0(VALU_DEP_1)
	v_cmp_ne_u16_e32 vcc_lo, 0, v16
	v_cndmask_b32_e64 v16, 0, 1, vcc_lo
.LBB896_21:
	s_or_b32 exec_lo, exec_lo, s11
	v_cmp_gt_u32_e32 vcc_lo, s10, v13
	s_and_saveexec_b32 s10, vcc_lo
	s_cbranch_execz .LBB896_23
; %bb.22:
	v_lshlrev_b32_e32 v13, 1, v0
	global_load_u16 v13, v13, s[0:1] offset:1280
	s_waitcnt vmcnt(0)
	v_and_b32_e32 v13, 0x7fff, v13
	s_delay_alu instid0(VALU_DEP_1)
	v_cmp_ne_u16_e32 vcc_lo, 0, v13
	v_cndmask_b32_e64 v14, 0, 1, vcc_lo
.LBB896_23:
	s_or_b32 exec_lo, exec_lo, s10
	ds_store_b8 v0, v19
	ds_store_b8 v0, v18 offset:128
	ds_store_b8 v0, v20 offset:256
	;; [unrolled: 1-line block ×5, first 2 shown]
	s_waitcnt lgkmcnt(0)
	s_barrier
.LBB896_24:
	v_mad_i32_i24 v43, 0xffffffd6, v0, v15
	buffer_gl0_inv
	v_mbcnt_lo_u32_b32 v42, -1, 0
	s_cmp_lg_u32 s9, 0
	s_mov_b32 s1, -1
	ds_load_u16 v36, v43
	ds_load_u16 v33, v43 offset:2
	ds_load_u16 v31, v43 offset:4
	v_mov_b32_e32 v14, 0
	v_and_b32_e32 v44, 15, v42
	s_waitcnt lgkmcnt(0)
	s_barrier
	buffer_gl0_inv
	v_and_b32_e32 v41, 0xff, v36
	v_lshrrev_b16 v34, 8, v36
	v_lshrrev_b16 v35, 8, v33
	v_and_b32_e32 v39, 0xff, v33
	v_lshrrev_b16 v32, 8, v31
	v_and_b32_e32 v37, 0xff, v31
	v_and_b32_e32 v40, 0xffff, v34
	v_and_b32_e32 v38, 0xffff, v35
	s_delay_alu instid0(VALU_DEP_4) | instskip(NEXT) | instid1(VALU_DEP_3)
	v_and_b32_e32 v16, 0xffff, v32
	v_add_co_u32 v13, s0, v40, v41
	s_delay_alu instid0(VALU_DEP_1) | instskip(SKIP_1) | instid1(VALU_DEP_3)
	v_add_co_ci_u32_e64 v15, null, 0, 0, s0
	v_cmp_ne_u32_e64 s0, 0, v44
	v_add_co_u32 v13, vcc_lo, v13, v39
	s_delay_alu instid0(VALU_DEP_3) | instskip(NEXT) | instid1(VALU_DEP_2)
	v_add_co_ci_u32_e32 v15, vcc_lo, 0, v15, vcc_lo
	v_add_co_u32 v13, vcc_lo, v13, v38
	s_delay_alu instid0(VALU_DEP_2) | instskip(NEXT) | instid1(VALU_DEP_2)
	v_add_co_ci_u32_e32 v15, vcc_lo, 0, v15, vcc_lo
	v_add_co_u32 v13, vcc_lo, v13, v37
	s_delay_alu instid0(VALU_DEP_2) | instskip(NEXT) | instid1(VALU_DEP_2)
	v_add_co_ci_u32_e32 v15, vcc_lo, 0, v15, vcc_lo
	v_add_co_u32 v21, vcc_lo, v13, v16
	s_delay_alu instid0(VALU_DEP_2)
	v_add_co_ci_u32_e32 v22, vcc_lo, 0, v15, vcc_lo
	s_cbranch_scc0 .LBB896_88
; %bb.25:
	s_delay_alu instid0(VALU_DEP_2)
	v_mov_b32_e32 v15, v21
	v_mov_b32_dpp v13, v21 row_shr:1 row_mask:0xf bank_mask:0xf
	v_mov_b32_dpp v18, v14 row_shr:1 row_mask:0xf bank_mask:0xf
	v_dual_mov_b32 v17, v21 :: v_dual_mov_b32 v16, v22
	s_and_saveexec_b32 s1, s0
; %bb.26:
	s_delay_alu instid0(VALU_DEP_3) | instskip(SKIP_1) | instid1(VALU_DEP_2)
	v_add_co_u32 v17, vcc_lo, v21, v13
	v_add_co_ci_u32_e32 v14, vcc_lo, 0, v22, vcc_lo
	v_add_co_u32 v13, vcc_lo, 0, v17
	s_delay_alu instid0(VALU_DEP_2) | instskip(NEXT) | instid1(VALU_DEP_1)
	v_add_co_ci_u32_e32 v14, vcc_lo, v18, v14, vcc_lo
	v_dual_mov_b32 v16, v14 :: v_dual_mov_b32 v15, v13
; %bb.27:
	s_or_b32 exec_lo, exec_lo, s1
	v_mov_b32_dpp v13, v17 row_shr:2 row_mask:0xf bank_mask:0xf
	v_mov_b32_dpp v18, v14 row_shr:2 row_mask:0xf bank_mask:0xf
	s_mov_b32 s1, exec_lo
	v_cmpx_lt_u32_e32 1, v44
; %bb.28:
	s_delay_alu instid0(VALU_DEP_3) | instskip(SKIP_1) | instid1(VALU_DEP_2)
	v_add_co_u32 v17, vcc_lo, v15, v13
	v_add_co_ci_u32_e32 v14, vcc_lo, 0, v16, vcc_lo
	v_add_co_u32 v13, vcc_lo, 0, v17
	s_delay_alu instid0(VALU_DEP_2) | instskip(NEXT) | instid1(VALU_DEP_1)
	v_add_co_ci_u32_e32 v14, vcc_lo, v18, v14, vcc_lo
	v_dual_mov_b32 v16, v14 :: v_dual_mov_b32 v15, v13
; %bb.29:
	s_or_b32 exec_lo, exec_lo, s1
	v_mov_b32_dpp v13, v17 row_shr:4 row_mask:0xf bank_mask:0xf
	v_mov_b32_dpp v18, v14 row_shr:4 row_mask:0xf bank_mask:0xf
	s_mov_b32 s1, exec_lo
	v_cmpx_lt_u32_e32 3, v44
	;; [unrolled: 14-line block ×3, first 2 shown]
; %bb.32:
	s_delay_alu instid0(VALU_DEP_3) | instskip(SKIP_1) | instid1(VALU_DEP_2)
	v_add_co_u32 v17, vcc_lo, v15, v18
	v_add_co_ci_u32_e32 v14, vcc_lo, 0, v16, vcc_lo
	v_add_co_u32 v15, vcc_lo, 0, v17
	s_delay_alu instid0(VALU_DEP_2) | instskip(NEXT) | instid1(VALU_DEP_1)
	v_add_co_ci_u32_e32 v16, vcc_lo, v13, v14, vcc_lo
	v_mov_b32_e32 v14, v16
; %bb.33:
	s_or_b32 exec_lo, exec_lo, s1
	ds_swizzle_b32 v13, v17 offset:swizzle(BROADCAST,32,15)
	ds_swizzle_b32 v18, v14 offset:swizzle(BROADCAST,32,15)
	v_and_b32_e32 v19, 16, v42
	s_mov_b32 s1, exec_lo
	s_delay_alu instid0(VALU_DEP_1)
	v_cmpx_ne_u32_e32 0, v19
	s_cbranch_execz .LBB896_35
; %bb.34:
	s_waitcnt lgkmcnt(1)
	v_add_co_u32 v17, vcc_lo, v15, v13
	v_add_co_ci_u32_e32 v14, vcc_lo, 0, v16, vcc_lo
	s_delay_alu instid0(VALU_DEP_2) | instskip(SKIP_1) | instid1(VALU_DEP_2)
	v_add_co_u32 v13, vcc_lo, 0, v17
	s_waitcnt lgkmcnt(0)
	v_add_co_ci_u32_e32 v14, vcc_lo, v18, v14, vcc_lo
	s_delay_alu instid0(VALU_DEP_1)
	v_dual_mov_b32 v16, v14 :: v_dual_mov_b32 v15, v13
.LBB896_35:
	s_or_b32 exec_lo, exec_lo, s1
	s_waitcnt lgkmcnt(0)
	v_or_b32_e32 v18, 31, v0
	v_lshrrev_b32_e32 v13, 5, v0
	s_mov_b32 s1, exec_lo
	s_delay_alu instid0(VALU_DEP_2)
	v_cmpx_eq_u32_e64 v18, v0
	s_cbranch_execz .LBB896_37
; %bb.36:
	s_delay_alu instid0(VALU_DEP_2)
	v_lshlrev_b32_e32 v18, 3, v13
	ds_store_b64 v18, v[15:16]
.LBB896_37:
	s_or_b32 exec_lo, exec_lo, s1
	s_delay_alu instid0(SALU_CYCLE_1)
	s_mov_b32 s1, exec_lo
	s_waitcnt lgkmcnt(0)
	s_barrier
	buffer_gl0_inv
	v_cmpx_gt_u32_e32 4, v0
	s_cbranch_execz .LBB896_43
; %bb.38:
	v_lshlrev_b32_e32 v18, 3, v0
	s_mov_b32 s10, exec_lo
	ds_load_b64 v[15:16], v18
	s_waitcnt lgkmcnt(0)
	v_dual_mov_b32 v20, v15 :: v_dual_and_b32 v19, 3, v42
	v_mov_b32_dpp v24, v15 row_shr:1 row_mask:0xf bank_mask:0xf
	v_mov_b32_dpp v23, v16 row_shr:1 row_mask:0xf bank_mask:0xf
	s_delay_alu instid0(VALU_DEP_3)
	v_cmpx_ne_u32_e32 0, v19
; %bb.39:
	s_delay_alu instid0(VALU_DEP_3) | instskip(SKIP_1) | instid1(VALU_DEP_2)
	v_add_co_u32 v20, vcc_lo, v15, v24
	v_add_co_ci_u32_e32 v16, vcc_lo, 0, v16, vcc_lo
	v_add_co_u32 v15, vcc_lo, 0, v20
	s_delay_alu instid0(VALU_DEP_2)
	v_add_co_ci_u32_e32 v16, vcc_lo, v23, v16, vcc_lo
; %bb.40:
	s_or_b32 exec_lo, exec_lo, s10
	v_mov_b32_dpp v23, v20 row_shr:2 row_mask:0xf bank_mask:0xf
	s_delay_alu instid0(VALU_DEP_2)
	v_mov_b32_dpp v20, v16 row_shr:2 row_mask:0xf bank_mask:0xf
	s_mov_b32 s10, exec_lo
	v_cmpx_lt_u32_e32 1, v19
; %bb.41:
	s_delay_alu instid0(VALU_DEP_3) | instskip(SKIP_1) | instid1(VALU_DEP_2)
	v_add_co_u32 v15, vcc_lo, v15, v23
	v_add_co_ci_u32_e32 v16, vcc_lo, 0, v16, vcc_lo
	v_add_co_u32 v15, vcc_lo, v15, 0
	s_delay_alu instid0(VALU_DEP_2)
	v_add_co_ci_u32_e32 v16, vcc_lo, v16, v20, vcc_lo
; %bb.42:
	s_or_b32 exec_lo, exec_lo, s10
	ds_store_b64 v18, v[15:16]
.LBB896_43:
	s_or_b32 exec_lo, exec_lo, s1
	v_cmp_gt_u32_e32 vcc_lo, 32, v0
	s_mov_b32 s10, exec_lo
	s_waitcnt lgkmcnt(0)
	s_barrier
	buffer_gl0_inv
                                        ; implicit-def: $vgpr23_vgpr24
	v_cmpx_lt_u32_e32 31, v0
	s_cbranch_execz .LBB896_45
; %bb.44:
	v_lshl_add_u32 v13, v13, 3, -8
	ds_load_b64 v[23:24], v13
	s_waitcnt lgkmcnt(0)
	v_add_co_u32 v17, s1, v17, v23
	s_delay_alu instid0(VALU_DEP_1)
	v_add_co_ci_u32_e64 v14, s1, v14, v24, s1
.LBB896_45:
	s_or_b32 exec_lo, exec_lo, s10
	v_add_nc_u32_e32 v13, -1, v42
	s_delay_alu instid0(VALU_DEP_1) | instskip(NEXT) | instid1(VALU_DEP_1)
	v_cmp_gt_i32_e64 s1, 0, v13
	v_cndmask_b32_e64 v13, v13, v42, s1
	v_cmp_eq_u32_e64 s1, 0, v42
	s_delay_alu instid0(VALU_DEP_2)
	v_lshlrev_b32_e32 v13, 2, v13
	ds_bpermute_b32 v29, v13, v17
	ds_bpermute_b32 v30, v13, v14
	s_and_saveexec_b32 s10, vcc_lo
	s_cbranch_execz .LBB896_83
; %bb.46:
	v_mov_b32_e32 v16, 0
	ds_load_b64 v[13:14], v16 offset:24
	s_and_saveexec_b32 s11, s1
	s_cbranch_execz .LBB896_48
; %bb.47:
	s_add_i32 s16, s9, 32
	s_mov_b32 s17, 0
	s_delay_alu instid0(SALU_CYCLE_1) | instskip(NEXT) | instid1(SALU_CYCLE_1)
	s_lshl_b64 s[16:17], s[16:17], 4
	s_add_u32 s16, s14, s16
	s_addc_u32 s17, s15, s17
	s_delay_alu instid0(SALU_CYCLE_1)
	v_dual_mov_b32 v15, 1 :: v_dual_mov_b32 v18, s17
	v_mov_b32_e32 v17, s16
	s_waitcnt lgkmcnt(0)
	;;#ASMSTART
	global_store_dwordx4 v[17:18], v[13:16] off	
s_waitcnt vmcnt(0)
	;;#ASMEND
.LBB896_48:
	s_or_b32 exec_lo, exec_lo, s11
	v_xad_u32 v25, v42, -1, s9
	s_mov_b32 s16, 0
	s_mov_b32 s11, exec_lo
	s_delay_alu instid0(VALU_DEP_1) | instskip(NEXT) | instid1(VALU_DEP_1)
	v_add_nc_u32_e32 v15, 32, v25
	v_lshlrev_b64 v[15:16], 4, v[15:16]
	s_delay_alu instid0(VALU_DEP_1) | instskip(NEXT) | instid1(VALU_DEP_2)
	v_add_co_u32 v15, vcc_lo, s14, v15
	v_add_co_ci_u32_e32 v16, vcc_lo, s15, v16, vcc_lo
	;;#ASMSTART
	global_load_dwordx4 v[17:20], v[15:16] off glc	
s_waitcnt vmcnt(0)
	;;#ASMEND
	v_and_b32_e32 v20, 0xff, v18
	v_and_b32_e32 v26, 0xff00, v18
	v_or3_b32 v17, v17, 0, 0
	v_and_b32_e32 v27, 0xff000000, v18
	v_and_b32_e32 v18, 0xff0000, v18
	s_delay_alu instid0(VALU_DEP_4) | instskip(SKIP_2) | instid1(VALU_DEP_3)
	v_or3_b32 v20, 0, v20, v26
	v_and_b32_e32 v26, 0xff, v19
	v_or3_b32 v17, v17, 0, 0
	v_or3_b32 v18, v20, v18, v27
	s_delay_alu instid0(VALU_DEP_3)
	v_cmpx_eq_u16_e32 0, v26
	s_cbranch_execz .LBB896_51
.LBB896_49:                             ; =>This Inner Loop Header: Depth=1
	;;#ASMSTART
	global_load_dwordx4 v[17:20], v[15:16] off glc	
s_waitcnt vmcnt(0)
	;;#ASMEND
	v_and_b32_e32 v20, 0xff, v19
	s_delay_alu instid0(VALU_DEP_1) | instskip(SKIP_1) | instid1(SALU_CYCLE_1)
	v_cmp_ne_u16_e32 vcc_lo, 0, v20
	s_or_b32 s16, vcc_lo, s16
	s_and_not1_b32 exec_lo, exec_lo, s16
	s_cbranch_execnz .LBB896_49
; %bb.50:
	s_or_b32 exec_lo, exec_lo, s16
.LBB896_51:
	s_delay_alu instid0(SALU_CYCLE_1)
	s_or_b32 exec_lo, exec_lo, s11
	v_cmp_ne_u32_e32 vcc_lo, 31, v42
	v_and_b32_e32 v16, 0xff, v19
	v_lshlrev_b32_e64 v46, v42, -1
	s_mov_b32 s11, exec_lo
	v_add_co_ci_u32_e32 v15, vcc_lo, 0, v42, vcc_lo
	s_delay_alu instid0(VALU_DEP_3) | instskip(NEXT) | instid1(VALU_DEP_2)
	v_cmp_eq_u16_e32 vcc_lo, 2, v16
	v_dual_mov_b32 v16, v17 :: v_dual_lshlrev_b32 v45, 2, v15
	v_and_or_b32 v15, vcc_lo, v46, 0x80000000
	ds_bpermute_b32 v26, v45, v17
	ds_bpermute_b32 v20, v45, v18
	v_ctz_i32_b32_e32 v15, v15
	s_delay_alu instid0(VALU_DEP_1)
	v_cmpx_lt_u32_e64 v42, v15
	s_cbranch_execz .LBB896_53
; %bb.52:
	s_waitcnt lgkmcnt(1)
	v_add_co_u32 v16, vcc_lo, v17, v26
	v_add_co_ci_u32_e32 v18, vcc_lo, 0, v18, vcc_lo
	s_delay_alu instid0(VALU_DEP_2) | instskip(SKIP_1) | instid1(VALU_DEP_2)
	v_add_co_u32 v17, vcc_lo, 0, v16
	s_waitcnt lgkmcnt(0)
	v_add_co_ci_u32_e32 v18, vcc_lo, v20, v18, vcc_lo
.LBB896_53:
	s_or_b32 exec_lo, exec_lo, s11
	v_cmp_gt_u32_e32 vcc_lo, 30, v42
	v_add_nc_u32_e32 v48, 2, v42
	s_mov_b32 s11, exec_lo
	s_waitcnt lgkmcnt(0)
	v_cndmask_b32_e64 v20, 0, 1, vcc_lo
	s_delay_alu instid0(VALU_DEP_1) | instskip(NEXT) | instid1(VALU_DEP_1)
	v_lshlrev_b32_e32 v20, 1, v20
	v_add_lshl_u32 v47, v20, v42, 2
	ds_bpermute_b32 v26, v47, v16
	ds_bpermute_b32 v20, v47, v18
	v_cmpx_le_u32_e64 v48, v15
	s_cbranch_execz .LBB896_55
; %bb.54:
	s_waitcnt lgkmcnt(1)
	v_add_co_u32 v16, vcc_lo, v17, v26
	v_add_co_ci_u32_e32 v18, vcc_lo, 0, v18, vcc_lo
	s_delay_alu instid0(VALU_DEP_2) | instskip(SKIP_1) | instid1(VALU_DEP_2)
	v_add_co_u32 v17, vcc_lo, 0, v16
	s_waitcnt lgkmcnt(0)
	v_add_co_ci_u32_e32 v18, vcc_lo, v20, v18, vcc_lo
.LBB896_55:
	s_or_b32 exec_lo, exec_lo, s11
	v_cmp_gt_u32_e32 vcc_lo, 28, v42
	v_add_nc_u32_e32 v50, 4, v42
	s_mov_b32 s11, exec_lo
	s_waitcnt lgkmcnt(0)
	v_cndmask_b32_e64 v20, 0, 1, vcc_lo
	s_delay_alu instid0(VALU_DEP_1) | instskip(NEXT) | instid1(VALU_DEP_1)
	v_lshlrev_b32_e32 v20, 2, v20
	v_add_lshl_u32 v49, v20, v42, 2
	ds_bpermute_b32 v26, v49, v16
	ds_bpermute_b32 v20, v49, v18
	v_cmpx_le_u32_e64 v50, v15
	;; [unrolled: 22-line block ×4, first 2 shown]
	s_cbranch_execz .LBB896_61
; %bb.60:
	s_waitcnt lgkmcnt(1)
	v_add_co_u32 v15, vcc_lo, v17, v20
	v_add_co_ci_u32_e32 v18, vcc_lo, 0, v18, vcc_lo
	s_delay_alu instid0(VALU_DEP_2) | instskip(SKIP_1) | instid1(VALU_DEP_2)
	v_add_co_u32 v17, vcc_lo, v15, 0
	s_waitcnt lgkmcnt(0)
	v_add_co_ci_u32_e32 v18, vcc_lo, v18, v16, vcc_lo
.LBB896_61:
	s_or_b32 exec_lo, exec_lo, s11
	v_mov_b32_e32 v26, 0
	s_branch .LBB896_63
.LBB896_62:                             ;   in Loop: Header=BB896_63 Depth=1
	s_or_b32 exec_lo, exec_lo, s11
	v_add_co_u32 v17, vcc_lo, v17, v15
	v_subrev_nc_u32_e32 v25, 32, v25
	v_add_co_ci_u32_e32 v18, vcc_lo, v18, v16, vcc_lo
.LBB896_63:                             ; =>This Loop Header: Depth=1
                                        ;     Child Loop BB896_66 Depth 2
	v_and_b32_e32 v15, 0xff, v19
	s_delay_alu instid0(VALU_DEP_1) | instskip(SKIP_2) | instid1(VALU_DEP_1)
	v_cmp_ne_u16_e32 vcc_lo, 2, v15
	v_cndmask_b32_e64 v15, 0, 1, vcc_lo
	;;#ASMSTART
	;;#ASMEND
	v_cmp_ne_u32_e32 vcc_lo, 0, v15
	s_waitcnt lgkmcnt(0)
	v_dual_mov_b32 v15, v17 :: v_dual_mov_b32 v16, v18
	s_cmp_lg_u32 vcc_lo, exec_lo
	s_cbranch_scc1 .LBB896_78
; %bb.64:                               ;   in Loop: Header=BB896_63 Depth=1
	v_lshlrev_b64 v[17:18], 4, v[25:26]
	s_mov_b32 s11, exec_lo
	s_delay_alu instid0(VALU_DEP_1) | instskip(NEXT) | instid1(VALU_DEP_2)
	v_add_co_u32 v27, vcc_lo, s14, v17
	v_add_co_ci_u32_e32 v28, vcc_lo, s15, v18, vcc_lo
	;;#ASMSTART
	global_load_dwordx4 v[17:20], v[27:28] off glc	
s_waitcnt vmcnt(0)
	;;#ASMEND
	v_and_b32_e32 v20, 0xff, v18
	v_and_b32_e32 v55, 0xff00, v18
	v_or3_b32 v17, v17, 0, 0
	v_and_b32_e32 v56, 0xff000000, v18
	v_and_b32_e32 v18, 0xff0000, v18
	s_delay_alu instid0(VALU_DEP_4) | instskip(SKIP_2) | instid1(VALU_DEP_3)
	v_or3_b32 v20, 0, v20, v55
	v_and_b32_e32 v55, 0xff, v19
	v_or3_b32 v17, v17, 0, 0
	v_or3_b32 v18, v20, v18, v56
	s_delay_alu instid0(VALU_DEP_3)
	v_cmpx_eq_u16_e32 0, v55
	s_cbranch_execz .LBB896_68
; %bb.65:                               ;   in Loop: Header=BB896_63 Depth=1
	s_mov_b32 s16, 0
.LBB896_66:                             ;   Parent Loop BB896_63 Depth=1
                                        ; =>  This Inner Loop Header: Depth=2
	;;#ASMSTART
	global_load_dwordx4 v[17:20], v[27:28] off glc	
s_waitcnt vmcnt(0)
	;;#ASMEND
	v_and_b32_e32 v20, 0xff, v19
	s_delay_alu instid0(VALU_DEP_1) | instskip(SKIP_1) | instid1(SALU_CYCLE_1)
	v_cmp_ne_u16_e32 vcc_lo, 0, v20
	s_or_b32 s16, vcc_lo, s16
	s_and_not1_b32 exec_lo, exec_lo, s16
	s_cbranch_execnz .LBB896_66
; %bb.67:                               ;   in Loop: Header=BB896_63 Depth=1
	s_or_b32 exec_lo, exec_lo, s16
.LBB896_68:                             ;   in Loop: Header=BB896_63 Depth=1
	s_delay_alu instid0(SALU_CYCLE_1)
	s_or_b32 exec_lo, exec_lo, s11
	v_dual_mov_b32 v27, v17 :: v_dual_and_b32 v20, 0xff, v19
	ds_bpermute_b32 v55, v45, v17
	ds_bpermute_b32 v28, v45, v18
	s_mov_b32 s11, exec_lo
	v_cmp_eq_u16_e32 vcc_lo, 2, v20
	v_and_or_b32 v20, vcc_lo, v46, 0x80000000
	s_delay_alu instid0(VALU_DEP_1) | instskip(NEXT) | instid1(VALU_DEP_1)
	v_ctz_i32_b32_e32 v20, v20
	v_cmpx_lt_u32_e64 v42, v20
	s_cbranch_execz .LBB896_70
; %bb.69:                               ;   in Loop: Header=BB896_63 Depth=1
	s_waitcnt lgkmcnt(1)
	v_add_co_u32 v27, vcc_lo, v17, v55
	v_add_co_ci_u32_e32 v18, vcc_lo, 0, v18, vcc_lo
	s_delay_alu instid0(VALU_DEP_2) | instskip(SKIP_1) | instid1(VALU_DEP_2)
	v_add_co_u32 v17, vcc_lo, 0, v27
	s_waitcnt lgkmcnt(0)
	v_add_co_ci_u32_e32 v18, vcc_lo, v28, v18, vcc_lo
.LBB896_70:                             ;   in Loop: Header=BB896_63 Depth=1
	s_or_b32 exec_lo, exec_lo, s11
	s_waitcnt lgkmcnt(1)
	ds_bpermute_b32 v55, v47, v27
	s_waitcnt lgkmcnt(1)
	ds_bpermute_b32 v28, v47, v18
	s_mov_b32 s11, exec_lo
	v_cmpx_le_u32_e64 v48, v20
	s_cbranch_execz .LBB896_72
; %bb.71:                               ;   in Loop: Header=BB896_63 Depth=1
	s_waitcnt lgkmcnt(1)
	v_add_co_u32 v27, vcc_lo, v17, v55
	v_add_co_ci_u32_e32 v18, vcc_lo, 0, v18, vcc_lo
	s_delay_alu instid0(VALU_DEP_2) | instskip(SKIP_1) | instid1(VALU_DEP_2)
	v_add_co_u32 v17, vcc_lo, 0, v27
	s_waitcnt lgkmcnt(0)
	v_add_co_ci_u32_e32 v18, vcc_lo, v28, v18, vcc_lo
.LBB896_72:                             ;   in Loop: Header=BB896_63 Depth=1
	s_or_b32 exec_lo, exec_lo, s11
	s_waitcnt lgkmcnt(1)
	ds_bpermute_b32 v55, v49, v27
	s_waitcnt lgkmcnt(1)
	ds_bpermute_b32 v28, v49, v18
	s_mov_b32 s11, exec_lo
	v_cmpx_le_u32_e64 v50, v20
	;; [unrolled: 17-line block ×3, first 2 shown]
	s_cbranch_execz .LBB896_76
; %bb.75:                               ;   in Loop: Header=BB896_63 Depth=1
	s_waitcnt lgkmcnt(1)
	v_add_co_u32 v27, vcc_lo, v17, v55
	v_add_co_ci_u32_e32 v18, vcc_lo, 0, v18, vcc_lo
	s_delay_alu instid0(VALU_DEP_2) | instskip(SKIP_1) | instid1(VALU_DEP_2)
	v_add_co_u32 v17, vcc_lo, 0, v27
	s_waitcnt lgkmcnt(0)
	v_add_co_ci_u32_e32 v18, vcc_lo, v28, v18, vcc_lo
.LBB896_76:                             ;   in Loop: Header=BB896_63 Depth=1
	s_or_b32 exec_lo, exec_lo, s11
	s_waitcnt lgkmcnt(0)
	ds_bpermute_b32 v28, v53, v27
	ds_bpermute_b32 v27, v53, v18
	s_mov_b32 s11, exec_lo
	v_cmpx_le_u32_e64 v54, v20
	s_cbranch_execz .LBB896_62
; %bb.77:                               ;   in Loop: Header=BB896_63 Depth=1
	s_waitcnt lgkmcnt(1)
	v_add_co_u32 v17, vcc_lo, v17, v28
	v_add_co_ci_u32_e32 v18, vcc_lo, 0, v18, vcc_lo
	s_delay_alu instid0(VALU_DEP_2) | instskip(SKIP_1) | instid1(VALU_DEP_2)
	v_add_co_u32 v17, vcc_lo, v17, 0
	s_waitcnt lgkmcnt(0)
	v_add_co_ci_u32_e32 v18, vcc_lo, v18, v27, vcc_lo
	s_branch .LBB896_62
.LBB896_78:                             ;   in Loop: Header=BB896_63 Depth=1
                                        ; implicit-def: $vgpr17_vgpr18
	s_cbranch_execz .LBB896_63
; %bb.79:
	s_and_saveexec_b32 s11, s1
	s_cbranch_execz .LBB896_81
; %bb.80:
	s_add_i32 s16, s9, 32
	s_mov_b32 s17, 0
	v_add_co_u32 v17, vcc_lo, v15, v13
	s_lshl_b64 s[16:17], s[16:17], 4
	v_dual_mov_b32 v19, 2 :: v_dual_mov_b32 v20, 0
	s_add_u32 s16, s14, s16
	s_addc_u32 s17, s15, s17
	v_add_co_ci_u32_e32 v18, vcc_lo, v16, v14, vcc_lo
	v_dual_mov_b32 v26, s17 :: v_dual_mov_b32 v25, s16
	;;#ASMSTART
	global_store_dwordx4 v[25:26], v[17:20] off	
s_waitcnt vmcnt(0)
	;;#ASMEND
	ds_store_b128 v20, v[13:16] offset:6144
.LBB896_81:
	s_or_b32 exec_lo, exec_lo, s11
	s_delay_alu instid0(SALU_CYCLE_1)
	s_and_b32 exec_lo, exec_lo, s2
	s_cbranch_execz .LBB896_83
; %bb.82:
	v_mov_b32_e32 v13, 0
	ds_store_b64 v13, v[15:16] offset:24
.LBB896_83:
	s_or_b32 exec_lo, exec_lo, s10
	v_mov_b32_e32 v15, 0
	s_waitcnt lgkmcnt(0)
	s_barrier
	buffer_gl0_inv
	v_cndmask_b32_e64 v16, v29, v23, s1
	ds_load_b64 v[13:14], v15 offset:24
	v_cndmask_b32_e64 v17, v30, v24, s1
	s_waitcnt lgkmcnt(0)
	s_barrier
	v_cndmask_b32_e64 v16, v16, 0, s2
	buffer_gl0_inv
	v_cndmask_b32_e64 v17, v17, 0, s2
	v_add_co_u32 v29, vcc_lo, v13, v16
	s_delay_alu instid0(VALU_DEP_2) | instskip(SKIP_3) | instid1(VALU_DEP_2)
	v_add_co_ci_u32_e32 v30, vcc_lo, v14, v17, vcc_lo
	ds_load_b128 v[13:16], v15 offset:6144
	v_add_co_u32 v27, vcc_lo, v29, v41
	v_add_co_ci_u32_e32 v28, vcc_lo, 0, v30, vcc_lo
	v_add_co_u32 v25, vcc_lo, v27, v40
	s_delay_alu instid0(VALU_DEP_2) | instskip(NEXT) | instid1(VALU_DEP_2)
	v_add_co_ci_u32_e32 v26, vcc_lo, 0, v28, vcc_lo
	v_add_co_u32 v23, vcc_lo, v25, v39
	s_delay_alu instid0(VALU_DEP_2) | instskip(NEXT) | instid1(VALU_DEP_2)
	;; [unrolled: 3-line block ×3, first 2 shown]
	v_add_co_ci_u32_e32 v20, vcc_lo, 0, v24, vcc_lo
	v_add_co_u32 v17, vcc_lo, v19, v37
	s_delay_alu instid0(VALU_DEP_2)
	v_add_co_ci_u32_e32 v18, vcc_lo, 0, v20, vcc_lo
.LBB896_84:
	s_waitcnt lgkmcnt(0)
	v_cmp_gt_u64_e32 vcc_lo, 0x81, v[13:14]
	s_mov_b32 s0, -1
	s_cbranch_vccnz .LBB896_112
.LBB896_85:
	s_and_b32 vcc_lo, exec_lo, s0
	s_cbranch_vccnz .LBB896_131
.LBB896_86:
	s_and_b32 s0, s2, s3
	s_delay_alu instid0(SALU_CYCLE_1)
	s_and_saveexec_b32 s1, s0
	s_cbranch_execnz .LBB896_147
.LBB896_87:
	s_nop 0
	s_sendmsg sendmsg(MSG_DEALLOC_VGPRS)
	s_endpgm
.LBB896_88:
                                        ; kill: def $vgpr13_vgpr14 killed $sgpr0_sgpr1 killed $exec
                                        ; implicit-def: $vgpr17_vgpr18
                                        ; implicit-def: $vgpr19_vgpr20
                                        ; implicit-def: $vgpr23_vgpr24
                                        ; implicit-def: $vgpr25_vgpr26
                                        ; implicit-def: $vgpr27_vgpr28
                                        ; implicit-def: $vgpr29_vgpr30
                                        ; implicit-def: $vgpr15_vgpr16
	s_and_b32 vcc_lo, exec_lo, s1
	s_cbranch_vccz .LBB896_84
; %bb.89:
	s_waitcnt lgkmcnt(0)
	v_dual_mov_b32 v14, 0 :: v_dual_mov_b32 v15, v21
	v_mov_b32_dpp v16, v21 row_shr:1 row_mask:0xf bank_mask:0xf
	s_delay_alu instid0(VALU_DEP_2)
	v_mov_b32_dpp v13, v14 row_shr:1 row_mask:0xf bank_mask:0xf
	s_and_saveexec_b32 s1, s0
; %bb.90:
	s_delay_alu instid0(VALU_DEP_2) | instskip(SKIP_1) | instid1(VALU_DEP_2)
	v_add_co_u32 v15, vcc_lo, v21, v16
	v_add_co_ci_u32_e32 v14, vcc_lo, 0, v22, vcc_lo
	v_add_co_u32 v21, vcc_lo, 0, v15
	s_delay_alu instid0(VALU_DEP_2) | instskip(NEXT) | instid1(VALU_DEP_1)
	v_add_co_ci_u32_e32 v22, vcc_lo, v13, v14, vcc_lo
	v_mov_b32_e32 v14, v22
; %bb.91:
	s_or_b32 exec_lo, exec_lo, s1
	v_mov_b32_dpp v13, v15 row_shr:2 row_mask:0xf bank_mask:0xf
	s_delay_alu instid0(VALU_DEP_2)
	v_mov_b32_dpp v16, v14 row_shr:2 row_mask:0xf bank_mask:0xf
	s_mov_b32 s0, exec_lo
	v_cmpx_lt_u32_e32 1, v44
; %bb.92:
	s_delay_alu instid0(VALU_DEP_3) | instskip(SKIP_1) | instid1(VALU_DEP_2)
	v_add_co_u32 v15, vcc_lo, v21, v13
	v_add_co_ci_u32_e32 v14, vcc_lo, 0, v22, vcc_lo
	v_add_co_u32 v13, vcc_lo, 0, v15
	s_delay_alu instid0(VALU_DEP_2) | instskip(NEXT) | instid1(VALU_DEP_1)
	v_add_co_ci_u32_e32 v14, vcc_lo, v16, v14, vcc_lo
	v_dual_mov_b32 v22, v14 :: v_dual_mov_b32 v21, v13
; %bb.93:
	s_or_b32 exec_lo, exec_lo, s0
	v_mov_b32_dpp v13, v15 row_shr:4 row_mask:0xf bank_mask:0xf
	v_mov_b32_dpp v16, v14 row_shr:4 row_mask:0xf bank_mask:0xf
	s_mov_b32 s0, exec_lo
	v_cmpx_lt_u32_e32 3, v44
; %bb.94:
	s_delay_alu instid0(VALU_DEP_3) | instskip(SKIP_1) | instid1(VALU_DEP_2)
	v_add_co_u32 v15, vcc_lo, v21, v13
	v_add_co_ci_u32_e32 v14, vcc_lo, 0, v22, vcc_lo
	v_add_co_u32 v13, vcc_lo, 0, v15
	s_delay_alu instid0(VALU_DEP_2) | instskip(NEXT) | instid1(VALU_DEP_1)
	v_add_co_ci_u32_e32 v14, vcc_lo, v16, v14, vcc_lo
	v_dual_mov_b32 v22, v14 :: v_dual_mov_b32 v21, v13
; %bb.95:
	s_or_b32 exec_lo, exec_lo, s0
	v_mov_b32_dpp v16, v15 row_shr:8 row_mask:0xf bank_mask:0xf
	v_mov_b32_dpp v13, v14 row_shr:8 row_mask:0xf bank_mask:0xf
	s_mov_b32 s0, exec_lo
	v_cmpx_lt_u32_e32 7, v44
; %bb.96:
	s_delay_alu instid0(VALU_DEP_3) | instskip(SKIP_1) | instid1(VALU_DEP_2)
	v_add_co_u32 v15, vcc_lo, v21, v16
	v_add_co_ci_u32_e32 v14, vcc_lo, 0, v22, vcc_lo
	v_add_co_u32 v21, vcc_lo, 0, v15
	s_delay_alu instid0(VALU_DEP_2) | instskip(NEXT) | instid1(VALU_DEP_1)
	v_add_co_ci_u32_e32 v22, vcc_lo, v13, v14, vcc_lo
	v_mov_b32_e32 v14, v22
; %bb.97:
	s_or_b32 exec_lo, exec_lo, s0
	ds_swizzle_b32 v15, v15 offset:swizzle(BROADCAST,32,15)
	ds_swizzle_b32 v13, v14 offset:swizzle(BROADCAST,32,15)
	v_and_b32_e32 v14, 16, v42
	s_mov_b32 s0, exec_lo
	s_delay_alu instid0(VALU_DEP_1)
	v_cmpx_ne_u32_e32 0, v14
	s_cbranch_execz .LBB896_99
; %bb.98:
	s_waitcnt lgkmcnt(1)
	v_add_co_u32 v14, vcc_lo, v21, v15
	v_add_co_ci_u32_e32 v15, vcc_lo, 0, v22, vcc_lo
	s_delay_alu instid0(VALU_DEP_2) | instskip(SKIP_1) | instid1(VALU_DEP_2)
	v_add_co_u32 v21, vcc_lo, v14, 0
	s_waitcnt lgkmcnt(0)
	v_add_co_ci_u32_e32 v22, vcc_lo, v15, v13, vcc_lo
.LBB896_99:
	s_or_b32 exec_lo, exec_lo, s0
	s_waitcnt lgkmcnt(0)
	v_or_b32_e32 v13, 31, v0
	v_lshrrev_b32_e32 v15, 5, v0
	s_mov_b32 s0, exec_lo
	s_delay_alu instid0(VALU_DEP_2)
	v_cmpx_eq_u32_e64 v13, v0
	s_cbranch_execz .LBB896_101
; %bb.100:
	s_delay_alu instid0(VALU_DEP_2)
	v_lshlrev_b32_e32 v13, 3, v15
	ds_store_b64 v13, v[21:22]
.LBB896_101:
	s_or_b32 exec_lo, exec_lo, s0
	s_delay_alu instid0(SALU_CYCLE_1)
	s_mov_b32 s0, exec_lo
	s_waitcnt lgkmcnt(0)
	s_barrier
	buffer_gl0_inv
	v_cmpx_gt_u32_e32 4, v0
	s_cbranch_execz .LBB896_107
; %bb.102:
	v_lshlrev_b32_e32 v13, 1, v0
	s_mov_b32 s1, exec_lo
	s_delay_alu instid0(VALU_DEP_1)
	v_add_nc_u32_e32 v16, v43, v13
	ds_load_b64 v[13:14], v16
	s_waitcnt lgkmcnt(0)
	v_dual_mov_b32 v18, v13 :: v_dual_and_b32 v17, 3, v42
	v_mov_b32_dpp v20, v13 row_shr:1 row_mask:0xf bank_mask:0xf
	v_mov_b32_dpp v19, v14 row_shr:1 row_mask:0xf bank_mask:0xf
	s_delay_alu instid0(VALU_DEP_3)
	v_cmpx_ne_u32_e32 0, v17
; %bb.103:
	s_delay_alu instid0(VALU_DEP_3) | instskip(SKIP_1) | instid1(VALU_DEP_2)
	v_add_co_u32 v18, vcc_lo, v13, v20
	v_add_co_ci_u32_e32 v14, vcc_lo, 0, v14, vcc_lo
	v_add_co_u32 v13, vcc_lo, 0, v18
	s_delay_alu instid0(VALU_DEP_2)
	v_add_co_ci_u32_e32 v14, vcc_lo, v19, v14, vcc_lo
; %bb.104:
	s_or_b32 exec_lo, exec_lo, s1
	v_mov_b32_dpp v19, v18 row_shr:2 row_mask:0xf bank_mask:0xf
	s_delay_alu instid0(VALU_DEP_2)
	v_mov_b32_dpp v18, v14 row_shr:2 row_mask:0xf bank_mask:0xf
	s_mov_b32 s1, exec_lo
	v_cmpx_lt_u32_e32 1, v17
; %bb.105:
	s_delay_alu instid0(VALU_DEP_3) | instskip(SKIP_1) | instid1(VALU_DEP_2)
	v_add_co_u32 v13, vcc_lo, v13, v19
	v_add_co_ci_u32_e32 v14, vcc_lo, 0, v14, vcc_lo
	v_add_co_u32 v13, vcc_lo, v13, 0
	s_delay_alu instid0(VALU_DEP_2)
	v_add_co_ci_u32_e32 v14, vcc_lo, v14, v18, vcc_lo
; %bb.106:
	s_or_b32 exec_lo, exec_lo, s1
	ds_store_b64 v16, v[13:14]
.LBB896_107:
	s_or_b32 exec_lo, exec_lo, s0
	v_mov_b32_e32 v17, 0
	v_mov_b32_e32 v18, 0
	s_mov_b32 s0, exec_lo
	s_waitcnt lgkmcnt(0)
	s_barrier
	buffer_gl0_inv
	v_cmpx_lt_u32_e32 31, v0
	s_cbranch_execz .LBB896_109
; %bb.108:
	v_lshl_add_u32 v13, v15, 3, -8
	ds_load_b64 v[17:18], v13
.LBB896_109:
	s_or_b32 exec_lo, exec_lo, s0
	v_dual_mov_b32 v16, 0 :: v_dual_add_nc_u32 v13, -1, v42
	s_delay_alu instid0(VALU_DEP_1) | instskip(SKIP_4) | instid1(VALU_DEP_3)
	v_cmp_gt_i32_e32 vcc_lo, 0, v13
	v_cndmask_b32_e32 v13, v13, v42, vcc_lo
	s_waitcnt lgkmcnt(0)
	v_add_co_u32 v14, vcc_lo, v17, v21
	v_add_co_ci_u32_e32 v15, vcc_lo, v18, v22, vcc_lo
	v_lshlrev_b32_e32 v13, 2, v13
	ds_bpermute_b32 v19, v13, v14
	ds_bpermute_b32 v20, v13, v15
	ds_load_b64 v[13:14], v16 offset:24
	s_and_saveexec_b32 s0, s2
	s_cbranch_execz .LBB896_111
; %bb.110:
	s_add_u32 s10, s14, 0x200
	s_addc_u32 s11, s15, 0
	s_delay_alu instid0(SALU_CYCLE_1)
	v_dual_mov_b32 v15, 2 :: v_dual_mov_b32 v22, s11
	v_mov_b32_e32 v21, s10
	s_waitcnt lgkmcnt(0)
	;;#ASMSTART
	global_store_dwordx4 v[21:22], v[13:16] off	
s_waitcnt vmcnt(0)
	;;#ASMEND
.LBB896_111:
	s_or_b32 exec_lo, exec_lo, s0
	v_cmp_eq_u32_e32 vcc_lo, 0, v42
	s_waitcnt lgkmcnt(0)
	s_barrier
	buffer_gl0_inv
	v_dual_cndmask_b32 v15, v19, v17 :: v_dual_cndmask_b32 v16, v20, v18
	s_delay_alu instid0(VALU_DEP_1) | instskip(NEXT) | instid1(VALU_DEP_2)
	v_cndmask_b32_e64 v29, v15, 0, s2
	v_cndmask_b32_e64 v30, v16, 0, s2
	v_mov_b32_e32 v15, 0
	v_mov_b32_e32 v16, 0
	s_delay_alu instid0(VALU_DEP_4) | instskip(NEXT) | instid1(VALU_DEP_4)
	v_add_co_u32 v27, vcc_lo, v29, v41
	v_add_co_ci_u32_e32 v28, vcc_lo, 0, v30, vcc_lo
	s_delay_alu instid0(VALU_DEP_2) | instskip(NEXT) | instid1(VALU_DEP_2)
	v_add_co_u32 v25, vcc_lo, v27, v40
	v_add_co_ci_u32_e32 v26, vcc_lo, 0, v28, vcc_lo
	s_delay_alu instid0(VALU_DEP_2) | instskip(NEXT) | instid1(VALU_DEP_2)
	v_add_co_u32 v23, vcc_lo, v25, v39
	v_add_co_ci_u32_e32 v24, vcc_lo, 0, v26, vcc_lo
	s_delay_alu instid0(VALU_DEP_2) | instskip(NEXT) | instid1(VALU_DEP_2)
	v_add_co_u32 v19, vcc_lo, v23, v38
	v_add_co_ci_u32_e32 v20, vcc_lo, 0, v24, vcc_lo
	s_delay_alu instid0(VALU_DEP_2) | instskip(NEXT) | instid1(VALU_DEP_2)
	v_add_co_u32 v17, vcc_lo, v19, v37
	v_add_co_ci_u32_e32 v18, vcc_lo, 0, v20, vcc_lo
	v_cmp_gt_u64_e32 vcc_lo, 0x81, v[13:14]
	s_mov_b32 s0, -1
	s_cbranch_vccz .LBB896_85
.LBB896_112:
	v_add_co_u32 v21, vcc_lo, v15, v13
	v_add_co_ci_u32_e32 v22, vcc_lo, v16, v14, vcc_lo
	s_delay_alu instid0(VALU_DEP_1) | instskip(SKIP_1) | instid1(SALU_CYCLE_1)
	v_cmp_lt_u64_e32 vcc_lo, v[29:30], v[21:22]
	s_or_b32 s1, s8, vcc_lo
	s_and_saveexec_b32 s0, s1
	s_cbranch_execz .LBB896_115
; %bb.113:
	v_and_b32_e32 v37, 1, v36
	s_delay_alu instid0(VALU_DEP_1)
	v_cmp_eq_u32_e32 vcc_lo, 1, v37
	s_and_b32 exec_lo, exec_lo, vcc_lo
	s_cbranch_execz .LBB896_115
; %bb.114:
	v_lshlrev_b64 v[37:38], 3, v[29:30]
	s_lshl_b64 s[10:11], s[6:7], 3
	s_delay_alu instid0(SALU_CYCLE_1) | instskip(SKIP_1) | instid1(VALU_DEP_1)
	s_add_u32 s1, s12, s10
	s_addc_u32 s9, s13, s11
	v_add_co_u32 v37, vcc_lo, s1, v37
	s_delay_alu instid0(VALU_DEP_2)
	v_add_co_ci_u32_e32 v38, vcc_lo, s9, v38, vcc_lo
	global_store_b64 v[37:38], v[9:10], off
.LBB896_115:
	s_or_b32 exec_lo, exec_lo, s0
	v_cmp_lt_u64_e32 vcc_lo, v[27:28], v[21:22]
	s_or_b32 s1, s8, vcc_lo
	s_delay_alu instid0(SALU_CYCLE_1)
	s_and_saveexec_b32 s0, s1
	s_cbranch_execz .LBB896_118
; %bb.116:
	v_and_b32_e32 v30, 1, v34
	s_delay_alu instid0(VALU_DEP_1)
	v_cmp_eq_u32_e32 vcc_lo, 1, v30
	s_and_b32 exec_lo, exec_lo, vcc_lo
	s_cbranch_execz .LBB896_118
; %bb.117:
	v_lshlrev_b64 v[37:38], 3, v[27:28]
	s_lshl_b64 s[10:11], s[6:7], 3
	s_delay_alu instid0(SALU_CYCLE_1) | instskip(SKIP_1) | instid1(VALU_DEP_1)
	s_add_u32 s1, s12, s10
	s_addc_u32 s9, s13, s11
	v_add_co_u32 v37, vcc_lo, s1, v37
	s_delay_alu instid0(VALU_DEP_2)
	v_add_co_ci_u32_e32 v38, vcc_lo, s9, v38, vcc_lo
	global_store_b64 v[37:38], v[11:12], off
.LBB896_118:
	s_or_b32 exec_lo, exec_lo, s0
	v_cmp_lt_u64_e32 vcc_lo, v[25:26], v[21:22]
	s_or_b32 s1, s8, vcc_lo
	s_delay_alu instid0(SALU_CYCLE_1)
	s_and_saveexec_b32 s0, s1
	s_cbranch_execz .LBB896_121
; %bb.119:
	v_and_b32_e32 v28, 1, v33
	s_delay_alu instid0(VALU_DEP_1)
	v_cmp_eq_u32_e32 vcc_lo, 1, v28
	s_and_b32 exec_lo, exec_lo, vcc_lo
	s_cbranch_execz .LBB896_121
; %bb.120:
	v_lshlrev_b64 v[37:38], 3, v[25:26]
	s_lshl_b64 s[10:11], s[6:7], 3
	s_delay_alu instid0(SALU_CYCLE_1) | instskip(SKIP_1) | instid1(VALU_DEP_1)
	s_add_u32 s1, s12, s10
	s_addc_u32 s9, s13, s11
	v_add_co_u32 v37, vcc_lo, s1, v37
	s_delay_alu instid0(VALU_DEP_2)
	v_add_co_ci_u32_e32 v38, vcc_lo, s9, v38, vcc_lo
	global_store_b64 v[37:38], v[5:6], off
.LBB896_121:
	s_or_b32 exec_lo, exec_lo, s0
	v_cmp_lt_u64_e32 vcc_lo, v[23:24], v[21:22]
	s_or_b32 s1, s8, vcc_lo
	s_delay_alu instid0(SALU_CYCLE_1)
	s_and_saveexec_b32 s0, s1
	s_cbranch_execz .LBB896_124
; %bb.122:
	v_and_b32_e32 v26, 1, v35
	s_delay_alu instid0(VALU_DEP_1)
	v_cmp_eq_u32_e32 vcc_lo, 1, v26
	s_and_b32 exec_lo, exec_lo, vcc_lo
	s_cbranch_execz .LBB896_124
; %bb.123:
	v_lshlrev_b64 v[37:38], 3, v[23:24]
	s_lshl_b64 s[10:11], s[6:7], 3
	s_delay_alu instid0(SALU_CYCLE_1) | instskip(SKIP_1) | instid1(VALU_DEP_1)
	s_add_u32 s1, s12, s10
	s_addc_u32 s9, s13, s11
	v_add_co_u32 v37, vcc_lo, s1, v37
	s_delay_alu instid0(VALU_DEP_2)
	v_add_co_ci_u32_e32 v38, vcc_lo, s9, v38, vcc_lo
	global_store_b64 v[37:38], v[7:8], off
.LBB896_124:
	s_or_b32 exec_lo, exec_lo, s0
	v_cmp_lt_u64_e32 vcc_lo, v[19:20], v[21:22]
	s_or_b32 s1, s8, vcc_lo
	s_delay_alu instid0(SALU_CYCLE_1)
	s_and_saveexec_b32 s0, s1
	s_cbranch_execz .LBB896_127
; %bb.125:
	v_and_b32_e32 v24, 1, v31
	s_delay_alu instid0(VALU_DEP_1)
	v_cmp_eq_u32_e32 vcc_lo, 1, v24
	s_and_b32 exec_lo, exec_lo, vcc_lo
	s_cbranch_execz .LBB896_127
; %bb.126:
	v_lshlrev_b64 v[37:38], 3, v[19:20]
	s_lshl_b64 s[10:11], s[6:7], 3
	s_delay_alu instid0(SALU_CYCLE_1) | instskip(SKIP_1) | instid1(VALU_DEP_1)
	s_add_u32 s1, s12, s10
	s_addc_u32 s9, s13, s11
	v_add_co_u32 v37, vcc_lo, s1, v37
	s_delay_alu instid0(VALU_DEP_2)
	v_add_co_ci_u32_e32 v38, vcc_lo, s9, v38, vcc_lo
	global_store_b64 v[37:38], v[1:2], off
.LBB896_127:
	s_or_b32 exec_lo, exec_lo, s0
	v_cmp_lt_u64_e32 vcc_lo, v[17:18], v[21:22]
	s_or_b32 s1, s8, vcc_lo
	s_delay_alu instid0(SALU_CYCLE_1)
	s_and_saveexec_b32 s0, s1
	s_cbranch_execz .LBB896_130
; %bb.128:
	v_and_b32_e32 v20, 1, v32
	s_delay_alu instid0(VALU_DEP_1)
	v_cmp_eq_u32_e32 vcc_lo, 1, v20
	s_and_b32 exec_lo, exec_lo, vcc_lo
	s_cbranch_execz .LBB896_130
; %bb.129:
	v_lshlrev_b64 v[20:21], 3, v[17:18]
	s_lshl_b64 s[8:9], s[6:7], 3
	s_delay_alu instid0(SALU_CYCLE_1) | instskip(SKIP_1) | instid1(VALU_DEP_1)
	s_add_u32 s1, s12, s8
	s_addc_u32 s8, s13, s9
	v_add_co_u32 v20, vcc_lo, s1, v20
	s_delay_alu instid0(VALU_DEP_2)
	v_add_co_ci_u32_e32 v21, vcc_lo, s8, v21, vcc_lo
	global_store_b64 v[20:21], v[3:4], off
.LBB896_130:
	s_or_b32 exec_lo, exec_lo, s0
	s_branch .LBB896_86
.LBB896_131:
	v_and_b32_e32 v18, 1, v36
	s_mov_b32 s0, exec_lo
	s_delay_alu instid0(VALU_DEP_1)
	v_cmpx_eq_u32_e32 1, v18
	s_cbranch_execz .LBB896_133
; %bb.132:
	v_sub_nc_u32_e32 v18, v29, v15
	s_delay_alu instid0(VALU_DEP_1)
	v_lshlrev_b32_e32 v18, 3, v18
	ds_store_b64 v18, v[9:10]
.LBB896_133:
	s_or_b32 exec_lo, exec_lo, s0
	v_and_b32_e32 v9, 1, v34
	s_mov_b32 s0, exec_lo
	s_delay_alu instid0(VALU_DEP_1)
	v_cmpx_eq_u32_e32 1, v9
	s_cbranch_execz .LBB896_135
; %bb.134:
	v_sub_nc_u32_e32 v9, v27, v15
	s_delay_alu instid0(VALU_DEP_1)
	v_lshlrev_b32_e32 v9, 3, v9
	ds_store_b64 v9, v[11:12]
.LBB896_135:
	s_or_b32 exec_lo, exec_lo, s0
	;; [unrolled: 12-line block ×6, first 2 shown]
	v_mov_b32_e32 v1, 0
	s_mov_b32 s1, exec_lo
	s_waitcnt lgkmcnt(0)
	s_waitcnt_vscnt null, 0x0
	s_barrier
	buffer_gl0_inv
	v_cmpx_gt_u64_e64 v[13:14], v[0:1]
	s_cbranch_execz .LBB896_146
; %bb.144:
	v_lshlrev_b64 v[4:5], 3, v[15:16]
	s_lshl_b64 s[8:9], s[6:7], 3
	v_dual_mov_b32 v3, v1 :: v_dual_mov_b32 v2, v0
	v_or_b32_e32 v0, 0x80, v0
	s_delay_alu instid0(VALU_DEP_3) | instskip(NEXT) | instid1(VALU_DEP_4)
	v_add_co_u32 v4, vcc_lo, s12, v4
	v_add_co_ci_u32_e32 v5, vcc_lo, s13, v5, vcc_lo
	s_delay_alu instid0(VALU_DEP_2) | instskip(NEXT) | instid1(VALU_DEP_2)
	v_add_co_u32 v4, vcc_lo, v4, s8
	v_add_co_ci_u32_e32 v5, vcc_lo, s9, v5, vcc_lo
	s_mov_b32 s8, 0
	.p2align	6
.LBB896_145:                            ; =>This Inner Loop Header: Depth=1
	v_lshlrev_b32_e32 v6, 3, v2
	v_lshlrev_b64 v[8:9], 3, v[2:3]
	v_mov_b32_e32 v3, v1
	v_cmp_le_u64_e32 vcc_lo, v[13:14], v[0:1]
	v_mov_b32_e32 v2, v0
	ds_load_b64 v[6:7], v6
	v_add_nc_u32_e32 v0, 0x80, v0
	v_add_co_u32 v8, s0, v4, v8
	s_delay_alu instid0(VALU_DEP_1)
	v_add_co_ci_u32_e64 v9, s0, v5, v9, s0
	s_or_b32 s8, vcc_lo, s8
	s_waitcnt lgkmcnt(0)
	global_store_b64 v[8:9], v[6:7], off
	s_and_not1_b32 exec_lo, exec_lo, s8
	s_cbranch_execnz .LBB896_145
.LBB896_146:
	s_or_b32 exec_lo, exec_lo, s1
	s_and_b32 s0, s2, s3
	s_delay_alu instid0(SALU_CYCLE_1)
	s_and_saveexec_b32 s1, s0
	s_cbranch_execz .LBB896_87
.LBB896_147:
	v_add_co_u32 v0, vcc_lo, v15, v13
	v_add_co_ci_u32_e32 v1, vcc_lo, v16, v14, vcc_lo
	v_mov_b32_e32 v2, 0
	s_delay_alu instid0(VALU_DEP_3) | instskip(NEXT) | instid1(VALU_DEP_3)
	v_add_co_u32 v0, vcc_lo, v0, s6
	v_add_co_ci_u32_e32 v1, vcc_lo, s7, v1, vcc_lo
	global_store_b64 v2, v[0:1], s[4:5]
	s_nop 0
	s_sendmsg sendmsg(MSG_DEALLOC_VGPRS)
	s_endpgm
	.section	.rodata,"a",@progbits
	.p2align	6, 0x0
	.amdhsa_kernel _ZN7rocprim17ROCPRIM_400000_NS6detail17trampoline_kernelINS0_14default_configENS1_25partition_config_selectorILNS1_17partition_subalgoE5ElNS0_10empty_typeEbEEZZNS1_14partition_implILS5_5ELb0ES3_mN6hipcub16HIPCUB_304000_NS21CountingInputIteratorIllEEPS6_NSA_22TransformInputIteratorIbN2at6native12_GLOBAL__N_19NonZeroOpIN3c104HalfEEEPKSK_lEENS0_5tupleIJPlS6_EEENSP_IJSD_SD_EEES6_PiJS6_EEE10hipError_tPvRmT3_T4_T5_T6_T7_T9_mT8_P12ihipStream_tbDpT10_ENKUlT_T0_E_clISt17integral_constantIbLb0EES1C_IbLb1EEEEDaS18_S19_EUlS18_E_NS1_11comp_targetILNS1_3genE9ELNS1_11target_archE1100ELNS1_3gpuE3ELNS1_3repE0EEENS1_30default_config_static_selectorELNS0_4arch9wavefront6targetE0EEEvT1_
		.amdhsa_group_segment_fixed_size 6160
		.amdhsa_private_segment_fixed_size 0
		.amdhsa_kernarg_size 136
		.amdhsa_user_sgpr_count 15
		.amdhsa_user_sgpr_dispatch_ptr 0
		.amdhsa_user_sgpr_queue_ptr 0
		.amdhsa_user_sgpr_kernarg_segment_ptr 1
		.amdhsa_user_sgpr_dispatch_id 0
		.amdhsa_user_sgpr_private_segment_size 0
		.amdhsa_wavefront_size32 1
		.amdhsa_uses_dynamic_stack 0
		.amdhsa_enable_private_segment 0
		.amdhsa_system_sgpr_workgroup_id_x 1
		.amdhsa_system_sgpr_workgroup_id_y 0
		.amdhsa_system_sgpr_workgroup_id_z 0
		.amdhsa_system_sgpr_workgroup_info 0
		.amdhsa_system_vgpr_workitem_id 0
		.amdhsa_next_free_vgpr 57
		.amdhsa_next_free_sgpr 24
		.amdhsa_reserve_vcc 1
		.amdhsa_float_round_mode_32 0
		.amdhsa_float_round_mode_16_64 0
		.amdhsa_float_denorm_mode_32 3
		.amdhsa_float_denorm_mode_16_64 3
		.amdhsa_dx10_clamp 1
		.amdhsa_ieee_mode 1
		.amdhsa_fp16_overflow 0
		.amdhsa_workgroup_processor_mode 1
		.amdhsa_memory_ordered 1
		.amdhsa_forward_progress 0
		.amdhsa_shared_vgpr_count 0
		.amdhsa_exception_fp_ieee_invalid_op 0
		.amdhsa_exception_fp_denorm_src 0
		.amdhsa_exception_fp_ieee_div_zero 0
		.amdhsa_exception_fp_ieee_overflow 0
		.amdhsa_exception_fp_ieee_underflow 0
		.amdhsa_exception_fp_ieee_inexact 0
		.amdhsa_exception_int_div_zero 0
	.end_amdhsa_kernel
	.section	.text._ZN7rocprim17ROCPRIM_400000_NS6detail17trampoline_kernelINS0_14default_configENS1_25partition_config_selectorILNS1_17partition_subalgoE5ElNS0_10empty_typeEbEEZZNS1_14partition_implILS5_5ELb0ES3_mN6hipcub16HIPCUB_304000_NS21CountingInputIteratorIllEEPS6_NSA_22TransformInputIteratorIbN2at6native12_GLOBAL__N_19NonZeroOpIN3c104HalfEEEPKSK_lEENS0_5tupleIJPlS6_EEENSP_IJSD_SD_EEES6_PiJS6_EEE10hipError_tPvRmT3_T4_T5_T6_T7_T9_mT8_P12ihipStream_tbDpT10_ENKUlT_T0_E_clISt17integral_constantIbLb0EES1C_IbLb1EEEEDaS18_S19_EUlS18_E_NS1_11comp_targetILNS1_3genE9ELNS1_11target_archE1100ELNS1_3gpuE3ELNS1_3repE0EEENS1_30default_config_static_selectorELNS0_4arch9wavefront6targetE0EEEvT1_,"axG",@progbits,_ZN7rocprim17ROCPRIM_400000_NS6detail17trampoline_kernelINS0_14default_configENS1_25partition_config_selectorILNS1_17partition_subalgoE5ElNS0_10empty_typeEbEEZZNS1_14partition_implILS5_5ELb0ES3_mN6hipcub16HIPCUB_304000_NS21CountingInputIteratorIllEEPS6_NSA_22TransformInputIteratorIbN2at6native12_GLOBAL__N_19NonZeroOpIN3c104HalfEEEPKSK_lEENS0_5tupleIJPlS6_EEENSP_IJSD_SD_EEES6_PiJS6_EEE10hipError_tPvRmT3_T4_T5_T6_T7_T9_mT8_P12ihipStream_tbDpT10_ENKUlT_T0_E_clISt17integral_constantIbLb0EES1C_IbLb1EEEEDaS18_S19_EUlS18_E_NS1_11comp_targetILNS1_3genE9ELNS1_11target_archE1100ELNS1_3gpuE3ELNS1_3repE0EEENS1_30default_config_static_selectorELNS0_4arch9wavefront6targetE0EEEvT1_,comdat
.Lfunc_end896:
	.size	_ZN7rocprim17ROCPRIM_400000_NS6detail17trampoline_kernelINS0_14default_configENS1_25partition_config_selectorILNS1_17partition_subalgoE5ElNS0_10empty_typeEbEEZZNS1_14partition_implILS5_5ELb0ES3_mN6hipcub16HIPCUB_304000_NS21CountingInputIteratorIllEEPS6_NSA_22TransformInputIteratorIbN2at6native12_GLOBAL__N_19NonZeroOpIN3c104HalfEEEPKSK_lEENS0_5tupleIJPlS6_EEENSP_IJSD_SD_EEES6_PiJS6_EEE10hipError_tPvRmT3_T4_T5_T6_T7_T9_mT8_P12ihipStream_tbDpT10_ENKUlT_T0_E_clISt17integral_constantIbLb0EES1C_IbLb1EEEEDaS18_S19_EUlS18_E_NS1_11comp_targetILNS1_3genE9ELNS1_11target_archE1100ELNS1_3gpuE3ELNS1_3repE0EEENS1_30default_config_static_selectorELNS0_4arch9wavefront6targetE0EEEvT1_, .Lfunc_end896-_ZN7rocprim17ROCPRIM_400000_NS6detail17trampoline_kernelINS0_14default_configENS1_25partition_config_selectorILNS1_17partition_subalgoE5ElNS0_10empty_typeEbEEZZNS1_14partition_implILS5_5ELb0ES3_mN6hipcub16HIPCUB_304000_NS21CountingInputIteratorIllEEPS6_NSA_22TransformInputIteratorIbN2at6native12_GLOBAL__N_19NonZeroOpIN3c104HalfEEEPKSK_lEENS0_5tupleIJPlS6_EEENSP_IJSD_SD_EEES6_PiJS6_EEE10hipError_tPvRmT3_T4_T5_T6_T7_T9_mT8_P12ihipStream_tbDpT10_ENKUlT_T0_E_clISt17integral_constantIbLb0EES1C_IbLb1EEEEDaS18_S19_EUlS18_E_NS1_11comp_targetILNS1_3genE9ELNS1_11target_archE1100ELNS1_3gpuE3ELNS1_3repE0EEENS1_30default_config_static_selectorELNS0_4arch9wavefront6targetE0EEEvT1_
                                        ; -- End function
	.section	.AMDGPU.csdata,"",@progbits
; Kernel info:
; codeLenInByte = 6628
; NumSgprs: 26
; NumVgprs: 57
; ScratchSize: 0
; MemoryBound: 0
; FloatMode: 240
; IeeeMode: 1
; LDSByteSize: 6160 bytes/workgroup (compile time only)
; SGPRBlocks: 3
; VGPRBlocks: 7
; NumSGPRsForWavesPerEU: 26
; NumVGPRsForWavesPerEU: 57
; Occupancy: 16
; WaveLimiterHint : 1
; COMPUTE_PGM_RSRC2:SCRATCH_EN: 0
; COMPUTE_PGM_RSRC2:USER_SGPR: 15
; COMPUTE_PGM_RSRC2:TRAP_HANDLER: 0
; COMPUTE_PGM_RSRC2:TGID_X_EN: 1
; COMPUTE_PGM_RSRC2:TGID_Y_EN: 0
; COMPUTE_PGM_RSRC2:TGID_Z_EN: 0
; COMPUTE_PGM_RSRC2:TIDIG_COMP_CNT: 0
	.section	.text._ZN7rocprim17ROCPRIM_400000_NS6detail17trampoline_kernelINS0_14default_configENS1_25partition_config_selectorILNS1_17partition_subalgoE5ElNS0_10empty_typeEbEEZZNS1_14partition_implILS5_5ELb0ES3_mN6hipcub16HIPCUB_304000_NS21CountingInputIteratorIllEEPS6_NSA_22TransformInputIteratorIbN2at6native12_GLOBAL__N_19NonZeroOpIN3c104HalfEEEPKSK_lEENS0_5tupleIJPlS6_EEENSP_IJSD_SD_EEES6_PiJS6_EEE10hipError_tPvRmT3_T4_T5_T6_T7_T9_mT8_P12ihipStream_tbDpT10_ENKUlT_T0_E_clISt17integral_constantIbLb0EES1C_IbLb1EEEEDaS18_S19_EUlS18_E_NS1_11comp_targetILNS1_3genE8ELNS1_11target_archE1030ELNS1_3gpuE2ELNS1_3repE0EEENS1_30default_config_static_selectorELNS0_4arch9wavefront6targetE0EEEvT1_,"axG",@progbits,_ZN7rocprim17ROCPRIM_400000_NS6detail17trampoline_kernelINS0_14default_configENS1_25partition_config_selectorILNS1_17partition_subalgoE5ElNS0_10empty_typeEbEEZZNS1_14partition_implILS5_5ELb0ES3_mN6hipcub16HIPCUB_304000_NS21CountingInputIteratorIllEEPS6_NSA_22TransformInputIteratorIbN2at6native12_GLOBAL__N_19NonZeroOpIN3c104HalfEEEPKSK_lEENS0_5tupleIJPlS6_EEENSP_IJSD_SD_EEES6_PiJS6_EEE10hipError_tPvRmT3_T4_T5_T6_T7_T9_mT8_P12ihipStream_tbDpT10_ENKUlT_T0_E_clISt17integral_constantIbLb0EES1C_IbLb1EEEEDaS18_S19_EUlS18_E_NS1_11comp_targetILNS1_3genE8ELNS1_11target_archE1030ELNS1_3gpuE2ELNS1_3repE0EEENS1_30default_config_static_selectorELNS0_4arch9wavefront6targetE0EEEvT1_,comdat
	.globl	_ZN7rocprim17ROCPRIM_400000_NS6detail17trampoline_kernelINS0_14default_configENS1_25partition_config_selectorILNS1_17partition_subalgoE5ElNS0_10empty_typeEbEEZZNS1_14partition_implILS5_5ELb0ES3_mN6hipcub16HIPCUB_304000_NS21CountingInputIteratorIllEEPS6_NSA_22TransformInputIteratorIbN2at6native12_GLOBAL__N_19NonZeroOpIN3c104HalfEEEPKSK_lEENS0_5tupleIJPlS6_EEENSP_IJSD_SD_EEES6_PiJS6_EEE10hipError_tPvRmT3_T4_T5_T6_T7_T9_mT8_P12ihipStream_tbDpT10_ENKUlT_T0_E_clISt17integral_constantIbLb0EES1C_IbLb1EEEEDaS18_S19_EUlS18_E_NS1_11comp_targetILNS1_3genE8ELNS1_11target_archE1030ELNS1_3gpuE2ELNS1_3repE0EEENS1_30default_config_static_selectorELNS0_4arch9wavefront6targetE0EEEvT1_ ; -- Begin function _ZN7rocprim17ROCPRIM_400000_NS6detail17trampoline_kernelINS0_14default_configENS1_25partition_config_selectorILNS1_17partition_subalgoE5ElNS0_10empty_typeEbEEZZNS1_14partition_implILS5_5ELb0ES3_mN6hipcub16HIPCUB_304000_NS21CountingInputIteratorIllEEPS6_NSA_22TransformInputIteratorIbN2at6native12_GLOBAL__N_19NonZeroOpIN3c104HalfEEEPKSK_lEENS0_5tupleIJPlS6_EEENSP_IJSD_SD_EEES6_PiJS6_EEE10hipError_tPvRmT3_T4_T5_T6_T7_T9_mT8_P12ihipStream_tbDpT10_ENKUlT_T0_E_clISt17integral_constantIbLb0EES1C_IbLb1EEEEDaS18_S19_EUlS18_E_NS1_11comp_targetILNS1_3genE8ELNS1_11target_archE1030ELNS1_3gpuE2ELNS1_3repE0EEENS1_30default_config_static_selectorELNS0_4arch9wavefront6targetE0EEEvT1_
	.p2align	8
	.type	_ZN7rocprim17ROCPRIM_400000_NS6detail17trampoline_kernelINS0_14default_configENS1_25partition_config_selectorILNS1_17partition_subalgoE5ElNS0_10empty_typeEbEEZZNS1_14partition_implILS5_5ELb0ES3_mN6hipcub16HIPCUB_304000_NS21CountingInputIteratorIllEEPS6_NSA_22TransformInputIteratorIbN2at6native12_GLOBAL__N_19NonZeroOpIN3c104HalfEEEPKSK_lEENS0_5tupleIJPlS6_EEENSP_IJSD_SD_EEES6_PiJS6_EEE10hipError_tPvRmT3_T4_T5_T6_T7_T9_mT8_P12ihipStream_tbDpT10_ENKUlT_T0_E_clISt17integral_constantIbLb0EES1C_IbLb1EEEEDaS18_S19_EUlS18_E_NS1_11comp_targetILNS1_3genE8ELNS1_11target_archE1030ELNS1_3gpuE2ELNS1_3repE0EEENS1_30default_config_static_selectorELNS0_4arch9wavefront6targetE0EEEvT1_,@function
_ZN7rocprim17ROCPRIM_400000_NS6detail17trampoline_kernelINS0_14default_configENS1_25partition_config_selectorILNS1_17partition_subalgoE5ElNS0_10empty_typeEbEEZZNS1_14partition_implILS5_5ELb0ES3_mN6hipcub16HIPCUB_304000_NS21CountingInputIteratorIllEEPS6_NSA_22TransformInputIteratorIbN2at6native12_GLOBAL__N_19NonZeroOpIN3c104HalfEEEPKSK_lEENS0_5tupleIJPlS6_EEENSP_IJSD_SD_EEES6_PiJS6_EEE10hipError_tPvRmT3_T4_T5_T6_T7_T9_mT8_P12ihipStream_tbDpT10_ENKUlT_T0_E_clISt17integral_constantIbLb0EES1C_IbLb1EEEEDaS18_S19_EUlS18_E_NS1_11comp_targetILNS1_3genE8ELNS1_11target_archE1030ELNS1_3gpuE2ELNS1_3repE0EEENS1_30default_config_static_selectorELNS0_4arch9wavefront6targetE0EEEvT1_: ; @_ZN7rocprim17ROCPRIM_400000_NS6detail17trampoline_kernelINS0_14default_configENS1_25partition_config_selectorILNS1_17partition_subalgoE5ElNS0_10empty_typeEbEEZZNS1_14partition_implILS5_5ELb0ES3_mN6hipcub16HIPCUB_304000_NS21CountingInputIteratorIllEEPS6_NSA_22TransformInputIteratorIbN2at6native12_GLOBAL__N_19NonZeroOpIN3c104HalfEEEPKSK_lEENS0_5tupleIJPlS6_EEENSP_IJSD_SD_EEES6_PiJS6_EEE10hipError_tPvRmT3_T4_T5_T6_T7_T9_mT8_P12ihipStream_tbDpT10_ENKUlT_T0_E_clISt17integral_constantIbLb0EES1C_IbLb1EEEEDaS18_S19_EUlS18_E_NS1_11comp_targetILNS1_3genE8ELNS1_11target_archE1030ELNS1_3gpuE2ELNS1_3repE0EEENS1_30default_config_static_selectorELNS0_4arch9wavefront6targetE0EEEvT1_
; %bb.0:
	.section	.rodata,"a",@progbits
	.p2align	6, 0x0
	.amdhsa_kernel _ZN7rocprim17ROCPRIM_400000_NS6detail17trampoline_kernelINS0_14default_configENS1_25partition_config_selectorILNS1_17partition_subalgoE5ElNS0_10empty_typeEbEEZZNS1_14partition_implILS5_5ELb0ES3_mN6hipcub16HIPCUB_304000_NS21CountingInputIteratorIllEEPS6_NSA_22TransformInputIteratorIbN2at6native12_GLOBAL__N_19NonZeroOpIN3c104HalfEEEPKSK_lEENS0_5tupleIJPlS6_EEENSP_IJSD_SD_EEES6_PiJS6_EEE10hipError_tPvRmT3_T4_T5_T6_T7_T9_mT8_P12ihipStream_tbDpT10_ENKUlT_T0_E_clISt17integral_constantIbLb0EES1C_IbLb1EEEEDaS18_S19_EUlS18_E_NS1_11comp_targetILNS1_3genE8ELNS1_11target_archE1030ELNS1_3gpuE2ELNS1_3repE0EEENS1_30default_config_static_selectorELNS0_4arch9wavefront6targetE0EEEvT1_
		.amdhsa_group_segment_fixed_size 0
		.amdhsa_private_segment_fixed_size 0
		.amdhsa_kernarg_size 136
		.amdhsa_user_sgpr_count 15
		.amdhsa_user_sgpr_dispatch_ptr 0
		.amdhsa_user_sgpr_queue_ptr 0
		.amdhsa_user_sgpr_kernarg_segment_ptr 1
		.amdhsa_user_sgpr_dispatch_id 0
		.amdhsa_user_sgpr_private_segment_size 0
		.amdhsa_wavefront_size32 1
		.amdhsa_uses_dynamic_stack 0
		.amdhsa_enable_private_segment 0
		.amdhsa_system_sgpr_workgroup_id_x 1
		.amdhsa_system_sgpr_workgroup_id_y 0
		.amdhsa_system_sgpr_workgroup_id_z 0
		.amdhsa_system_sgpr_workgroup_info 0
		.amdhsa_system_vgpr_workitem_id 0
		.amdhsa_next_free_vgpr 1
		.amdhsa_next_free_sgpr 1
		.amdhsa_reserve_vcc 0
		.amdhsa_float_round_mode_32 0
		.amdhsa_float_round_mode_16_64 0
		.amdhsa_float_denorm_mode_32 3
		.amdhsa_float_denorm_mode_16_64 3
		.amdhsa_dx10_clamp 1
		.amdhsa_ieee_mode 1
		.amdhsa_fp16_overflow 0
		.amdhsa_workgroup_processor_mode 1
		.amdhsa_memory_ordered 1
		.amdhsa_forward_progress 0
		.amdhsa_shared_vgpr_count 0
		.amdhsa_exception_fp_ieee_invalid_op 0
		.amdhsa_exception_fp_denorm_src 0
		.amdhsa_exception_fp_ieee_div_zero 0
		.amdhsa_exception_fp_ieee_overflow 0
		.amdhsa_exception_fp_ieee_underflow 0
		.amdhsa_exception_fp_ieee_inexact 0
		.amdhsa_exception_int_div_zero 0
	.end_amdhsa_kernel
	.section	.text._ZN7rocprim17ROCPRIM_400000_NS6detail17trampoline_kernelINS0_14default_configENS1_25partition_config_selectorILNS1_17partition_subalgoE5ElNS0_10empty_typeEbEEZZNS1_14partition_implILS5_5ELb0ES3_mN6hipcub16HIPCUB_304000_NS21CountingInputIteratorIllEEPS6_NSA_22TransformInputIteratorIbN2at6native12_GLOBAL__N_19NonZeroOpIN3c104HalfEEEPKSK_lEENS0_5tupleIJPlS6_EEENSP_IJSD_SD_EEES6_PiJS6_EEE10hipError_tPvRmT3_T4_T5_T6_T7_T9_mT8_P12ihipStream_tbDpT10_ENKUlT_T0_E_clISt17integral_constantIbLb0EES1C_IbLb1EEEEDaS18_S19_EUlS18_E_NS1_11comp_targetILNS1_3genE8ELNS1_11target_archE1030ELNS1_3gpuE2ELNS1_3repE0EEENS1_30default_config_static_selectorELNS0_4arch9wavefront6targetE0EEEvT1_,"axG",@progbits,_ZN7rocprim17ROCPRIM_400000_NS6detail17trampoline_kernelINS0_14default_configENS1_25partition_config_selectorILNS1_17partition_subalgoE5ElNS0_10empty_typeEbEEZZNS1_14partition_implILS5_5ELb0ES3_mN6hipcub16HIPCUB_304000_NS21CountingInputIteratorIllEEPS6_NSA_22TransformInputIteratorIbN2at6native12_GLOBAL__N_19NonZeroOpIN3c104HalfEEEPKSK_lEENS0_5tupleIJPlS6_EEENSP_IJSD_SD_EEES6_PiJS6_EEE10hipError_tPvRmT3_T4_T5_T6_T7_T9_mT8_P12ihipStream_tbDpT10_ENKUlT_T0_E_clISt17integral_constantIbLb0EES1C_IbLb1EEEEDaS18_S19_EUlS18_E_NS1_11comp_targetILNS1_3genE8ELNS1_11target_archE1030ELNS1_3gpuE2ELNS1_3repE0EEENS1_30default_config_static_selectorELNS0_4arch9wavefront6targetE0EEEvT1_,comdat
.Lfunc_end897:
	.size	_ZN7rocprim17ROCPRIM_400000_NS6detail17trampoline_kernelINS0_14default_configENS1_25partition_config_selectorILNS1_17partition_subalgoE5ElNS0_10empty_typeEbEEZZNS1_14partition_implILS5_5ELb0ES3_mN6hipcub16HIPCUB_304000_NS21CountingInputIteratorIllEEPS6_NSA_22TransformInputIteratorIbN2at6native12_GLOBAL__N_19NonZeroOpIN3c104HalfEEEPKSK_lEENS0_5tupleIJPlS6_EEENSP_IJSD_SD_EEES6_PiJS6_EEE10hipError_tPvRmT3_T4_T5_T6_T7_T9_mT8_P12ihipStream_tbDpT10_ENKUlT_T0_E_clISt17integral_constantIbLb0EES1C_IbLb1EEEEDaS18_S19_EUlS18_E_NS1_11comp_targetILNS1_3genE8ELNS1_11target_archE1030ELNS1_3gpuE2ELNS1_3repE0EEENS1_30default_config_static_selectorELNS0_4arch9wavefront6targetE0EEEvT1_, .Lfunc_end897-_ZN7rocprim17ROCPRIM_400000_NS6detail17trampoline_kernelINS0_14default_configENS1_25partition_config_selectorILNS1_17partition_subalgoE5ElNS0_10empty_typeEbEEZZNS1_14partition_implILS5_5ELb0ES3_mN6hipcub16HIPCUB_304000_NS21CountingInputIteratorIllEEPS6_NSA_22TransformInputIteratorIbN2at6native12_GLOBAL__N_19NonZeroOpIN3c104HalfEEEPKSK_lEENS0_5tupleIJPlS6_EEENSP_IJSD_SD_EEES6_PiJS6_EEE10hipError_tPvRmT3_T4_T5_T6_T7_T9_mT8_P12ihipStream_tbDpT10_ENKUlT_T0_E_clISt17integral_constantIbLb0EES1C_IbLb1EEEEDaS18_S19_EUlS18_E_NS1_11comp_targetILNS1_3genE8ELNS1_11target_archE1030ELNS1_3gpuE2ELNS1_3repE0EEENS1_30default_config_static_selectorELNS0_4arch9wavefront6targetE0EEEvT1_
                                        ; -- End function
	.section	.AMDGPU.csdata,"",@progbits
; Kernel info:
; codeLenInByte = 0
; NumSgprs: 0
; NumVgprs: 0
; ScratchSize: 0
; MemoryBound: 0
; FloatMode: 240
; IeeeMode: 1
; LDSByteSize: 0 bytes/workgroup (compile time only)
; SGPRBlocks: 0
; VGPRBlocks: 0
; NumSGPRsForWavesPerEU: 1
; NumVGPRsForWavesPerEU: 1
; Occupancy: 16
; WaveLimiterHint : 0
; COMPUTE_PGM_RSRC2:SCRATCH_EN: 0
; COMPUTE_PGM_RSRC2:USER_SGPR: 15
; COMPUTE_PGM_RSRC2:TRAP_HANDLER: 0
; COMPUTE_PGM_RSRC2:TGID_X_EN: 1
; COMPUTE_PGM_RSRC2:TGID_Y_EN: 0
; COMPUTE_PGM_RSRC2:TGID_Z_EN: 0
; COMPUTE_PGM_RSRC2:TIDIG_COMP_CNT: 0
	.section	.text._ZN2at4cuda3cub15calc_block_sumsILi512ELi16ELb1EhiEEvPKT2_PT3_li,"axG",@progbits,_ZN2at4cuda3cub15calc_block_sumsILi512ELi16ELb1EhiEEvPKT2_PT3_li,comdat
	.protected	_ZN2at4cuda3cub15calc_block_sumsILi512ELi16ELb1EhiEEvPKT2_PT3_li ; -- Begin function _ZN2at4cuda3cub15calc_block_sumsILi512ELi16ELb1EhiEEvPKT2_PT3_li
	.globl	_ZN2at4cuda3cub15calc_block_sumsILi512ELi16ELb1EhiEEvPKT2_PT3_li
	.p2align	8
	.type	_ZN2at4cuda3cub15calc_block_sumsILi512ELi16ELb1EhiEEvPKT2_PT3_li,@function
_ZN2at4cuda3cub15calc_block_sumsILi512ELi16ELb1EhiEEvPKT2_PT3_li: ; @_ZN2at4cuda3cub15calc_block_sumsILi512ELi16ELb1EhiEEvPKT2_PT3_li
; %bb.0:
	s_clause 0x1
	s_load_b32 s26, s[0:1], 0x18
	s_load_b64 s[4:5], s[0:1], 0x10
	s_waitcnt lgkmcnt(0)
	s_lshl_b32 s2, s26, 13
	s_delay_alu instid0(SALU_CYCLE_1)
	s_ashr_i32 s3, s2, 31
	s_mul_hi_u32 s7, s2, s15
	s_mul_i32 s3, s3, s15
	s_mul_i32 s6, s2, s15
	s_add_i32 s7, s7, s3
	s_sub_u32 s22, s4, s6
	s_subb_u32 s23, s5, s7
	s_delay_alu instid0(SALU_CYCLE_1) | instskip(NEXT) | instid1(VALU_DEP_1)
	v_cmp_lt_i64_e64 s2, s[22:23], 1
	s_and_b32 vcc_lo, exec_lo, s2
	s_cbranch_vccnz .LBB898_58
; %bb.1:
	s_load_b128 s[0:3], s[0:1], 0x0
	s_mov_b32 s20, s15
	s_cmp_gt_i32 s26, 0
	s_mov_b32 s21, 0
	s_cbranch_scc1 .LBB898_3
; %bb.2:
	s_mov_b32 s5, 0
	s_mov_b32 s8, s21
	v_mov_b32_e32 v19, s5
	s_and_not1_b32 vcc_lo, exec_lo, s8
	s_mov_b32 s5, s21
	s_cbranch_vccz .LBB898_4
	s_branch .LBB898_56
.LBB898_3:
                                        ; implicit-def: $sgpr5
	v_mov_b32_e32 v19, s5
	s_mov_b32 s5, s21
.LBB898_4:
	v_lshrrev_b32_e32 v1, 3, v0
	s_waitcnt lgkmcnt(0)
	s_add_u32 s24, s0, s6
	s_mul_i32 s0, s20, s26
	s_addc_u32 s25, s1, s7
	v_dual_mov_b32 v2, 0 :: v_dual_and_b32 v35, 0x7c, v1
	v_dual_mov_b32 v19, 0 :: v_dual_add_nc_u32 v20, 0x200, v0
	v_or_b32_e32 v21, 0x400, v0
	v_add_nc_u32_e32 v22, 0x600, v0
	v_or_b32_e32 v23, 0x800, v0
	v_add_nc_u32_e32 v24, 0xa00, v0
	;; [unrolled: 2-line block ×7, first 2 shown]
	s_lshl_b32 s1, s0, 13
	v_cmp_gt_u32_e64 s0, 32, v0
	v_mbcnt_lo_u32_b32 v36, -1, 0
	s_sub_i32 s27, s4, s1
	s_mov_b32 s4, 0
	s_mov_b32 s1, -1
	s_mov_b32 s28, 0
	v_cmp_gt_i64_e64 s5, 0x2000, s[22:23]
                                        ; implicit-def: $vgpr1
	s_delay_alu instid0(VALU_DEP_1)
	s_and_b32 vcc_lo, exec_lo, s5
	s_mov_b32 s5, -1
	s_cbranch_vccnz .LBB898_8
.LBB898_5:
	s_and_b32 vcc_lo, exec_lo, s5
	s_cbranch_vccnz .LBB898_30
.LBB898_6:
	v_cmp_lt_i64_e64 s5, 0x2000, s[22:23]
	s_delay_alu instid0(VALU_DEP_2) | instskip(NEXT) | instid1(VALU_DEP_2)
	v_add_nc_u32_e32 v19, v1, v19
	s_and_b32 vcc_lo, exec_lo, s5
	s_cbranch_vccz .LBB898_35
.LBB898_7:
	s_add_u32 s24, s24, 0x2000
	s_addc_u32 s25, s25, 0
	s_add_u32 s22, s22, 0xffffe000
	s_addc_u32 s23, s23, -1
	s_add_i32 s28, s28, 1
	s_mov_b32 s6, 0
	s_cmp_lt_i32 s28, s26
	s_cselect_b32 s5, -1, 0
	s_addk_i32 s27, 0xe000
	s_cmp_eq_u32 s26, s28
	s_barrier
	s_cselect_b32 s7, -1, 0
	buffer_gl0_inv
	s_and_not1_b32 vcc_lo, exec_lo, s7
	s_cbranch_vccnz .LBB898_36
	s_branch .LBB898_52
.LBB898_8:
	s_mov_b32 s5, s4
	s_mov_b32 s6, s4
	;; [unrolled: 1-line block ×15, first 2 shown]
	v_dual_mov_b32 v3, s4 :: v_dual_mov_b32 v4, s5
	v_dual_mov_b32 v5, s6 :: v_dual_mov_b32 v6, s7
	;; [unrolled: 1-line block ×8, first 2 shown]
	s_mov_b32 s5, exec_lo
	v_cmpx_gt_u32_e64 s27, v0
	s_cbranch_execnz .LBB898_37
; %bb.9:
	s_or_b32 exec_lo, exec_lo, s5
	s_delay_alu instid0(SALU_CYCLE_1)
	s_mov_b32 s5, exec_lo
	v_cmpx_gt_u32_e64 s27, v20
	s_cbranch_execnz .LBB898_38
.LBB898_10:
	s_or_b32 exec_lo, exec_lo, s5
	s_delay_alu instid0(SALU_CYCLE_1)
	s_mov_b32 s5, exec_lo
	v_cmpx_gt_u32_e64 s27, v21
	s_cbranch_execnz .LBB898_39
.LBB898_11:
	s_or_b32 exec_lo, exec_lo, s5
	s_delay_alu instid0(SALU_CYCLE_1)
	s_mov_b32 s5, exec_lo
	v_cmpx_gt_u32_e64 s27, v22
	s_cbranch_execnz .LBB898_40
.LBB898_12:
	s_or_b32 exec_lo, exec_lo, s5
	s_delay_alu instid0(SALU_CYCLE_1)
	s_mov_b32 s5, exec_lo
	v_cmpx_gt_u32_e64 s27, v23
	s_cbranch_execnz .LBB898_41
.LBB898_13:
	s_or_b32 exec_lo, exec_lo, s5
	s_delay_alu instid0(SALU_CYCLE_1)
	s_mov_b32 s5, exec_lo
	v_cmpx_gt_u32_e64 s27, v24
	s_cbranch_execnz .LBB898_42
.LBB898_14:
	s_or_b32 exec_lo, exec_lo, s5
	s_delay_alu instid0(SALU_CYCLE_1)
	s_mov_b32 s5, exec_lo
	v_cmpx_gt_u32_e64 s27, v25
	s_cbranch_execnz .LBB898_43
.LBB898_15:
	s_or_b32 exec_lo, exec_lo, s5
	s_delay_alu instid0(SALU_CYCLE_1)
	s_mov_b32 s5, exec_lo
	v_cmpx_gt_u32_e64 s27, v26
	s_cbranch_execnz .LBB898_44
.LBB898_16:
	s_or_b32 exec_lo, exec_lo, s5
	s_delay_alu instid0(SALU_CYCLE_1)
	s_mov_b32 s5, exec_lo
	v_cmpx_gt_u32_e64 s27, v27
	s_cbranch_execnz .LBB898_45
.LBB898_17:
	s_or_b32 exec_lo, exec_lo, s5
	s_delay_alu instid0(SALU_CYCLE_1)
	s_mov_b32 s5, exec_lo
	v_cmpx_gt_u32_e64 s27, v28
	s_cbranch_execnz .LBB898_46
.LBB898_18:
	s_or_b32 exec_lo, exec_lo, s5
	s_delay_alu instid0(SALU_CYCLE_1)
	s_mov_b32 s5, exec_lo
	v_cmpx_gt_u32_e64 s27, v29
	s_cbranch_execnz .LBB898_47
.LBB898_19:
	s_or_b32 exec_lo, exec_lo, s5
	s_delay_alu instid0(SALU_CYCLE_1)
	s_mov_b32 s5, exec_lo
	v_cmpx_gt_u32_e64 s27, v30
	s_cbranch_execnz .LBB898_48
.LBB898_20:
	s_or_b32 exec_lo, exec_lo, s5
	s_delay_alu instid0(SALU_CYCLE_1)
	s_mov_b32 s5, exec_lo
	v_cmpx_gt_u32_e64 s27, v31
	s_cbranch_execnz .LBB898_49
.LBB898_21:
	s_or_b32 exec_lo, exec_lo, s5
	s_delay_alu instid0(SALU_CYCLE_1)
	s_mov_b32 s5, exec_lo
	v_cmpx_gt_u32_e64 s27, v32
	s_cbranch_execnz .LBB898_50
.LBB898_22:
	s_or_b32 exec_lo, exec_lo, s5
	s_delay_alu instid0(SALU_CYCLE_1)
	s_mov_b32 s5, exec_lo
	v_cmpx_gt_u32_e64 s27, v33
	s_cbranch_execnz .LBB898_51
.LBB898_23:
	s_or_b32 exec_lo, exec_lo, s5
	s_delay_alu instid0(SALU_CYCLE_1)
	s_mov_b32 s5, exec_lo
	v_cmpx_gt_u32_e64 s27, v34
	s_cbranch_execz .LBB898_25
.LBB898_24:
	v_add_co_u32 v1, s6, s24, v0
	s_delay_alu instid0(VALU_DEP_1) | instskip(NEXT) | instid1(VALU_DEP_2)
	v_add_co_ci_u32_e64 v18, null, s25, 0, s6
	v_add_co_u32 v37, vcc_lo, 0x1000, v1
	s_delay_alu instid0(VALU_DEP_2)
	v_add_co_ci_u32_e32 v38, vcc_lo, 0, v18, vcc_lo
	global_load_u8 v1, v[37:38], off offset:3584
	s_waitcnt vmcnt(0)
	v_cmp_ne_u16_e32 vcc_lo, 0, v1
	v_cndmask_b32_e64 v18, 0, 1, vcc_lo
.LBB898_25:
	s_or_b32 exec_lo, exec_lo, s5
	v_add_nc_u32_e32 v1, v4, v3
	s_mov_b32 s5, exec_lo
	s_barrier
	buffer_gl0_inv
	v_add3_u32 v1, v1, v5, v6
	s_delay_alu instid0(VALU_DEP_1) | instskip(NEXT) | instid1(VALU_DEP_1)
	v_add3_u32 v1, v1, v7, v8
	v_add3_u32 v1, v1, v9, v10
	s_delay_alu instid0(VALU_DEP_1) | instskip(NEXT) | instid1(VALU_DEP_1)
	v_add3_u32 v1, v1, v11, v12
	;; [unrolled: 3-line block ×3, first 2 shown]
	v_add3_u32 v1, v1, v17, v18
	s_delay_alu instid0(VALU_DEP_1) | instskip(NEXT) | instid1(VALU_DEP_1)
	v_mov_b32_dpp v3, v1 quad_perm:[1,0,3,2] row_mask:0xf bank_mask:0xf
	v_add_nc_u32_e32 v1, v1, v3
	s_delay_alu instid0(VALU_DEP_1) | instskip(NEXT) | instid1(VALU_DEP_1)
	v_mov_b32_dpp v3, v1 quad_perm:[2,3,0,1] row_mask:0xf bank_mask:0xf
	v_add_nc_u32_e32 v1, v1, v3
	s_delay_alu instid0(VALU_DEP_1) | instskip(NEXT) | instid1(VALU_DEP_1)
	v_mov_b32_dpp v3, v1 row_ror:4 row_mask:0xf bank_mask:0xf
	v_add_nc_u32_e32 v1, v1, v3
	s_delay_alu instid0(VALU_DEP_1) | instskip(NEXT) | instid1(VALU_DEP_1)
	v_mov_b32_dpp v3, v1 row_ror:8 row_mask:0xf bank_mask:0xf
	v_add_nc_u32_e32 v1, v1, v3
	ds_swizzle_b32 v3, v1 offset:swizzle(BROADCAST,32,15)
	s_waitcnt lgkmcnt(0)
	v_add_nc_u32_e32 v1, v1, v3
	ds_bpermute_b32 v1, v2, v1 offset:124
	v_cmpx_eq_u32_e32 0, v36
	s_cbranch_execz .LBB898_27
; %bb.26:
	s_waitcnt lgkmcnt(0)
	ds_store_b32 v35, v1
.LBB898_27:
	s_or_b32 exec_lo, exec_lo, s5
	s_waitcnt lgkmcnt(0)
	s_barrier
	buffer_gl0_inv
	s_and_saveexec_b32 s5, s0
	s_cbranch_execz .LBB898_29
; %bb.28:
	v_and_b32_e32 v1, 15, v36
	s_delay_alu instid0(VALU_DEP_1) | instskip(SKIP_4) | instid1(VALU_DEP_2)
	v_lshlrev_b32_e32 v3, 2, v1
	v_cmp_ne_u32_e32 vcc_lo, 15, v1
	ds_load_b32 v3, v3
	v_add_co_ci_u32_e32 v4, vcc_lo, 0, v36, vcc_lo
	v_cmp_gt_u32_e32 vcc_lo, 14, v1
	v_lshlrev_b32_e32 v4, 2, v4
	v_cndmask_b32_e64 v5, 0, 1, vcc_lo
	v_cmp_gt_u32_e32 vcc_lo, 12, v1
	s_delay_alu instid0(VALU_DEP_2) | instskip(NEXT) | instid1(VALU_DEP_1)
	v_lshlrev_b32_e32 v5, 1, v5
	v_add_lshl_u32 v5, v5, v36, 2
	s_waitcnt lgkmcnt(0)
	ds_bpermute_b32 v4, v4, v3
	s_waitcnt lgkmcnt(0)
	v_add_nc_u32_e32 v3, v4, v3
	ds_bpermute_b32 v4, v5, v3
	v_cndmask_b32_e64 v5, 0, 1, vcc_lo
	v_cmp_gt_u32_e32 vcc_lo, 8, v1
	s_delay_alu instid0(VALU_DEP_2) | instskip(SKIP_1) | instid1(VALU_DEP_2)
	v_lshlrev_b32_e32 v5, 2, v5
	v_cndmask_b32_e64 v1, 0, 1, vcc_lo
	v_add_lshl_u32 v5, v5, v36, 2
	s_delay_alu instid0(VALU_DEP_2) | instskip(NEXT) | instid1(VALU_DEP_1)
	v_lshlrev_b32_e32 v1, 3, v1
	v_add_lshl_u32 v1, v1, v36, 2
	s_waitcnt lgkmcnt(0)
	v_add_nc_u32_e32 v3, v4, v3
	ds_bpermute_b32 v4, v5, v3
	s_waitcnt lgkmcnt(0)
	v_add_nc_u32_e32 v3, v4, v3
	ds_bpermute_b32 v1, v1, v3
	s_waitcnt lgkmcnt(0)
	v_add_nc_u32_e32 v1, v1, v3
.LBB898_29:
	s_or_b32 exec_lo, exec_lo, s5
	s_branch .LBB898_6
.LBB898_30:
	v_add_co_u32 v3, s5, s24, v0
	s_delay_alu instid0(VALU_DEP_1) | instskip(SKIP_1) | instid1(VALU_DEP_2)
	v_add_co_ci_u32_e64 v4, null, s25, 0, s5
	s_mov_b32 s5, exec_lo
	v_add_co_u32 v5, vcc_lo, 0x1000, v3
	s_clause 0x5
	global_load_u8 v1, v[3:4], off
	global_load_u8 v7, v[3:4], off offset:1024
	global_load_u8 v8, v[3:4], off offset:512
	;; [unrolled: 1-line block ×5, first 2 shown]
	v_add_co_ci_u32_e32 v6, vcc_lo, 0, v4, vcc_lo
	s_clause 0x9
	global_load_u8 v12, v[3:4], off offset:2560
	global_load_u8 v13, v[5:6], off
	global_load_u8 v3, v[3:4], off offset:3584
	global_load_u8 v4, v[5:6], off offset:1024
	;; [unrolled: 1-line block ×8, first 2 shown]
	s_waitcnt vmcnt(0)
	s_barrier
	buffer_gl0_inv
	v_cmp_ne_u16_e32 vcc_lo, 0, v1
	v_cndmask_b32_e64 v1, 0, 1, vcc_lo
	v_cmp_ne_u16_e32 vcc_lo, 0, v7
	v_cndmask_b32_e64 v6, 0, 1, vcc_lo
	v_cmp_ne_u16_e32 vcc_lo, 0, v8
	s_delay_alu instid0(VALU_DEP_4) | instskip(SKIP_3) | instid1(VALU_DEP_4)
	v_add_co_ci_u32_e32 v1, vcc_lo, 0, v1, vcc_lo
	v_cmp_ne_u16_e32 vcc_lo, 0, v10
	v_cndmask_b32_e64 v7, 0, 1, vcc_lo
	v_cmp_ne_u16_e32 vcc_lo, 0, v9
	v_add_co_ci_u32_e32 v1, vcc_lo, v1, v6, vcc_lo
	v_cmp_ne_u16_e32 vcc_lo, 0, v11
	v_cndmask_b32_e64 v6, 0, 1, vcc_lo
	v_cmp_ne_u16_e32 vcc_lo, 0, v12
	s_delay_alu instid0(VALU_DEP_4) | instskip(SKIP_3) | instid1(VALU_DEP_4)
	v_add_co_ci_u32_e32 v1, vcc_lo, v1, v7, vcc_lo
	v_cmp_ne_u16_e32 vcc_lo, 0, v13
	v_cndmask_b32_e64 v7, 0, 1, vcc_lo
	v_cmp_ne_u16_e32 vcc_lo, 0, v3
	v_add_co_ci_u32_e32 v1, vcc_lo, v1, v6, vcc_lo
	;; [unrolled: 9-line block ×3, first 2 shown]
	v_cmp_ne_u16_e32 vcc_lo, 0, v17
	v_cndmask_b32_e64 v3, 0, 1, vcc_lo
	v_cmp_ne_u16_e32 vcc_lo, 0, v18
	s_delay_alu instid0(VALU_DEP_4) | instskip(SKIP_1) | instid1(VALU_DEP_2)
	v_add_co_ci_u32_e32 v1, vcc_lo, v1, v4, vcc_lo
	v_cmp_ne_u16_e32 vcc_lo, 0, v5
	v_add_co_ci_u32_e32 v1, vcc_lo, v1, v3, vcc_lo
	s_delay_alu instid0(VALU_DEP_1) | instskip(NEXT) | instid1(VALU_DEP_1)
	v_mov_b32_dpp v3, v1 quad_perm:[1,0,3,2] row_mask:0xf bank_mask:0xf
	v_add_nc_u32_e32 v1, v3, v1
	s_delay_alu instid0(VALU_DEP_1) | instskip(NEXT) | instid1(VALU_DEP_1)
	v_mov_b32_dpp v3, v1 quad_perm:[2,3,0,1] row_mask:0xf bank_mask:0xf
	v_add_nc_u32_e32 v1, v1, v3
	s_delay_alu instid0(VALU_DEP_1) | instskip(NEXT) | instid1(VALU_DEP_1)
	v_mov_b32_dpp v3, v1 row_ror:4 row_mask:0xf bank_mask:0xf
	v_add_nc_u32_e32 v1, v1, v3
	s_delay_alu instid0(VALU_DEP_1) | instskip(NEXT) | instid1(VALU_DEP_1)
	v_mov_b32_dpp v3, v1 row_ror:8 row_mask:0xf bank_mask:0xf
	v_add_nc_u32_e32 v1, v1, v3
	ds_swizzle_b32 v3, v1 offset:swizzle(BROADCAST,32,15)
	s_waitcnt lgkmcnt(0)
	v_add_nc_u32_e32 v1, v1, v3
	ds_bpermute_b32 v1, v2, v1 offset:124
	v_cmpx_eq_u32_e32 0, v36
	s_cbranch_execz .LBB898_32
; %bb.31:
	s_waitcnt lgkmcnt(0)
	ds_store_b32 v35, v1
.LBB898_32:
	s_or_b32 exec_lo, exec_lo, s5
	s_waitcnt lgkmcnt(0)
	s_barrier
	buffer_gl0_inv
	s_and_saveexec_b32 s5, s0
	s_cbranch_execz .LBB898_34
; %bb.33:
	v_and_b32_e32 v1, 15, v36
	s_delay_alu instid0(VALU_DEP_1) | instskip(SKIP_4) | instid1(VALU_DEP_2)
	v_lshlrev_b32_e32 v3, 2, v1
	v_cmp_ne_u32_e32 vcc_lo, 15, v1
	ds_load_b32 v3, v3
	v_add_co_ci_u32_e32 v4, vcc_lo, 0, v36, vcc_lo
	v_cmp_gt_u32_e32 vcc_lo, 14, v1
	v_lshlrev_b32_e32 v4, 2, v4
	v_cndmask_b32_e64 v5, 0, 1, vcc_lo
	v_cmp_gt_u32_e32 vcc_lo, 12, v1
	s_delay_alu instid0(VALU_DEP_2) | instskip(NEXT) | instid1(VALU_DEP_1)
	v_lshlrev_b32_e32 v5, 1, v5
	v_add_lshl_u32 v5, v5, v36, 2
	s_waitcnt lgkmcnt(0)
	ds_bpermute_b32 v4, v4, v3
	s_waitcnt lgkmcnt(0)
	v_add_nc_u32_e32 v3, v4, v3
	ds_bpermute_b32 v4, v5, v3
	v_cndmask_b32_e64 v5, 0, 1, vcc_lo
	v_cmp_gt_u32_e32 vcc_lo, 8, v1
	s_delay_alu instid0(VALU_DEP_2) | instskip(SKIP_1) | instid1(VALU_DEP_2)
	v_lshlrev_b32_e32 v5, 2, v5
	v_cndmask_b32_e64 v1, 0, 1, vcc_lo
	v_add_lshl_u32 v5, v5, v36, 2
	s_delay_alu instid0(VALU_DEP_2) | instskip(NEXT) | instid1(VALU_DEP_1)
	v_lshlrev_b32_e32 v1, 3, v1
	v_add_lshl_u32 v1, v1, v36, 2
	s_waitcnt lgkmcnt(0)
	v_add_nc_u32_e32 v3, v4, v3
	ds_bpermute_b32 v4, v5, v3
	s_waitcnt lgkmcnt(0)
	v_add_nc_u32_e32 v3, v4, v3
	ds_bpermute_b32 v1, v1, v3
	s_waitcnt lgkmcnt(0)
	v_add_nc_u32_e32 v1, v1, v3
.LBB898_34:
	s_or_b32 exec_lo, exec_lo, s5
	v_cmp_lt_i64_e64 s5, 0x2000, s[22:23]
	s_delay_alu instid0(VALU_DEP_2) | instskip(NEXT) | instid1(VALU_DEP_2)
	v_add_nc_u32_e32 v19, v1, v19
	s_and_b32 vcc_lo, exec_lo, s5
	s_cbranch_vccnz .LBB898_7
.LBB898_35:
	s_mov_b32 s6, -1
                                        ; implicit-def: $sgpr24_sgpr25
                                        ; implicit-def: $sgpr28
                                        ; implicit-def: $sgpr22_sgpr23
                                        ; implicit-def: $sgpr27
                                        ; implicit-def: $sgpr5
	s_branch .LBB898_52
.LBB898_36:
	s_mov_b32 s1, s5
	v_cmp_gt_i64_e64 s5, 0x2000, s[22:23]
                                        ; implicit-def: $vgpr1
	s_delay_alu instid0(VALU_DEP_1)
	s_and_b32 vcc_lo, exec_lo, s5
	s_mov_b32 s5, -1
	s_cbranch_vccnz .LBB898_8
	s_branch .LBB898_5
.LBB898_37:
	v_add_co_u32 v3, s6, s24, v0
	s_delay_alu instid0(VALU_DEP_1)
	v_add_co_ci_u32_e64 v4, null, s25, 0, s6
	v_mov_b32_e32 v16, v2
	v_mov_b32_e32 v5, v2
	;; [unrolled: 1-line block ×3, first 2 shown]
	global_load_u8 v1, v[3:4], off
	v_mov_b32_e32 v3, v2
	v_mov_b32_e32 v7, v2
	;; [unrolled: 1-line block ×10, first 2 shown]
	s_waitcnt vmcnt(0)
	v_cmp_ne_u16_e32 vcc_lo, 0, v1
	v_cndmask_b32_e64 v1, 0, 1, vcc_lo
	s_delay_alu instid0(VALU_DEP_1)
	v_dual_mov_b32 v4, v2 :: v_dual_and_b32 v1, 0xffff, v1
	v_mov_b32_e32 v18, v16
	v_dual_mov_b32 v17, v15 :: v_dual_mov_b32 v16, v14
	v_mov_b32_e32 v15, v13
	v_mov_b32_e32 v14, v12
	;; [unrolled: 1-line block ×13, first 2 shown]
	s_or_b32 exec_lo, exec_lo, s5
	s_delay_alu instid0(SALU_CYCLE_1)
	s_mov_b32 s5, exec_lo
	v_cmpx_gt_u32_e64 s27, v20
	s_cbranch_execz .LBB898_10
.LBB898_38:
	v_add_co_u32 v37, s6, s24, v0
	s_delay_alu instid0(VALU_DEP_1)
	v_add_co_ci_u32_e64 v38, null, s25, 0, s6
	global_load_u8 v1, v[37:38], off offset:512
	s_waitcnt vmcnt(0)
	v_cmp_ne_u16_e32 vcc_lo, 0, v1
	v_cndmask_b32_e64 v4, 0, 1, vcc_lo
	s_or_b32 exec_lo, exec_lo, s5
	s_delay_alu instid0(SALU_CYCLE_1)
	s_mov_b32 s5, exec_lo
	v_cmpx_gt_u32_e64 s27, v21
	s_cbranch_execz .LBB898_11
.LBB898_39:
	v_add_co_u32 v37, s6, s24, v0
	s_delay_alu instid0(VALU_DEP_1)
	v_add_co_ci_u32_e64 v38, null, s25, 0, s6
	global_load_u8 v1, v[37:38], off offset:1024
	s_waitcnt vmcnt(0)
	v_cmp_ne_u16_e32 vcc_lo, 0, v1
	v_cndmask_b32_e64 v5, 0, 1, vcc_lo
	s_or_b32 exec_lo, exec_lo, s5
	s_delay_alu instid0(SALU_CYCLE_1)
	s_mov_b32 s5, exec_lo
	v_cmpx_gt_u32_e64 s27, v22
	s_cbranch_execz .LBB898_12
.LBB898_40:
	v_add_co_u32 v37, s6, s24, v0
	s_delay_alu instid0(VALU_DEP_1)
	v_add_co_ci_u32_e64 v38, null, s25, 0, s6
	global_load_u8 v1, v[37:38], off offset:1536
	s_waitcnt vmcnt(0)
	v_cmp_ne_u16_e32 vcc_lo, 0, v1
	v_cndmask_b32_e64 v6, 0, 1, vcc_lo
	s_or_b32 exec_lo, exec_lo, s5
	s_delay_alu instid0(SALU_CYCLE_1)
	s_mov_b32 s5, exec_lo
	v_cmpx_gt_u32_e64 s27, v23
	s_cbranch_execz .LBB898_13
.LBB898_41:
	v_add_co_u32 v37, s6, s24, v0
	s_delay_alu instid0(VALU_DEP_1)
	v_add_co_ci_u32_e64 v38, null, s25, 0, s6
	global_load_u8 v1, v[37:38], off offset:2048
	s_waitcnt vmcnt(0)
	v_cmp_ne_u16_e32 vcc_lo, 0, v1
	v_cndmask_b32_e64 v7, 0, 1, vcc_lo
	s_or_b32 exec_lo, exec_lo, s5
	s_delay_alu instid0(SALU_CYCLE_1)
	s_mov_b32 s5, exec_lo
	v_cmpx_gt_u32_e64 s27, v24
	s_cbranch_execz .LBB898_14
.LBB898_42:
	v_add_co_u32 v37, s6, s24, v0
	s_delay_alu instid0(VALU_DEP_1)
	v_add_co_ci_u32_e64 v38, null, s25, 0, s6
	global_load_u8 v1, v[37:38], off offset:2560
	s_waitcnt vmcnt(0)
	v_cmp_ne_u16_e32 vcc_lo, 0, v1
	v_cndmask_b32_e64 v8, 0, 1, vcc_lo
	s_or_b32 exec_lo, exec_lo, s5
	s_delay_alu instid0(SALU_CYCLE_1)
	s_mov_b32 s5, exec_lo
	v_cmpx_gt_u32_e64 s27, v25
	s_cbranch_execz .LBB898_15
.LBB898_43:
	v_add_co_u32 v37, s6, s24, v0
	s_delay_alu instid0(VALU_DEP_1)
	v_add_co_ci_u32_e64 v38, null, s25, 0, s6
	global_load_u8 v1, v[37:38], off offset:3072
	s_waitcnt vmcnt(0)
	v_cmp_ne_u16_e32 vcc_lo, 0, v1
	v_cndmask_b32_e64 v9, 0, 1, vcc_lo
	s_or_b32 exec_lo, exec_lo, s5
	s_delay_alu instid0(SALU_CYCLE_1)
	s_mov_b32 s5, exec_lo
	v_cmpx_gt_u32_e64 s27, v26
	s_cbranch_execz .LBB898_16
.LBB898_44:
	v_add_co_u32 v37, s6, s24, v0
	s_delay_alu instid0(VALU_DEP_1)
	v_add_co_ci_u32_e64 v38, null, s25, 0, s6
	global_load_u8 v1, v[37:38], off offset:3584
	s_waitcnt vmcnt(0)
	v_cmp_ne_u16_e32 vcc_lo, 0, v1
	v_cndmask_b32_e64 v10, 0, 1, vcc_lo
	s_or_b32 exec_lo, exec_lo, s5
	s_delay_alu instid0(SALU_CYCLE_1)
	s_mov_b32 s5, exec_lo
	v_cmpx_gt_u32_e64 s27, v27
	s_cbranch_execz .LBB898_17
.LBB898_45:
	v_add_co_u32 v1, s6, s24, v0
	s_delay_alu instid0(VALU_DEP_1) | instskip(NEXT) | instid1(VALU_DEP_2)
	v_add_co_ci_u32_e64 v11, null, s25, 0, s6
	v_add_co_u32 v37, vcc_lo, 0x1000, v1
	s_delay_alu instid0(VALU_DEP_2)
	v_add_co_ci_u32_e32 v38, vcc_lo, 0, v11, vcc_lo
	global_load_u8 v1, v[37:38], off
	s_waitcnt vmcnt(0)
	v_cmp_ne_u16_e32 vcc_lo, 0, v1
	v_cndmask_b32_e64 v11, 0, 1, vcc_lo
	s_or_b32 exec_lo, exec_lo, s5
	s_delay_alu instid0(SALU_CYCLE_1)
	s_mov_b32 s5, exec_lo
	v_cmpx_gt_u32_e64 s27, v28
	s_cbranch_execz .LBB898_18
.LBB898_46:
	v_add_co_u32 v1, s6, s24, v0
	s_delay_alu instid0(VALU_DEP_1) | instskip(NEXT) | instid1(VALU_DEP_2)
	v_add_co_ci_u32_e64 v12, null, s25, 0, s6
	v_add_co_u32 v37, vcc_lo, 0x1000, v1
	s_delay_alu instid0(VALU_DEP_2)
	v_add_co_ci_u32_e32 v38, vcc_lo, 0, v12, vcc_lo
	global_load_u8 v1, v[37:38], off offset:512
	s_waitcnt vmcnt(0)
	v_cmp_ne_u16_e32 vcc_lo, 0, v1
	v_cndmask_b32_e64 v12, 0, 1, vcc_lo
	s_or_b32 exec_lo, exec_lo, s5
	s_delay_alu instid0(SALU_CYCLE_1)
	s_mov_b32 s5, exec_lo
	v_cmpx_gt_u32_e64 s27, v29
	s_cbranch_execz .LBB898_19
.LBB898_47:
	v_add_co_u32 v1, s6, s24, v0
	s_delay_alu instid0(VALU_DEP_1) | instskip(NEXT) | instid1(VALU_DEP_2)
	v_add_co_ci_u32_e64 v13, null, s25, 0, s6
	v_add_co_u32 v37, vcc_lo, 0x1000, v1
	s_delay_alu instid0(VALU_DEP_2)
	v_add_co_ci_u32_e32 v38, vcc_lo, 0, v13, vcc_lo
	global_load_u8 v1, v[37:38], off offset:1024
	s_waitcnt vmcnt(0)
	v_cmp_ne_u16_e32 vcc_lo, 0, v1
	v_cndmask_b32_e64 v13, 0, 1, vcc_lo
	s_or_b32 exec_lo, exec_lo, s5
	s_delay_alu instid0(SALU_CYCLE_1)
	s_mov_b32 s5, exec_lo
	v_cmpx_gt_u32_e64 s27, v30
	s_cbranch_execz .LBB898_20
.LBB898_48:
	v_add_co_u32 v1, s6, s24, v0
	s_delay_alu instid0(VALU_DEP_1) | instskip(NEXT) | instid1(VALU_DEP_2)
	v_add_co_ci_u32_e64 v14, null, s25, 0, s6
	v_add_co_u32 v37, vcc_lo, 0x1000, v1
	s_delay_alu instid0(VALU_DEP_2)
	v_add_co_ci_u32_e32 v38, vcc_lo, 0, v14, vcc_lo
	global_load_u8 v1, v[37:38], off offset:1536
	s_waitcnt vmcnt(0)
	v_cmp_ne_u16_e32 vcc_lo, 0, v1
	v_cndmask_b32_e64 v14, 0, 1, vcc_lo
	s_or_b32 exec_lo, exec_lo, s5
	s_delay_alu instid0(SALU_CYCLE_1)
	s_mov_b32 s5, exec_lo
	v_cmpx_gt_u32_e64 s27, v31
	s_cbranch_execz .LBB898_21
.LBB898_49:
	v_add_co_u32 v1, s6, s24, v0
	s_delay_alu instid0(VALU_DEP_1) | instskip(NEXT) | instid1(VALU_DEP_2)
	v_add_co_ci_u32_e64 v15, null, s25, 0, s6
	v_add_co_u32 v37, vcc_lo, 0x1000, v1
	s_delay_alu instid0(VALU_DEP_2)
	v_add_co_ci_u32_e32 v38, vcc_lo, 0, v15, vcc_lo
	global_load_u8 v1, v[37:38], off offset:2048
	s_waitcnt vmcnt(0)
	v_cmp_ne_u16_e32 vcc_lo, 0, v1
	v_cndmask_b32_e64 v15, 0, 1, vcc_lo
	s_or_b32 exec_lo, exec_lo, s5
	s_delay_alu instid0(SALU_CYCLE_1)
	s_mov_b32 s5, exec_lo
	v_cmpx_gt_u32_e64 s27, v32
	s_cbranch_execz .LBB898_22
.LBB898_50:
	v_add_co_u32 v1, s6, s24, v0
	s_delay_alu instid0(VALU_DEP_1) | instskip(NEXT) | instid1(VALU_DEP_2)
	v_add_co_ci_u32_e64 v16, null, s25, 0, s6
	v_add_co_u32 v37, vcc_lo, 0x1000, v1
	s_delay_alu instid0(VALU_DEP_2)
	v_add_co_ci_u32_e32 v38, vcc_lo, 0, v16, vcc_lo
	global_load_u8 v1, v[37:38], off offset:2560
	s_waitcnt vmcnt(0)
	v_cmp_ne_u16_e32 vcc_lo, 0, v1
	v_cndmask_b32_e64 v16, 0, 1, vcc_lo
	s_or_b32 exec_lo, exec_lo, s5
	s_delay_alu instid0(SALU_CYCLE_1)
	s_mov_b32 s5, exec_lo
	v_cmpx_gt_u32_e64 s27, v33
	s_cbranch_execz .LBB898_23
.LBB898_51:
	v_add_co_u32 v1, s6, s24, v0
	s_delay_alu instid0(VALU_DEP_1) | instskip(NEXT) | instid1(VALU_DEP_2)
	v_add_co_ci_u32_e64 v17, null, s25, 0, s6
	v_add_co_u32 v37, vcc_lo, 0x1000, v1
	s_delay_alu instid0(VALU_DEP_2)
	v_add_co_ci_u32_e32 v38, vcc_lo, 0, v17, vcc_lo
	global_load_u8 v1, v[37:38], off offset:3072
	s_waitcnt vmcnt(0)
	v_cmp_ne_u16_e32 vcc_lo, 0, v1
	v_cndmask_b32_e64 v17, 0, 1, vcc_lo
	s_or_b32 exec_lo, exec_lo, s5
	s_delay_alu instid0(SALU_CYCLE_1)
	s_mov_b32 s5, exec_lo
	v_cmpx_gt_u32_e64 s27, v34
	s_cbranch_execnz .LBB898_24
	s_branch .LBB898_25
.LBB898_52:
	s_and_b32 vcc_lo, exec_lo, s6
	s_cbranch_vccz .LBB898_56
; %bb.53:
	s_mov_b32 s0, exec_lo
	v_cmpx_eq_u32_e32 0, v0
	s_cbranch_execz .LBB898_55
; %bb.54:
	s_lshl_b64 s[4:5], s[20:21], 2
	v_mov_b32_e32 v0, 0
	s_add_u32 s4, s2, s4
	s_addc_u32 s5, s3, s5
	global_store_b32 v0, v19, s[4:5]
.LBB898_55:
	s_or_b32 exec_lo, exec_lo, s0
	s_mov_b32 s5, s1
.LBB898_56:
	v_cmp_eq_u32_e32 vcc_lo, 0, v0
	s_waitcnt lgkmcnt(0)
	s_xor_b32 s0, s5, -1
	s_delay_alu instid0(SALU_CYCLE_1) | instskip(NEXT) | instid1(SALU_CYCLE_1)
	s_and_b32 s0, vcc_lo, s0
	s_and_saveexec_b32 s1, s0
	s_cbranch_execz .LBB898_58
; %bb.57:
	s_lshl_b64 s[0:1], s[20:21], 2
	v_mov_b32_e32 v0, 0
	s_add_u32 s0, s2, s0
	s_addc_u32 s1, s3, s1
	global_store_b32 v0, v19, s[0:1]
.LBB898_58:
	s_nop 0
	s_sendmsg sendmsg(MSG_DEALLOC_VGPRS)
	s_endpgm
	.section	.rodata,"a",@progbits
	.p2align	6, 0x0
	.amdhsa_kernel _ZN2at4cuda3cub15calc_block_sumsILi512ELi16ELb1EhiEEvPKT2_PT3_li
		.amdhsa_group_segment_fixed_size 64
		.amdhsa_private_segment_fixed_size 0
		.amdhsa_kernarg_size 28
		.amdhsa_user_sgpr_count 15
		.amdhsa_user_sgpr_dispatch_ptr 0
		.amdhsa_user_sgpr_queue_ptr 0
		.amdhsa_user_sgpr_kernarg_segment_ptr 1
		.amdhsa_user_sgpr_dispatch_id 0
		.amdhsa_user_sgpr_private_segment_size 0
		.amdhsa_wavefront_size32 1
		.amdhsa_uses_dynamic_stack 0
		.amdhsa_enable_private_segment 0
		.amdhsa_system_sgpr_workgroup_id_x 1
		.amdhsa_system_sgpr_workgroup_id_y 0
		.amdhsa_system_sgpr_workgroup_id_z 0
		.amdhsa_system_sgpr_workgroup_info 0
		.amdhsa_system_vgpr_workitem_id 0
		.amdhsa_next_free_vgpr 39
		.amdhsa_next_free_sgpr 29
		.amdhsa_reserve_vcc 1
		.amdhsa_float_round_mode_32 0
		.amdhsa_float_round_mode_16_64 0
		.amdhsa_float_denorm_mode_32 3
		.amdhsa_float_denorm_mode_16_64 3
		.amdhsa_dx10_clamp 1
		.amdhsa_ieee_mode 1
		.amdhsa_fp16_overflow 0
		.amdhsa_workgroup_processor_mode 1
		.amdhsa_memory_ordered 1
		.amdhsa_forward_progress 0
		.amdhsa_shared_vgpr_count 0
		.amdhsa_exception_fp_ieee_invalid_op 0
		.amdhsa_exception_fp_denorm_src 0
		.amdhsa_exception_fp_ieee_div_zero 0
		.amdhsa_exception_fp_ieee_overflow 0
		.amdhsa_exception_fp_ieee_underflow 0
		.amdhsa_exception_fp_ieee_inexact 0
		.amdhsa_exception_int_div_zero 0
	.end_amdhsa_kernel
	.section	.text._ZN2at4cuda3cub15calc_block_sumsILi512ELi16ELb1EhiEEvPKT2_PT3_li,"axG",@progbits,_ZN2at4cuda3cub15calc_block_sumsILi512ELi16ELb1EhiEEvPKT2_PT3_li,comdat
.Lfunc_end898:
	.size	_ZN2at4cuda3cub15calc_block_sumsILi512ELi16ELb1EhiEEvPKT2_PT3_li, .Lfunc_end898-_ZN2at4cuda3cub15calc_block_sumsILi512ELi16ELb1EhiEEvPKT2_PT3_li
                                        ; -- End function
	.section	.AMDGPU.csdata,"",@progbits
; Kernel info:
; codeLenInByte = 3632
; NumSgprs: 31
; NumVgprs: 39
; ScratchSize: 0
; MemoryBound: 0
; FloatMode: 240
; IeeeMode: 1
; LDSByteSize: 64 bytes/workgroup (compile time only)
; SGPRBlocks: 3
; VGPRBlocks: 4
; NumSGPRsForWavesPerEU: 31
; NumVGPRsForWavesPerEU: 39
; Occupancy: 16
; WaveLimiterHint : 1
; COMPUTE_PGM_RSRC2:SCRATCH_EN: 0
; COMPUTE_PGM_RSRC2:USER_SGPR: 15
; COMPUTE_PGM_RSRC2:TRAP_HANDLER: 0
; COMPUTE_PGM_RSRC2:TGID_X_EN: 1
; COMPUTE_PGM_RSRC2:TGID_Y_EN: 0
; COMPUTE_PGM_RSRC2:TGID_Z_EN: 0
; COMPUTE_PGM_RSRC2:TIDIG_COMP_CNT: 0
	.section	.text._ZN2at6native12_GLOBAL__N_111compute_aggILi512EEEvPiPlj,"axG",@progbits,_ZN2at6native12_GLOBAL__N_111compute_aggILi512EEEvPiPlj,comdat
	.globl	_ZN2at6native12_GLOBAL__N_111compute_aggILi512EEEvPiPlj ; -- Begin function _ZN2at6native12_GLOBAL__N_111compute_aggILi512EEEvPiPlj
	.p2align	8
	.type	_ZN2at6native12_GLOBAL__N_111compute_aggILi512EEEvPiPlj,@function
_ZN2at6native12_GLOBAL__N_111compute_aggILi512EEEvPiPlj: ; @_ZN2at6native12_GLOBAL__N_111compute_aggILi512EEEvPiPlj
; %bb.0:
	s_clause 0x1
	s_load_b32 s2, s[0:1], 0x10
	s_load_b128 s[4:7], s[0:1], 0x0
	v_mov_b32_e32 v1, 0
	v_mov_b32_e32 v2, 0
	s_waitcnt lgkmcnt(0)
	v_cmp_gt_u32_e32 vcc_lo, s2, v0
	s_and_saveexec_b32 s0, vcc_lo
	s_cbranch_execz .LBB899_2
; %bb.1:
	v_lshlrev_b32_e32 v1, 2, v0
	global_load_b32 v1, v1, s[4:5]
	s_waitcnt vmcnt(0)
	v_ashrrev_i32_e32 v2, 31, v1
.LBB899_2:
	s_or_b32 exec_lo, exec_lo, s0
	v_mbcnt_lo_u32_b32 v3, -1, 0
	v_mov_b32_dpp v7, v1 row_shr:1 row_mask:0xf bank_mask:0xf
	s_delay_alu instid0(VALU_DEP_3) | instskip(NEXT) | instid1(VALU_DEP_3)
	v_mov_b32_dpp v6, v2 row_shr:1 row_mask:0xf bank_mask:0xf
	v_dual_mov_b32 v4, v1 :: v_dual_and_b32 v5, 15, v3
	s_delay_alu instid0(VALU_DEP_1) | instskip(NEXT) | instid1(VALU_DEP_1)
	v_cmp_ne_u32_e64 s0, 0, v5
	s_and_saveexec_b32 s2, s0
; %bb.3:
	v_add_co_u32 v4, s1, v1, v7
	s_delay_alu instid0(VALU_DEP_1) | instskip(NEXT) | instid1(VALU_DEP_2)
	v_add_co_ci_u32_e64 v2, s1, 0, v2, s1
	v_add_co_u32 v1, s1, 0, v4
	s_delay_alu instid0(VALU_DEP_1)
	v_add_co_ci_u32_e64 v2, s1, v6, v2, s1
; %bb.4:
	s_or_b32 exec_lo, exec_lo, s2
	v_mov_b32_dpp v7, v4 row_shr:2 row_mask:0xf bank_mask:0xf
	s_delay_alu instid0(VALU_DEP_2) | instskip(SKIP_1) | instid1(VALU_DEP_1)
	v_mov_b32_dpp v6, v2 row_shr:2 row_mask:0xf bank_mask:0xf
	v_cmp_lt_u32_e64 s1, 1, v5
	s_and_saveexec_b32 s3, s1
; %bb.5:
	s_delay_alu instid0(VALU_DEP_3) | instskip(NEXT) | instid1(VALU_DEP_1)
	v_add_co_u32 v4, s2, v1, v7
	v_add_co_ci_u32_e64 v2, s2, 0, v2, s2
	s_delay_alu instid0(VALU_DEP_2) | instskip(NEXT) | instid1(VALU_DEP_1)
	v_add_co_u32 v1, s2, 0, v4
	v_add_co_ci_u32_e64 v2, s2, v6, v2, s2
; %bb.6:
	s_or_b32 exec_lo, exec_lo, s3
	v_mov_b32_dpp v7, v4 row_shr:4 row_mask:0xf bank_mask:0xf
	s_delay_alu instid0(VALU_DEP_2) | instskip(SKIP_1) | instid1(VALU_DEP_1)
	v_mov_b32_dpp v6, v2 row_shr:4 row_mask:0xf bank_mask:0xf
	v_cmp_lt_u32_e64 s2, 3, v5
	s_and_saveexec_b32 s4, s2
; %bb.7:
	s_delay_alu instid0(VALU_DEP_3) | instskip(NEXT) | instid1(VALU_DEP_1)
	v_add_co_u32 v4, s3, v1, v7
	v_add_co_ci_u32_e64 v2, s3, 0, v2, s3
	s_delay_alu instid0(VALU_DEP_2) | instskip(NEXT) | instid1(VALU_DEP_1)
	v_add_co_u32 v1, s3, 0, v4
	;; [unrolled: 14-line block ×3, first 2 shown]
	v_add_co_ci_u32_e64 v2, s4, v6, v2, s4
; %bb.10:
	s_or_b32 exec_lo, exec_lo, s5
	ds_swizzle_b32 v5, v4 offset:swizzle(BROADCAST,32,15)
	ds_swizzle_b32 v4, v2 offset:swizzle(BROADCAST,32,15)
	v_and_b32_e32 v3, 16, v3
	s_mov_b32 s5, exec_lo
	s_delay_alu instid0(VALU_DEP_1)
	v_cmpx_ne_u32_e32 0, v3
	s_cbranch_execz .LBB899_12
; %bb.11:
	s_waitcnt lgkmcnt(1)
	v_add_co_u32 v1, s4, v1, v5
	s_delay_alu instid0(VALU_DEP_1) | instskip(NEXT) | instid1(VALU_DEP_2)
	v_add_co_ci_u32_e64 v2, s4, 0, v2, s4
	v_add_co_u32 v1, s4, v1, 0
	s_waitcnt lgkmcnt(0)
	s_delay_alu instid0(VALU_DEP_2)
	v_add_co_ci_u32_e64 v2, s4, v2, v4, s4
.LBB899_12:
	s_or_b32 exec_lo, exec_lo, s5
	v_and_b32_e32 v3, 0x3e0, v0
	v_lshrrev_b32_e32 v6, 5, v0
	s_mov_b32 s5, exec_lo
	s_delay_alu instid0(VALU_DEP_2) | instskip(NEXT) | instid1(VALU_DEP_1)
	v_min_u32_e32 v3, 0x1e0, v3
	v_or_b32_e32 v3, 31, v3
	s_delay_alu instid0(VALU_DEP_1)
	v_cmpx_eq_u32_e64 v3, v0
	s_cbranch_execz .LBB899_14
; %bb.13:
	v_lshlrev_b32_e32 v3, 3, v6
	ds_store_b64 v3, v[1:2]
.LBB899_14:
	s_or_b32 exec_lo, exec_lo, s5
	s_waitcnt lgkmcnt(1)
	v_lshlrev_b32_e32 v5, 3, v0
	s_mov_b32 s5, exec_lo
	s_waitcnt lgkmcnt(0)
	s_barrier
	buffer_gl0_inv
	v_cmpx_gt_u32_e32 16, v0
	s_cbranch_execz .LBB899_24
; %bb.15:
	ds_load_b64 v[3:4], v5
	s_waitcnt lgkmcnt(0)
	v_mov_b32_dpp v9, v3 row_shr:1 row_mask:0xf bank_mask:0xf
	v_mov_b32_dpp v8, v4 row_shr:1 row_mask:0xf bank_mask:0xf
	v_mov_b32_e32 v7, v3
	s_and_saveexec_b32 s4, s0
; %bb.16:
	s_delay_alu instid0(VALU_DEP_3) | instskip(NEXT) | instid1(VALU_DEP_1)
	v_add_co_u32 v7, s0, v3, v9
	v_add_co_ci_u32_e64 v4, s0, 0, v4, s0
	s_delay_alu instid0(VALU_DEP_2) | instskip(NEXT) | instid1(VALU_DEP_1)
	v_add_co_u32 v3, s0, 0, v7
	v_add_co_ci_u32_e64 v4, s0, v8, v4, s0
; %bb.17:
	s_or_b32 exec_lo, exec_lo, s4
	v_mov_b32_dpp v9, v7 row_shr:2 row_mask:0xf bank_mask:0xf
	s_delay_alu instid0(VALU_DEP_2)
	v_mov_b32_dpp v8, v4 row_shr:2 row_mask:0xf bank_mask:0xf
	s_and_saveexec_b32 s4, s1
; %bb.18:
	s_delay_alu instid0(VALU_DEP_2) | instskip(NEXT) | instid1(VALU_DEP_1)
	v_add_co_u32 v7, s0, v3, v9
	v_add_co_ci_u32_e64 v4, s0, 0, v4, s0
	s_delay_alu instid0(VALU_DEP_2) | instskip(NEXT) | instid1(VALU_DEP_1)
	v_add_co_u32 v3, s0, 0, v7
	v_add_co_ci_u32_e64 v4, s0, v8, v4, s0
; %bb.19:
	s_or_b32 exec_lo, exec_lo, s4
	v_mov_b32_dpp v9, v7 row_shr:4 row_mask:0xf bank_mask:0xf
	s_delay_alu instid0(VALU_DEP_2)
	v_mov_b32_dpp v8, v4 row_shr:4 row_mask:0xf bank_mask:0xf
	s_and_saveexec_b32 s1, s2
; %bb.20:
	s_delay_alu instid0(VALU_DEP_2) | instskip(NEXT) | instid1(VALU_DEP_1)
	;; [unrolled: 13-line block ×3, first 2 shown]
	v_add_co_u32 v3, s0, v3, v8
	v_add_co_ci_u32_e64 v4, s0, 0, v4, s0
	s_delay_alu instid0(VALU_DEP_2) | instskip(NEXT) | instid1(VALU_DEP_1)
	v_add_co_u32 v3, s0, v3, 0
	v_add_co_ci_u32_e64 v4, s0, v4, v7, s0
; %bb.23:
	s_or_b32 exec_lo, exec_lo, s1
	ds_store_b64 v5, v[3:4]
.LBB899_24:
	s_or_b32 exec_lo, exec_lo, s5
	s_delay_alu instid0(SALU_CYCLE_1)
	s_mov_b32 s1, exec_lo
	s_waitcnt lgkmcnt(0)
	s_barrier
	buffer_gl0_inv
	v_cmpx_lt_u32_e32 31, v0
	s_cbranch_execnz .LBB899_27
; %bb.25:
	s_or_b32 exec_lo, exec_lo, s1
	s_and_saveexec_b32 s0, vcc_lo
	s_cbranch_execnz .LBB899_28
.LBB899_26:
	s_endpgm
.LBB899_27:
	v_lshl_add_u32 v0, v6, 3, -8
	ds_load_b64 v[3:4], v0
	s_waitcnt lgkmcnt(0)
	v_add_co_u32 v1, s0, v3, v1
	s_delay_alu instid0(VALU_DEP_1)
	v_add_co_ci_u32_e64 v2, s0, v4, v2, s0
	s_or_b32 exec_lo, exec_lo, s1
	s_and_saveexec_b32 s0, vcc_lo
	s_cbranch_execz .LBB899_26
.LBB899_28:
	global_store_b64 v5, v[1:2], s[6:7]
	s_nop 0
	s_sendmsg sendmsg(MSG_DEALLOC_VGPRS)
	s_endpgm
	.section	.rodata,"a",@progbits
	.p2align	6, 0x0
	.amdhsa_kernel _ZN2at6native12_GLOBAL__N_111compute_aggILi512EEEvPiPlj
		.amdhsa_group_segment_fixed_size 128
		.amdhsa_private_segment_fixed_size 0
		.amdhsa_kernarg_size 20
		.amdhsa_user_sgpr_count 15
		.amdhsa_user_sgpr_dispatch_ptr 0
		.amdhsa_user_sgpr_queue_ptr 0
		.amdhsa_user_sgpr_kernarg_segment_ptr 1
		.amdhsa_user_sgpr_dispatch_id 0
		.amdhsa_user_sgpr_private_segment_size 0
		.amdhsa_wavefront_size32 1
		.amdhsa_uses_dynamic_stack 0
		.amdhsa_enable_private_segment 0
		.amdhsa_system_sgpr_workgroup_id_x 1
		.amdhsa_system_sgpr_workgroup_id_y 0
		.amdhsa_system_sgpr_workgroup_id_z 0
		.amdhsa_system_sgpr_workgroup_info 0
		.amdhsa_system_vgpr_workitem_id 0
		.amdhsa_next_free_vgpr 10
		.amdhsa_next_free_sgpr 8
		.amdhsa_reserve_vcc 1
		.amdhsa_float_round_mode_32 0
		.amdhsa_float_round_mode_16_64 0
		.amdhsa_float_denorm_mode_32 3
		.amdhsa_float_denorm_mode_16_64 3
		.amdhsa_dx10_clamp 1
		.amdhsa_ieee_mode 1
		.amdhsa_fp16_overflow 0
		.amdhsa_workgroup_processor_mode 1
		.amdhsa_memory_ordered 1
		.amdhsa_forward_progress 0
		.amdhsa_shared_vgpr_count 0
		.amdhsa_exception_fp_ieee_invalid_op 0
		.amdhsa_exception_fp_denorm_src 0
		.amdhsa_exception_fp_ieee_div_zero 0
		.amdhsa_exception_fp_ieee_overflow 0
		.amdhsa_exception_fp_ieee_underflow 0
		.amdhsa_exception_fp_ieee_inexact 0
		.amdhsa_exception_int_div_zero 0
	.end_amdhsa_kernel
	.section	.text._ZN2at6native12_GLOBAL__N_111compute_aggILi512EEEvPiPlj,"axG",@progbits,_ZN2at6native12_GLOBAL__N_111compute_aggILi512EEEvPiPlj,comdat
.Lfunc_end899:
	.size	_ZN2at6native12_GLOBAL__N_111compute_aggILi512EEEvPiPlj, .Lfunc_end899-_ZN2at6native12_GLOBAL__N_111compute_aggILi512EEEvPiPlj
                                        ; -- End function
	.section	.AMDGPU.csdata,"",@progbits
; Kernel info:
; codeLenInByte = 996
; NumSgprs: 10
; NumVgprs: 10
; ScratchSize: 0
; MemoryBound: 0
; FloatMode: 240
; IeeeMode: 1
; LDSByteSize: 128 bytes/workgroup (compile time only)
; SGPRBlocks: 1
; VGPRBlocks: 1
; NumSGPRsForWavesPerEU: 10
; NumVGPRsForWavesPerEU: 10
; Occupancy: 16
; WaveLimiterHint : 0
; COMPUTE_PGM_RSRC2:SCRATCH_EN: 0
; COMPUTE_PGM_RSRC2:USER_SGPR: 15
; COMPUTE_PGM_RSRC2:TRAP_HANDLER: 0
; COMPUTE_PGM_RSRC2:TGID_X_EN: 1
; COMPUTE_PGM_RSRC2:TGID_Y_EN: 0
; COMPUTE_PGM_RSRC2:TGID_Z_EN: 0
; COMPUTE_PGM_RSRC2:TIDIG_COMP_CNT: 0
	.section	.text._ZN2at6native12_GLOBAL__N_111flag_kernelILi512ELi16EhEEvPKT1_PlPKllli,"axG",@progbits,_ZN2at6native12_GLOBAL__N_111flag_kernelILi512ELi16EhEEvPKT1_PlPKllli,comdat
	.globl	_ZN2at6native12_GLOBAL__N_111flag_kernelILi512ELi16EhEEvPKT1_PlPKllli ; -- Begin function _ZN2at6native12_GLOBAL__N_111flag_kernelILi512ELi16EhEEvPKT1_PlPKllli
	.p2align	8
	.type	_ZN2at6native12_GLOBAL__N_111flag_kernelILi512ELi16EhEEvPKT1_PlPKllli,@function
_ZN2at6native12_GLOBAL__N_111flag_kernelILi512ELi16EhEEvPKT1_PlPKllli: ; @_ZN2at6native12_GLOBAL__N_111flag_kernelILi512ELi16EhEEvPKT1_PlPKllli
; %bb.0:
	s_clause 0x1
	s_load_b32 s14, s[0:1], 0x28
	s_load_b256 s[4:11], s[0:1], 0x0
	s_waitcnt lgkmcnt(0)
	s_lshl_b32 s2, s14, 13
	s_delay_alu instid0(SALU_CYCLE_1) | instskip(SKIP_4) | instid1(SALU_CYCLE_1)
	s_ashr_i32 s3, s2, 31
	s_mul_hi_u32 s12, s2, s15
	s_mul_i32 s3, s3, s15
	s_mul_i32 s28, s2, s15
	s_add_i32 s29, s12, s3
	v_cmp_le_i64_e64 s2, s[10:11], s[28:29]
	s_delay_alu instid0(VALU_DEP_1)
	s_and_b32 vcc_lo, exec_lo, s2
	s_cbranch_vccnz .LBB900_100
; %bb.1:
	s_load_b64 s[12:13], s[0:1], 0x20
	s_cmp_eq_u32 s15, 0
	s_mov_b32 s3, 0
	s_cbranch_scc1 .LBB900_3
; %bb.2:
	s_add_i32 s2, s15, -1
	s_delay_alu instid0(SALU_CYCLE_1) | instskip(NEXT) | instid1(SALU_CYCLE_1)
	s_lshl_b64 s[2:3], s[2:3], 3
	s_add_u32 s2, s8, s2
	s_addc_u32 s3, s9, s3
	s_load_b64 s[2:3], s[2:3], 0x0
	s_cmp_lt_i32 s14, 1
	s_cbranch_scc0 .LBB900_4
	s_branch .LBB900_100
.LBB900_3:
	s_mov_b64 s[2:3], 0
	s_cmp_lt_i32 s14, 1
	s_cbranch_scc1 .LBB900_100
.LBB900_4:
	v_mbcnt_lo_u32_b32 v21, -1, 0
	s_add_u32 s33, s4, s28
	s_addc_u32 s36, s5, s29
	s_waitcnt lgkmcnt(0)
	s_sub_u32 s30, s12, s2
	s_subb_u32 s31, s13, s3
	v_and_b32_e32 v4, 15, v21
	s_sub_u32 s34, s10, s28
	s_subb_u32 s35, s11, s29
	s_lshl_b64 s[2:3], s[2:3], 3
	v_dual_mov_b32 v1, 0 :: v_dual_lshlrev_b32 v2, 4, v0
	s_add_u32 s37, s6, s2
	s_addc_u32 s38, s7, s3
	v_cmp_eq_u32_e64 s2, 0, v4
	v_cmp_lt_u32_e64 s3, 1, v4
	v_cmp_lt_u32_e64 s4, 3, v4
	;; [unrolled: 1-line block ×3, first 2 shown]
	v_add_nc_u32_e32 v4, -1, v21
	v_and_b32_e32 v22, 0x3e00, v2
	v_and_b32_e32 v6, 16, v21
	v_lshrrev_b32_e32 v7, 3, v0
	v_lshlrev_b32_e32 v24, 2, v0
	v_cmp_gt_i32_e32 vcc_lo, 0, v4
	v_and_b32_e32 v3, 0x3e0, v0
	v_cmp_eq_u32_e64 s6, 0, v6
	v_or_b32_e32 v6, 0x800, v0
	v_dual_cndmask_b32 v4, v4, v21 :: v_dual_and_b32 v23, 0x7c, v7
	s_delay_alu instid0(VALU_DEP_4) | instskip(SKIP_1) | instid1(VALU_DEP_4)
	v_min_u32_e32 v5, 0x1e0, v3
	v_add_nc_u32_e32 v7, 0xa00, v0
	v_lshrrev_b32_e32 v6, 3, v6
	v_or_b32_e32 v41, v21, v22
	v_lshlrev_b32_e32 v26, 2, v4
	v_or_b32_e32 v5, 31, v5
	v_add_nc_u32_e32 v4, 0x200, v0
	v_lshrrev_b32_e32 v7, 3, v7
	v_or_b32_e32 v45, 32, v41
	v_or_b32_e32 v46, 64, v41
	v_cmp_eq_u32_e64 s7, v5, v0
	v_lshrrev_b32_e32 v5, 1, v0
	v_lshrrev_b32_e32 v4, 3, v4
	v_or_b32_e32 v47, 0x60, v41
	v_or_b32_e32 v48, 0x80, v41
	;; [unrolled: 1-line block ×3, first 2 shown]
	v_add_lshl_u32 v27, v5, v2, 2
	v_or_b32_e32 v2, 0x400, v0
	v_add_nc_u32_e32 v5, 0x600, v0
	v_and_b32_e32 v4, 0xfc, v4
	v_or_b32_e32 v50, 0xc0, v41
	v_or_b32_e32 v52, 0x100, v41
	v_lshrrev_b32_e32 v2, 3, v2
	v_lshrrev_b32_e32 v5, 3, v5
	v_add_nc_u32_e32 v29, v24, v4
	v_or_b32_e32 v51, 0xe0, v41
	v_or_b32_e32 v53, 0x120, v41
	v_and_b32_e32 v2, 0xfc, v2
	v_and_b32_e32 v4, 0x1fc, v5
	;; [unrolled: 1-line block ×4, first 2 shown]
	v_or_b32_e32 v7, 0x1400, v0
	v_add_nc_u32_e32 v30, v24, v2
	v_or_b32_e32 v2, 0xc00, v0
	v_add_nc_u32_e32 v31, v24, v4
	v_add_nc_u32_e32 v32, v24, v5
	;; [unrolled: 1-line block ×3, first 2 shown]
	v_or_b32_e32 v5, 0x1000, v0
	v_lshrrev_b32_e32 v2, 3, v2
	v_add_nc_u32_e32 v33, v24, v6
	v_add_nc_u32_e32 v6, 0x1200, v0
	v_lshrrev_b32_e32 v4, 3, v4
	v_lshrrev_b32_e32 v5, 3, v5
	v_and_b32_e32 v2, 0x1fc, v2
	v_lshrrev_b32_e32 v7, 3, v7
	v_lshrrev_b32_e32 v6, 3, v6
	v_and_b32_e32 v4, 0x3fc, v4
	v_or_b32_e32 v54, 0x140, v41
	v_add_nc_u32_e32 v34, v24, v2
	v_and_b32_e32 v2, 0x27c, v5
	v_and_b32_e32 v5, 0x2fc, v6
	;; [unrolled: 1-line block ×3, first 2 shown]
	v_add_nc_u32_e32 v35, v24, v4
	v_add_nc_u32_e32 v4, 0x1600, v0
	;; [unrolled: 1-line block ×3, first 2 shown]
	v_or_b32_e32 v2, 0x1800, v0
	v_add_nc_u32_e32 v37, v24, v5
	v_add_nc_u32_e32 v38, v24, v6
	v_lshrrev_b32_e32 v4, 3, v4
	v_add_nc_u32_e32 v5, 0x1a00, v0
	v_or_b32_e32 v6, 0x1c00, v0
	v_lshrrev_b32_e32 v2, 3, v2
	v_add_nc_u32_e32 v7, 0x1e00, v0
	v_and_b32_e32 v4, 0x3fc, v4
	v_lshrrev_b32_e32 v5, 3, v5
	v_lshrrev_b32_e32 v6, 3, v6
	v_and_b32_e32 v2, 0x37c, v2
	v_lshrrev_b32_e32 v7, 3, v7
	v_add_nc_u32_e32 v39, v24, v4
	v_and_b32_e32 v4, 0x3fc, v5
	v_and_b32_e32 v5, 0x3fc, v6
	v_add_nc_u32_e32 v40, v24, v2
	v_lshrrev_b32_e32 v2, 5, v22
	v_and_b32_e32 v6, 0x7fc, v7
	v_add_nc_u32_e32 v42, v24, v4
	v_add_nc_u32_e32 v43, v24, v5
	v_lshrrev_b32_e32 v4, 5, v45
	v_lshrrev_b32_e32 v5, 5, v46
	v_add_lshl_u32 v60, v2, v41, 2
	v_lshrrev_b32_e32 v2, 5, v47
	v_add_nc_u32_e32 v44, v24, v6
	v_or_b32_e32 v55, 0x160, v41
	v_add_lshl_u32 v61, v4, v45, 2
	v_add_lshl_u32 v62, v5, v46, 2
	v_lshrrev_b32_e32 v4, 5, v48
	v_lshrrev_b32_e32 v5, 5, v49
	;; [unrolled: 1-line block ×3, first 2 shown]
	v_add_lshl_u32 v63, v2, v47, 2
	v_lshrrev_b32_e32 v2, 5, v52
	v_or_b32_e32 v3, v21, v3
	v_or_b32_e32 v56, 0x180, v41
	;; [unrolled: 1-line block ×5, first 2 shown]
	v_lshrrev_b32_e32 v7, 5, v51
	v_add_lshl_u32 v64, v4, v48, 2
	v_add_lshl_u32 v65, v5, v49, 2
	;; [unrolled: 1-line block ×3, first 2 shown]
	v_lshrrev_b32_e32 v4, 5, v53
	v_lshrrev_b32_e32 v5, 5, v54
	;; [unrolled: 1-line block ×3, first 2 shown]
	v_add_lshl_u32 v68, v2, v52, 2
	v_lshlrev_b32_e32 v2, 4, v3
	v_bfe_u32 v3, v3, 1, 27
	v_add_lshl_u32 v67, v7, v51, 2
	v_add_lshl_u32 v69, v4, v53, 2
	;; [unrolled: 1-line block ×4, first 2 shown]
	v_lshrrev_b32_e32 v4, 5, v56
	v_lshrrev_b32_e32 v5, 5, v57
	;; [unrolled: 1-line block ×4, first 2 shown]
	v_add_lshl_u32 v72, v3, v2, 2
	v_cmp_gt_u32_e64 s8, 16, v0
	v_cmp_lt_u32_e64 s9, 31, v0
	v_add_nc_u32_e32 v25, -4, v23
	v_cmp_eq_u32_e64 s10, 0, v21
	v_cmp_eq_u32_e64 s11, 0, v0
	v_add_nc_u32_e32 v28, v24, v23
	v_add_lshl_u32 v73, v4, v56, 2
	v_add_lshl_u32 v74, v5, v57, 2
	;; [unrolled: 1-line block ×4, first 2 shown]
	v_add_nc_u32_e32 v77, 56, v72
	v_add_nc_u32_e32 v78, 48, v72
	v_add_nc_u32_e32 v79, 40, v72
	v_add_nc_u32_e32 v80, 32, v72
	v_add_nc_u32_e32 v81, 24, v72
	v_add_nc_u32_e32 v82, 16, v72
	v_add_nc_u32_e32 v83, 8, v72
	s_add_u32 s0, s0, 48
	s_addc_u32 s1, s1, 0
	s_add_i32 s39, s14, -1
	s_mov_b32 s12, 0
	s_branch .LBB900_6
.LBB900_5:                              ;   in Loop: Header=BB900_6 Depth=1
	s_cmp_eq_u32 s39, 0
	s_cselect_b32 s14, -1, 0
	s_delay_alu instid0(SALU_CYCLE_1)
	s_or_b32 s13, s13, s14
	s_add_u32 s34, s34, 0xffffe000
	s_addc_u32 s35, s35, -1
	s_and_not1_b32 vcc_lo, exec_lo, s13
	s_add_i32 s39, s39, -1
	s_cbranch_vccz .LBB900_100
.LBB900_6:                              ; =>This Inner Loop Header: Depth=1
	v_cmp_gt_i64_e64 s13, 0x2000, s[34:35]
	s_delay_alu instid0(VALU_DEP_1)
	s_and_b32 vcc_lo, exec_lo, s13
	s_mov_b32 s13, -1
	s_cbranch_vccz .LBB900_25
; %bb.7:                                ;   in Loop: Header=BB900_6 Depth=1
	v_add_co_u32 v2, s13, s33, v21
	s_delay_alu instid0(VALU_DEP_1) | instskip(SKIP_1) | instid1(VALU_DEP_2)
	v_add_co_ci_u32_e64 v3, null, s36, 0, s13
	s_mov_b32 s13, s12
	v_add_co_u32 v18, vcc_lo, v2, v22
	s_mov_b32 s14, s12
	s_mov_b32 s15, s12
	;; [unrolled: 1-line block ×14, first 2 shown]
	v_add_co_ci_u32_e32 v19, vcc_lo, 0, v3, vcc_lo
	v_dual_mov_b32 v2, s12 :: v_dual_mov_b32 v3, s13
	v_dual_mov_b32 v4, s14 :: v_dual_mov_b32 v5, s15
	;; [unrolled: 1-line block ×8, first 2 shown]
	v_mov_b32_e32 v2, 0
	s_mov_b32 s13, exec_lo
	v_cmpx_gt_u32_e64 s34, v41
	s_cbranch_execnz .LBB900_85
; %bb.8:                                ;   in Loop: Header=BB900_6 Depth=1
	s_or_b32 exec_lo, exec_lo, s13
	s_delay_alu instid0(SALU_CYCLE_1)
	s_mov_b32 s13, exec_lo
	v_cmpx_gt_u32_e64 s34, v45
	s_cbranch_execnz .LBB900_86
.LBB900_9:                              ;   in Loop: Header=BB900_6 Depth=1
	s_or_b32 exec_lo, exec_lo, s13
	s_delay_alu instid0(SALU_CYCLE_1)
	s_mov_b32 s13, exec_lo
	v_cmpx_gt_u32_e64 s34, v46
	s_cbranch_execnz .LBB900_87
.LBB900_10:                             ;   in Loop: Header=BB900_6 Depth=1
	s_or_b32 exec_lo, exec_lo, s13
	s_delay_alu instid0(SALU_CYCLE_1)
	s_mov_b32 s13, exec_lo
	v_cmpx_gt_u32_e64 s34, v47
	s_cbranch_execnz .LBB900_88
.LBB900_11:                             ;   in Loop: Header=BB900_6 Depth=1
	s_or_b32 exec_lo, exec_lo, s13
	s_delay_alu instid0(SALU_CYCLE_1)
	s_mov_b32 s13, exec_lo
	v_cmpx_gt_u32_e64 s34, v48
	s_cbranch_execnz .LBB900_89
.LBB900_12:                             ;   in Loop: Header=BB900_6 Depth=1
	s_or_b32 exec_lo, exec_lo, s13
	s_delay_alu instid0(SALU_CYCLE_1)
	s_mov_b32 s13, exec_lo
	v_cmpx_gt_u32_e64 s34, v49
	s_cbranch_execnz .LBB900_90
.LBB900_13:                             ;   in Loop: Header=BB900_6 Depth=1
	s_or_b32 exec_lo, exec_lo, s13
	s_delay_alu instid0(SALU_CYCLE_1)
	s_mov_b32 s13, exec_lo
	v_cmpx_gt_u32_e64 s34, v50
	s_cbranch_execnz .LBB900_91
.LBB900_14:                             ;   in Loop: Header=BB900_6 Depth=1
	s_or_b32 exec_lo, exec_lo, s13
	s_delay_alu instid0(SALU_CYCLE_1)
	s_mov_b32 s13, exec_lo
	v_cmpx_gt_u32_e64 s34, v51
	s_cbranch_execnz .LBB900_92
.LBB900_15:                             ;   in Loop: Header=BB900_6 Depth=1
	s_or_b32 exec_lo, exec_lo, s13
	s_delay_alu instid0(SALU_CYCLE_1)
	s_mov_b32 s13, exec_lo
	v_cmpx_gt_u32_e64 s34, v52
	s_cbranch_execnz .LBB900_93
.LBB900_16:                             ;   in Loop: Header=BB900_6 Depth=1
	s_or_b32 exec_lo, exec_lo, s13
	s_delay_alu instid0(SALU_CYCLE_1)
	s_mov_b32 s13, exec_lo
	v_cmpx_gt_u32_e64 s34, v53
	s_cbranch_execnz .LBB900_94
.LBB900_17:                             ;   in Loop: Header=BB900_6 Depth=1
	s_or_b32 exec_lo, exec_lo, s13
	s_delay_alu instid0(SALU_CYCLE_1)
	s_mov_b32 s13, exec_lo
	v_cmpx_gt_u32_e64 s34, v54
	s_cbranch_execnz .LBB900_95
.LBB900_18:                             ;   in Loop: Header=BB900_6 Depth=1
	s_or_b32 exec_lo, exec_lo, s13
	s_delay_alu instid0(SALU_CYCLE_1)
	s_mov_b32 s13, exec_lo
	v_cmpx_gt_u32_e64 s34, v55
	s_cbranch_execnz .LBB900_96
.LBB900_19:                             ;   in Loop: Header=BB900_6 Depth=1
	s_or_b32 exec_lo, exec_lo, s13
	s_delay_alu instid0(SALU_CYCLE_1)
	s_mov_b32 s13, exec_lo
	v_cmpx_gt_u32_e64 s34, v56
	s_cbranch_execnz .LBB900_97
.LBB900_20:                             ;   in Loop: Header=BB900_6 Depth=1
	s_or_b32 exec_lo, exec_lo, s13
	s_delay_alu instid0(SALU_CYCLE_1)
	s_mov_b32 s13, exec_lo
	v_cmpx_gt_u32_e64 s34, v57
	s_cbranch_execnz .LBB900_98
.LBB900_21:                             ;   in Loop: Header=BB900_6 Depth=1
	s_or_b32 exec_lo, exec_lo, s13
	s_delay_alu instid0(SALU_CYCLE_1)
	s_mov_b32 s13, exec_lo
	v_cmpx_gt_u32_e64 s34, v58
	s_cbranch_execnz .LBB900_99
.LBB900_22:                             ;   in Loop: Header=BB900_6 Depth=1
	s_or_b32 exec_lo, exec_lo, s13
	s_delay_alu instid0(SALU_CYCLE_1)
	s_mov_b32 s13, exec_lo
	v_cmpx_gt_u32_e64 s34, v59
	s_cbranch_execz .LBB900_24
.LBB900_23:                             ;   in Loop: Header=BB900_6 Depth=1
	global_load_u8 v17, v[18:19], off offset:480
	s_waitcnt vmcnt(0)
	v_cmp_ne_u16_e32 vcc_lo, 0, v17
	v_cndmask_b32_e64 v17, 0, 1, vcc_lo
.LBB900_24:                             ;   in Loop: Header=BB900_6 Depth=1
	s_or_b32 exec_lo, exec_lo, s13
	s_mov_b32 s13, 0
	ds_store_b32 v60, v2
	ds_store_b32 v61, v3
	;; [unrolled: 1-line block ×16, first 2 shown]
	; wave barrier
.LBB900_25:                             ;   in Loop: Header=BB900_6 Depth=1
	s_and_b32 vcc_lo, exec_lo, s13
	s_cbranch_vccz .LBB900_27
; %bb.26:                               ;   in Loop: Header=BB900_6 Depth=1
	v_add_co_u32 v2, s13, s33, v21
	s_delay_alu instid0(VALU_DEP_1) | instskip(NEXT) | instid1(VALU_DEP_2)
	v_add_co_ci_u32_e64 v3, null, s36, 0, s13
	v_add_co_u32 v2, vcc_lo, v2, v22
	s_delay_alu instid0(VALU_DEP_2)
	v_add_co_ci_u32_e32 v3, vcc_lo, 0, v3, vcc_lo
	s_clause 0xf
	global_load_u8 v4, v[2:3], off
	global_load_u8 v5, v[2:3], off offset:32
	global_load_u8 v6, v[2:3], off offset:64
	;; [unrolled: 1-line block ×15, first 2 shown]
	s_waitcnt vmcnt(15)
	v_cmp_ne_u16_e32 vcc_lo, 0, v4
	v_cndmask_b32_e64 v3, 0, 1, vcc_lo
	s_waitcnt vmcnt(14)
	v_cmp_ne_u16_e32 vcc_lo, 0, v5
	v_cndmask_b32_e64 v4, 0, 1, vcc_lo
	;; [unrolled: 3-line block ×16, first 2 shown]
	ds_store_b32 v60, v3
	ds_store_b32 v61, v4
	;; [unrolled: 1-line block ×16, first 2 shown]
	; wave barrier
.LBB900_27:                             ;   in Loop: Header=BB900_6 Depth=1
	ds_load_2addr_b32 v[16:17], v72 offset1:1
	ds_load_2addr_b32 v[12:13], v83 offset1:1
	;; [unrolled: 1-line block ×6, first 2 shown]
	s_waitcnt lgkmcnt(5)
	v_add_nc_u32_e32 v2, v17, v16
	s_waitcnt lgkmcnt(4)
	s_delay_alu instid0(VALU_DEP_1) | instskip(SKIP_1) | instid1(VALU_DEP_1)
	v_add3_u32 v2, v2, v12, v13
	s_waitcnt lgkmcnt(3)
	v_add3_u32 v18, v2, v8, v9
	ds_load_2addr_b32 v[4:5], v78 offset1:1
	ds_load_2addr_b32 v[2:3], v77 offset1:1
	s_waitcnt lgkmcnt(0)
	s_waitcnt_vscnt null, 0x0
	s_barrier
	buffer_gl0_inv
	v_add3_u32 v18, v18, v6, v7
	s_delay_alu instid0(VALU_DEP_1) | instskip(NEXT) | instid1(VALU_DEP_1)
	v_add3_u32 v18, v18, v14, v15
	v_add3_u32 v18, v18, v10, v11
	s_delay_alu instid0(VALU_DEP_1) | instskip(NEXT) | instid1(VALU_DEP_1)
	v_add3_u32 v18, v18, v4, v5
	v_add3_u32 v18, v18, v2, v3
	s_delay_alu instid0(VALU_DEP_1) | instskip(NEXT) | instid1(VALU_DEP_1)
	v_mov_b32_dpp v19, v18 row_shr:1 row_mask:0xf bank_mask:0xf
	v_cndmask_b32_e64 v19, v19, 0, s2
	s_delay_alu instid0(VALU_DEP_1) | instskip(NEXT) | instid1(VALU_DEP_1)
	v_add_nc_u32_e32 v18, v18, v19
	v_mov_b32_dpp v19, v18 row_shr:2 row_mask:0xf bank_mask:0xf
	s_delay_alu instid0(VALU_DEP_1) | instskip(NEXT) | instid1(VALU_DEP_1)
	v_cndmask_b32_e64 v19, 0, v19, s3
	v_add_nc_u32_e32 v18, v18, v19
	s_delay_alu instid0(VALU_DEP_1) | instskip(NEXT) | instid1(VALU_DEP_1)
	v_mov_b32_dpp v19, v18 row_shr:4 row_mask:0xf bank_mask:0xf
	v_cndmask_b32_e64 v19, 0, v19, s4
	s_delay_alu instid0(VALU_DEP_1) | instskip(NEXT) | instid1(VALU_DEP_1)
	v_add_nc_u32_e32 v18, v18, v19
	v_mov_b32_dpp v19, v18 row_shr:8 row_mask:0xf bank_mask:0xf
	s_delay_alu instid0(VALU_DEP_1) | instskip(NEXT) | instid1(VALU_DEP_1)
	v_cndmask_b32_e64 v19, 0, v19, s5
	v_add_nc_u32_e32 v18, v18, v19
	ds_swizzle_b32 v19, v18 offset:swizzle(BROADCAST,32,15)
	s_waitcnt lgkmcnt(0)
	v_cndmask_b32_e64 v19, v19, 0, s6
	s_delay_alu instid0(VALU_DEP_1)
	v_add_nc_u32_e32 v18, v18, v19
	s_and_saveexec_b32 s13, s7
	s_cbranch_execz .LBB900_29
; %bb.28:                               ;   in Loop: Header=BB900_6 Depth=1
	ds_store_b32 v23, v18
.LBB900_29:                             ;   in Loop: Header=BB900_6 Depth=1
	s_or_b32 exec_lo, exec_lo, s13
	s_waitcnt lgkmcnt(0)
	s_barrier
	buffer_gl0_inv
	s_and_saveexec_b32 s13, s8
	s_cbranch_execz .LBB900_31
; %bb.30:                               ;   in Loop: Header=BB900_6 Depth=1
	ds_load_b32 v19, v24
	s_waitcnt lgkmcnt(0)
	v_mov_b32_dpp v20, v19 row_shr:1 row_mask:0xf bank_mask:0xf
	s_delay_alu instid0(VALU_DEP_1) | instskip(NEXT) | instid1(VALU_DEP_1)
	v_cndmask_b32_e64 v20, v20, 0, s2
	v_add_nc_u32_e32 v19, v20, v19
	s_delay_alu instid0(VALU_DEP_1) | instskip(NEXT) | instid1(VALU_DEP_1)
	v_mov_b32_dpp v20, v19 row_shr:2 row_mask:0xf bank_mask:0xf
	v_cndmask_b32_e64 v20, 0, v20, s3
	s_delay_alu instid0(VALU_DEP_1) | instskip(NEXT) | instid1(VALU_DEP_1)
	v_add_nc_u32_e32 v19, v19, v20
	v_mov_b32_dpp v20, v19 row_shr:4 row_mask:0xf bank_mask:0xf
	s_delay_alu instid0(VALU_DEP_1) | instskip(NEXT) | instid1(VALU_DEP_1)
	v_cndmask_b32_e64 v20, 0, v20, s4
	v_add_nc_u32_e32 v19, v19, v20
	s_delay_alu instid0(VALU_DEP_1) | instskip(NEXT) | instid1(VALU_DEP_1)
	v_mov_b32_dpp v20, v19 row_shr:8 row_mask:0xf bank_mask:0xf
	v_cndmask_b32_e64 v20, 0, v20, s5
	s_delay_alu instid0(VALU_DEP_1)
	v_add_nc_u32_e32 v19, v19, v20
	ds_store_b32 v24, v19
.LBB900_31:                             ;   in Loop: Header=BB900_6 Depth=1
	s_or_b32 exec_lo, exec_lo, s13
	v_mov_b32_e32 v19, 0
	s_waitcnt lgkmcnt(0)
	s_barrier
	buffer_gl0_inv
	s_and_saveexec_b32 s13, s9
	s_cbranch_execz .LBB900_33
; %bb.32:                               ;   in Loop: Header=BB900_6 Depth=1
	ds_load_b32 v19, v25
.LBB900_33:                             ;   in Loop: Header=BB900_6 Depth=1
	s_or_b32 exec_lo, exec_lo, s13
	s_waitcnt lgkmcnt(0)
	v_add_nc_u32_e32 v18, v19, v18
	ds_bpermute_b32 v18, v26, v18
	s_and_saveexec_b32 s13, s11
	s_cbranch_execz .LBB900_35
; %bb.34:                               ;   in Loop: Header=BB900_6 Depth=1
	ds_load_b32 v20, v1 offset:60
	s_waitcnt lgkmcnt(0)
	ds_store_b32 v1, v20 offset:33792
.LBB900_35:                             ;   in Loop: Header=BB900_6 Depth=1
	s_or_b32 exec_lo, exec_lo, s13
	s_waitcnt lgkmcnt(0)
	v_cndmask_b32_e64 v18, v18, v19, s10
	s_barrier
	buffer_gl0_inv
	ds_store_2addr_b32 v27, v16, v17 offset1:1
	ds_store_2addr_b32 v27, v12, v13 offset0:2 offset1:3
	ds_store_2addr_b32 v27, v8, v9 offset0:4 offset1:5
	;; [unrolled: 1-line block ×3, first 2 shown]
	v_cndmask_b32_e64 v18, v18, 0, s11
	ds_store_2addr_b32 v27, v14, v15 offset0:8 offset1:9
	ds_store_2addr_b32 v27, v10, v11 offset0:10 offset1:11
	;; [unrolled: 1-line block ×4, first 2 shown]
	s_waitcnt lgkmcnt(0)
	s_barrier
	buffer_gl0_inv
	v_add_nc_u32_e32 v19, v18, v16
	ds_load_b32 v108, v28
	ds_load_b32 v98, v29 offset:2048
	ds_load_b32 v97, v30 offset:4096
	;; [unrolled: 1-line block ×15, first 2 shown]
	s_waitcnt lgkmcnt(0)
	s_barrier
	v_add_nc_u32_e32 v20, v19, v17
	buffer_gl0_inv
	v_add_nc_u32_e32 v99, v20, v12
	s_delay_alu instid0(VALU_DEP_1) | instskip(NEXT) | instid1(VALU_DEP_1)
	v_add_nc_u32_e32 v100, v99, v13
	v_add_nc_u32_e32 v101, v100, v8
	s_delay_alu instid0(VALU_DEP_1) | instskip(NEXT) | instid1(VALU_DEP_1)
	v_add_nc_u32_e32 v102, v101, v9
	;; [unrolled: 3-line block ×6, first 2 shown]
	v_add_nc_u32_e32 v2, v4, v2
	ds_store_2addr_b32 v27, v18, v19 offset1:1
	ds_store_2addr_b32 v27, v20, v99 offset0:2 offset1:3
	ds_store_2addr_b32 v27, v100, v101 offset0:4 offset1:5
	;; [unrolled: 1-line block ×7, first 2 shown]
	s_waitcnt lgkmcnt(0)
	s_barrier
	buffer_gl0_inv
	ds_load_b32 v18, v29 offset:2048
	ds_load_b32 v17, v30 offset:4096
	;; [unrolled: 1-line block ×15, first 2 shown]
	v_add_co_u32 v2, s13, s28, v0
	s_delay_alu instid0(VALU_DEP_1)
	v_add_co_ci_u32_e64 v3, null, s29, 0, s13
	s_mov_b32 s13, exec_lo
	v_cmpx_ne_u32_e32 0, v108
	s_cbranch_execz .LBB900_38
; %bb.36:                               ;   in Loop: Header=BB900_6 Depth=1
	ds_load_b32 v19, v28
	s_waitcnt lgkmcnt(0)
	v_ashrrev_i32_e32 v20, 31, v19
	s_delay_alu instid0(VALU_DEP_1)
	v_cmp_gt_i64_e32 vcc_lo, s[30:31], v[19:20]
	s_and_b32 exec_lo, exec_lo, vcc_lo
	s_cbranch_execz .LBB900_38
; %bb.37:                               ;   in Loop: Header=BB900_6 Depth=1
	v_lshlrev_b64 v[19:20], 3, v[19:20]
	s_delay_alu instid0(VALU_DEP_1) | instskip(NEXT) | instid1(VALU_DEP_2)
	v_add_co_u32 v19, vcc_lo, s37, v19
	v_add_co_ci_u32_e32 v20, vcc_lo, s38, v20, vcc_lo
	global_store_b64 v[19:20], v[2:3], off
.LBB900_38:                             ;   in Loop: Header=BB900_6 Depth=1
	s_or_b32 exec_lo, exec_lo, s13
	s_delay_alu instid0(SALU_CYCLE_1)
	s_mov_b32 s13, exec_lo
	v_cmpx_ne_u32_e32 0, v98
	s_cbranch_execz .LBB900_41
; %bb.39:                               ;   in Loop: Header=BB900_6 Depth=1
	s_waitcnt lgkmcnt(14)
	v_ashrrev_i32_e32 v19, 31, v18
	s_delay_alu instid0(VALU_DEP_1)
	v_cmp_gt_i64_e32 vcc_lo, s[30:31], v[18:19]
	s_and_b32 exec_lo, exec_lo, vcc_lo
	s_cbranch_execz .LBB900_41
; %bb.40:                               ;   in Loop: Header=BB900_6 Depth=1
	s_load_b32 s14, s[0:1], 0xc
	v_lshlrev_b64 v[18:19], 3, v[18:19]
	s_waitcnt lgkmcnt(0)
	s_and_b32 s14, s14, 0xffff
	s_delay_alu instid0(SALU_CYCLE_1) | instskip(SKIP_1) | instid1(VALU_DEP_3)
	v_add_co_u32 v98, vcc_lo, v2, s14
	v_add_co_ci_u32_e32 v99, vcc_lo, 0, v3, vcc_lo
	v_add_co_u32 v18, vcc_lo, s37, v18
	v_add_co_ci_u32_e32 v19, vcc_lo, s38, v19, vcc_lo
	global_store_b64 v[18:19], v[98:99], off
.LBB900_41:                             ;   in Loop: Header=BB900_6 Depth=1
	s_or_b32 exec_lo, exec_lo, s13
	s_delay_alu instid0(SALU_CYCLE_1)
	s_mov_b32 s13, exec_lo
	v_cmpx_ne_u32_e32 0, v97
	s_cbranch_execz .LBB900_44
; %bb.42:                               ;   in Loop: Header=BB900_6 Depth=1
	s_waitcnt lgkmcnt(13)
	v_ashrrev_i32_e32 v18, 31, v17
	s_delay_alu instid0(VALU_DEP_1)
	v_cmp_gt_i64_e32 vcc_lo, s[30:31], v[17:18]
	s_and_b32 exec_lo, exec_lo, vcc_lo
	s_cbranch_execz .LBB900_44
; %bb.43:                               ;   in Loop: Header=BB900_6 Depth=1
	s_load_b32 s14, s[0:1], 0xc
	v_lshlrev_b64 v[17:18], 3, v[17:18]
	s_waitcnt lgkmcnt(0)
	s_and_b32 s14, s14, 0xffff
	s_delay_alu instid0(SALU_CYCLE_1) | instskip(NEXT) | instid1(SALU_CYCLE_1)
	s_lshl_b32 s14, s14, 1
	v_add_co_u32 v19, vcc_lo, v2, s14
	v_add_co_ci_u32_e32 v20, vcc_lo, 0, v3, vcc_lo
	v_add_co_u32 v17, vcc_lo, s37, v17
	v_add_co_ci_u32_e32 v18, vcc_lo, s38, v18, vcc_lo
	global_store_b64 v[17:18], v[19:20], off
.LBB900_44:                             ;   in Loop: Header=BB900_6 Depth=1
	s_or_b32 exec_lo, exec_lo, s13
	s_delay_alu instid0(SALU_CYCLE_1)
	s_mov_b32 s13, exec_lo
	v_cmpx_ne_u32_e32 0, v96
	s_cbranch_execz .LBB900_47
; %bb.45:                               ;   in Loop: Header=BB900_6 Depth=1
	s_waitcnt lgkmcnt(12)
	v_ashrrev_i32_e32 v17, 31, v16
	s_delay_alu instid0(VALU_DEP_1)
	v_cmp_gt_i64_e32 vcc_lo, s[30:31], v[16:17]
	s_and_b32 exec_lo, exec_lo, vcc_lo
	s_cbranch_execz .LBB900_47
; %bb.46:                               ;   in Loop: Header=BB900_6 Depth=1
	s_load_b32 s14, s[0:1], 0xc
	v_lshlrev_b64 v[16:17], 3, v[16:17]
	s_delay_alu instid0(VALU_DEP_1) | instskip(NEXT) | instid1(VALU_DEP_2)
	v_add_co_u32 v16, vcc_lo, s37, v16
	v_add_co_ci_u32_e32 v17, vcc_lo, s38, v17, vcc_lo
	s_waitcnt lgkmcnt(0)
	s_and_b32 s14, s14, 0xffff
	s_delay_alu instid0(SALU_CYCLE_1)
	v_mad_u64_u32 v[18:19], null, s14, 3, v[2:3]
	global_store_b64 v[16:17], v[18:19], off
.LBB900_47:                             ;   in Loop: Header=BB900_6 Depth=1
	s_or_b32 exec_lo, exec_lo, s13
	s_delay_alu instid0(SALU_CYCLE_1)
	s_mov_b32 s13, exec_lo
	v_cmpx_ne_u32_e32 0, v95
	s_cbranch_execz .LBB900_50
; %bb.48:                               ;   in Loop: Header=BB900_6 Depth=1
	s_waitcnt lgkmcnt(11)
	v_ashrrev_i32_e32 v16, 31, v15
	s_delay_alu instid0(VALU_DEP_1)
	v_cmp_gt_i64_e32 vcc_lo, s[30:31], v[15:16]
	s_and_b32 exec_lo, exec_lo, vcc_lo
	s_cbranch_execz .LBB900_50
; %bb.49:                               ;   in Loop: Header=BB900_6 Depth=1
	s_load_b32 s14, s[0:1], 0xc
	v_lshlrev_b64 v[15:16], 3, v[15:16]
	s_waitcnt lgkmcnt(0)
	s_and_b32 s14, s14, 0xffff
	s_delay_alu instid0(SALU_CYCLE_1) | instskip(NEXT) | instid1(SALU_CYCLE_1)
	s_lshl_b32 s14, s14, 2
	v_add_co_u32 v17, vcc_lo, v2, s14
	v_add_co_ci_u32_e32 v18, vcc_lo, 0, v3, vcc_lo
	v_add_co_u32 v15, vcc_lo, s37, v15
	v_add_co_ci_u32_e32 v16, vcc_lo, s38, v16, vcc_lo
	global_store_b64 v[15:16], v[17:18], off
.LBB900_50:                             ;   in Loop: Header=BB900_6 Depth=1
	s_or_b32 exec_lo, exec_lo, s13
	s_delay_alu instid0(SALU_CYCLE_1)
	s_mov_b32 s13, exec_lo
	v_cmpx_ne_u32_e32 0, v94
	s_cbranch_execz .LBB900_53
; %bb.51:                               ;   in Loop: Header=BB900_6 Depth=1
	s_waitcnt lgkmcnt(10)
	v_ashrrev_i32_e32 v15, 31, v14
	s_delay_alu instid0(VALU_DEP_1)
	v_cmp_gt_i64_e32 vcc_lo, s[30:31], v[14:15]
	s_and_b32 exec_lo, exec_lo, vcc_lo
	s_cbranch_execz .LBB900_53
; %bb.52:                               ;   in Loop: Header=BB900_6 Depth=1
	s_load_b32 s14, s[0:1], 0xc
	v_lshlrev_b64 v[14:15], 3, v[14:15]
	s_delay_alu instid0(VALU_DEP_1) | instskip(NEXT) | instid1(VALU_DEP_2)
	v_add_co_u32 v14, vcc_lo, s37, v14
	v_add_co_ci_u32_e32 v15, vcc_lo, s38, v15, vcc_lo
	s_waitcnt lgkmcnt(0)
	s_and_b32 s14, s14, 0xffff
	s_delay_alu instid0(SALU_CYCLE_1)
	v_mad_u64_u32 v[16:17], null, s14, 5, v[2:3]
	global_store_b64 v[14:15], v[16:17], off
.LBB900_53:                             ;   in Loop: Header=BB900_6 Depth=1
	s_or_b32 exec_lo, exec_lo, s13
	s_delay_alu instid0(SALU_CYCLE_1)
	s_mov_b32 s13, exec_lo
	v_cmpx_ne_u32_e32 0, v93
	s_cbranch_execz .LBB900_56
; %bb.54:                               ;   in Loop: Header=BB900_6 Depth=1
	s_waitcnt lgkmcnt(9)
	v_ashrrev_i32_e32 v14, 31, v13
	s_delay_alu instid0(VALU_DEP_1)
	v_cmp_gt_i64_e32 vcc_lo, s[30:31], v[13:14]
	s_and_b32 exec_lo, exec_lo, vcc_lo
	s_cbranch_execz .LBB900_56
; %bb.55:                               ;   in Loop: Header=BB900_6 Depth=1
	s_load_b32 s14, s[0:1], 0xc
	v_lshlrev_b64 v[13:14], 3, v[13:14]
	s_delay_alu instid0(VALU_DEP_1) | instskip(NEXT) | instid1(VALU_DEP_2)
	v_add_co_u32 v13, vcc_lo, s37, v13
	v_add_co_ci_u32_e32 v14, vcc_lo, s38, v14, vcc_lo
	s_waitcnt lgkmcnt(0)
	s_and_b32 s14, s14, 0xffff
	s_delay_alu instid0(SALU_CYCLE_1)
	v_mad_u64_u32 v[15:16], null, s14, 6, v[2:3]
	global_store_b64 v[13:14], v[15:16], off
.LBB900_56:                             ;   in Loop: Header=BB900_6 Depth=1
	;; [unrolled: 24-line block ×3, first 2 shown]
	s_or_b32 exec_lo, exec_lo, s13
	s_delay_alu instid0(SALU_CYCLE_1)
	s_mov_b32 s13, exec_lo
	v_cmpx_ne_u32_e32 0, v91
	s_cbranch_execz .LBB900_62
; %bb.60:                               ;   in Loop: Header=BB900_6 Depth=1
	s_waitcnt lgkmcnt(7)
	v_ashrrev_i32_e32 v12, 31, v11
	s_delay_alu instid0(VALU_DEP_1)
	v_cmp_gt_i64_e32 vcc_lo, s[30:31], v[11:12]
	s_and_b32 exec_lo, exec_lo, vcc_lo
	s_cbranch_execz .LBB900_62
; %bb.61:                               ;   in Loop: Header=BB900_6 Depth=1
	s_load_b32 s14, s[0:1], 0xc
	v_lshlrev_b64 v[11:12], 3, v[11:12]
	s_waitcnt lgkmcnt(0)
	s_and_b32 s14, s14, 0xffff
	s_delay_alu instid0(SALU_CYCLE_1) | instskip(NEXT) | instid1(SALU_CYCLE_1)
	s_lshl_b32 s14, s14, 3
	v_add_co_u32 v13, vcc_lo, v2, s14
	v_add_co_ci_u32_e32 v14, vcc_lo, 0, v3, vcc_lo
	v_add_co_u32 v11, vcc_lo, s37, v11
	v_add_co_ci_u32_e32 v12, vcc_lo, s38, v12, vcc_lo
	global_store_b64 v[11:12], v[13:14], off
.LBB900_62:                             ;   in Loop: Header=BB900_6 Depth=1
	s_or_b32 exec_lo, exec_lo, s13
	s_delay_alu instid0(SALU_CYCLE_1)
	s_mov_b32 s13, exec_lo
	v_cmpx_ne_u32_e32 0, v90
	s_cbranch_execz .LBB900_65
; %bb.63:                               ;   in Loop: Header=BB900_6 Depth=1
	s_waitcnt lgkmcnt(6)
	v_ashrrev_i32_e32 v11, 31, v10
	s_delay_alu instid0(VALU_DEP_1)
	v_cmp_gt_i64_e32 vcc_lo, s[30:31], v[10:11]
	s_and_b32 exec_lo, exec_lo, vcc_lo
	s_cbranch_execz .LBB900_65
; %bb.64:                               ;   in Loop: Header=BB900_6 Depth=1
	s_load_b32 s14, s[0:1], 0xc
	v_lshlrev_b64 v[10:11], 3, v[10:11]
	s_delay_alu instid0(VALU_DEP_1) | instskip(NEXT) | instid1(VALU_DEP_2)
	v_add_co_u32 v10, vcc_lo, s37, v10
	v_add_co_ci_u32_e32 v11, vcc_lo, s38, v11, vcc_lo
	s_waitcnt lgkmcnt(0)
	s_and_b32 s14, s14, 0xffff
	s_delay_alu instid0(SALU_CYCLE_1)
	v_mad_u64_u32 v[12:13], null, s14, 9, v[2:3]
	global_store_b64 v[10:11], v[12:13], off
.LBB900_65:                             ;   in Loop: Header=BB900_6 Depth=1
	s_or_b32 exec_lo, exec_lo, s13
	s_delay_alu instid0(SALU_CYCLE_1)
	s_mov_b32 s13, exec_lo
	v_cmpx_ne_u32_e32 0, v89
	s_cbranch_execz .LBB900_68
; %bb.66:                               ;   in Loop: Header=BB900_6 Depth=1
	s_waitcnt lgkmcnt(5)
	v_ashrrev_i32_e32 v10, 31, v9
	s_delay_alu instid0(VALU_DEP_1)
	v_cmp_gt_i64_e32 vcc_lo, s[30:31], v[9:10]
	s_and_b32 exec_lo, exec_lo, vcc_lo
	s_cbranch_execz .LBB900_68
; %bb.67:                               ;   in Loop: Header=BB900_6 Depth=1
	s_load_b32 s14, s[0:1], 0xc
	v_lshlrev_b64 v[9:10], 3, v[9:10]
	s_delay_alu instid0(VALU_DEP_1) | instskip(NEXT) | instid1(VALU_DEP_2)
	v_add_co_u32 v9, vcc_lo, s37, v9
	v_add_co_ci_u32_e32 v10, vcc_lo, s38, v10, vcc_lo
	s_waitcnt lgkmcnt(0)
	s_and_b32 s14, s14, 0xffff
	s_delay_alu instid0(SALU_CYCLE_1)
	v_mad_u64_u32 v[11:12], null, s14, 10, v[2:3]
	global_store_b64 v[9:10], v[11:12], off
.LBB900_68:                             ;   in Loop: Header=BB900_6 Depth=1
	;; [unrolled: 24-line block ×6, first 2 shown]
	s_or_b32 exec_lo, exec_lo, s13
	s_delay_alu instid0(SALU_CYCLE_1)
	s_mov_b32 s13, exec_lo
	v_cmpx_ne_u32_e32 0, v84
	s_cbranch_execz .LBB900_83
; %bb.81:                               ;   in Loop: Header=BB900_6 Depth=1
	s_waitcnt lgkmcnt(0)
	v_ashrrev_i32_e32 v5, 31, v4
	s_delay_alu instid0(VALU_DEP_1)
	v_cmp_gt_i64_e32 vcc_lo, s[30:31], v[4:5]
	s_and_b32 exec_lo, exec_lo, vcc_lo
	s_cbranch_execz .LBB900_83
; %bb.82:                               ;   in Loop: Header=BB900_6 Depth=1
	s_load_b32 s14, s[0:1], 0xc
	v_lshlrev_b64 v[4:5], 3, v[4:5]
	s_waitcnt lgkmcnt(0)
	s_and_b32 s14, s14, 0xffff
	s_delay_alu instid0(SALU_CYCLE_1) | instskip(NEXT) | instid1(VALU_DEP_2)
	v_mad_u64_u32 v[6:7], null, s14, 15, v[2:3]
	v_add_co_u32 v2, vcc_lo, s37, v4
	s_delay_alu instid0(VALU_DEP_3)
	v_add_co_ci_u32_e32 v3, vcc_lo, s38, v5, vcc_lo
	global_store_b64 v[2:3], v[6:7], off
.LBB900_83:                             ;   in Loop: Header=BB900_6 Depth=1
	s_or_b32 exec_lo, exec_lo, s13
	ds_load_b32 v2, v1 offset:33792
	v_cmp_gt_i64_e64 s13, 0x2001, s[34:35]
	s_waitcnt lgkmcnt(0)
	v_readfirstlane_b32 s14, v2
	s_delay_alu instid0(VALU_DEP_1) | instskip(SKIP_2) | instid1(SALU_CYCLE_1)
	s_ashr_i32 s15, s14, 31
	s_sub_u32 s30, s30, s14
	s_subb_u32 s31, s31, s15
	v_cmp_lt_i64_e64 s16, s[30:31], 1
	s_delay_alu instid0(VALU_DEP_1) | instskip(NEXT) | instid1(SALU_CYCLE_1)
	s_or_b32 s13, s13, s16
	s_and_b32 vcc_lo, exec_lo, s13
	s_cbranch_vccnz .LBB900_5
; %bb.84:                               ;   in Loop: Header=BB900_6 Depth=1
	s_add_u32 s28, s28, 0x2000
	s_addc_u32 s29, s29, 0
	s_add_u32 s33, s33, 0x2000
	s_addc_u32 s36, s36, 0
	s_lshl_b64 s[14:15], s[14:15], 3
	s_waitcnt_vscnt null, 0x0
	s_add_u32 s37, s37, s14
	s_addc_u32 s38, s38, s15
	s_barrier
	buffer_gl0_inv
	s_branch .LBB900_5
.LBB900_85:                             ;   in Loop: Header=BB900_6 Depth=1
	global_load_u8 v20, v[18:19], off
	v_mov_b32_e32 v15, v1
	v_mov_b32_e32 v2, v1
	;; [unrolled: 1-line block ×15, first 2 shown]
	s_delay_alu instid0(VALU_DEP_2)
	v_dual_mov_b32 v16, v14 :: v_dual_mov_b32 v15, v13
	v_mov_b32_e32 v14, v12
	v_mov_b32_e32 v13, v11
	;; [unrolled: 1-line block ×13, first 2 shown]
	s_waitcnt vmcnt(0)
	v_cmp_ne_u16_e32 vcc_lo, 0, v20
	v_cndmask_b32_e64 v2, 0, 1, vcc_lo
	s_or_b32 exec_lo, exec_lo, s13
	s_delay_alu instid0(SALU_CYCLE_1)
	s_mov_b32 s13, exec_lo
	v_cmpx_gt_u32_e64 s34, v45
	s_cbranch_execz .LBB900_9
.LBB900_86:                             ;   in Loop: Header=BB900_6 Depth=1
	global_load_u8 v3, v[18:19], off offset:32
	s_waitcnt vmcnt(0)
	v_cmp_ne_u16_e32 vcc_lo, 0, v3
	v_cndmask_b32_e64 v3, 0, 1, vcc_lo
	s_or_b32 exec_lo, exec_lo, s13
	s_delay_alu instid0(SALU_CYCLE_1)
	s_mov_b32 s13, exec_lo
	v_cmpx_gt_u32_e64 s34, v46
	s_cbranch_execz .LBB900_10
.LBB900_87:                             ;   in Loop: Header=BB900_6 Depth=1
	global_load_u8 v4, v[18:19], off offset:64
	s_waitcnt vmcnt(0)
	v_cmp_ne_u16_e32 vcc_lo, 0, v4
	v_cndmask_b32_e64 v4, 0, 1, vcc_lo
	s_or_b32 exec_lo, exec_lo, s13
	s_delay_alu instid0(SALU_CYCLE_1)
	s_mov_b32 s13, exec_lo
	v_cmpx_gt_u32_e64 s34, v47
	s_cbranch_execz .LBB900_11
.LBB900_88:                             ;   in Loop: Header=BB900_6 Depth=1
	global_load_u8 v5, v[18:19], off offset:96
	s_waitcnt vmcnt(0)
	v_cmp_ne_u16_e32 vcc_lo, 0, v5
	v_cndmask_b32_e64 v5, 0, 1, vcc_lo
	s_or_b32 exec_lo, exec_lo, s13
	s_delay_alu instid0(SALU_CYCLE_1)
	s_mov_b32 s13, exec_lo
	v_cmpx_gt_u32_e64 s34, v48
	s_cbranch_execz .LBB900_12
.LBB900_89:                             ;   in Loop: Header=BB900_6 Depth=1
	global_load_u8 v6, v[18:19], off offset:128
	s_waitcnt vmcnt(0)
	v_cmp_ne_u16_e32 vcc_lo, 0, v6
	v_cndmask_b32_e64 v6, 0, 1, vcc_lo
	s_or_b32 exec_lo, exec_lo, s13
	s_delay_alu instid0(SALU_CYCLE_1)
	s_mov_b32 s13, exec_lo
	v_cmpx_gt_u32_e64 s34, v49
	s_cbranch_execz .LBB900_13
.LBB900_90:                             ;   in Loop: Header=BB900_6 Depth=1
	global_load_u8 v7, v[18:19], off offset:160
	s_waitcnt vmcnt(0)
	v_cmp_ne_u16_e32 vcc_lo, 0, v7
	v_cndmask_b32_e64 v7, 0, 1, vcc_lo
	s_or_b32 exec_lo, exec_lo, s13
	s_delay_alu instid0(SALU_CYCLE_1)
	s_mov_b32 s13, exec_lo
	v_cmpx_gt_u32_e64 s34, v50
	s_cbranch_execz .LBB900_14
.LBB900_91:                             ;   in Loop: Header=BB900_6 Depth=1
	global_load_u8 v8, v[18:19], off offset:192
	s_waitcnt vmcnt(0)
	v_cmp_ne_u16_e32 vcc_lo, 0, v8
	v_cndmask_b32_e64 v8, 0, 1, vcc_lo
	s_or_b32 exec_lo, exec_lo, s13
	s_delay_alu instid0(SALU_CYCLE_1)
	s_mov_b32 s13, exec_lo
	v_cmpx_gt_u32_e64 s34, v51
	s_cbranch_execz .LBB900_15
.LBB900_92:                             ;   in Loop: Header=BB900_6 Depth=1
	global_load_u8 v9, v[18:19], off offset:224
	s_waitcnt vmcnt(0)
	v_cmp_ne_u16_e32 vcc_lo, 0, v9
	v_cndmask_b32_e64 v9, 0, 1, vcc_lo
	s_or_b32 exec_lo, exec_lo, s13
	s_delay_alu instid0(SALU_CYCLE_1)
	s_mov_b32 s13, exec_lo
	v_cmpx_gt_u32_e64 s34, v52
	s_cbranch_execz .LBB900_16
.LBB900_93:                             ;   in Loop: Header=BB900_6 Depth=1
	global_load_u8 v10, v[18:19], off offset:256
	s_waitcnt vmcnt(0)
	v_cmp_ne_u16_e32 vcc_lo, 0, v10
	v_cndmask_b32_e64 v10, 0, 1, vcc_lo
	s_or_b32 exec_lo, exec_lo, s13
	s_delay_alu instid0(SALU_CYCLE_1)
	s_mov_b32 s13, exec_lo
	v_cmpx_gt_u32_e64 s34, v53
	s_cbranch_execz .LBB900_17
.LBB900_94:                             ;   in Loop: Header=BB900_6 Depth=1
	global_load_u8 v11, v[18:19], off offset:288
	s_waitcnt vmcnt(0)
	v_cmp_ne_u16_e32 vcc_lo, 0, v11
	v_cndmask_b32_e64 v11, 0, 1, vcc_lo
	s_or_b32 exec_lo, exec_lo, s13
	s_delay_alu instid0(SALU_CYCLE_1)
	s_mov_b32 s13, exec_lo
	v_cmpx_gt_u32_e64 s34, v54
	s_cbranch_execz .LBB900_18
.LBB900_95:                             ;   in Loop: Header=BB900_6 Depth=1
	global_load_u8 v12, v[18:19], off offset:320
	s_waitcnt vmcnt(0)
	v_cmp_ne_u16_e32 vcc_lo, 0, v12
	v_cndmask_b32_e64 v12, 0, 1, vcc_lo
	s_or_b32 exec_lo, exec_lo, s13
	s_delay_alu instid0(SALU_CYCLE_1)
	s_mov_b32 s13, exec_lo
	v_cmpx_gt_u32_e64 s34, v55
	s_cbranch_execz .LBB900_19
.LBB900_96:                             ;   in Loop: Header=BB900_6 Depth=1
	global_load_u8 v13, v[18:19], off offset:352
	s_waitcnt vmcnt(0)
	v_cmp_ne_u16_e32 vcc_lo, 0, v13
	v_cndmask_b32_e64 v13, 0, 1, vcc_lo
	s_or_b32 exec_lo, exec_lo, s13
	s_delay_alu instid0(SALU_CYCLE_1)
	s_mov_b32 s13, exec_lo
	v_cmpx_gt_u32_e64 s34, v56
	s_cbranch_execz .LBB900_20
.LBB900_97:                             ;   in Loop: Header=BB900_6 Depth=1
	global_load_u8 v14, v[18:19], off offset:384
	s_waitcnt vmcnt(0)
	v_cmp_ne_u16_e32 vcc_lo, 0, v14
	v_cndmask_b32_e64 v14, 0, 1, vcc_lo
	s_or_b32 exec_lo, exec_lo, s13
	s_delay_alu instid0(SALU_CYCLE_1)
	s_mov_b32 s13, exec_lo
	v_cmpx_gt_u32_e64 s34, v57
	s_cbranch_execz .LBB900_21
.LBB900_98:                             ;   in Loop: Header=BB900_6 Depth=1
	global_load_u8 v15, v[18:19], off offset:416
	s_waitcnt vmcnt(0)
	v_cmp_ne_u16_e32 vcc_lo, 0, v15
	v_cndmask_b32_e64 v15, 0, 1, vcc_lo
	s_or_b32 exec_lo, exec_lo, s13
	s_delay_alu instid0(SALU_CYCLE_1)
	s_mov_b32 s13, exec_lo
	v_cmpx_gt_u32_e64 s34, v58
	s_cbranch_execz .LBB900_22
.LBB900_99:                             ;   in Loop: Header=BB900_6 Depth=1
	global_load_u8 v16, v[18:19], off offset:448
	s_waitcnt vmcnt(0)
	v_cmp_ne_u16_e32 vcc_lo, 0, v16
	v_cndmask_b32_e64 v16, 0, 1, vcc_lo
	s_or_b32 exec_lo, exec_lo, s13
	s_delay_alu instid0(SALU_CYCLE_1)
	s_mov_b32 s13, exec_lo
	v_cmpx_gt_u32_e64 s34, v59
	s_cbranch_execnz .LBB900_23
	s_branch .LBB900_24
.LBB900_100:
	s_nop 0
	s_sendmsg sendmsg(MSG_DEALLOC_VGPRS)
	s_endpgm
	.section	.rodata,"a",@progbits
	.p2align	6, 0x0
	.amdhsa_kernel _ZN2at6native12_GLOBAL__N_111flag_kernelILi512ELi16EhEEvPKT1_PlPKllli
		.amdhsa_group_segment_fixed_size 33796
		.amdhsa_private_segment_fixed_size 0
		.amdhsa_kernarg_size 304
		.amdhsa_user_sgpr_count 15
		.amdhsa_user_sgpr_dispatch_ptr 0
		.amdhsa_user_sgpr_queue_ptr 0
		.amdhsa_user_sgpr_kernarg_segment_ptr 1
		.amdhsa_user_sgpr_dispatch_id 0
		.amdhsa_user_sgpr_private_segment_size 0
		.amdhsa_wavefront_size32 1
		.amdhsa_uses_dynamic_stack 0
		.amdhsa_enable_private_segment 0
		.amdhsa_system_sgpr_workgroup_id_x 1
		.amdhsa_system_sgpr_workgroup_id_y 0
		.amdhsa_system_sgpr_workgroup_id_z 0
		.amdhsa_system_sgpr_workgroup_info 0
		.amdhsa_system_vgpr_workitem_id 0
		.amdhsa_next_free_vgpr 109
		.amdhsa_next_free_sgpr 40
		.amdhsa_reserve_vcc 1
		.amdhsa_float_round_mode_32 0
		.amdhsa_float_round_mode_16_64 0
		.amdhsa_float_denorm_mode_32 3
		.amdhsa_float_denorm_mode_16_64 3
		.amdhsa_dx10_clamp 1
		.amdhsa_ieee_mode 1
		.amdhsa_fp16_overflow 0
		.amdhsa_workgroup_processor_mode 1
		.amdhsa_memory_ordered 1
		.amdhsa_forward_progress 0
		.amdhsa_shared_vgpr_count 0
		.amdhsa_exception_fp_ieee_invalid_op 0
		.amdhsa_exception_fp_denorm_src 0
		.amdhsa_exception_fp_ieee_div_zero 0
		.amdhsa_exception_fp_ieee_overflow 0
		.amdhsa_exception_fp_ieee_underflow 0
		.amdhsa_exception_fp_ieee_inexact 0
		.amdhsa_exception_int_div_zero 0
	.end_amdhsa_kernel
	.section	.text._ZN2at6native12_GLOBAL__N_111flag_kernelILi512ELi16EhEEvPKT1_PlPKllli,"axG",@progbits,_ZN2at6native12_GLOBAL__N_111flag_kernelILi512ELi16EhEEvPKT1_PlPKllli,comdat
.Lfunc_end900:
	.size	_ZN2at6native12_GLOBAL__N_111flag_kernelILi512ELi16EhEEvPKT1_PlPKllli, .Lfunc_end900-_ZN2at6native12_GLOBAL__N_111flag_kernelILi512ELi16EhEEvPKT1_PlPKllli
                                        ; -- End function
	.section	.AMDGPU.csdata,"",@progbits
; Kernel info:
; codeLenInByte = 6252
; NumSgprs: 42
; NumVgprs: 109
; ScratchSize: 0
; MemoryBound: 0
; FloatMode: 240
; IeeeMode: 1
; LDSByteSize: 33796 bytes/workgroup (compile time only)
; SGPRBlocks: 5
; VGPRBlocks: 13
; NumSGPRsForWavesPerEU: 42
; NumVGPRsForWavesPerEU: 109
; Occupancy: 12
; WaveLimiterHint : 0
; COMPUTE_PGM_RSRC2:SCRATCH_EN: 0
; COMPUTE_PGM_RSRC2:USER_SGPR: 15
; COMPUTE_PGM_RSRC2:TRAP_HANDLER: 0
; COMPUTE_PGM_RSRC2:TGID_X_EN: 1
; COMPUTE_PGM_RSRC2:TGID_Y_EN: 0
; COMPUTE_PGM_RSRC2:TGID_Z_EN: 0
; COMPUTE_PGM_RSRC2:TIDIG_COMP_CNT: 0
	.section	.text._ZN2at4cuda3cub15calc_block_sumsILi512ELi16ELb1EaiEEvPKT2_PT3_li,"axG",@progbits,_ZN2at4cuda3cub15calc_block_sumsILi512ELi16ELb1EaiEEvPKT2_PT3_li,comdat
	.protected	_ZN2at4cuda3cub15calc_block_sumsILi512ELi16ELb1EaiEEvPKT2_PT3_li ; -- Begin function _ZN2at4cuda3cub15calc_block_sumsILi512ELi16ELb1EaiEEvPKT2_PT3_li
	.globl	_ZN2at4cuda3cub15calc_block_sumsILi512ELi16ELb1EaiEEvPKT2_PT3_li
	.p2align	8
	.type	_ZN2at4cuda3cub15calc_block_sumsILi512ELi16ELb1EaiEEvPKT2_PT3_li,@function
_ZN2at4cuda3cub15calc_block_sumsILi512ELi16ELb1EaiEEvPKT2_PT3_li: ; @_ZN2at4cuda3cub15calc_block_sumsILi512ELi16ELb1EaiEEvPKT2_PT3_li
; %bb.0:
	s_clause 0x1
	s_load_b32 s26, s[0:1], 0x18
	s_load_b64 s[4:5], s[0:1], 0x10
	s_waitcnt lgkmcnt(0)
	s_lshl_b32 s2, s26, 13
	s_delay_alu instid0(SALU_CYCLE_1)
	s_ashr_i32 s3, s2, 31
	s_mul_hi_u32 s7, s2, s15
	s_mul_i32 s3, s3, s15
	s_mul_i32 s6, s2, s15
	s_add_i32 s7, s7, s3
	s_sub_u32 s22, s4, s6
	s_subb_u32 s23, s5, s7
	s_delay_alu instid0(SALU_CYCLE_1) | instskip(NEXT) | instid1(VALU_DEP_1)
	v_cmp_lt_i64_e64 s2, s[22:23], 1
	s_and_b32 vcc_lo, exec_lo, s2
	s_cbranch_vccnz .LBB901_58
; %bb.1:
	s_load_b128 s[0:3], s[0:1], 0x0
	s_mov_b32 s20, s15
	s_cmp_gt_i32 s26, 0
	s_mov_b32 s21, 0
	s_cbranch_scc1 .LBB901_3
; %bb.2:
	s_mov_b32 s5, 0
	s_mov_b32 s8, s21
	v_mov_b32_e32 v19, s5
	s_and_not1_b32 vcc_lo, exec_lo, s8
	s_mov_b32 s5, s21
	s_cbranch_vccz .LBB901_4
	s_branch .LBB901_56
.LBB901_3:
                                        ; implicit-def: $sgpr5
	v_mov_b32_e32 v19, s5
	s_mov_b32 s5, s21
.LBB901_4:
	v_lshrrev_b32_e32 v1, 3, v0
	s_waitcnt lgkmcnt(0)
	s_add_u32 s24, s0, s6
	s_mul_i32 s0, s20, s26
	s_addc_u32 s25, s1, s7
	v_dual_mov_b32 v2, 0 :: v_dual_and_b32 v35, 0x7c, v1
	v_dual_mov_b32 v19, 0 :: v_dual_add_nc_u32 v20, 0x200, v0
	v_or_b32_e32 v21, 0x400, v0
	v_add_nc_u32_e32 v22, 0x600, v0
	v_or_b32_e32 v23, 0x800, v0
	v_add_nc_u32_e32 v24, 0xa00, v0
	;; [unrolled: 2-line block ×7, first 2 shown]
	s_lshl_b32 s1, s0, 13
	v_cmp_gt_u32_e64 s0, 32, v0
	v_mbcnt_lo_u32_b32 v36, -1, 0
	s_sub_i32 s27, s4, s1
	s_mov_b32 s4, 0
	s_mov_b32 s1, -1
	s_mov_b32 s28, 0
	v_cmp_gt_i64_e64 s5, 0x2000, s[22:23]
                                        ; implicit-def: $vgpr1
	s_delay_alu instid0(VALU_DEP_1)
	s_and_b32 vcc_lo, exec_lo, s5
	s_mov_b32 s5, -1
	s_cbranch_vccnz .LBB901_8
.LBB901_5:
	s_and_b32 vcc_lo, exec_lo, s5
	s_cbranch_vccnz .LBB901_30
.LBB901_6:
	v_cmp_lt_i64_e64 s5, 0x2000, s[22:23]
	s_delay_alu instid0(VALU_DEP_2) | instskip(NEXT) | instid1(VALU_DEP_2)
	v_add_nc_u32_e32 v19, v1, v19
	s_and_b32 vcc_lo, exec_lo, s5
	s_cbranch_vccz .LBB901_35
.LBB901_7:
	s_add_u32 s24, s24, 0x2000
	s_addc_u32 s25, s25, 0
	s_add_u32 s22, s22, 0xffffe000
	s_addc_u32 s23, s23, -1
	s_add_i32 s28, s28, 1
	s_mov_b32 s6, 0
	s_cmp_lt_i32 s28, s26
	s_cselect_b32 s5, -1, 0
	s_addk_i32 s27, 0xe000
	s_cmp_eq_u32 s26, s28
	s_barrier
	s_cselect_b32 s7, -1, 0
	buffer_gl0_inv
	s_and_not1_b32 vcc_lo, exec_lo, s7
	s_cbranch_vccnz .LBB901_36
	s_branch .LBB901_52
.LBB901_8:
	s_mov_b32 s5, s4
	s_mov_b32 s6, s4
	;; [unrolled: 1-line block ×15, first 2 shown]
	v_dual_mov_b32 v3, s4 :: v_dual_mov_b32 v4, s5
	v_dual_mov_b32 v5, s6 :: v_dual_mov_b32 v6, s7
	;; [unrolled: 1-line block ×8, first 2 shown]
	s_mov_b32 s5, exec_lo
	v_cmpx_gt_u32_e64 s27, v0
	s_cbranch_execnz .LBB901_37
; %bb.9:
	s_or_b32 exec_lo, exec_lo, s5
	s_delay_alu instid0(SALU_CYCLE_1)
	s_mov_b32 s5, exec_lo
	v_cmpx_gt_u32_e64 s27, v20
	s_cbranch_execnz .LBB901_38
.LBB901_10:
	s_or_b32 exec_lo, exec_lo, s5
	s_delay_alu instid0(SALU_CYCLE_1)
	s_mov_b32 s5, exec_lo
	v_cmpx_gt_u32_e64 s27, v21
	s_cbranch_execnz .LBB901_39
.LBB901_11:
	s_or_b32 exec_lo, exec_lo, s5
	s_delay_alu instid0(SALU_CYCLE_1)
	s_mov_b32 s5, exec_lo
	v_cmpx_gt_u32_e64 s27, v22
	s_cbranch_execnz .LBB901_40
.LBB901_12:
	s_or_b32 exec_lo, exec_lo, s5
	s_delay_alu instid0(SALU_CYCLE_1)
	s_mov_b32 s5, exec_lo
	v_cmpx_gt_u32_e64 s27, v23
	s_cbranch_execnz .LBB901_41
.LBB901_13:
	s_or_b32 exec_lo, exec_lo, s5
	s_delay_alu instid0(SALU_CYCLE_1)
	s_mov_b32 s5, exec_lo
	v_cmpx_gt_u32_e64 s27, v24
	s_cbranch_execnz .LBB901_42
.LBB901_14:
	s_or_b32 exec_lo, exec_lo, s5
	s_delay_alu instid0(SALU_CYCLE_1)
	s_mov_b32 s5, exec_lo
	v_cmpx_gt_u32_e64 s27, v25
	s_cbranch_execnz .LBB901_43
.LBB901_15:
	s_or_b32 exec_lo, exec_lo, s5
	s_delay_alu instid0(SALU_CYCLE_1)
	s_mov_b32 s5, exec_lo
	v_cmpx_gt_u32_e64 s27, v26
	s_cbranch_execnz .LBB901_44
.LBB901_16:
	s_or_b32 exec_lo, exec_lo, s5
	s_delay_alu instid0(SALU_CYCLE_1)
	s_mov_b32 s5, exec_lo
	v_cmpx_gt_u32_e64 s27, v27
	s_cbranch_execnz .LBB901_45
.LBB901_17:
	s_or_b32 exec_lo, exec_lo, s5
	s_delay_alu instid0(SALU_CYCLE_1)
	s_mov_b32 s5, exec_lo
	v_cmpx_gt_u32_e64 s27, v28
	s_cbranch_execnz .LBB901_46
.LBB901_18:
	s_or_b32 exec_lo, exec_lo, s5
	s_delay_alu instid0(SALU_CYCLE_1)
	s_mov_b32 s5, exec_lo
	v_cmpx_gt_u32_e64 s27, v29
	s_cbranch_execnz .LBB901_47
.LBB901_19:
	s_or_b32 exec_lo, exec_lo, s5
	s_delay_alu instid0(SALU_CYCLE_1)
	s_mov_b32 s5, exec_lo
	v_cmpx_gt_u32_e64 s27, v30
	s_cbranch_execnz .LBB901_48
.LBB901_20:
	s_or_b32 exec_lo, exec_lo, s5
	s_delay_alu instid0(SALU_CYCLE_1)
	s_mov_b32 s5, exec_lo
	v_cmpx_gt_u32_e64 s27, v31
	s_cbranch_execnz .LBB901_49
.LBB901_21:
	s_or_b32 exec_lo, exec_lo, s5
	s_delay_alu instid0(SALU_CYCLE_1)
	s_mov_b32 s5, exec_lo
	v_cmpx_gt_u32_e64 s27, v32
	s_cbranch_execnz .LBB901_50
.LBB901_22:
	s_or_b32 exec_lo, exec_lo, s5
	s_delay_alu instid0(SALU_CYCLE_1)
	s_mov_b32 s5, exec_lo
	v_cmpx_gt_u32_e64 s27, v33
	s_cbranch_execnz .LBB901_51
.LBB901_23:
	s_or_b32 exec_lo, exec_lo, s5
	s_delay_alu instid0(SALU_CYCLE_1)
	s_mov_b32 s5, exec_lo
	v_cmpx_gt_u32_e64 s27, v34
	s_cbranch_execz .LBB901_25
.LBB901_24:
	v_add_co_u32 v1, s6, s24, v0
	s_delay_alu instid0(VALU_DEP_1) | instskip(NEXT) | instid1(VALU_DEP_2)
	v_add_co_ci_u32_e64 v18, null, s25, 0, s6
	v_add_co_u32 v37, vcc_lo, 0x1000, v1
	s_delay_alu instid0(VALU_DEP_2)
	v_add_co_ci_u32_e32 v38, vcc_lo, 0, v18, vcc_lo
	global_load_u8 v1, v[37:38], off offset:3584
	s_waitcnt vmcnt(0)
	v_cmp_ne_u16_e32 vcc_lo, 0, v1
	v_cndmask_b32_e64 v18, 0, 1, vcc_lo
.LBB901_25:
	s_or_b32 exec_lo, exec_lo, s5
	v_add_nc_u32_e32 v1, v4, v3
	s_mov_b32 s5, exec_lo
	s_barrier
	buffer_gl0_inv
	v_add3_u32 v1, v1, v5, v6
	s_delay_alu instid0(VALU_DEP_1) | instskip(NEXT) | instid1(VALU_DEP_1)
	v_add3_u32 v1, v1, v7, v8
	v_add3_u32 v1, v1, v9, v10
	s_delay_alu instid0(VALU_DEP_1) | instskip(NEXT) | instid1(VALU_DEP_1)
	v_add3_u32 v1, v1, v11, v12
	;; [unrolled: 3-line block ×3, first 2 shown]
	v_add3_u32 v1, v1, v17, v18
	s_delay_alu instid0(VALU_DEP_1) | instskip(NEXT) | instid1(VALU_DEP_1)
	v_mov_b32_dpp v3, v1 quad_perm:[1,0,3,2] row_mask:0xf bank_mask:0xf
	v_add_nc_u32_e32 v1, v1, v3
	s_delay_alu instid0(VALU_DEP_1) | instskip(NEXT) | instid1(VALU_DEP_1)
	v_mov_b32_dpp v3, v1 quad_perm:[2,3,0,1] row_mask:0xf bank_mask:0xf
	v_add_nc_u32_e32 v1, v1, v3
	s_delay_alu instid0(VALU_DEP_1) | instskip(NEXT) | instid1(VALU_DEP_1)
	v_mov_b32_dpp v3, v1 row_ror:4 row_mask:0xf bank_mask:0xf
	v_add_nc_u32_e32 v1, v1, v3
	s_delay_alu instid0(VALU_DEP_1) | instskip(NEXT) | instid1(VALU_DEP_1)
	v_mov_b32_dpp v3, v1 row_ror:8 row_mask:0xf bank_mask:0xf
	v_add_nc_u32_e32 v1, v1, v3
	ds_swizzle_b32 v3, v1 offset:swizzle(BROADCAST,32,15)
	s_waitcnt lgkmcnt(0)
	v_add_nc_u32_e32 v1, v1, v3
	ds_bpermute_b32 v1, v2, v1 offset:124
	v_cmpx_eq_u32_e32 0, v36
	s_cbranch_execz .LBB901_27
; %bb.26:
	s_waitcnt lgkmcnt(0)
	ds_store_b32 v35, v1
.LBB901_27:
	s_or_b32 exec_lo, exec_lo, s5
	s_waitcnt lgkmcnt(0)
	s_barrier
	buffer_gl0_inv
	s_and_saveexec_b32 s5, s0
	s_cbranch_execz .LBB901_29
; %bb.28:
	v_and_b32_e32 v1, 15, v36
	s_delay_alu instid0(VALU_DEP_1) | instskip(SKIP_4) | instid1(VALU_DEP_2)
	v_lshlrev_b32_e32 v3, 2, v1
	v_cmp_ne_u32_e32 vcc_lo, 15, v1
	ds_load_b32 v3, v3
	v_add_co_ci_u32_e32 v4, vcc_lo, 0, v36, vcc_lo
	v_cmp_gt_u32_e32 vcc_lo, 14, v1
	v_lshlrev_b32_e32 v4, 2, v4
	v_cndmask_b32_e64 v5, 0, 1, vcc_lo
	v_cmp_gt_u32_e32 vcc_lo, 12, v1
	s_delay_alu instid0(VALU_DEP_2) | instskip(NEXT) | instid1(VALU_DEP_1)
	v_lshlrev_b32_e32 v5, 1, v5
	v_add_lshl_u32 v5, v5, v36, 2
	s_waitcnt lgkmcnt(0)
	ds_bpermute_b32 v4, v4, v3
	s_waitcnt lgkmcnt(0)
	v_add_nc_u32_e32 v3, v4, v3
	ds_bpermute_b32 v4, v5, v3
	v_cndmask_b32_e64 v5, 0, 1, vcc_lo
	v_cmp_gt_u32_e32 vcc_lo, 8, v1
	s_delay_alu instid0(VALU_DEP_2) | instskip(SKIP_1) | instid1(VALU_DEP_2)
	v_lshlrev_b32_e32 v5, 2, v5
	v_cndmask_b32_e64 v1, 0, 1, vcc_lo
	v_add_lshl_u32 v5, v5, v36, 2
	s_delay_alu instid0(VALU_DEP_2) | instskip(NEXT) | instid1(VALU_DEP_1)
	v_lshlrev_b32_e32 v1, 3, v1
	v_add_lshl_u32 v1, v1, v36, 2
	s_waitcnt lgkmcnt(0)
	v_add_nc_u32_e32 v3, v4, v3
	ds_bpermute_b32 v4, v5, v3
	s_waitcnt lgkmcnt(0)
	v_add_nc_u32_e32 v3, v4, v3
	ds_bpermute_b32 v1, v1, v3
	s_waitcnt lgkmcnt(0)
	v_add_nc_u32_e32 v1, v1, v3
.LBB901_29:
	s_or_b32 exec_lo, exec_lo, s5
	s_branch .LBB901_6
.LBB901_30:
	v_add_co_u32 v3, s5, s24, v0
	s_delay_alu instid0(VALU_DEP_1) | instskip(SKIP_1) | instid1(VALU_DEP_2)
	v_add_co_ci_u32_e64 v4, null, s25, 0, s5
	s_mov_b32 s5, exec_lo
	v_add_co_u32 v5, vcc_lo, 0x1000, v3
	s_clause 0x5
	global_load_u8 v1, v[3:4], off
	global_load_u8 v7, v[3:4], off offset:1024
	global_load_u8 v8, v[3:4], off offset:512
	;; [unrolled: 1-line block ×5, first 2 shown]
	v_add_co_ci_u32_e32 v6, vcc_lo, 0, v4, vcc_lo
	s_clause 0x9
	global_load_u8 v12, v[3:4], off offset:2560
	global_load_u8 v13, v[5:6], off
	global_load_u8 v3, v[3:4], off offset:3584
	global_load_u8 v4, v[5:6], off offset:1024
	;; [unrolled: 1-line block ×8, first 2 shown]
	s_waitcnt vmcnt(0)
	s_barrier
	buffer_gl0_inv
	v_cmp_ne_u16_e32 vcc_lo, 0, v1
	v_cndmask_b32_e64 v1, 0, 1, vcc_lo
	v_cmp_ne_u16_e32 vcc_lo, 0, v7
	v_cndmask_b32_e64 v6, 0, 1, vcc_lo
	v_cmp_ne_u16_e32 vcc_lo, 0, v8
	s_delay_alu instid0(VALU_DEP_4) | instskip(SKIP_3) | instid1(VALU_DEP_4)
	v_add_co_ci_u32_e32 v1, vcc_lo, 0, v1, vcc_lo
	v_cmp_ne_u16_e32 vcc_lo, 0, v10
	v_cndmask_b32_e64 v7, 0, 1, vcc_lo
	v_cmp_ne_u16_e32 vcc_lo, 0, v9
	v_add_co_ci_u32_e32 v1, vcc_lo, v1, v6, vcc_lo
	v_cmp_ne_u16_e32 vcc_lo, 0, v11
	v_cndmask_b32_e64 v6, 0, 1, vcc_lo
	v_cmp_ne_u16_e32 vcc_lo, 0, v12
	s_delay_alu instid0(VALU_DEP_4) | instskip(SKIP_3) | instid1(VALU_DEP_4)
	v_add_co_ci_u32_e32 v1, vcc_lo, v1, v7, vcc_lo
	v_cmp_ne_u16_e32 vcc_lo, 0, v13
	v_cndmask_b32_e64 v7, 0, 1, vcc_lo
	v_cmp_ne_u16_e32 vcc_lo, 0, v3
	v_add_co_ci_u32_e32 v1, vcc_lo, v1, v6, vcc_lo
	;; [unrolled: 9-line block ×3, first 2 shown]
	v_cmp_ne_u16_e32 vcc_lo, 0, v17
	v_cndmask_b32_e64 v3, 0, 1, vcc_lo
	v_cmp_ne_u16_e32 vcc_lo, 0, v18
	s_delay_alu instid0(VALU_DEP_4) | instskip(SKIP_1) | instid1(VALU_DEP_2)
	v_add_co_ci_u32_e32 v1, vcc_lo, v1, v4, vcc_lo
	v_cmp_ne_u16_e32 vcc_lo, 0, v5
	v_add_co_ci_u32_e32 v1, vcc_lo, v1, v3, vcc_lo
	s_delay_alu instid0(VALU_DEP_1) | instskip(NEXT) | instid1(VALU_DEP_1)
	v_mov_b32_dpp v3, v1 quad_perm:[1,0,3,2] row_mask:0xf bank_mask:0xf
	v_add_nc_u32_e32 v1, v3, v1
	s_delay_alu instid0(VALU_DEP_1) | instskip(NEXT) | instid1(VALU_DEP_1)
	v_mov_b32_dpp v3, v1 quad_perm:[2,3,0,1] row_mask:0xf bank_mask:0xf
	v_add_nc_u32_e32 v1, v1, v3
	s_delay_alu instid0(VALU_DEP_1) | instskip(NEXT) | instid1(VALU_DEP_1)
	v_mov_b32_dpp v3, v1 row_ror:4 row_mask:0xf bank_mask:0xf
	v_add_nc_u32_e32 v1, v1, v3
	s_delay_alu instid0(VALU_DEP_1) | instskip(NEXT) | instid1(VALU_DEP_1)
	v_mov_b32_dpp v3, v1 row_ror:8 row_mask:0xf bank_mask:0xf
	v_add_nc_u32_e32 v1, v1, v3
	ds_swizzle_b32 v3, v1 offset:swizzle(BROADCAST,32,15)
	s_waitcnt lgkmcnt(0)
	v_add_nc_u32_e32 v1, v1, v3
	ds_bpermute_b32 v1, v2, v1 offset:124
	v_cmpx_eq_u32_e32 0, v36
	s_cbranch_execz .LBB901_32
; %bb.31:
	s_waitcnt lgkmcnt(0)
	ds_store_b32 v35, v1
.LBB901_32:
	s_or_b32 exec_lo, exec_lo, s5
	s_waitcnt lgkmcnt(0)
	s_barrier
	buffer_gl0_inv
	s_and_saveexec_b32 s5, s0
	s_cbranch_execz .LBB901_34
; %bb.33:
	v_and_b32_e32 v1, 15, v36
	s_delay_alu instid0(VALU_DEP_1) | instskip(SKIP_4) | instid1(VALU_DEP_2)
	v_lshlrev_b32_e32 v3, 2, v1
	v_cmp_ne_u32_e32 vcc_lo, 15, v1
	ds_load_b32 v3, v3
	v_add_co_ci_u32_e32 v4, vcc_lo, 0, v36, vcc_lo
	v_cmp_gt_u32_e32 vcc_lo, 14, v1
	v_lshlrev_b32_e32 v4, 2, v4
	v_cndmask_b32_e64 v5, 0, 1, vcc_lo
	v_cmp_gt_u32_e32 vcc_lo, 12, v1
	s_delay_alu instid0(VALU_DEP_2) | instskip(NEXT) | instid1(VALU_DEP_1)
	v_lshlrev_b32_e32 v5, 1, v5
	v_add_lshl_u32 v5, v5, v36, 2
	s_waitcnt lgkmcnt(0)
	ds_bpermute_b32 v4, v4, v3
	s_waitcnt lgkmcnt(0)
	v_add_nc_u32_e32 v3, v4, v3
	ds_bpermute_b32 v4, v5, v3
	v_cndmask_b32_e64 v5, 0, 1, vcc_lo
	v_cmp_gt_u32_e32 vcc_lo, 8, v1
	s_delay_alu instid0(VALU_DEP_2) | instskip(SKIP_1) | instid1(VALU_DEP_2)
	v_lshlrev_b32_e32 v5, 2, v5
	v_cndmask_b32_e64 v1, 0, 1, vcc_lo
	v_add_lshl_u32 v5, v5, v36, 2
	s_delay_alu instid0(VALU_DEP_2) | instskip(NEXT) | instid1(VALU_DEP_1)
	v_lshlrev_b32_e32 v1, 3, v1
	v_add_lshl_u32 v1, v1, v36, 2
	s_waitcnt lgkmcnt(0)
	v_add_nc_u32_e32 v3, v4, v3
	ds_bpermute_b32 v4, v5, v3
	s_waitcnt lgkmcnt(0)
	v_add_nc_u32_e32 v3, v4, v3
	ds_bpermute_b32 v1, v1, v3
	s_waitcnt lgkmcnt(0)
	v_add_nc_u32_e32 v1, v1, v3
.LBB901_34:
	s_or_b32 exec_lo, exec_lo, s5
	v_cmp_lt_i64_e64 s5, 0x2000, s[22:23]
	s_delay_alu instid0(VALU_DEP_2) | instskip(NEXT) | instid1(VALU_DEP_2)
	v_add_nc_u32_e32 v19, v1, v19
	s_and_b32 vcc_lo, exec_lo, s5
	s_cbranch_vccnz .LBB901_7
.LBB901_35:
	s_mov_b32 s6, -1
                                        ; implicit-def: $sgpr24_sgpr25
                                        ; implicit-def: $sgpr28
                                        ; implicit-def: $sgpr22_sgpr23
                                        ; implicit-def: $sgpr27
                                        ; implicit-def: $sgpr5
	s_branch .LBB901_52
.LBB901_36:
	s_mov_b32 s1, s5
	v_cmp_gt_i64_e64 s5, 0x2000, s[22:23]
                                        ; implicit-def: $vgpr1
	s_delay_alu instid0(VALU_DEP_1)
	s_and_b32 vcc_lo, exec_lo, s5
	s_mov_b32 s5, -1
	s_cbranch_vccnz .LBB901_8
	s_branch .LBB901_5
.LBB901_37:
	v_add_co_u32 v3, s6, s24, v0
	s_delay_alu instid0(VALU_DEP_1)
	v_add_co_ci_u32_e64 v4, null, s25, 0, s6
	v_mov_b32_e32 v16, v2
	v_mov_b32_e32 v5, v2
	;; [unrolled: 1-line block ×3, first 2 shown]
	global_load_u8 v1, v[3:4], off
	v_mov_b32_e32 v3, v2
	v_mov_b32_e32 v7, v2
	;; [unrolled: 1-line block ×10, first 2 shown]
	s_waitcnt vmcnt(0)
	v_cmp_ne_u16_e32 vcc_lo, 0, v1
	v_cndmask_b32_e64 v1, 0, 1, vcc_lo
	s_delay_alu instid0(VALU_DEP_1)
	v_dual_mov_b32 v4, v2 :: v_dual_and_b32 v1, 0xffff, v1
	v_mov_b32_e32 v18, v16
	v_dual_mov_b32 v17, v15 :: v_dual_mov_b32 v16, v14
	v_mov_b32_e32 v15, v13
	v_mov_b32_e32 v14, v12
	;; [unrolled: 1-line block ×13, first 2 shown]
	s_or_b32 exec_lo, exec_lo, s5
	s_delay_alu instid0(SALU_CYCLE_1)
	s_mov_b32 s5, exec_lo
	v_cmpx_gt_u32_e64 s27, v20
	s_cbranch_execz .LBB901_10
.LBB901_38:
	v_add_co_u32 v37, s6, s24, v0
	s_delay_alu instid0(VALU_DEP_1)
	v_add_co_ci_u32_e64 v38, null, s25, 0, s6
	global_load_u8 v1, v[37:38], off offset:512
	s_waitcnt vmcnt(0)
	v_cmp_ne_u16_e32 vcc_lo, 0, v1
	v_cndmask_b32_e64 v4, 0, 1, vcc_lo
	s_or_b32 exec_lo, exec_lo, s5
	s_delay_alu instid0(SALU_CYCLE_1)
	s_mov_b32 s5, exec_lo
	v_cmpx_gt_u32_e64 s27, v21
	s_cbranch_execz .LBB901_11
.LBB901_39:
	v_add_co_u32 v37, s6, s24, v0
	s_delay_alu instid0(VALU_DEP_1)
	v_add_co_ci_u32_e64 v38, null, s25, 0, s6
	global_load_u8 v1, v[37:38], off offset:1024
	s_waitcnt vmcnt(0)
	v_cmp_ne_u16_e32 vcc_lo, 0, v1
	v_cndmask_b32_e64 v5, 0, 1, vcc_lo
	s_or_b32 exec_lo, exec_lo, s5
	s_delay_alu instid0(SALU_CYCLE_1)
	s_mov_b32 s5, exec_lo
	v_cmpx_gt_u32_e64 s27, v22
	s_cbranch_execz .LBB901_12
.LBB901_40:
	v_add_co_u32 v37, s6, s24, v0
	s_delay_alu instid0(VALU_DEP_1)
	v_add_co_ci_u32_e64 v38, null, s25, 0, s6
	global_load_u8 v1, v[37:38], off offset:1536
	s_waitcnt vmcnt(0)
	v_cmp_ne_u16_e32 vcc_lo, 0, v1
	v_cndmask_b32_e64 v6, 0, 1, vcc_lo
	s_or_b32 exec_lo, exec_lo, s5
	s_delay_alu instid0(SALU_CYCLE_1)
	s_mov_b32 s5, exec_lo
	v_cmpx_gt_u32_e64 s27, v23
	s_cbranch_execz .LBB901_13
.LBB901_41:
	v_add_co_u32 v37, s6, s24, v0
	s_delay_alu instid0(VALU_DEP_1)
	v_add_co_ci_u32_e64 v38, null, s25, 0, s6
	global_load_u8 v1, v[37:38], off offset:2048
	s_waitcnt vmcnt(0)
	v_cmp_ne_u16_e32 vcc_lo, 0, v1
	v_cndmask_b32_e64 v7, 0, 1, vcc_lo
	s_or_b32 exec_lo, exec_lo, s5
	s_delay_alu instid0(SALU_CYCLE_1)
	s_mov_b32 s5, exec_lo
	v_cmpx_gt_u32_e64 s27, v24
	s_cbranch_execz .LBB901_14
.LBB901_42:
	v_add_co_u32 v37, s6, s24, v0
	s_delay_alu instid0(VALU_DEP_1)
	v_add_co_ci_u32_e64 v38, null, s25, 0, s6
	global_load_u8 v1, v[37:38], off offset:2560
	s_waitcnt vmcnt(0)
	v_cmp_ne_u16_e32 vcc_lo, 0, v1
	v_cndmask_b32_e64 v8, 0, 1, vcc_lo
	s_or_b32 exec_lo, exec_lo, s5
	s_delay_alu instid0(SALU_CYCLE_1)
	s_mov_b32 s5, exec_lo
	v_cmpx_gt_u32_e64 s27, v25
	s_cbranch_execz .LBB901_15
.LBB901_43:
	v_add_co_u32 v37, s6, s24, v0
	s_delay_alu instid0(VALU_DEP_1)
	v_add_co_ci_u32_e64 v38, null, s25, 0, s6
	global_load_u8 v1, v[37:38], off offset:3072
	s_waitcnt vmcnt(0)
	v_cmp_ne_u16_e32 vcc_lo, 0, v1
	v_cndmask_b32_e64 v9, 0, 1, vcc_lo
	s_or_b32 exec_lo, exec_lo, s5
	s_delay_alu instid0(SALU_CYCLE_1)
	s_mov_b32 s5, exec_lo
	v_cmpx_gt_u32_e64 s27, v26
	s_cbranch_execz .LBB901_16
.LBB901_44:
	v_add_co_u32 v37, s6, s24, v0
	s_delay_alu instid0(VALU_DEP_1)
	v_add_co_ci_u32_e64 v38, null, s25, 0, s6
	global_load_u8 v1, v[37:38], off offset:3584
	s_waitcnt vmcnt(0)
	v_cmp_ne_u16_e32 vcc_lo, 0, v1
	v_cndmask_b32_e64 v10, 0, 1, vcc_lo
	s_or_b32 exec_lo, exec_lo, s5
	s_delay_alu instid0(SALU_CYCLE_1)
	s_mov_b32 s5, exec_lo
	v_cmpx_gt_u32_e64 s27, v27
	s_cbranch_execz .LBB901_17
.LBB901_45:
	v_add_co_u32 v1, s6, s24, v0
	s_delay_alu instid0(VALU_DEP_1) | instskip(NEXT) | instid1(VALU_DEP_2)
	v_add_co_ci_u32_e64 v11, null, s25, 0, s6
	v_add_co_u32 v37, vcc_lo, 0x1000, v1
	s_delay_alu instid0(VALU_DEP_2)
	v_add_co_ci_u32_e32 v38, vcc_lo, 0, v11, vcc_lo
	global_load_u8 v1, v[37:38], off
	s_waitcnt vmcnt(0)
	v_cmp_ne_u16_e32 vcc_lo, 0, v1
	v_cndmask_b32_e64 v11, 0, 1, vcc_lo
	s_or_b32 exec_lo, exec_lo, s5
	s_delay_alu instid0(SALU_CYCLE_1)
	s_mov_b32 s5, exec_lo
	v_cmpx_gt_u32_e64 s27, v28
	s_cbranch_execz .LBB901_18
.LBB901_46:
	v_add_co_u32 v1, s6, s24, v0
	s_delay_alu instid0(VALU_DEP_1) | instskip(NEXT) | instid1(VALU_DEP_2)
	v_add_co_ci_u32_e64 v12, null, s25, 0, s6
	v_add_co_u32 v37, vcc_lo, 0x1000, v1
	s_delay_alu instid0(VALU_DEP_2)
	v_add_co_ci_u32_e32 v38, vcc_lo, 0, v12, vcc_lo
	global_load_u8 v1, v[37:38], off offset:512
	s_waitcnt vmcnt(0)
	v_cmp_ne_u16_e32 vcc_lo, 0, v1
	v_cndmask_b32_e64 v12, 0, 1, vcc_lo
	s_or_b32 exec_lo, exec_lo, s5
	s_delay_alu instid0(SALU_CYCLE_1)
	s_mov_b32 s5, exec_lo
	v_cmpx_gt_u32_e64 s27, v29
	s_cbranch_execz .LBB901_19
.LBB901_47:
	v_add_co_u32 v1, s6, s24, v0
	s_delay_alu instid0(VALU_DEP_1) | instskip(NEXT) | instid1(VALU_DEP_2)
	v_add_co_ci_u32_e64 v13, null, s25, 0, s6
	v_add_co_u32 v37, vcc_lo, 0x1000, v1
	s_delay_alu instid0(VALU_DEP_2)
	v_add_co_ci_u32_e32 v38, vcc_lo, 0, v13, vcc_lo
	global_load_u8 v1, v[37:38], off offset:1024
	s_waitcnt vmcnt(0)
	v_cmp_ne_u16_e32 vcc_lo, 0, v1
	v_cndmask_b32_e64 v13, 0, 1, vcc_lo
	s_or_b32 exec_lo, exec_lo, s5
	s_delay_alu instid0(SALU_CYCLE_1)
	s_mov_b32 s5, exec_lo
	v_cmpx_gt_u32_e64 s27, v30
	s_cbranch_execz .LBB901_20
.LBB901_48:
	v_add_co_u32 v1, s6, s24, v0
	s_delay_alu instid0(VALU_DEP_1) | instskip(NEXT) | instid1(VALU_DEP_2)
	v_add_co_ci_u32_e64 v14, null, s25, 0, s6
	v_add_co_u32 v37, vcc_lo, 0x1000, v1
	s_delay_alu instid0(VALU_DEP_2)
	v_add_co_ci_u32_e32 v38, vcc_lo, 0, v14, vcc_lo
	global_load_u8 v1, v[37:38], off offset:1536
	s_waitcnt vmcnt(0)
	v_cmp_ne_u16_e32 vcc_lo, 0, v1
	v_cndmask_b32_e64 v14, 0, 1, vcc_lo
	s_or_b32 exec_lo, exec_lo, s5
	s_delay_alu instid0(SALU_CYCLE_1)
	s_mov_b32 s5, exec_lo
	v_cmpx_gt_u32_e64 s27, v31
	s_cbranch_execz .LBB901_21
.LBB901_49:
	v_add_co_u32 v1, s6, s24, v0
	s_delay_alu instid0(VALU_DEP_1) | instskip(NEXT) | instid1(VALU_DEP_2)
	v_add_co_ci_u32_e64 v15, null, s25, 0, s6
	v_add_co_u32 v37, vcc_lo, 0x1000, v1
	s_delay_alu instid0(VALU_DEP_2)
	v_add_co_ci_u32_e32 v38, vcc_lo, 0, v15, vcc_lo
	global_load_u8 v1, v[37:38], off offset:2048
	s_waitcnt vmcnt(0)
	v_cmp_ne_u16_e32 vcc_lo, 0, v1
	v_cndmask_b32_e64 v15, 0, 1, vcc_lo
	s_or_b32 exec_lo, exec_lo, s5
	s_delay_alu instid0(SALU_CYCLE_1)
	s_mov_b32 s5, exec_lo
	v_cmpx_gt_u32_e64 s27, v32
	s_cbranch_execz .LBB901_22
.LBB901_50:
	v_add_co_u32 v1, s6, s24, v0
	s_delay_alu instid0(VALU_DEP_1) | instskip(NEXT) | instid1(VALU_DEP_2)
	v_add_co_ci_u32_e64 v16, null, s25, 0, s6
	v_add_co_u32 v37, vcc_lo, 0x1000, v1
	s_delay_alu instid0(VALU_DEP_2)
	v_add_co_ci_u32_e32 v38, vcc_lo, 0, v16, vcc_lo
	global_load_u8 v1, v[37:38], off offset:2560
	s_waitcnt vmcnt(0)
	v_cmp_ne_u16_e32 vcc_lo, 0, v1
	v_cndmask_b32_e64 v16, 0, 1, vcc_lo
	s_or_b32 exec_lo, exec_lo, s5
	s_delay_alu instid0(SALU_CYCLE_1)
	s_mov_b32 s5, exec_lo
	v_cmpx_gt_u32_e64 s27, v33
	s_cbranch_execz .LBB901_23
.LBB901_51:
	v_add_co_u32 v1, s6, s24, v0
	s_delay_alu instid0(VALU_DEP_1) | instskip(NEXT) | instid1(VALU_DEP_2)
	v_add_co_ci_u32_e64 v17, null, s25, 0, s6
	v_add_co_u32 v37, vcc_lo, 0x1000, v1
	s_delay_alu instid0(VALU_DEP_2)
	v_add_co_ci_u32_e32 v38, vcc_lo, 0, v17, vcc_lo
	global_load_u8 v1, v[37:38], off offset:3072
	s_waitcnt vmcnt(0)
	v_cmp_ne_u16_e32 vcc_lo, 0, v1
	v_cndmask_b32_e64 v17, 0, 1, vcc_lo
	s_or_b32 exec_lo, exec_lo, s5
	s_delay_alu instid0(SALU_CYCLE_1)
	s_mov_b32 s5, exec_lo
	v_cmpx_gt_u32_e64 s27, v34
	s_cbranch_execnz .LBB901_24
	s_branch .LBB901_25
.LBB901_52:
	s_and_b32 vcc_lo, exec_lo, s6
	s_cbranch_vccz .LBB901_56
; %bb.53:
	s_mov_b32 s0, exec_lo
	v_cmpx_eq_u32_e32 0, v0
	s_cbranch_execz .LBB901_55
; %bb.54:
	s_lshl_b64 s[4:5], s[20:21], 2
	v_mov_b32_e32 v0, 0
	s_add_u32 s4, s2, s4
	s_addc_u32 s5, s3, s5
	global_store_b32 v0, v19, s[4:5]
.LBB901_55:
	s_or_b32 exec_lo, exec_lo, s0
	s_mov_b32 s5, s1
.LBB901_56:
	v_cmp_eq_u32_e32 vcc_lo, 0, v0
	s_waitcnt lgkmcnt(0)
	s_xor_b32 s0, s5, -1
	s_delay_alu instid0(SALU_CYCLE_1) | instskip(NEXT) | instid1(SALU_CYCLE_1)
	s_and_b32 s0, vcc_lo, s0
	s_and_saveexec_b32 s1, s0
	s_cbranch_execz .LBB901_58
; %bb.57:
	s_lshl_b64 s[0:1], s[20:21], 2
	v_mov_b32_e32 v0, 0
	s_add_u32 s0, s2, s0
	s_addc_u32 s1, s3, s1
	global_store_b32 v0, v19, s[0:1]
.LBB901_58:
	s_nop 0
	s_sendmsg sendmsg(MSG_DEALLOC_VGPRS)
	s_endpgm
	.section	.rodata,"a",@progbits
	.p2align	6, 0x0
	.amdhsa_kernel _ZN2at4cuda3cub15calc_block_sumsILi512ELi16ELb1EaiEEvPKT2_PT3_li
		.amdhsa_group_segment_fixed_size 64
		.amdhsa_private_segment_fixed_size 0
		.amdhsa_kernarg_size 28
		.amdhsa_user_sgpr_count 15
		.amdhsa_user_sgpr_dispatch_ptr 0
		.amdhsa_user_sgpr_queue_ptr 0
		.amdhsa_user_sgpr_kernarg_segment_ptr 1
		.amdhsa_user_sgpr_dispatch_id 0
		.amdhsa_user_sgpr_private_segment_size 0
		.amdhsa_wavefront_size32 1
		.amdhsa_uses_dynamic_stack 0
		.amdhsa_enable_private_segment 0
		.amdhsa_system_sgpr_workgroup_id_x 1
		.amdhsa_system_sgpr_workgroup_id_y 0
		.amdhsa_system_sgpr_workgroup_id_z 0
		.amdhsa_system_sgpr_workgroup_info 0
		.amdhsa_system_vgpr_workitem_id 0
		.amdhsa_next_free_vgpr 39
		.amdhsa_next_free_sgpr 29
		.amdhsa_reserve_vcc 1
		.amdhsa_float_round_mode_32 0
		.amdhsa_float_round_mode_16_64 0
		.amdhsa_float_denorm_mode_32 3
		.amdhsa_float_denorm_mode_16_64 3
		.amdhsa_dx10_clamp 1
		.amdhsa_ieee_mode 1
		.amdhsa_fp16_overflow 0
		.amdhsa_workgroup_processor_mode 1
		.amdhsa_memory_ordered 1
		.amdhsa_forward_progress 0
		.amdhsa_shared_vgpr_count 0
		.amdhsa_exception_fp_ieee_invalid_op 0
		.amdhsa_exception_fp_denorm_src 0
		.amdhsa_exception_fp_ieee_div_zero 0
		.amdhsa_exception_fp_ieee_overflow 0
		.amdhsa_exception_fp_ieee_underflow 0
		.amdhsa_exception_fp_ieee_inexact 0
		.amdhsa_exception_int_div_zero 0
	.end_amdhsa_kernel
	.section	.text._ZN2at4cuda3cub15calc_block_sumsILi512ELi16ELb1EaiEEvPKT2_PT3_li,"axG",@progbits,_ZN2at4cuda3cub15calc_block_sumsILi512ELi16ELb1EaiEEvPKT2_PT3_li,comdat
.Lfunc_end901:
	.size	_ZN2at4cuda3cub15calc_block_sumsILi512ELi16ELb1EaiEEvPKT2_PT3_li, .Lfunc_end901-_ZN2at4cuda3cub15calc_block_sumsILi512ELi16ELb1EaiEEvPKT2_PT3_li
                                        ; -- End function
	.section	.AMDGPU.csdata,"",@progbits
; Kernel info:
; codeLenInByte = 3632
; NumSgprs: 31
; NumVgprs: 39
; ScratchSize: 0
; MemoryBound: 0
; FloatMode: 240
; IeeeMode: 1
; LDSByteSize: 64 bytes/workgroup (compile time only)
; SGPRBlocks: 3
; VGPRBlocks: 4
; NumSGPRsForWavesPerEU: 31
; NumVGPRsForWavesPerEU: 39
; Occupancy: 16
; WaveLimiterHint : 1
; COMPUTE_PGM_RSRC2:SCRATCH_EN: 0
; COMPUTE_PGM_RSRC2:USER_SGPR: 15
; COMPUTE_PGM_RSRC2:TRAP_HANDLER: 0
; COMPUTE_PGM_RSRC2:TGID_X_EN: 1
; COMPUTE_PGM_RSRC2:TGID_Y_EN: 0
; COMPUTE_PGM_RSRC2:TGID_Z_EN: 0
; COMPUTE_PGM_RSRC2:TIDIG_COMP_CNT: 0
	.section	.text._ZN2at6native12_GLOBAL__N_111flag_kernelILi512ELi16EaEEvPKT1_PlPKllli,"axG",@progbits,_ZN2at6native12_GLOBAL__N_111flag_kernelILi512ELi16EaEEvPKT1_PlPKllli,comdat
	.globl	_ZN2at6native12_GLOBAL__N_111flag_kernelILi512ELi16EaEEvPKT1_PlPKllli ; -- Begin function _ZN2at6native12_GLOBAL__N_111flag_kernelILi512ELi16EaEEvPKT1_PlPKllli
	.p2align	8
	.type	_ZN2at6native12_GLOBAL__N_111flag_kernelILi512ELi16EaEEvPKT1_PlPKllli,@function
_ZN2at6native12_GLOBAL__N_111flag_kernelILi512ELi16EaEEvPKT1_PlPKllli: ; @_ZN2at6native12_GLOBAL__N_111flag_kernelILi512ELi16EaEEvPKT1_PlPKllli
; %bb.0:
	s_clause 0x1
	s_load_b32 s14, s[0:1], 0x28
	s_load_b256 s[4:11], s[0:1], 0x0
	s_waitcnt lgkmcnt(0)
	s_lshl_b32 s2, s14, 13
	s_delay_alu instid0(SALU_CYCLE_1) | instskip(SKIP_4) | instid1(SALU_CYCLE_1)
	s_ashr_i32 s3, s2, 31
	s_mul_hi_u32 s12, s2, s15
	s_mul_i32 s3, s3, s15
	s_mul_i32 s28, s2, s15
	s_add_i32 s29, s12, s3
	v_cmp_le_i64_e64 s2, s[10:11], s[28:29]
	s_delay_alu instid0(VALU_DEP_1)
	s_and_b32 vcc_lo, exec_lo, s2
	s_cbranch_vccnz .LBB902_100
; %bb.1:
	s_load_b64 s[12:13], s[0:1], 0x20
	s_cmp_eq_u32 s15, 0
	s_mov_b32 s3, 0
	s_cbranch_scc1 .LBB902_3
; %bb.2:
	s_add_i32 s2, s15, -1
	s_delay_alu instid0(SALU_CYCLE_1) | instskip(NEXT) | instid1(SALU_CYCLE_1)
	s_lshl_b64 s[2:3], s[2:3], 3
	s_add_u32 s2, s8, s2
	s_addc_u32 s3, s9, s3
	s_load_b64 s[2:3], s[2:3], 0x0
	s_cmp_lt_i32 s14, 1
	s_cbranch_scc0 .LBB902_4
	s_branch .LBB902_100
.LBB902_3:
	s_mov_b64 s[2:3], 0
	s_cmp_lt_i32 s14, 1
	s_cbranch_scc1 .LBB902_100
.LBB902_4:
	v_mbcnt_lo_u32_b32 v21, -1, 0
	s_add_u32 s33, s4, s28
	s_addc_u32 s36, s5, s29
	s_waitcnt lgkmcnt(0)
	s_sub_u32 s30, s12, s2
	s_subb_u32 s31, s13, s3
	v_and_b32_e32 v4, 15, v21
	s_sub_u32 s34, s10, s28
	s_subb_u32 s35, s11, s29
	s_lshl_b64 s[2:3], s[2:3], 3
	v_dual_mov_b32 v1, 0 :: v_dual_lshlrev_b32 v2, 4, v0
	s_add_u32 s37, s6, s2
	s_addc_u32 s38, s7, s3
	v_cmp_eq_u32_e64 s2, 0, v4
	v_cmp_lt_u32_e64 s3, 1, v4
	v_cmp_lt_u32_e64 s4, 3, v4
	;; [unrolled: 1-line block ×3, first 2 shown]
	v_add_nc_u32_e32 v4, -1, v21
	v_and_b32_e32 v22, 0x3e00, v2
	v_and_b32_e32 v6, 16, v21
	v_lshrrev_b32_e32 v7, 3, v0
	v_lshlrev_b32_e32 v24, 2, v0
	v_cmp_gt_i32_e32 vcc_lo, 0, v4
	v_and_b32_e32 v3, 0x3e0, v0
	v_cmp_eq_u32_e64 s6, 0, v6
	v_or_b32_e32 v6, 0x800, v0
	v_dual_cndmask_b32 v4, v4, v21 :: v_dual_and_b32 v23, 0x7c, v7
	s_delay_alu instid0(VALU_DEP_4) | instskip(SKIP_1) | instid1(VALU_DEP_4)
	v_min_u32_e32 v5, 0x1e0, v3
	v_add_nc_u32_e32 v7, 0xa00, v0
	v_lshrrev_b32_e32 v6, 3, v6
	v_or_b32_e32 v41, v21, v22
	v_lshlrev_b32_e32 v26, 2, v4
	v_or_b32_e32 v5, 31, v5
	v_add_nc_u32_e32 v4, 0x200, v0
	v_lshrrev_b32_e32 v7, 3, v7
	v_or_b32_e32 v45, 32, v41
	v_or_b32_e32 v46, 64, v41
	v_cmp_eq_u32_e64 s7, v5, v0
	v_lshrrev_b32_e32 v5, 1, v0
	v_lshrrev_b32_e32 v4, 3, v4
	v_or_b32_e32 v47, 0x60, v41
	v_or_b32_e32 v48, 0x80, v41
	;; [unrolled: 1-line block ×3, first 2 shown]
	v_add_lshl_u32 v27, v5, v2, 2
	v_or_b32_e32 v2, 0x400, v0
	v_add_nc_u32_e32 v5, 0x600, v0
	v_and_b32_e32 v4, 0xfc, v4
	v_or_b32_e32 v50, 0xc0, v41
	v_or_b32_e32 v52, 0x100, v41
	v_lshrrev_b32_e32 v2, 3, v2
	v_lshrrev_b32_e32 v5, 3, v5
	v_add_nc_u32_e32 v29, v24, v4
	v_or_b32_e32 v51, 0xe0, v41
	v_or_b32_e32 v53, 0x120, v41
	v_and_b32_e32 v2, 0xfc, v2
	v_and_b32_e32 v4, 0x1fc, v5
	;; [unrolled: 1-line block ×4, first 2 shown]
	v_or_b32_e32 v7, 0x1400, v0
	v_add_nc_u32_e32 v30, v24, v2
	v_or_b32_e32 v2, 0xc00, v0
	v_add_nc_u32_e32 v31, v24, v4
	v_add_nc_u32_e32 v32, v24, v5
	;; [unrolled: 1-line block ×3, first 2 shown]
	v_or_b32_e32 v5, 0x1000, v0
	v_lshrrev_b32_e32 v2, 3, v2
	v_add_nc_u32_e32 v33, v24, v6
	v_add_nc_u32_e32 v6, 0x1200, v0
	v_lshrrev_b32_e32 v4, 3, v4
	v_lshrrev_b32_e32 v5, 3, v5
	v_and_b32_e32 v2, 0x1fc, v2
	v_lshrrev_b32_e32 v7, 3, v7
	v_lshrrev_b32_e32 v6, 3, v6
	v_and_b32_e32 v4, 0x3fc, v4
	v_or_b32_e32 v54, 0x140, v41
	v_add_nc_u32_e32 v34, v24, v2
	v_and_b32_e32 v2, 0x27c, v5
	v_and_b32_e32 v5, 0x2fc, v6
	;; [unrolled: 1-line block ×3, first 2 shown]
	v_add_nc_u32_e32 v35, v24, v4
	v_add_nc_u32_e32 v4, 0x1600, v0
	;; [unrolled: 1-line block ×3, first 2 shown]
	v_or_b32_e32 v2, 0x1800, v0
	v_add_nc_u32_e32 v37, v24, v5
	v_add_nc_u32_e32 v38, v24, v6
	v_lshrrev_b32_e32 v4, 3, v4
	v_add_nc_u32_e32 v5, 0x1a00, v0
	v_or_b32_e32 v6, 0x1c00, v0
	v_lshrrev_b32_e32 v2, 3, v2
	v_add_nc_u32_e32 v7, 0x1e00, v0
	v_and_b32_e32 v4, 0x3fc, v4
	v_lshrrev_b32_e32 v5, 3, v5
	v_lshrrev_b32_e32 v6, 3, v6
	v_and_b32_e32 v2, 0x37c, v2
	v_lshrrev_b32_e32 v7, 3, v7
	v_add_nc_u32_e32 v39, v24, v4
	v_and_b32_e32 v4, 0x3fc, v5
	v_and_b32_e32 v5, 0x3fc, v6
	v_add_nc_u32_e32 v40, v24, v2
	v_lshrrev_b32_e32 v2, 5, v22
	v_and_b32_e32 v6, 0x7fc, v7
	v_add_nc_u32_e32 v42, v24, v4
	v_add_nc_u32_e32 v43, v24, v5
	v_lshrrev_b32_e32 v4, 5, v45
	v_lshrrev_b32_e32 v5, 5, v46
	v_add_lshl_u32 v60, v2, v41, 2
	v_lshrrev_b32_e32 v2, 5, v47
	v_add_nc_u32_e32 v44, v24, v6
	v_or_b32_e32 v55, 0x160, v41
	v_add_lshl_u32 v61, v4, v45, 2
	v_add_lshl_u32 v62, v5, v46, 2
	v_lshrrev_b32_e32 v4, 5, v48
	v_lshrrev_b32_e32 v5, 5, v49
	;; [unrolled: 1-line block ×3, first 2 shown]
	v_add_lshl_u32 v63, v2, v47, 2
	v_lshrrev_b32_e32 v2, 5, v52
	v_or_b32_e32 v3, v21, v3
	v_or_b32_e32 v56, 0x180, v41
	;; [unrolled: 1-line block ×5, first 2 shown]
	v_lshrrev_b32_e32 v7, 5, v51
	v_add_lshl_u32 v64, v4, v48, 2
	v_add_lshl_u32 v65, v5, v49, 2
	;; [unrolled: 1-line block ×3, first 2 shown]
	v_lshrrev_b32_e32 v4, 5, v53
	v_lshrrev_b32_e32 v5, 5, v54
	;; [unrolled: 1-line block ×3, first 2 shown]
	v_add_lshl_u32 v68, v2, v52, 2
	v_lshlrev_b32_e32 v2, 4, v3
	v_bfe_u32 v3, v3, 1, 27
	v_add_lshl_u32 v67, v7, v51, 2
	v_add_lshl_u32 v69, v4, v53, 2
	;; [unrolled: 1-line block ×4, first 2 shown]
	v_lshrrev_b32_e32 v4, 5, v56
	v_lshrrev_b32_e32 v5, 5, v57
	;; [unrolled: 1-line block ×4, first 2 shown]
	v_add_lshl_u32 v72, v3, v2, 2
	v_cmp_gt_u32_e64 s8, 16, v0
	v_cmp_lt_u32_e64 s9, 31, v0
	v_add_nc_u32_e32 v25, -4, v23
	v_cmp_eq_u32_e64 s10, 0, v21
	v_cmp_eq_u32_e64 s11, 0, v0
	v_add_nc_u32_e32 v28, v24, v23
	v_add_lshl_u32 v73, v4, v56, 2
	v_add_lshl_u32 v74, v5, v57, 2
	;; [unrolled: 1-line block ×4, first 2 shown]
	v_add_nc_u32_e32 v77, 56, v72
	v_add_nc_u32_e32 v78, 48, v72
	;; [unrolled: 1-line block ×7, first 2 shown]
	s_add_u32 s0, s0, 48
	s_addc_u32 s1, s1, 0
	s_add_i32 s39, s14, -1
	s_mov_b32 s12, 0
	s_branch .LBB902_6
.LBB902_5:                              ;   in Loop: Header=BB902_6 Depth=1
	s_cmp_eq_u32 s39, 0
	s_cselect_b32 s14, -1, 0
	s_delay_alu instid0(SALU_CYCLE_1)
	s_or_b32 s13, s13, s14
	s_add_u32 s34, s34, 0xffffe000
	s_addc_u32 s35, s35, -1
	s_and_not1_b32 vcc_lo, exec_lo, s13
	s_add_i32 s39, s39, -1
	s_cbranch_vccz .LBB902_100
.LBB902_6:                              ; =>This Inner Loop Header: Depth=1
	v_cmp_gt_i64_e64 s13, 0x2000, s[34:35]
	s_delay_alu instid0(VALU_DEP_1)
	s_and_b32 vcc_lo, exec_lo, s13
	s_mov_b32 s13, -1
	s_cbranch_vccz .LBB902_25
; %bb.7:                                ;   in Loop: Header=BB902_6 Depth=1
	v_add_co_u32 v2, s13, s33, v21
	s_delay_alu instid0(VALU_DEP_1) | instskip(SKIP_1) | instid1(VALU_DEP_2)
	v_add_co_ci_u32_e64 v3, null, s36, 0, s13
	s_mov_b32 s13, s12
	v_add_co_u32 v18, vcc_lo, v2, v22
	s_mov_b32 s14, s12
	s_mov_b32 s15, s12
	s_mov_b32 s16, s12
	s_mov_b32 s17, s12
	s_mov_b32 s18, s12
	s_mov_b32 s19, s12
	s_mov_b32 s20, s12
	s_mov_b32 s21, s12
	s_mov_b32 s22, s12
	s_mov_b32 s23, s12
	s_mov_b32 s24, s12
	s_mov_b32 s25, s12
	s_mov_b32 s26, s12
	s_mov_b32 s27, s12
	v_add_co_ci_u32_e32 v19, vcc_lo, 0, v3, vcc_lo
	v_dual_mov_b32 v2, s12 :: v_dual_mov_b32 v3, s13
	v_dual_mov_b32 v4, s14 :: v_dual_mov_b32 v5, s15
	;; [unrolled: 1-line block ×8, first 2 shown]
	v_mov_b32_e32 v2, 0
	s_mov_b32 s13, exec_lo
	v_cmpx_gt_u32_e64 s34, v41
	s_cbranch_execnz .LBB902_85
; %bb.8:                                ;   in Loop: Header=BB902_6 Depth=1
	s_or_b32 exec_lo, exec_lo, s13
	s_delay_alu instid0(SALU_CYCLE_1)
	s_mov_b32 s13, exec_lo
	v_cmpx_gt_u32_e64 s34, v45
	s_cbranch_execnz .LBB902_86
.LBB902_9:                              ;   in Loop: Header=BB902_6 Depth=1
	s_or_b32 exec_lo, exec_lo, s13
	s_delay_alu instid0(SALU_CYCLE_1)
	s_mov_b32 s13, exec_lo
	v_cmpx_gt_u32_e64 s34, v46
	s_cbranch_execnz .LBB902_87
.LBB902_10:                             ;   in Loop: Header=BB902_6 Depth=1
	s_or_b32 exec_lo, exec_lo, s13
	s_delay_alu instid0(SALU_CYCLE_1)
	s_mov_b32 s13, exec_lo
	v_cmpx_gt_u32_e64 s34, v47
	s_cbranch_execnz .LBB902_88
.LBB902_11:                             ;   in Loop: Header=BB902_6 Depth=1
	s_or_b32 exec_lo, exec_lo, s13
	s_delay_alu instid0(SALU_CYCLE_1)
	s_mov_b32 s13, exec_lo
	v_cmpx_gt_u32_e64 s34, v48
	s_cbranch_execnz .LBB902_89
.LBB902_12:                             ;   in Loop: Header=BB902_6 Depth=1
	s_or_b32 exec_lo, exec_lo, s13
	s_delay_alu instid0(SALU_CYCLE_1)
	s_mov_b32 s13, exec_lo
	v_cmpx_gt_u32_e64 s34, v49
	s_cbranch_execnz .LBB902_90
.LBB902_13:                             ;   in Loop: Header=BB902_6 Depth=1
	s_or_b32 exec_lo, exec_lo, s13
	s_delay_alu instid0(SALU_CYCLE_1)
	s_mov_b32 s13, exec_lo
	v_cmpx_gt_u32_e64 s34, v50
	s_cbranch_execnz .LBB902_91
.LBB902_14:                             ;   in Loop: Header=BB902_6 Depth=1
	s_or_b32 exec_lo, exec_lo, s13
	s_delay_alu instid0(SALU_CYCLE_1)
	s_mov_b32 s13, exec_lo
	v_cmpx_gt_u32_e64 s34, v51
	s_cbranch_execnz .LBB902_92
.LBB902_15:                             ;   in Loop: Header=BB902_6 Depth=1
	s_or_b32 exec_lo, exec_lo, s13
	s_delay_alu instid0(SALU_CYCLE_1)
	s_mov_b32 s13, exec_lo
	v_cmpx_gt_u32_e64 s34, v52
	s_cbranch_execnz .LBB902_93
.LBB902_16:                             ;   in Loop: Header=BB902_6 Depth=1
	s_or_b32 exec_lo, exec_lo, s13
	s_delay_alu instid0(SALU_CYCLE_1)
	s_mov_b32 s13, exec_lo
	v_cmpx_gt_u32_e64 s34, v53
	s_cbranch_execnz .LBB902_94
.LBB902_17:                             ;   in Loop: Header=BB902_6 Depth=1
	s_or_b32 exec_lo, exec_lo, s13
	s_delay_alu instid0(SALU_CYCLE_1)
	s_mov_b32 s13, exec_lo
	v_cmpx_gt_u32_e64 s34, v54
	s_cbranch_execnz .LBB902_95
.LBB902_18:                             ;   in Loop: Header=BB902_6 Depth=1
	s_or_b32 exec_lo, exec_lo, s13
	s_delay_alu instid0(SALU_CYCLE_1)
	s_mov_b32 s13, exec_lo
	v_cmpx_gt_u32_e64 s34, v55
	s_cbranch_execnz .LBB902_96
.LBB902_19:                             ;   in Loop: Header=BB902_6 Depth=1
	s_or_b32 exec_lo, exec_lo, s13
	s_delay_alu instid0(SALU_CYCLE_1)
	s_mov_b32 s13, exec_lo
	v_cmpx_gt_u32_e64 s34, v56
	s_cbranch_execnz .LBB902_97
.LBB902_20:                             ;   in Loop: Header=BB902_6 Depth=1
	s_or_b32 exec_lo, exec_lo, s13
	s_delay_alu instid0(SALU_CYCLE_1)
	s_mov_b32 s13, exec_lo
	v_cmpx_gt_u32_e64 s34, v57
	s_cbranch_execnz .LBB902_98
.LBB902_21:                             ;   in Loop: Header=BB902_6 Depth=1
	s_or_b32 exec_lo, exec_lo, s13
	s_delay_alu instid0(SALU_CYCLE_1)
	s_mov_b32 s13, exec_lo
	v_cmpx_gt_u32_e64 s34, v58
	s_cbranch_execnz .LBB902_99
.LBB902_22:                             ;   in Loop: Header=BB902_6 Depth=1
	s_or_b32 exec_lo, exec_lo, s13
	s_delay_alu instid0(SALU_CYCLE_1)
	s_mov_b32 s13, exec_lo
	v_cmpx_gt_u32_e64 s34, v59
	s_cbranch_execz .LBB902_24
.LBB902_23:                             ;   in Loop: Header=BB902_6 Depth=1
	global_load_u8 v17, v[18:19], off offset:480
	s_waitcnt vmcnt(0)
	v_cmp_ne_u16_e32 vcc_lo, 0, v17
	v_cndmask_b32_e64 v17, 0, 1, vcc_lo
.LBB902_24:                             ;   in Loop: Header=BB902_6 Depth=1
	s_or_b32 exec_lo, exec_lo, s13
	s_mov_b32 s13, 0
	ds_store_b32 v60, v2
	ds_store_b32 v61, v3
	;; [unrolled: 1-line block ×16, first 2 shown]
	; wave barrier
.LBB902_25:                             ;   in Loop: Header=BB902_6 Depth=1
	s_and_b32 vcc_lo, exec_lo, s13
	s_cbranch_vccz .LBB902_27
; %bb.26:                               ;   in Loop: Header=BB902_6 Depth=1
	v_add_co_u32 v2, s13, s33, v21
	s_delay_alu instid0(VALU_DEP_1) | instskip(NEXT) | instid1(VALU_DEP_2)
	v_add_co_ci_u32_e64 v3, null, s36, 0, s13
	v_add_co_u32 v2, vcc_lo, v2, v22
	s_delay_alu instid0(VALU_DEP_2)
	v_add_co_ci_u32_e32 v3, vcc_lo, 0, v3, vcc_lo
	s_clause 0xf
	global_load_u8 v4, v[2:3], off
	global_load_u8 v5, v[2:3], off offset:32
	global_load_u8 v6, v[2:3], off offset:64
	global_load_u8 v7, v[2:3], off offset:96
	global_load_u8 v8, v[2:3], off offset:128
	global_load_u8 v9, v[2:3], off offset:160
	global_load_u8 v10, v[2:3], off offset:192
	global_load_u8 v11, v[2:3], off offset:224
	global_load_u8 v12, v[2:3], off offset:256
	global_load_u8 v13, v[2:3], off offset:288
	global_load_u8 v14, v[2:3], off offset:320
	global_load_u8 v15, v[2:3], off offset:352
	global_load_u8 v16, v[2:3], off offset:384
	global_load_u8 v17, v[2:3], off offset:416
	global_load_u8 v18, v[2:3], off offset:448
	global_load_u8 v2, v[2:3], off offset:480
	s_waitcnt vmcnt(15)
	v_cmp_ne_u16_e32 vcc_lo, 0, v4
	v_cndmask_b32_e64 v3, 0, 1, vcc_lo
	s_waitcnt vmcnt(14)
	v_cmp_ne_u16_e32 vcc_lo, 0, v5
	v_cndmask_b32_e64 v4, 0, 1, vcc_lo
	;; [unrolled: 3-line block ×16, first 2 shown]
	ds_store_b32 v60, v3
	ds_store_b32 v61, v4
	;; [unrolled: 1-line block ×16, first 2 shown]
	; wave barrier
.LBB902_27:                             ;   in Loop: Header=BB902_6 Depth=1
	ds_load_2addr_b32 v[16:17], v72 offset1:1
	ds_load_2addr_b32 v[12:13], v83 offset1:1
	ds_load_2addr_b32 v[8:9], v82 offset1:1
	ds_load_2addr_b32 v[6:7], v81 offset1:1
	ds_load_2addr_b32 v[14:15], v80 offset1:1
	ds_load_2addr_b32 v[10:11], v79 offset1:1
	s_waitcnt lgkmcnt(5)
	v_add_nc_u32_e32 v2, v17, v16
	s_waitcnt lgkmcnt(4)
	s_delay_alu instid0(VALU_DEP_1) | instskip(SKIP_1) | instid1(VALU_DEP_1)
	v_add3_u32 v2, v2, v12, v13
	s_waitcnt lgkmcnt(3)
	v_add3_u32 v18, v2, v8, v9
	ds_load_2addr_b32 v[4:5], v78 offset1:1
	ds_load_2addr_b32 v[2:3], v77 offset1:1
	s_waitcnt lgkmcnt(0)
	s_waitcnt_vscnt null, 0x0
	s_barrier
	buffer_gl0_inv
	v_add3_u32 v18, v18, v6, v7
	s_delay_alu instid0(VALU_DEP_1) | instskip(NEXT) | instid1(VALU_DEP_1)
	v_add3_u32 v18, v18, v14, v15
	v_add3_u32 v18, v18, v10, v11
	s_delay_alu instid0(VALU_DEP_1) | instskip(NEXT) | instid1(VALU_DEP_1)
	v_add3_u32 v18, v18, v4, v5
	v_add3_u32 v18, v18, v2, v3
	s_delay_alu instid0(VALU_DEP_1) | instskip(NEXT) | instid1(VALU_DEP_1)
	v_mov_b32_dpp v19, v18 row_shr:1 row_mask:0xf bank_mask:0xf
	v_cndmask_b32_e64 v19, v19, 0, s2
	s_delay_alu instid0(VALU_DEP_1) | instskip(NEXT) | instid1(VALU_DEP_1)
	v_add_nc_u32_e32 v18, v18, v19
	v_mov_b32_dpp v19, v18 row_shr:2 row_mask:0xf bank_mask:0xf
	s_delay_alu instid0(VALU_DEP_1) | instskip(NEXT) | instid1(VALU_DEP_1)
	v_cndmask_b32_e64 v19, 0, v19, s3
	v_add_nc_u32_e32 v18, v18, v19
	s_delay_alu instid0(VALU_DEP_1) | instskip(NEXT) | instid1(VALU_DEP_1)
	v_mov_b32_dpp v19, v18 row_shr:4 row_mask:0xf bank_mask:0xf
	v_cndmask_b32_e64 v19, 0, v19, s4
	s_delay_alu instid0(VALU_DEP_1) | instskip(NEXT) | instid1(VALU_DEP_1)
	v_add_nc_u32_e32 v18, v18, v19
	v_mov_b32_dpp v19, v18 row_shr:8 row_mask:0xf bank_mask:0xf
	s_delay_alu instid0(VALU_DEP_1) | instskip(NEXT) | instid1(VALU_DEP_1)
	v_cndmask_b32_e64 v19, 0, v19, s5
	v_add_nc_u32_e32 v18, v18, v19
	ds_swizzle_b32 v19, v18 offset:swizzle(BROADCAST,32,15)
	s_waitcnt lgkmcnt(0)
	v_cndmask_b32_e64 v19, v19, 0, s6
	s_delay_alu instid0(VALU_DEP_1)
	v_add_nc_u32_e32 v18, v18, v19
	s_and_saveexec_b32 s13, s7
	s_cbranch_execz .LBB902_29
; %bb.28:                               ;   in Loop: Header=BB902_6 Depth=1
	ds_store_b32 v23, v18
.LBB902_29:                             ;   in Loop: Header=BB902_6 Depth=1
	s_or_b32 exec_lo, exec_lo, s13
	s_waitcnt lgkmcnt(0)
	s_barrier
	buffer_gl0_inv
	s_and_saveexec_b32 s13, s8
	s_cbranch_execz .LBB902_31
; %bb.30:                               ;   in Loop: Header=BB902_6 Depth=1
	ds_load_b32 v19, v24
	s_waitcnt lgkmcnt(0)
	v_mov_b32_dpp v20, v19 row_shr:1 row_mask:0xf bank_mask:0xf
	s_delay_alu instid0(VALU_DEP_1) | instskip(NEXT) | instid1(VALU_DEP_1)
	v_cndmask_b32_e64 v20, v20, 0, s2
	v_add_nc_u32_e32 v19, v20, v19
	s_delay_alu instid0(VALU_DEP_1) | instskip(NEXT) | instid1(VALU_DEP_1)
	v_mov_b32_dpp v20, v19 row_shr:2 row_mask:0xf bank_mask:0xf
	v_cndmask_b32_e64 v20, 0, v20, s3
	s_delay_alu instid0(VALU_DEP_1) | instskip(NEXT) | instid1(VALU_DEP_1)
	v_add_nc_u32_e32 v19, v19, v20
	v_mov_b32_dpp v20, v19 row_shr:4 row_mask:0xf bank_mask:0xf
	s_delay_alu instid0(VALU_DEP_1) | instskip(NEXT) | instid1(VALU_DEP_1)
	v_cndmask_b32_e64 v20, 0, v20, s4
	v_add_nc_u32_e32 v19, v19, v20
	s_delay_alu instid0(VALU_DEP_1) | instskip(NEXT) | instid1(VALU_DEP_1)
	v_mov_b32_dpp v20, v19 row_shr:8 row_mask:0xf bank_mask:0xf
	v_cndmask_b32_e64 v20, 0, v20, s5
	s_delay_alu instid0(VALU_DEP_1)
	v_add_nc_u32_e32 v19, v19, v20
	ds_store_b32 v24, v19
.LBB902_31:                             ;   in Loop: Header=BB902_6 Depth=1
	s_or_b32 exec_lo, exec_lo, s13
	v_mov_b32_e32 v19, 0
	s_waitcnt lgkmcnt(0)
	s_barrier
	buffer_gl0_inv
	s_and_saveexec_b32 s13, s9
	s_cbranch_execz .LBB902_33
; %bb.32:                               ;   in Loop: Header=BB902_6 Depth=1
	ds_load_b32 v19, v25
.LBB902_33:                             ;   in Loop: Header=BB902_6 Depth=1
	s_or_b32 exec_lo, exec_lo, s13
	s_waitcnt lgkmcnt(0)
	v_add_nc_u32_e32 v18, v19, v18
	ds_bpermute_b32 v18, v26, v18
	s_and_saveexec_b32 s13, s11
	s_cbranch_execz .LBB902_35
; %bb.34:                               ;   in Loop: Header=BB902_6 Depth=1
	ds_load_b32 v20, v1 offset:60
	s_waitcnt lgkmcnt(0)
	ds_store_b32 v1, v20 offset:33792
.LBB902_35:                             ;   in Loop: Header=BB902_6 Depth=1
	s_or_b32 exec_lo, exec_lo, s13
	s_waitcnt lgkmcnt(0)
	v_cndmask_b32_e64 v18, v18, v19, s10
	s_barrier
	buffer_gl0_inv
	ds_store_2addr_b32 v27, v16, v17 offset1:1
	ds_store_2addr_b32 v27, v12, v13 offset0:2 offset1:3
	ds_store_2addr_b32 v27, v8, v9 offset0:4 offset1:5
	;; [unrolled: 1-line block ×3, first 2 shown]
	v_cndmask_b32_e64 v18, v18, 0, s11
	ds_store_2addr_b32 v27, v14, v15 offset0:8 offset1:9
	ds_store_2addr_b32 v27, v10, v11 offset0:10 offset1:11
	;; [unrolled: 1-line block ×4, first 2 shown]
	s_waitcnt lgkmcnt(0)
	s_barrier
	buffer_gl0_inv
	v_add_nc_u32_e32 v19, v18, v16
	ds_load_b32 v108, v28
	ds_load_b32 v98, v29 offset:2048
	ds_load_b32 v97, v30 offset:4096
	;; [unrolled: 1-line block ×15, first 2 shown]
	s_waitcnt lgkmcnt(0)
	s_barrier
	v_add_nc_u32_e32 v20, v19, v17
	buffer_gl0_inv
	v_add_nc_u32_e32 v99, v20, v12
	s_delay_alu instid0(VALU_DEP_1) | instskip(NEXT) | instid1(VALU_DEP_1)
	v_add_nc_u32_e32 v100, v99, v13
	v_add_nc_u32_e32 v101, v100, v8
	s_delay_alu instid0(VALU_DEP_1) | instskip(NEXT) | instid1(VALU_DEP_1)
	v_add_nc_u32_e32 v102, v101, v9
	;; [unrolled: 3-line block ×6, first 2 shown]
	v_add_nc_u32_e32 v2, v4, v2
	ds_store_2addr_b32 v27, v18, v19 offset1:1
	ds_store_2addr_b32 v27, v20, v99 offset0:2 offset1:3
	ds_store_2addr_b32 v27, v100, v101 offset0:4 offset1:5
	;; [unrolled: 1-line block ×7, first 2 shown]
	s_waitcnt lgkmcnt(0)
	s_barrier
	buffer_gl0_inv
	ds_load_b32 v18, v29 offset:2048
	ds_load_b32 v17, v30 offset:4096
	ds_load_b32 v16, v31 offset:6144
	ds_load_b32 v15, v32 offset:8192
	ds_load_b32 v14, v33 offset:10240
	ds_load_b32 v13, v34 offset:12288
	ds_load_b32 v12, v35 offset:14336
	ds_load_b32 v11, v36 offset:16384
	ds_load_b32 v10, v37 offset:18432
	ds_load_b32 v9, v38 offset:20480
	ds_load_b32 v8, v39 offset:22528
	ds_load_b32 v7, v40 offset:24576
	ds_load_b32 v6, v42 offset:26624
	ds_load_b32 v5, v43 offset:28672
	ds_load_b32 v4, v44 offset:30720
	v_add_co_u32 v2, s13, s28, v0
	s_delay_alu instid0(VALU_DEP_1)
	v_add_co_ci_u32_e64 v3, null, s29, 0, s13
	s_mov_b32 s13, exec_lo
	v_cmpx_ne_u32_e32 0, v108
	s_cbranch_execz .LBB902_38
; %bb.36:                               ;   in Loop: Header=BB902_6 Depth=1
	ds_load_b32 v19, v28
	s_waitcnt lgkmcnt(0)
	v_ashrrev_i32_e32 v20, 31, v19
	s_delay_alu instid0(VALU_DEP_1)
	v_cmp_gt_i64_e32 vcc_lo, s[30:31], v[19:20]
	s_and_b32 exec_lo, exec_lo, vcc_lo
	s_cbranch_execz .LBB902_38
; %bb.37:                               ;   in Loop: Header=BB902_6 Depth=1
	v_lshlrev_b64 v[19:20], 3, v[19:20]
	s_delay_alu instid0(VALU_DEP_1) | instskip(NEXT) | instid1(VALU_DEP_2)
	v_add_co_u32 v19, vcc_lo, s37, v19
	v_add_co_ci_u32_e32 v20, vcc_lo, s38, v20, vcc_lo
	global_store_b64 v[19:20], v[2:3], off
.LBB902_38:                             ;   in Loop: Header=BB902_6 Depth=1
	s_or_b32 exec_lo, exec_lo, s13
	s_delay_alu instid0(SALU_CYCLE_1)
	s_mov_b32 s13, exec_lo
	v_cmpx_ne_u32_e32 0, v98
	s_cbranch_execz .LBB902_41
; %bb.39:                               ;   in Loop: Header=BB902_6 Depth=1
	s_waitcnt lgkmcnt(14)
	v_ashrrev_i32_e32 v19, 31, v18
	s_delay_alu instid0(VALU_DEP_1)
	v_cmp_gt_i64_e32 vcc_lo, s[30:31], v[18:19]
	s_and_b32 exec_lo, exec_lo, vcc_lo
	s_cbranch_execz .LBB902_41
; %bb.40:                               ;   in Loop: Header=BB902_6 Depth=1
	s_load_b32 s14, s[0:1], 0xc
	v_lshlrev_b64 v[18:19], 3, v[18:19]
	s_waitcnt lgkmcnt(0)
	s_and_b32 s14, s14, 0xffff
	s_delay_alu instid0(SALU_CYCLE_1) | instskip(SKIP_1) | instid1(VALU_DEP_3)
	v_add_co_u32 v98, vcc_lo, v2, s14
	v_add_co_ci_u32_e32 v99, vcc_lo, 0, v3, vcc_lo
	v_add_co_u32 v18, vcc_lo, s37, v18
	v_add_co_ci_u32_e32 v19, vcc_lo, s38, v19, vcc_lo
	global_store_b64 v[18:19], v[98:99], off
.LBB902_41:                             ;   in Loop: Header=BB902_6 Depth=1
	s_or_b32 exec_lo, exec_lo, s13
	s_delay_alu instid0(SALU_CYCLE_1)
	s_mov_b32 s13, exec_lo
	v_cmpx_ne_u32_e32 0, v97
	s_cbranch_execz .LBB902_44
; %bb.42:                               ;   in Loop: Header=BB902_6 Depth=1
	s_waitcnt lgkmcnt(13)
	v_ashrrev_i32_e32 v18, 31, v17
	s_delay_alu instid0(VALU_DEP_1)
	v_cmp_gt_i64_e32 vcc_lo, s[30:31], v[17:18]
	s_and_b32 exec_lo, exec_lo, vcc_lo
	s_cbranch_execz .LBB902_44
; %bb.43:                               ;   in Loop: Header=BB902_6 Depth=1
	s_load_b32 s14, s[0:1], 0xc
	v_lshlrev_b64 v[17:18], 3, v[17:18]
	s_waitcnt lgkmcnt(0)
	s_and_b32 s14, s14, 0xffff
	s_delay_alu instid0(SALU_CYCLE_1) | instskip(NEXT) | instid1(SALU_CYCLE_1)
	s_lshl_b32 s14, s14, 1
	v_add_co_u32 v19, vcc_lo, v2, s14
	v_add_co_ci_u32_e32 v20, vcc_lo, 0, v3, vcc_lo
	v_add_co_u32 v17, vcc_lo, s37, v17
	v_add_co_ci_u32_e32 v18, vcc_lo, s38, v18, vcc_lo
	global_store_b64 v[17:18], v[19:20], off
.LBB902_44:                             ;   in Loop: Header=BB902_6 Depth=1
	s_or_b32 exec_lo, exec_lo, s13
	s_delay_alu instid0(SALU_CYCLE_1)
	s_mov_b32 s13, exec_lo
	v_cmpx_ne_u32_e32 0, v96
	s_cbranch_execz .LBB902_47
; %bb.45:                               ;   in Loop: Header=BB902_6 Depth=1
	s_waitcnt lgkmcnt(12)
	v_ashrrev_i32_e32 v17, 31, v16
	s_delay_alu instid0(VALU_DEP_1)
	v_cmp_gt_i64_e32 vcc_lo, s[30:31], v[16:17]
	s_and_b32 exec_lo, exec_lo, vcc_lo
	s_cbranch_execz .LBB902_47
; %bb.46:                               ;   in Loop: Header=BB902_6 Depth=1
	s_load_b32 s14, s[0:1], 0xc
	v_lshlrev_b64 v[16:17], 3, v[16:17]
	s_delay_alu instid0(VALU_DEP_1) | instskip(NEXT) | instid1(VALU_DEP_2)
	v_add_co_u32 v16, vcc_lo, s37, v16
	v_add_co_ci_u32_e32 v17, vcc_lo, s38, v17, vcc_lo
	s_waitcnt lgkmcnt(0)
	s_and_b32 s14, s14, 0xffff
	s_delay_alu instid0(SALU_CYCLE_1)
	v_mad_u64_u32 v[18:19], null, s14, 3, v[2:3]
	global_store_b64 v[16:17], v[18:19], off
.LBB902_47:                             ;   in Loop: Header=BB902_6 Depth=1
	s_or_b32 exec_lo, exec_lo, s13
	s_delay_alu instid0(SALU_CYCLE_1)
	s_mov_b32 s13, exec_lo
	v_cmpx_ne_u32_e32 0, v95
	s_cbranch_execz .LBB902_50
; %bb.48:                               ;   in Loop: Header=BB902_6 Depth=1
	s_waitcnt lgkmcnt(11)
	v_ashrrev_i32_e32 v16, 31, v15
	s_delay_alu instid0(VALU_DEP_1)
	v_cmp_gt_i64_e32 vcc_lo, s[30:31], v[15:16]
	s_and_b32 exec_lo, exec_lo, vcc_lo
	s_cbranch_execz .LBB902_50
; %bb.49:                               ;   in Loop: Header=BB902_6 Depth=1
	s_load_b32 s14, s[0:1], 0xc
	v_lshlrev_b64 v[15:16], 3, v[15:16]
	s_waitcnt lgkmcnt(0)
	s_and_b32 s14, s14, 0xffff
	s_delay_alu instid0(SALU_CYCLE_1) | instskip(NEXT) | instid1(SALU_CYCLE_1)
	s_lshl_b32 s14, s14, 2
	v_add_co_u32 v17, vcc_lo, v2, s14
	v_add_co_ci_u32_e32 v18, vcc_lo, 0, v3, vcc_lo
	v_add_co_u32 v15, vcc_lo, s37, v15
	v_add_co_ci_u32_e32 v16, vcc_lo, s38, v16, vcc_lo
	global_store_b64 v[15:16], v[17:18], off
.LBB902_50:                             ;   in Loop: Header=BB902_6 Depth=1
	s_or_b32 exec_lo, exec_lo, s13
	s_delay_alu instid0(SALU_CYCLE_1)
	s_mov_b32 s13, exec_lo
	v_cmpx_ne_u32_e32 0, v94
	s_cbranch_execz .LBB902_53
; %bb.51:                               ;   in Loop: Header=BB902_6 Depth=1
	s_waitcnt lgkmcnt(10)
	v_ashrrev_i32_e32 v15, 31, v14
	s_delay_alu instid0(VALU_DEP_1)
	v_cmp_gt_i64_e32 vcc_lo, s[30:31], v[14:15]
	s_and_b32 exec_lo, exec_lo, vcc_lo
	s_cbranch_execz .LBB902_53
; %bb.52:                               ;   in Loop: Header=BB902_6 Depth=1
	s_load_b32 s14, s[0:1], 0xc
	v_lshlrev_b64 v[14:15], 3, v[14:15]
	s_delay_alu instid0(VALU_DEP_1) | instskip(NEXT) | instid1(VALU_DEP_2)
	v_add_co_u32 v14, vcc_lo, s37, v14
	v_add_co_ci_u32_e32 v15, vcc_lo, s38, v15, vcc_lo
	s_waitcnt lgkmcnt(0)
	s_and_b32 s14, s14, 0xffff
	s_delay_alu instid0(SALU_CYCLE_1)
	v_mad_u64_u32 v[16:17], null, s14, 5, v[2:3]
	global_store_b64 v[14:15], v[16:17], off
.LBB902_53:                             ;   in Loop: Header=BB902_6 Depth=1
	s_or_b32 exec_lo, exec_lo, s13
	s_delay_alu instid0(SALU_CYCLE_1)
	s_mov_b32 s13, exec_lo
	v_cmpx_ne_u32_e32 0, v93
	s_cbranch_execz .LBB902_56
; %bb.54:                               ;   in Loop: Header=BB902_6 Depth=1
	s_waitcnt lgkmcnt(9)
	v_ashrrev_i32_e32 v14, 31, v13
	s_delay_alu instid0(VALU_DEP_1)
	v_cmp_gt_i64_e32 vcc_lo, s[30:31], v[13:14]
	s_and_b32 exec_lo, exec_lo, vcc_lo
	s_cbranch_execz .LBB902_56
; %bb.55:                               ;   in Loop: Header=BB902_6 Depth=1
	s_load_b32 s14, s[0:1], 0xc
	v_lshlrev_b64 v[13:14], 3, v[13:14]
	s_delay_alu instid0(VALU_DEP_1) | instskip(NEXT) | instid1(VALU_DEP_2)
	v_add_co_u32 v13, vcc_lo, s37, v13
	v_add_co_ci_u32_e32 v14, vcc_lo, s38, v14, vcc_lo
	s_waitcnt lgkmcnt(0)
	s_and_b32 s14, s14, 0xffff
	s_delay_alu instid0(SALU_CYCLE_1)
	v_mad_u64_u32 v[15:16], null, s14, 6, v[2:3]
	global_store_b64 v[13:14], v[15:16], off
.LBB902_56:                             ;   in Loop: Header=BB902_6 Depth=1
	;; [unrolled: 24-line block ×3, first 2 shown]
	s_or_b32 exec_lo, exec_lo, s13
	s_delay_alu instid0(SALU_CYCLE_1)
	s_mov_b32 s13, exec_lo
	v_cmpx_ne_u32_e32 0, v91
	s_cbranch_execz .LBB902_62
; %bb.60:                               ;   in Loop: Header=BB902_6 Depth=1
	s_waitcnt lgkmcnt(7)
	v_ashrrev_i32_e32 v12, 31, v11
	s_delay_alu instid0(VALU_DEP_1)
	v_cmp_gt_i64_e32 vcc_lo, s[30:31], v[11:12]
	s_and_b32 exec_lo, exec_lo, vcc_lo
	s_cbranch_execz .LBB902_62
; %bb.61:                               ;   in Loop: Header=BB902_6 Depth=1
	s_load_b32 s14, s[0:1], 0xc
	v_lshlrev_b64 v[11:12], 3, v[11:12]
	s_waitcnt lgkmcnt(0)
	s_and_b32 s14, s14, 0xffff
	s_delay_alu instid0(SALU_CYCLE_1) | instskip(NEXT) | instid1(SALU_CYCLE_1)
	s_lshl_b32 s14, s14, 3
	v_add_co_u32 v13, vcc_lo, v2, s14
	v_add_co_ci_u32_e32 v14, vcc_lo, 0, v3, vcc_lo
	v_add_co_u32 v11, vcc_lo, s37, v11
	v_add_co_ci_u32_e32 v12, vcc_lo, s38, v12, vcc_lo
	global_store_b64 v[11:12], v[13:14], off
.LBB902_62:                             ;   in Loop: Header=BB902_6 Depth=1
	s_or_b32 exec_lo, exec_lo, s13
	s_delay_alu instid0(SALU_CYCLE_1)
	s_mov_b32 s13, exec_lo
	v_cmpx_ne_u32_e32 0, v90
	s_cbranch_execz .LBB902_65
; %bb.63:                               ;   in Loop: Header=BB902_6 Depth=1
	s_waitcnt lgkmcnt(6)
	v_ashrrev_i32_e32 v11, 31, v10
	s_delay_alu instid0(VALU_DEP_1)
	v_cmp_gt_i64_e32 vcc_lo, s[30:31], v[10:11]
	s_and_b32 exec_lo, exec_lo, vcc_lo
	s_cbranch_execz .LBB902_65
; %bb.64:                               ;   in Loop: Header=BB902_6 Depth=1
	s_load_b32 s14, s[0:1], 0xc
	v_lshlrev_b64 v[10:11], 3, v[10:11]
	s_delay_alu instid0(VALU_DEP_1) | instskip(NEXT) | instid1(VALU_DEP_2)
	v_add_co_u32 v10, vcc_lo, s37, v10
	v_add_co_ci_u32_e32 v11, vcc_lo, s38, v11, vcc_lo
	s_waitcnt lgkmcnt(0)
	s_and_b32 s14, s14, 0xffff
	s_delay_alu instid0(SALU_CYCLE_1)
	v_mad_u64_u32 v[12:13], null, s14, 9, v[2:3]
	global_store_b64 v[10:11], v[12:13], off
.LBB902_65:                             ;   in Loop: Header=BB902_6 Depth=1
	s_or_b32 exec_lo, exec_lo, s13
	s_delay_alu instid0(SALU_CYCLE_1)
	s_mov_b32 s13, exec_lo
	v_cmpx_ne_u32_e32 0, v89
	s_cbranch_execz .LBB902_68
; %bb.66:                               ;   in Loop: Header=BB902_6 Depth=1
	s_waitcnt lgkmcnt(5)
	v_ashrrev_i32_e32 v10, 31, v9
	s_delay_alu instid0(VALU_DEP_1)
	v_cmp_gt_i64_e32 vcc_lo, s[30:31], v[9:10]
	s_and_b32 exec_lo, exec_lo, vcc_lo
	s_cbranch_execz .LBB902_68
; %bb.67:                               ;   in Loop: Header=BB902_6 Depth=1
	s_load_b32 s14, s[0:1], 0xc
	v_lshlrev_b64 v[9:10], 3, v[9:10]
	s_delay_alu instid0(VALU_DEP_1) | instskip(NEXT) | instid1(VALU_DEP_2)
	v_add_co_u32 v9, vcc_lo, s37, v9
	v_add_co_ci_u32_e32 v10, vcc_lo, s38, v10, vcc_lo
	s_waitcnt lgkmcnt(0)
	s_and_b32 s14, s14, 0xffff
	s_delay_alu instid0(SALU_CYCLE_1)
	v_mad_u64_u32 v[11:12], null, s14, 10, v[2:3]
	global_store_b64 v[9:10], v[11:12], off
.LBB902_68:                             ;   in Loop: Header=BB902_6 Depth=1
	;; [unrolled: 24-line block ×6, first 2 shown]
	s_or_b32 exec_lo, exec_lo, s13
	s_delay_alu instid0(SALU_CYCLE_1)
	s_mov_b32 s13, exec_lo
	v_cmpx_ne_u32_e32 0, v84
	s_cbranch_execz .LBB902_83
; %bb.81:                               ;   in Loop: Header=BB902_6 Depth=1
	s_waitcnt lgkmcnt(0)
	v_ashrrev_i32_e32 v5, 31, v4
	s_delay_alu instid0(VALU_DEP_1)
	v_cmp_gt_i64_e32 vcc_lo, s[30:31], v[4:5]
	s_and_b32 exec_lo, exec_lo, vcc_lo
	s_cbranch_execz .LBB902_83
; %bb.82:                               ;   in Loop: Header=BB902_6 Depth=1
	s_load_b32 s14, s[0:1], 0xc
	v_lshlrev_b64 v[4:5], 3, v[4:5]
	s_waitcnt lgkmcnt(0)
	s_and_b32 s14, s14, 0xffff
	s_delay_alu instid0(SALU_CYCLE_1) | instskip(NEXT) | instid1(VALU_DEP_2)
	v_mad_u64_u32 v[6:7], null, s14, 15, v[2:3]
	v_add_co_u32 v2, vcc_lo, s37, v4
	s_delay_alu instid0(VALU_DEP_3)
	v_add_co_ci_u32_e32 v3, vcc_lo, s38, v5, vcc_lo
	global_store_b64 v[2:3], v[6:7], off
.LBB902_83:                             ;   in Loop: Header=BB902_6 Depth=1
	s_or_b32 exec_lo, exec_lo, s13
	ds_load_b32 v2, v1 offset:33792
	v_cmp_gt_i64_e64 s13, 0x2001, s[34:35]
	s_waitcnt lgkmcnt(0)
	v_readfirstlane_b32 s14, v2
	s_delay_alu instid0(VALU_DEP_1) | instskip(SKIP_2) | instid1(SALU_CYCLE_1)
	s_ashr_i32 s15, s14, 31
	s_sub_u32 s30, s30, s14
	s_subb_u32 s31, s31, s15
	v_cmp_lt_i64_e64 s16, s[30:31], 1
	s_delay_alu instid0(VALU_DEP_1) | instskip(NEXT) | instid1(SALU_CYCLE_1)
	s_or_b32 s13, s13, s16
	s_and_b32 vcc_lo, exec_lo, s13
	s_cbranch_vccnz .LBB902_5
; %bb.84:                               ;   in Loop: Header=BB902_6 Depth=1
	s_add_u32 s28, s28, 0x2000
	s_addc_u32 s29, s29, 0
	s_add_u32 s33, s33, 0x2000
	s_addc_u32 s36, s36, 0
	s_lshl_b64 s[14:15], s[14:15], 3
	s_waitcnt_vscnt null, 0x0
	s_add_u32 s37, s37, s14
	s_addc_u32 s38, s38, s15
	s_barrier
	buffer_gl0_inv
	s_branch .LBB902_5
.LBB902_85:                             ;   in Loop: Header=BB902_6 Depth=1
	global_load_u8 v20, v[18:19], off
	v_mov_b32_e32 v15, v1
	v_mov_b32_e32 v2, v1
	;; [unrolled: 1-line block ×15, first 2 shown]
	s_delay_alu instid0(VALU_DEP_2)
	v_dual_mov_b32 v16, v14 :: v_dual_mov_b32 v15, v13
	v_mov_b32_e32 v14, v12
	v_mov_b32_e32 v13, v11
	;; [unrolled: 1-line block ×13, first 2 shown]
	s_waitcnt vmcnt(0)
	v_cmp_ne_u16_e32 vcc_lo, 0, v20
	v_cndmask_b32_e64 v2, 0, 1, vcc_lo
	s_or_b32 exec_lo, exec_lo, s13
	s_delay_alu instid0(SALU_CYCLE_1)
	s_mov_b32 s13, exec_lo
	v_cmpx_gt_u32_e64 s34, v45
	s_cbranch_execz .LBB902_9
.LBB902_86:                             ;   in Loop: Header=BB902_6 Depth=1
	global_load_u8 v3, v[18:19], off offset:32
	s_waitcnt vmcnt(0)
	v_cmp_ne_u16_e32 vcc_lo, 0, v3
	v_cndmask_b32_e64 v3, 0, 1, vcc_lo
	s_or_b32 exec_lo, exec_lo, s13
	s_delay_alu instid0(SALU_CYCLE_1)
	s_mov_b32 s13, exec_lo
	v_cmpx_gt_u32_e64 s34, v46
	s_cbranch_execz .LBB902_10
.LBB902_87:                             ;   in Loop: Header=BB902_6 Depth=1
	global_load_u8 v4, v[18:19], off offset:64
	s_waitcnt vmcnt(0)
	v_cmp_ne_u16_e32 vcc_lo, 0, v4
	v_cndmask_b32_e64 v4, 0, 1, vcc_lo
	s_or_b32 exec_lo, exec_lo, s13
	s_delay_alu instid0(SALU_CYCLE_1)
	s_mov_b32 s13, exec_lo
	v_cmpx_gt_u32_e64 s34, v47
	s_cbranch_execz .LBB902_11
.LBB902_88:                             ;   in Loop: Header=BB902_6 Depth=1
	global_load_u8 v5, v[18:19], off offset:96
	s_waitcnt vmcnt(0)
	v_cmp_ne_u16_e32 vcc_lo, 0, v5
	v_cndmask_b32_e64 v5, 0, 1, vcc_lo
	s_or_b32 exec_lo, exec_lo, s13
	s_delay_alu instid0(SALU_CYCLE_1)
	s_mov_b32 s13, exec_lo
	v_cmpx_gt_u32_e64 s34, v48
	s_cbranch_execz .LBB902_12
.LBB902_89:                             ;   in Loop: Header=BB902_6 Depth=1
	global_load_u8 v6, v[18:19], off offset:128
	s_waitcnt vmcnt(0)
	v_cmp_ne_u16_e32 vcc_lo, 0, v6
	v_cndmask_b32_e64 v6, 0, 1, vcc_lo
	s_or_b32 exec_lo, exec_lo, s13
	s_delay_alu instid0(SALU_CYCLE_1)
	s_mov_b32 s13, exec_lo
	v_cmpx_gt_u32_e64 s34, v49
	s_cbranch_execz .LBB902_13
.LBB902_90:                             ;   in Loop: Header=BB902_6 Depth=1
	global_load_u8 v7, v[18:19], off offset:160
	s_waitcnt vmcnt(0)
	v_cmp_ne_u16_e32 vcc_lo, 0, v7
	v_cndmask_b32_e64 v7, 0, 1, vcc_lo
	s_or_b32 exec_lo, exec_lo, s13
	s_delay_alu instid0(SALU_CYCLE_1)
	s_mov_b32 s13, exec_lo
	v_cmpx_gt_u32_e64 s34, v50
	s_cbranch_execz .LBB902_14
.LBB902_91:                             ;   in Loop: Header=BB902_6 Depth=1
	global_load_u8 v8, v[18:19], off offset:192
	s_waitcnt vmcnt(0)
	v_cmp_ne_u16_e32 vcc_lo, 0, v8
	v_cndmask_b32_e64 v8, 0, 1, vcc_lo
	s_or_b32 exec_lo, exec_lo, s13
	s_delay_alu instid0(SALU_CYCLE_1)
	s_mov_b32 s13, exec_lo
	v_cmpx_gt_u32_e64 s34, v51
	s_cbranch_execz .LBB902_15
.LBB902_92:                             ;   in Loop: Header=BB902_6 Depth=1
	global_load_u8 v9, v[18:19], off offset:224
	s_waitcnt vmcnt(0)
	v_cmp_ne_u16_e32 vcc_lo, 0, v9
	v_cndmask_b32_e64 v9, 0, 1, vcc_lo
	s_or_b32 exec_lo, exec_lo, s13
	s_delay_alu instid0(SALU_CYCLE_1)
	s_mov_b32 s13, exec_lo
	v_cmpx_gt_u32_e64 s34, v52
	s_cbranch_execz .LBB902_16
.LBB902_93:                             ;   in Loop: Header=BB902_6 Depth=1
	global_load_u8 v10, v[18:19], off offset:256
	s_waitcnt vmcnt(0)
	v_cmp_ne_u16_e32 vcc_lo, 0, v10
	v_cndmask_b32_e64 v10, 0, 1, vcc_lo
	s_or_b32 exec_lo, exec_lo, s13
	s_delay_alu instid0(SALU_CYCLE_1)
	s_mov_b32 s13, exec_lo
	v_cmpx_gt_u32_e64 s34, v53
	s_cbranch_execz .LBB902_17
.LBB902_94:                             ;   in Loop: Header=BB902_6 Depth=1
	global_load_u8 v11, v[18:19], off offset:288
	s_waitcnt vmcnt(0)
	v_cmp_ne_u16_e32 vcc_lo, 0, v11
	v_cndmask_b32_e64 v11, 0, 1, vcc_lo
	s_or_b32 exec_lo, exec_lo, s13
	s_delay_alu instid0(SALU_CYCLE_1)
	s_mov_b32 s13, exec_lo
	v_cmpx_gt_u32_e64 s34, v54
	s_cbranch_execz .LBB902_18
.LBB902_95:                             ;   in Loop: Header=BB902_6 Depth=1
	global_load_u8 v12, v[18:19], off offset:320
	s_waitcnt vmcnt(0)
	v_cmp_ne_u16_e32 vcc_lo, 0, v12
	v_cndmask_b32_e64 v12, 0, 1, vcc_lo
	s_or_b32 exec_lo, exec_lo, s13
	s_delay_alu instid0(SALU_CYCLE_1)
	s_mov_b32 s13, exec_lo
	v_cmpx_gt_u32_e64 s34, v55
	s_cbranch_execz .LBB902_19
.LBB902_96:                             ;   in Loop: Header=BB902_6 Depth=1
	global_load_u8 v13, v[18:19], off offset:352
	s_waitcnt vmcnt(0)
	v_cmp_ne_u16_e32 vcc_lo, 0, v13
	v_cndmask_b32_e64 v13, 0, 1, vcc_lo
	s_or_b32 exec_lo, exec_lo, s13
	s_delay_alu instid0(SALU_CYCLE_1)
	s_mov_b32 s13, exec_lo
	v_cmpx_gt_u32_e64 s34, v56
	s_cbranch_execz .LBB902_20
.LBB902_97:                             ;   in Loop: Header=BB902_6 Depth=1
	global_load_u8 v14, v[18:19], off offset:384
	s_waitcnt vmcnt(0)
	v_cmp_ne_u16_e32 vcc_lo, 0, v14
	v_cndmask_b32_e64 v14, 0, 1, vcc_lo
	s_or_b32 exec_lo, exec_lo, s13
	s_delay_alu instid0(SALU_CYCLE_1)
	s_mov_b32 s13, exec_lo
	v_cmpx_gt_u32_e64 s34, v57
	s_cbranch_execz .LBB902_21
.LBB902_98:                             ;   in Loop: Header=BB902_6 Depth=1
	global_load_u8 v15, v[18:19], off offset:416
	s_waitcnt vmcnt(0)
	v_cmp_ne_u16_e32 vcc_lo, 0, v15
	v_cndmask_b32_e64 v15, 0, 1, vcc_lo
	s_or_b32 exec_lo, exec_lo, s13
	s_delay_alu instid0(SALU_CYCLE_1)
	s_mov_b32 s13, exec_lo
	v_cmpx_gt_u32_e64 s34, v58
	s_cbranch_execz .LBB902_22
.LBB902_99:                             ;   in Loop: Header=BB902_6 Depth=1
	global_load_u8 v16, v[18:19], off offset:448
	s_waitcnt vmcnt(0)
	v_cmp_ne_u16_e32 vcc_lo, 0, v16
	v_cndmask_b32_e64 v16, 0, 1, vcc_lo
	s_or_b32 exec_lo, exec_lo, s13
	s_delay_alu instid0(SALU_CYCLE_1)
	s_mov_b32 s13, exec_lo
	v_cmpx_gt_u32_e64 s34, v59
	s_cbranch_execnz .LBB902_23
	s_branch .LBB902_24
.LBB902_100:
	s_nop 0
	s_sendmsg sendmsg(MSG_DEALLOC_VGPRS)
	s_endpgm
	.section	.rodata,"a",@progbits
	.p2align	6, 0x0
	.amdhsa_kernel _ZN2at6native12_GLOBAL__N_111flag_kernelILi512ELi16EaEEvPKT1_PlPKllli
		.amdhsa_group_segment_fixed_size 33796
		.amdhsa_private_segment_fixed_size 0
		.amdhsa_kernarg_size 304
		.amdhsa_user_sgpr_count 15
		.amdhsa_user_sgpr_dispatch_ptr 0
		.amdhsa_user_sgpr_queue_ptr 0
		.amdhsa_user_sgpr_kernarg_segment_ptr 1
		.amdhsa_user_sgpr_dispatch_id 0
		.amdhsa_user_sgpr_private_segment_size 0
		.amdhsa_wavefront_size32 1
		.amdhsa_uses_dynamic_stack 0
		.amdhsa_enable_private_segment 0
		.amdhsa_system_sgpr_workgroup_id_x 1
		.amdhsa_system_sgpr_workgroup_id_y 0
		.amdhsa_system_sgpr_workgroup_id_z 0
		.amdhsa_system_sgpr_workgroup_info 0
		.amdhsa_system_vgpr_workitem_id 0
		.amdhsa_next_free_vgpr 109
		.amdhsa_next_free_sgpr 40
		.amdhsa_reserve_vcc 1
		.amdhsa_float_round_mode_32 0
		.amdhsa_float_round_mode_16_64 0
		.amdhsa_float_denorm_mode_32 3
		.amdhsa_float_denorm_mode_16_64 3
		.amdhsa_dx10_clamp 1
		.amdhsa_ieee_mode 1
		.amdhsa_fp16_overflow 0
		.amdhsa_workgroup_processor_mode 1
		.amdhsa_memory_ordered 1
		.amdhsa_forward_progress 0
		.amdhsa_shared_vgpr_count 0
		.amdhsa_exception_fp_ieee_invalid_op 0
		.amdhsa_exception_fp_denorm_src 0
		.amdhsa_exception_fp_ieee_div_zero 0
		.amdhsa_exception_fp_ieee_overflow 0
		.amdhsa_exception_fp_ieee_underflow 0
		.amdhsa_exception_fp_ieee_inexact 0
		.amdhsa_exception_int_div_zero 0
	.end_amdhsa_kernel
	.section	.text._ZN2at6native12_GLOBAL__N_111flag_kernelILi512ELi16EaEEvPKT1_PlPKllli,"axG",@progbits,_ZN2at6native12_GLOBAL__N_111flag_kernelILi512ELi16EaEEvPKT1_PlPKllli,comdat
.Lfunc_end902:
	.size	_ZN2at6native12_GLOBAL__N_111flag_kernelILi512ELi16EaEEvPKT1_PlPKllli, .Lfunc_end902-_ZN2at6native12_GLOBAL__N_111flag_kernelILi512ELi16EaEEvPKT1_PlPKllli
                                        ; -- End function
	.section	.AMDGPU.csdata,"",@progbits
; Kernel info:
; codeLenInByte = 6252
; NumSgprs: 42
; NumVgprs: 109
; ScratchSize: 0
; MemoryBound: 0
; FloatMode: 240
; IeeeMode: 1
; LDSByteSize: 33796 bytes/workgroup (compile time only)
; SGPRBlocks: 5
; VGPRBlocks: 13
; NumSGPRsForWavesPerEU: 42
; NumVGPRsForWavesPerEU: 109
; Occupancy: 12
; WaveLimiterHint : 0
; COMPUTE_PGM_RSRC2:SCRATCH_EN: 0
; COMPUTE_PGM_RSRC2:USER_SGPR: 15
; COMPUTE_PGM_RSRC2:TRAP_HANDLER: 0
; COMPUTE_PGM_RSRC2:TGID_X_EN: 1
; COMPUTE_PGM_RSRC2:TGID_Y_EN: 0
; COMPUTE_PGM_RSRC2:TGID_Z_EN: 0
; COMPUTE_PGM_RSRC2:TIDIG_COMP_CNT: 0
	.section	.text._ZN2at4cuda3cub15calc_block_sumsILi512ELi16ELb1EiiEEvPKT2_PT3_li,"axG",@progbits,_ZN2at4cuda3cub15calc_block_sumsILi512ELi16ELb1EiiEEvPKT2_PT3_li,comdat
	.protected	_ZN2at4cuda3cub15calc_block_sumsILi512ELi16ELb1EiiEEvPKT2_PT3_li ; -- Begin function _ZN2at4cuda3cub15calc_block_sumsILi512ELi16ELb1EiiEEvPKT2_PT3_li
	.globl	_ZN2at4cuda3cub15calc_block_sumsILi512ELi16ELb1EiiEEvPKT2_PT3_li
	.p2align	8
	.type	_ZN2at4cuda3cub15calc_block_sumsILi512ELi16ELb1EiiEEvPKT2_PT3_li,@function
_ZN2at4cuda3cub15calc_block_sumsILi512ELi16ELb1EiiEEvPKT2_PT3_li: ; @_ZN2at4cuda3cub15calc_block_sumsILi512ELi16ELb1EiiEEvPKT2_PT3_li
; %bb.0:
	s_clause 0x1
	s_load_b32 s26, s[0:1], 0x18
	s_load_b64 s[4:5], s[0:1], 0x10
	s_waitcnt lgkmcnt(0)
	s_lshl_b32 s3, s26, 13
	s_delay_alu instid0(SALU_CYCLE_1)
	s_ashr_i32 s6, s3, 31
	s_mul_hi_u32 s8, s3, s15
	s_mul_i32 s7, s6, s15
	s_mul_i32 s6, s3, s15
	s_add_i32 s7, s8, s7
	s_sub_u32 s24, s4, s6
	s_subb_u32 s25, s5, s7
	s_delay_alu instid0(SALU_CYCLE_1) | instskip(NEXT) | instid1(VALU_DEP_1)
	v_cmp_lt_i64_e64 s3, s[24:25], 1
	s_and_b32 vcc_lo, exec_lo, s3
	s_cbranch_vccnz .LBB903_58
; %bb.1:
	s_load_b128 s[20:23], s[0:1], 0x0
	s_mov_b32 s2, s15
	s_cmp_gt_i32 s26, 0
	s_mov_b32 s3, 0
	s_cbranch_scc1 .LBB903_3
; %bb.2:
	s_mov_b32 s0, 0
	s_mov_b32 s1, s3
	v_mov_b32_e32 v21, s0
	s_and_not1_b32 vcc_lo, exec_lo, s1
	s_mov_b32 s5, s3
	s_cbranch_vccz .LBB903_4
	s_branch .LBB903_56
.LBB903_3:
                                        ; implicit-def: $sgpr0
	v_mov_b32_e32 v21, s0
	s_mov_b32 s5, s3
.LBB903_4:
	v_lshrrev_b32_e32 v1, 3, v0
	s_mul_i32 s0, s2, s26
	v_dual_mov_b32 v21, 0 :: v_dual_add_nc_u32 v22, 0x200, v0
	s_lshl_b32 s1, s0, 13
	s_delay_alu instid0(VALU_DEP_2)
	v_dual_mov_b32 v2, 0 :: v_dual_and_b32 v37, 0x7c, v1
	v_lshlrev_b32_e32 v1, 2, v0
	s_sub_i32 s27, s4, s1
	s_lshl_b64 s[4:5], s[6:7], 2
	v_or_b32_e32 v23, 0x400, v0
	s_waitcnt lgkmcnt(0)
	s_add_u32 s1, s20, s4
	s_addc_u32 s4, s21, s5
	v_add_co_u32 v19, s1, s1, v1
	v_add_nc_u32_e32 v24, 0x600, v0
	v_or_b32_e32 v25, 0x800, v0
	v_add_nc_u32_e32 v26, 0xa00, v0
	v_or_b32_e32 v27, 0xc00, v0
	;; [unrolled: 2-line block ×6, first 2 shown]
	v_add_nc_u32_e32 v36, 0x1e00, v0
	v_cmp_gt_u32_e64 s0, 32, v0
	v_add_co_ci_u32_e64 v20, null, s4, 0, s1
	v_mbcnt_lo_u32_b32 v38, -1, 0
	s_mov_b32 s4, 0
	s_mov_b32 s1, -1
	s_mov_b32 s20, 0
	v_cmp_gt_i64_e64 s5, 0x2000, s[24:25]
                                        ; implicit-def: $vgpr1
	s_delay_alu instid0(VALU_DEP_1)
	s_and_b32 vcc_lo, exec_lo, s5
	s_mov_b32 s5, -1
	s_cbranch_vccnz .LBB903_8
.LBB903_5:
	s_and_b32 vcc_lo, exec_lo, s5
	s_cbranch_vccnz .LBB903_30
.LBB903_6:
	v_cmp_lt_i64_e64 s5, 0x2000, s[24:25]
	s_delay_alu instid0(VALU_DEP_2) | instskip(NEXT) | instid1(VALU_DEP_2)
	v_add_nc_u32_e32 v21, v1, v21
	s_and_b32 vcc_lo, exec_lo, s5
	s_cbranch_vccz .LBB903_35
.LBB903_7:
	s_add_u32 s24, s24, 0xffffe000
	s_addc_u32 s25, s25, -1
	s_add_i32 s20, s20, 1
	v_add_co_u32 v19, vcc_lo, 0x8000, v19
	s_cmp_lt_i32 s20, s26
	v_add_co_ci_u32_e32 v20, vcc_lo, 0, v20, vcc_lo
	s_cselect_b32 s5, -1, 0
	s_addk_i32 s27, 0xe000
	s_cmp_eq_u32 s26, s20
	s_mov_b32 s6, 0
	s_cselect_b32 s7, -1, 0
	s_barrier
	buffer_gl0_inv
	s_and_not1_b32 vcc_lo, exec_lo, s7
	s_cbranch_vccnz .LBB903_36
	s_branch .LBB903_52
.LBB903_8:
	s_mov_b32 s5, s4
	s_mov_b32 s6, s4
	;; [unrolled: 1-line block ×15, first 2 shown]
	v_dual_mov_b32 v3, s4 :: v_dual_mov_b32 v4, s5
	v_dual_mov_b32 v5, s6 :: v_dual_mov_b32 v6, s7
	;; [unrolled: 1-line block ×8, first 2 shown]
	s_mov_b32 s5, exec_lo
	v_cmpx_gt_u32_e64 s27, v0
	s_cbranch_execnz .LBB903_37
; %bb.9:
	s_or_b32 exec_lo, exec_lo, s5
	s_delay_alu instid0(SALU_CYCLE_1)
	s_mov_b32 s5, exec_lo
	v_cmpx_gt_u32_e64 s27, v22
	s_cbranch_execnz .LBB903_38
.LBB903_10:
	s_or_b32 exec_lo, exec_lo, s5
	s_delay_alu instid0(SALU_CYCLE_1)
	s_mov_b32 s5, exec_lo
	v_cmpx_gt_u32_e64 s27, v23
	s_cbranch_execnz .LBB903_39
.LBB903_11:
	s_or_b32 exec_lo, exec_lo, s5
	s_delay_alu instid0(SALU_CYCLE_1)
	s_mov_b32 s5, exec_lo
	v_cmpx_gt_u32_e64 s27, v24
	s_cbranch_execnz .LBB903_40
.LBB903_12:
	s_or_b32 exec_lo, exec_lo, s5
	s_delay_alu instid0(SALU_CYCLE_1)
	s_mov_b32 s5, exec_lo
	v_cmpx_gt_u32_e64 s27, v25
	s_cbranch_execnz .LBB903_41
.LBB903_13:
	s_or_b32 exec_lo, exec_lo, s5
	s_delay_alu instid0(SALU_CYCLE_1)
	s_mov_b32 s5, exec_lo
	v_cmpx_gt_u32_e64 s27, v26
	s_cbranch_execnz .LBB903_42
.LBB903_14:
	s_or_b32 exec_lo, exec_lo, s5
	s_delay_alu instid0(SALU_CYCLE_1)
	s_mov_b32 s5, exec_lo
	v_cmpx_gt_u32_e64 s27, v27
	s_cbranch_execnz .LBB903_43
.LBB903_15:
	s_or_b32 exec_lo, exec_lo, s5
	s_delay_alu instid0(SALU_CYCLE_1)
	s_mov_b32 s5, exec_lo
	v_cmpx_gt_u32_e64 s27, v28
	s_cbranch_execnz .LBB903_44
.LBB903_16:
	s_or_b32 exec_lo, exec_lo, s5
	s_delay_alu instid0(SALU_CYCLE_1)
	s_mov_b32 s5, exec_lo
	v_cmpx_gt_u32_e64 s27, v29
	s_cbranch_execnz .LBB903_45
.LBB903_17:
	s_or_b32 exec_lo, exec_lo, s5
	s_delay_alu instid0(SALU_CYCLE_1)
	s_mov_b32 s5, exec_lo
	v_cmpx_gt_u32_e64 s27, v30
	s_cbranch_execnz .LBB903_46
.LBB903_18:
	s_or_b32 exec_lo, exec_lo, s5
	s_delay_alu instid0(SALU_CYCLE_1)
	s_mov_b32 s5, exec_lo
	v_cmpx_gt_u32_e64 s27, v31
	s_cbranch_execnz .LBB903_47
.LBB903_19:
	s_or_b32 exec_lo, exec_lo, s5
	s_delay_alu instid0(SALU_CYCLE_1)
	s_mov_b32 s5, exec_lo
	v_cmpx_gt_u32_e64 s27, v32
	s_cbranch_execnz .LBB903_48
.LBB903_20:
	s_or_b32 exec_lo, exec_lo, s5
	s_delay_alu instid0(SALU_CYCLE_1)
	s_mov_b32 s5, exec_lo
	v_cmpx_gt_u32_e64 s27, v33
	s_cbranch_execnz .LBB903_49
.LBB903_21:
	s_or_b32 exec_lo, exec_lo, s5
	s_delay_alu instid0(SALU_CYCLE_1)
	s_mov_b32 s5, exec_lo
	v_cmpx_gt_u32_e64 s27, v34
	s_cbranch_execnz .LBB903_50
.LBB903_22:
	s_or_b32 exec_lo, exec_lo, s5
	s_delay_alu instid0(SALU_CYCLE_1)
	s_mov_b32 s5, exec_lo
	v_cmpx_gt_u32_e64 s27, v35
	s_cbranch_execnz .LBB903_51
.LBB903_23:
	s_or_b32 exec_lo, exec_lo, s5
	s_delay_alu instid0(SALU_CYCLE_1)
	s_mov_b32 s5, exec_lo
	v_cmpx_gt_u32_e64 s27, v36
	s_cbranch_execz .LBB903_25
.LBB903_24:
	v_add_co_u32 v39, vcc_lo, 0x7000, v19
	v_add_co_ci_u32_e32 v40, vcc_lo, 0, v20, vcc_lo
	global_load_b32 v1, v[39:40], off offset:2048
	s_waitcnt vmcnt(0)
	v_cmp_ne_u32_e32 vcc_lo, 0, v1
	v_cndmask_b32_e64 v18, 0, 1, vcc_lo
.LBB903_25:
	s_or_b32 exec_lo, exec_lo, s5
	v_add_nc_u32_e32 v1, v4, v3
	s_mov_b32 s5, exec_lo
	s_barrier
	buffer_gl0_inv
	v_add3_u32 v1, v1, v5, v6
	s_delay_alu instid0(VALU_DEP_1) | instskip(NEXT) | instid1(VALU_DEP_1)
	v_add3_u32 v1, v1, v7, v8
	v_add3_u32 v1, v1, v9, v10
	s_delay_alu instid0(VALU_DEP_1) | instskip(NEXT) | instid1(VALU_DEP_1)
	v_add3_u32 v1, v1, v11, v12
	;; [unrolled: 3-line block ×3, first 2 shown]
	v_add3_u32 v1, v1, v17, v18
	s_delay_alu instid0(VALU_DEP_1) | instskip(NEXT) | instid1(VALU_DEP_1)
	v_mov_b32_dpp v3, v1 quad_perm:[1,0,3,2] row_mask:0xf bank_mask:0xf
	v_add_nc_u32_e32 v1, v1, v3
	s_delay_alu instid0(VALU_DEP_1) | instskip(NEXT) | instid1(VALU_DEP_1)
	v_mov_b32_dpp v3, v1 quad_perm:[2,3,0,1] row_mask:0xf bank_mask:0xf
	v_add_nc_u32_e32 v1, v1, v3
	s_delay_alu instid0(VALU_DEP_1) | instskip(NEXT) | instid1(VALU_DEP_1)
	v_mov_b32_dpp v3, v1 row_ror:4 row_mask:0xf bank_mask:0xf
	v_add_nc_u32_e32 v1, v1, v3
	s_delay_alu instid0(VALU_DEP_1) | instskip(NEXT) | instid1(VALU_DEP_1)
	v_mov_b32_dpp v3, v1 row_ror:8 row_mask:0xf bank_mask:0xf
	v_add_nc_u32_e32 v1, v1, v3
	ds_swizzle_b32 v3, v1 offset:swizzle(BROADCAST,32,15)
	s_waitcnt lgkmcnt(0)
	v_add_nc_u32_e32 v1, v1, v3
	ds_bpermute_b32 v1, v2, v1 offset:124
	v_cmpx_eq_u32_e32 0, v38
	s_cbranch_execz .LBB903_27
; %bb.26:
	s_waitcnt lgkmcnt(0)
	ds_store_b32 v37, v1
.LBB903_27:
	s_or_b32 exec_lo, exec_lo, s5
	s_waitcnt lgkmcnt(0)
	s_barrier
	buffer_gl0_inv
	s_and_saveexec_b32 s5, s0
	s_cbranch_execz .LBB903_29
; %bb.28:
	v_and_b32_e32 v1, 15, v38
	s_delay_alu instid0(VALU_DEP_1) | instskip(SKIP_4) | instid1(VALU_DEP_2)
	v_lshlrev_b32_e32 v3, 2, v1
	v_cmp_ne_u32_e32 vcc_lo, 15, v1
	ds_load_b32 v3, v3
	v_add_co_ci_u32_e32 v4, vcc_lo, 0, v38, vcc_lo
	v_cmp_gt_u32_e32 vcc_lo, 14, v1
	v_lshlrev_b32_e32 v4, 2, v4
	v_cndmask_b32_e64 v5, 0, 1, vcc_lo
	v_cmp_gt_u32_e32 vcc_lo, 12, v1
	s_delay_alu instid0(VALU_DEP_2) | instskip(NEXT) | instid1(VALU_DEP_1)
	v_lshlrev_b32_e32 v5, 1, v5
	v_add_lshl_u32 v5, v5, v38, 2
	s_waitcnt lgkmcnt(0)
	ds_bpermute_b32 v4, v4, v3
	s_waitcnt lgkmcnt(0)
	v_add_nc_u32_e32 v3, v4, v3
	ds_bpermute_b32 v4, v5, v3
	v_cndmask_b32_e64 v5, 0, 1, vcc_lo
	v_cmp_gt_u32_e32 vcc_lo, 8, v1
	s_delay_alu instid0(VALU_DEP_2) | instskip(SKIP_1) | instid1(VALU_DEP_2)
	v_lshlrev_b32_e32 v5, 2, v5
	v_cndmask_b32_e64 v1, 0, 1, vcc_lo
	v_add_lshl_u32 v5, v5, v38, 2
	s_delay_alu instid0(VALU_DEP_2) | instskip(NEXT) | instid1(VALU_DEP_1)
	v_lshlrev_b32_e32 v1, 3, v1
	v_add_lshl_u32 v1, v1, v38, 2
	s_waitcnt lgkmcnt(0)
	v_add_nc_u32_e32 v3, v4, v3
	ds_bpermute_b32 v4, v5, v3
	s_waitcnt lgkmcnt(0)
	v_add_nc_u32_e32 v3, v4, v3
	ds_bpermute_b32 v1, v1, v3
	s_waitcnt lgkmcnt(0)
	v_add_nc_u32_e32 v1, v1, v3
.LBB903_29:
	s_or_b32 exec_lo, exec_lo, s5
	s_branch .LBB903_6
.LBB903_30:
	v_add_co_u32 v3, vcc_lo, 0x1000, v19
	v_add_co_ci_u32_e32 v4, vcc_lo, 0, v20, vcc_lo
	v_add_co_u32 v5, vcc_lo, 0x2000, v19
	v_add_co_ci_u32_e32 v6, vcc_lo, 0, v20, vcc_lo
	v_add_co_u32 v7, vcc_lo, v19, 0x2000
	s_clause 0x1
	global_load_b32 v1, v[19:20], off
	global_load_b32 v13, v[19:20], off offset:2048
	v_add_co_ci_u32_e32 v8, vcc_lo, 0, v20, vcc_lo
	s_clause 0x1
	global_load_b32 v14, v[3:4], off offset:2048
	global_load_b32 v15, v[5:6], off offset:2048
	v_add_co_u32 v3, vcc_lo, v19, 0x4000
	v_add_co_ci_u32_e32 v4, vcc_lo, 0, v20, vcc_lo
	s_clause 0x2
	global_load_b32 v16, v[7:8], off offset:-4096
	global_load_b32 v17, v[7:8], off
	global_load_b32 v18, v[3:4], off offset:-4096
	v_add_co_u32 v5, vcc_lo, 0x3000, v19
	v_add_co_ci_u32_e32 v6, vcc_lo, 0, v20, vcc_lo
	v_add_co_u32 v7, vcc_lo, 0x4000, v19
	v_add_co_ci_u32_e32 v8, vcc_lo, 0, v20, vcc_lo
	;; [unrolled: 2-line block ×4, first 2 shown]
	s_clause 0x5
	global_load_b32 v39, v[3:4], off
	global_load_b32 v40, v[9:10], off offset:-4096
	global_load_b32 v41, v[5:6], off offset:2048
	global_load_b32 v7, v[7:8], off offset:2048
	;; [unrolled: 1-line block ×3, first 2 shown]
	global_load_b32 v9, v[9:10], off
	v_add_co_u32 v3, vcc_lo, 0x7000, v19
	v_add_co_ci_u32_e32 v4, vcc_lo, 0, v20, vcc_lo
	v_add_co_u32 v5, vcc_lo, 0x6000, v19
	v_add_co_ci_u32_e32 v6, vcc_lo, 0, v20, vcc_lo
	s_clause 0x2
	global_load_b32 v10, v[3:4], off
	global_load_b32 v5, v[5:6], off offset:2048
	global_load_b32 v3, v[3:4], off offset:2048
	s_mov_b32 s5, exec_lo
	s_waitcnt vmcnt(0)
	s_barrier
	buffer_gl0_inv
	v_cmp_ne_u32_e32 vcc_lo, 0, v1
	v_cndmask_b32_e64 v1, 0, 1, vcc_lo
	v_cmp_ne_u32_e32 vcc_lo, 0, v16
	v_cndmask_b32_e64 v4, 0, 1, vcc_lo
	v_cmp_ne_u32_e32 vcc_lo, 0, v13
	s_delay_alu instid0(VALU_DEP_4) | instskip(SKIP_3) | instid1(VALU_DEP_4)
	v_add_co_ci_u32_e32 v1, vcc_lo, 0, v1, vcc_lo
	v_cmp_ne_u32_e32 vcc_lo, 0, v17
	v_cndmask_b32_e64 v6, 0, 1, vcc_lo
	v_cmp_ne_u32_e32 vcc_lo, 0, v14
	v_add_co_ci_u32_e32 v1, vcc_lo, v1, v4, vcc_lo
	v_cmp_ne_u32_e32 vcc_lo, 0, v18
	v_cndmask_b32_e64 v4, 0, 1, vcc_lo
	v_cmp_ne_u32_e32 vcc_lo, 0, v15
	s_delay_alu instid0(VALU_DEP_4) | instskip(SKIP_3) | instid1(VALU_DEP_4)
	v_add_co_ci_u32_e32 v1, vcc_lo, v1, v6, vcc_lo
	v_cmp_ne_u32_e32 vcc_lo, 0, v39
	v_cndmask_b32_e64 v6, 0, 1, vcc_lo
	v_cmp_ne_u32_e32 vcc_lo, 0, v41
	v_add_co_ci_u32_e32 v1, vcc_lo, v1, v4, vcc_lo
	;; [unrolled: 9-line block ×3, first 2 shown]
	v_cmp_ne_u32_e32 vcc_lo, 0, v10
	v_cndmask_b32_e64 v4, 0, 1, vcc_lo
	v_cmp_ne_u32_e32 vcc_lo, 0, v5
	s_delay_alu instid0(VALU_DEP_4) | instskip(SKIP_1) | instid1(VALU_DEP_2)
	v_add_co_ci_u32_e32 v1, vcc_lo, v1, v6, vcc_lo
	v_cmp_ne_u32_e32 vcc_lo, 0, v3
	v_add_co_ci_u32_e32 v1, vcc_lo, v1, v4, vcc_lo
	s_delay_alu instid0(VALU_DEP_1) | instskip(NEXT) | instid1(VALU_DEP_1)
	v_mov_b32_dpp v3, v1 quad_perm:[1,0,3,2] row_mask:0xf bank_mask:0xf
	v_add_nc_u32_e32 v1, v3, v1
	s_delay_alu instid0(VALU_DEP_1) | instskip(NEXT) | instid1(VALU_DEP_1)
	v_mov_b32_dpp v3, v1 quad_perm:[2,3,0,1] row_mask:0xf bank_mask:0xf
	v_add_nc_u32_e32 v1, v1, v3
	s_delay_alu instid0(VALU_DEP_1) | instskip(NEXT) | instid1(VALU_DEP_1)
	v_mov_b32_dpp v3, v1 row_ror:4 row_mask:0xf bank_mask:0xf
	v_add_nc_u32_e32 v1, v1, v3
	s_delay_alu instid0(VALU_DEP_1) | instskip(NEXT) | instid1(VALU_DEP_1)
	v_mov_b32_dpp v3, v1 row_ror:8 row_mask:0xf bank_mask:0xf
	v_add_nc_u32_e32 v1, v1, v3
	ds_swizzle_b32 v3, v1 offset:swizzle(BROADCAST,32,15)
	s_waitcnt lgkmcnt(0)
	v_add_nc_u32_e32 v1, v1, v3
	ds_bpermute_b32 v1, v2, v1 offset:124
	v_cmpx_eq_u32_e32 0, v38
	s_cbranch_execz .LBB903_32
; %bb.31:
	s_waitcnt lgkmcnt(0)
	ds_store_b32 v37, v1
.LBB903_32:
	s_or_b32 exec_lo, exec_lo, s5
	s_waitcnt lgkmcnt(0)
	s_barrier
	buffer_gl0_inv
	s_and_saveexec_b32 s5, s0
	s_cbranch_execz .LBB903_34
; %bb.33:
	v_and_b32_e32 v1, 15, v38
	s_delay_alu instid0(VALU_DEP_1) | instskip(SKIP_4) | instid1(VALU_DEP_2)
	v_lshlrev_b32_e32 v3, 2, v1
	v_cmp_ne_u32_e32 vcc_lo, 15, v1
	ds_load_b32 v3, v3
	v_add_co_ci_u32_e32 v4, vcc_lo, 0, v38, vcc_lo
	v_cmp_gt_u32_e32 vcc_lo, 14, v1
	v_lshlrev_b32_e32 v4, 2, v4
	v_cndmask_b32_e64 v5, 0, 1, vcc_lo
	v_cmp_gt_u32_e32 vcc_lo, 12, v1
	s_delay_alu instid0(VALU_DEP_2) | instskip(NEXT) | instid1(VALU_DEP_1)
	v_lshlrev_b32_e32 v5, 1, v5
	v_add_lshl_u32 v5, v5, v38, 2
	s_waitcnt lgkmcnt(0)
	ds_bpermute_b32 v4, v4, v3
	s_waitcnt lgkmcnt(0)
	v_add_nc_u32_e32 v3, v4, v3
	ds_bpermute_b32 v4, v5, v3
	v_cndmask_b32_e64 v5, 0, 1, vcc_lo
	v_cmp_gt_u32_e32 vcc_lo, 8, v1
	s_delay_alu instid0(VALU_DEP_2) | instskip(SKIP_1) | instid1(VALU_DEP_2)
	v_lshlrev_b32_e32 v5, 2, v5
	v_cndmask_b32_e64 v1, 0, 1, vcc_lo
	v_add_lshl_u32 v5, v5, v38, 2
	s_delay_alu instid0(VALU_DEP_2) | instskip(NEXT) | instid1(VALU_DEP_1)
	v_lshlrev_b32_e32 v1, 3, v1
	v_add_lshl_u32 v1, v1, v38, 2
	s_waitcnt lgkmcnt(0)
	v_add_nc_u32_e32 v3, v4, v3
	ds_bpermute_b32 v4, v5, v3
	s_waitcnt lgkmcnt(0)
	v_add_nc_u32_e32 v3, v4, v3
	ds_bpermute_b32 v1, v1, v3
	s_waitcnt lgkmcnt(0)
	v_add_nc_u32_e32 v1, v1, v3
.LBB903_34:
	s_or_b32 exec_lo, exec_lo, s5
	v_cmp_lt_i64_e64 s5, 0x2000, s[24:25]
	s_delay_alu instid0(VALU_DEP_2) | instskip(NEXT) | instid1(VALU_DEP_2)
	v_add_nc_u32_e32 v21, v1, v21
	s_and_b32 vcc_lo, exec_lo, s5
	s_cbranch_vccnz .LBB903_7
.LBB903_35:
	s_mov_b32 s6, -1
                                        ; implicit-def: $sgpr20
                                        ; implicit-def: $sgpr24_sgpr25
                                        ; implicit-def: $sgpr27
                                        ; implicit-def: $vgpr19_vgpr20
                                        ; implicit-def: $sgpr5
	s_branch .LBB903_52
.LBB903_36:
	s_mov_b32 s1, s5
	v_cmp_gt_i64_e64 s5, 0x2000, s[24:25]
                                        ; implicit-def: $vgpr1
	s_delay_alu instid0(VALU_DEP_1)
	s_and_b32 vcc_lo, exec_lo, s5
	s_mov_b32 s5, -1
	s_cbranch_vccnz .LBB903_8
	s_branch .LBB903_5
.LBB903_37:
	global_load_b32 v1, v[19:20], off
	v_mov_b32_e32 v16, v2
	v_mov_b32_e32 v3, v2
	;; [unrolled: 1-line block ×13, first 2 shown]
	s_waitcnt vmcnt(0)
	v_cmp_ne_u32_e32 vcc_lo, 0, v1
	v_cndmask_b32_e64 v1, 0, 1, vcc_lo
	s_delay_alu instid0(VALU_DEP_1)
	v_dual_mov_b32 v4, v2 :: v_dual_and_b32 v1, 0xffff, v1
	v_mov_b32_e32 v18, v16
	v_dual_mov_b32 v17, v15 :: v_dual_mov_b32 v16, v14
	v_mov_b32_e32 v15, v13
	v_mov_b32_e32 v14, v12
	;; [unrolled: 1-line block ×13, first 2 shown]
	s_or_b32 exec_lo, exec_lo, s5
	s_delay_alu instid0(SALU_CYCLE_1)
	s_mov_b32 s5, exec_lo
	v_cmpx_gt_u32_e64 s27, v22
	s_cbranch_execz .LBB903_10
.LBB903_38:
	global_load_b32 v1, v[19:20], off offset:2048
	s_waitcnt vmcnt(0)
	v_cmp_ne_u32_e32 vcc_lo, 0, v1
	v_cndmask_b32_e64 v4, 0, 1, vcc_lo
	s_or_b32 exec_lo, exec_lo, s5
	s_delay_alu instid0(SALU_CYCLE_1)
	s_mov_b32 s5, exec_lo
	v_cmpx_gt_u32_e64 s27, v23
	s_cbranch_execz .LBB903_11
.LBB903_39:
	v_add_co_u32 v39, vcc_lo, 0x1000, v19
	v_add_co_ci_u32_e32 v40, vcc_lo, 0, v20, vcc_lo
	global_load_b32 v1, v[39:40], off
	s_waitcnt vmcnt(0)
	v_cmp_ne_u32_e32 vcc_lo, 0, v1
	v_cndmask_b32_e64 v5, 0, 1, vcc_lo
	s_or_b32 exec_lo, exec_lo, s5
	s_delay_alu instid0(SALU_CYCLE_1)
	s_mov_b32 s5, exec_lo
	v_cmpx_gt_u32_e64 s27, v24
	s_cbranch_execz .LBB903_12
.LBB903_40:
	v_add_co_u32 v39, vcc_lo, 0x1000, v19
	v_add_co_ci_u32_e32 v40, vcc_lo, 0, v20, vcc_lo
	global_load_b32 v1, v[39:40], off offset:2048
	s_waitcnt vmcnt(0)
	v_cmp_ne_u32_e32 vcc_lo, 0, v1
	v_cndmask_b32_e64 v6, 0, 1, vcc_lo
	s_or_b32 exec_lo, exec_lo, s5
	s_delay_alu instid0(SALU_CYCLE_1)
	s_mov_b32 s5, exec_lo
	v_cmpx_gt_u32_e64 s27, v25
	s_cbranch_execz .LBB903_13
.LBB903_41:
	v_add_co_u32 v39, vcc_lo, 0x2000, v19
	v_add_co_ci_u32_e32 v40, vcc_lo, 0, v20, vcc_lo
	global_load_b32 v1, v[39:40], off
	s_waitcnt vmcnt(0)
	v_cmp_ne_u32_e32 vcc_lo, 0, v1
	v_cndmask_b32_e64 v7, 0, 1, vcc_lo
	s_or_b32 exec_lo, exec_lo, s5
	s_delay_alu instid0(SALU_CYCLE_1)
	s_mov_b32 s5, exec_lo
	v_cmpx_gt_u32_e64 s27, v26
	s_cbranch_execz .LBB903_14
.LBB903_42:
	v_add_co_u32 v39, vcc_lo, 0x2000, v19
	v_add_co_ci_u32_e32 v40, vcc_lo, 0, v20, vcc_lo
	global_load_b32 v1, v[39:40], off offset:2048
	s_waitcnt vmcnt(0)
	v_cmp_ne_u32_e32 vcc_lo, 0, v1
	v_cndmask_b32_e64 v8, 0, 1, vcc_lo
	s_or_b32 exec_lo, exec_lo, s5
	s_delay_alu instid0(SALU_CYCLE_1)
	s_mov_b32 s5, exec_lo
	v_cmpx_gt_u32_e64 s27, v27
	s_cbranch_execz .LBB903_15
.LBB903_43:
	v_add_co_u32 v39, vcc_lo, 0x3000, v19
	v_add_co_ci_u32_e32 v40, vcc_lo, 0, v20, vcc_lo
	global_load_b32 v1, v[39:40], off
	s_waitcnt vmcnt(0)
	v_cmp_ne_u32_e32 vcc_lo, 0, v1
	v_cndmask_b32_e64 v9, 0, 1, vcc_lo
	s_or_b32 exec_lo, exec_lo, s5
	s_delay_alu instid0(SALU_CYCLE_1)
	s_mov_b32 s5, exec_lo
	v_cmpx_gt_u32_e64 s27, v28
	s_cbranch_execz .LBB903_16
.LBB903_44:
	v_add_co_u32 v39, vcc_lo, 0x3000, v19
	v_add_co_ci_u32_e32 v40, vcc_lo, 0, v20, vcc_lo
	global_load_b32 v1, v[39:40], off offset:2048
	s_waitcnt vmcnt(0)
	v_cmp_ne_u32_e32 vcc_lo, 0, v1
	v_cndmask_b32_e64 v10, 0, 1, vcc_lo
	s_or_b32 exec_lo, exec_lo, s5
	s_delay_alu instid0(SALU_CYCLE_1)
	s_mov_b32 s5, exec_lo
	v_cmpx_gt_u32_e64 s27, v29
	s_cbranch_execz .LBB903_17
.LBB903_45:
	v_add_co_u32 v39, vcc_lo, 0x4000, v19
	v_add_co_ci_u32_e32 v40, vcc_lo, 0, v20, vcc_lo
	global_load_b32 v1, v[39:40], off
	s_waitcnt vmcnt(0)
	v_cmp_ne_u32_e32 vcc_lo, 0, v1
	v_cndmask_b32_e64 v11, 0, 1, vcc_lo
	s_or_b32 exec_lo, exec_lo, s5
	s_delay_alu instid0(SALU_CYCLE_1)
	s_mov_b32 s5, exec_lo
	v_cmpx_gt_u32_e64 s27, v30
	s_cbranch_execz .LBB903_18
.LBB903_46:
	v_add_co_u32 v39, vcc_lo, 0x4000, v19
	v_add_co_ci_u32_e32 v40, vcc_lo, 0, v20, vcc_lo
	global_load_b32 v1, v[39:40], off offset:2048
	s_waitcnt vmcnt(0)
	v_cmp_ne_u32_e32 vcc_lo, 0, v1
	v_cndmask_b32_e64 v12, 0, 1, vcc_lo
	s_or_b32 exec_lo, exec_lo, s5
	s_delay_alu instid0(SALU_CYCLE_1)
	s_mov_b32 s5, exec_lo
	v_cmpx_gt_u32_e64 s27, v31
	s_cbranch_execz .LBB903_19
.LBB903_47:
	v_add_co_u32 v39, vcc_lo, 0x5000, v19
	v_add_co_ci_u32_e32 v40, vcc_lo, 0, v20, vcc_lo
	global_load_b32 v1, v[39:40], off
	s_waitcnt vmcnt(0)
	v_cmp_ne_u32_e32 vcc_lo, 0, v1
	v_cndmask_b32_e64 v13, 0, 1, vcc_lo
	s_or_b32 exec_lo, exec_lo, s5
	s_delay_alu instid0(SALU_CYCLE_1)
	s_mov_b32 s5, exec_lo
	v_cmpx_gt_u32_e64 s27, v32
	s_cbranch_execz .LBB903_20
.LBB903_48:
	v_add_co_u32 v39, vcc_lo, 0x5000, v19
	v_add_co_ci_u32_e32 v40, vcc_lo, 0, v20, vcc_lo
	global_load_b32 v1, v[39:40], off offset:2048
	s_waitcnt vmcnt(0)
	v_cmp_ne_u32_e32 vcc_lo, 0, v1
	v_cndmask_b32_e64 v14, 0, 1, vcc_lo
	s_or_b32 exec_lo, exec_lo, s5
	s_delay_alu instid0(SALU_CYCLE_1)
	s_mov_b32 s5, exec_lo
	v_cmpx_gt_u32_e64 s27, v33
	s_cbranch_execz .LBB903_21
.LBB903_49:
	v_add_co_u32 v39, vcc_lo, 0x6000, v19
	v_add_co_ci_u32_e32 v40, vcc_lo, 0, v20, vcc_lo
	global_load_b32 v1, v[39:40], off
	s_waitcnt vmcnt(0)
	v_cmp_ne_u32_e32 vcc_lo, 0, v1
	v_cndmask_b32_e64 v15, 0, 1, vcc_lo
	s_or_b32 exec_lo, exec_lo, s5
	s_delay_alu instid0(SALU_CYCLE_1)
	s_mov_b32 s5, exec_lo
	v_cmpx_gt_u32_e64 s27, v34
	s_cbranch_execz .LBB903_22
.LBB903_50:
	v_add_co_u32 v39, vcc_lo, 0x6000, v19
	v_add_co_ci_u32_e32 v40, vcc_lo, 0, v20, vcc_lo
	global_load_b32 v1, v[39:40], off offset:2048
	s_waitcnt vmcnt(0)
	v_cmp_ne_u32_e32 vcc_lo, 0, v1
	v_cndmask_b32_e64 v16, 0, 1, vcc_lo
	s_or_b32 exec_lo, exec_lo, s5
	s_delay_alu instid0(SALU_CYCLE_1)
	s_mov_b32 s5, exec_lo
	v_cmpx_gt_u32_e64 s27, v35
	s_cbranch_execz .LBB903_23
.LBB903_51:
	v_add_co_u32 v39, vcc_lo, 0x7000, v19
	v_add_co_ci_u32_e32 v40, vcc_lo, 0, v20, vcc_lo
	global_load_b32 v1, v[39:40], off
	s_waitcnt vmcnt(0)
	v_cmp_ne_u32_e32 vcc_lo, 0, v1
	v_cndmask_b32_e64 v17, 0, 1, vcc_lo
	s_or_b32 exec_lo, exec_lo, s5
	s_delay_alu instid0(SALU_CYCLE_1)
	s_mov_b32 s5, exec_lo
	v_cmpx_gt_u32_e64 s27, v36
	s_cbranch_execnz .LBB903_24
	s_branch .LBB903_25
.LBB903_52:
	s_and_b32 vcc_lo, exec_lo, s6
	s_cbranch_vccz .LBB903_56
; %bb.53:
	s_mov_b32 s0, exec_lo
	v_cmpx_eq_u32_e32 0, v0
	s_cbranch_execz .LBB903_55
; %bb.54:
	s_lshl_b64 s[4:5], s[2:3], 2
	v_mov_b32_e32 v0, 0
	s_add_u32 s4, s22, s4
	s_addc_u32 s5, s23, s5
	global_store_b32 v0, v21, s[4:5]
.LBB903_55:
	s_or_b32 exec_lo, exec_lo, s0
	s_mov_b32 s5, s1
.LBB903_56:
	v_cmp_eq_u32_e32 vcc_lo, 0, v0
	s_xor_b32 s0, s5, -1
	s_delay_alu instid0(SALU_CYCLE_1) | instskip(NEXT) | instid1(SALU_CYCLE_1)
	s_and_b32 s0, vcc_lo, s0
	s_and_saveexec_b32 s1, s0
	s_cbranch_execz .LBB903_58
; %bb.57:
	s_lshl_b64 s[0:1], s[2:3], 2
	v_mov_b32_e32 v0, 0
	s_waitcnt lgkmcnt(0)
	s_add_u32 s0, s22, s0
	s_addc_u32 s1, s23, s1
	global_store_b32 v0, v21, s[0:1]
.LBB903_58:
	s_nop 0
	s_sendmsg sendmsg(MSG_DEALLOC_VGPRS)
	s_endpgm
	.section	.rodata,"a",@progbits
	.p2align	6, 0x0
	.amdhsa_kernel _ZN2at4cuda3cub15calc_block_sumsILi512ELi16ELb1EiiEEvPKT2_PT3_li
		.amdhsa_group_segment_fixed_size 64
		.amdhsa_private_segment_fixed_size 0
		.amdhsa_kernarg_size 28
		.amdhsa_user_sgpr_count 15
		.amdhsa_user_sgpr_dispatch_ptr 0
		.amdhsa_user_sgpr_queue_ptr 0
		.amdhsa_user_sgpr_kernarg_segment_ptr 1
		.amdhsa_user_sgpr_dispatch_id 0
		.amdhsa_user_sgpr_private_segment_size 0
		.amdhsa_wavefront_size32 1
		.amdhsa_uses_dynamic_stack 0
		.amdhsa_enable_private_segment 0
		.amdhsa_system_sgpr_workgroup_id_x 1
		.amdhsa_system_sgpr_workgroup_id_y 0
		.amdhsa_system_sgpr_workgroup_id_z 0
		.amdhsa_system_sgpr_workgroup_info 0
		.amdhsa_system_vgpr_workitem_id 0
		.amdhsa_next_free_vgpr 42
		.amdhsa_next_free_sgpr 28
		.amdhsa_reserve_vcc 1
		.amdhsa_float_round_mode_32 0
		.amdhsa_float_round_mode_16_64 0
		.amdhsa_float_denorm_mode_32 3
		.amdhsa_float_denorm_mode_16_64 3
		.amdhsa_dx10_clamp 1
		.amdhsa_ieee_mode 1
		.amdhsa_fp16_overflow 0
		.amdhsa_workgroup_processor_mode 1
		.amdhsa_memory_ordered 1
		.amdhsa_forward_progress 0
		.amdhsa_shared_vgpr_count 0
		.amdhsa_exception_fp_ieee_invalid_op 0
		.amdhsa_exception_fp_denorm_src 0
		.amdhsa_exception_fp_ieee_div_zero 0
		.amdhsa_exception_fp_ieee_overflow 0
		.amdhsa_exception_fp_ieee_underflow 0
		.amdhsa_exception_fp_ieee_inexact 0
		.amdhsa_exception_int_div_zero 0
	.end_amdhsa_kernel
	.section	.text._ZN2at4cuda3cub15calc_block_sumsILi512ELi16ELb1EiiEEvPKT2_PT3_li,"axG",@progbits,_ZN2at4cuda3cub15calc_block_sumsILi512ELi16ELb1EiiEEvPKT2_PT3_li,comdat
.Lfunc_end903:
	.size	_ZN2at4cuda3cub15calc_block_sumsILi512ELi16ELb1EiiEEvPKT2_PT3_li, .Lfunc_end903-_ZN2at4cuda3cub15calc_block_sumsILi512ELi16ELb1EiiEEvPKT2_PT3_li
                                        ; -- End function
	.section	.AMDGPU.csdata,"",@progbits
; Kernel info:
; codeLenInByte = 3544
; NumSgprs: 30
; NumVgprs: 42
; ScratchSize: 0
; MemoryBound: 0
; FloatMode: 240
; IeeeMode: 1
; LDSByteSize: 64 bytes/workgroup (compile time only)
; SGPRBlocks: 3
; VGPRBlocks: 5
; NumSGPRsForWavesPerEU: 30
; NumVGPRsForWavesPerEU: 42
; Occupancy: 16
; WaveLimiterHint : 1
; COMPUTE_PGM_RSRC2:SCRATCH_EN: 0
; COMPUTE_PGM_RSRC2:USER_SGPR: 15
; COMPUTE_PGM_RSRC2:TRAP_HANDLER: 0
; COMPUTE_PGM_RSRC2:TGID_X_EN: 1
; COMPUTE_PGM_RSRC2:TGID_Y_EN: 0
; COMPUTE_PGM_RSRC2:TGID_Z_EN: 0
; COMPUTE_PGM_RSRC2:TIDIG_COMP_CNT: 0
	.section	.text._ZN2at6native12_GLOBAL__N_111flag_kernelILi512ELi16EiEEvPKT1_PlPKllli,"axG",@progbits,_ZN2at6native12_GLOBAL__N_111flag_kernelILi512ELi16EiEEvPKT1_PlPKllli,comdat
	.globl	_ZN2at6native12_GLOBAL__N_111flag_kernelILi512ELi16EiEEvPKT1_PlPKllli ; -- Begin function _ZN2at6native12_GLOBAL__N_111flag_kernelILi512ELi16EiEEvPKT1_PlPKllli
	.p2align	8
	.type	_ZN2at6native12_GLOBAL__N_111flag_kernelILi512ELi16EiEEvPKT1_PlPKllli,@function
_ZN2at6native12_GLOBAL__N_111flag_kernelILi512ELi16EiEEvPKT1_PlPKllli: ; @_ZN2at6native12_GLOBAL__N_111flag_kernelILi512ELi16EiEEvPKT1_PlPKllli
; %bb.0:
	s_clause 0x1
	s_load_b32 s14, s[0:1], 0x28
	s_load_b256 s[4:11], s[0:1], 0x0
	s_waitcnt lgkmcnt(0)
	s_lshl_b32 s2, s14, 13
	s_delay_alu instid0(SALU_CYCLE_1) | instskip(SKIP_4) | instid1(SALU_CYCLE_1)
	s_ashr_i32 s3, s2, 31
	s_mul_hi_u32 s12, s2, s15
	s_mul_i32 s3, s3, s15
	s_mul_i32 s28, s2, s15
	s_add_i32 s29, s12, s3
	v_cmp_le_i64_e64 s2, s[10:11], s[28:29]
	s_delay_alu instid0(VALU_DEP_1)
	s_and_b32 vcc_lo, exec_lo, s2
	s_cbranch_vccnz .LBB904_100
; %bb.1:
	s_load_b64 s[2:3], s[0:1], 0x20
	s_cmp_eq_u32 s15, 0
	s_mov_b32 s13, 0
	s_cbranch_scc1 .LBB904_3
; %bb.2:
	s_add_i32 s12, s15, -1
	s_delay_alu instid0(SALU_CYCLE_1) | instskip(NEXT) | instid1(SALU_CYCLE_1)
	s_lshl_b64 s[12:13], s[12:13], 3
	s_add_u32 s8, s8, s12
	s_addc_u32 s9, s9, s13
	s_load_b64 s[8:9], s[8:9], 0x0
	s_cmp_lt_i32 s14, 1
	s_cbranch_scc0 .LBB904_4
	s_branch .LBB904_100
.LBB904_3:
	s_mov_b64 s[8:9], 0
	s_cmp_lt_i32 s14, 1
	s_cbranch_scc1 .LBB904_100
.LBB904_4:
	s_lshl_b64 s[12:13], s[28:29], 2
	v_mbcnt_lo_u32_b32 v2, -1, 0
	s_add_u32 s33, s4, s12
	s_addc_u32 s36, s5, s13
	s_waitcnt lgkmcnt(0)
	s_sub_u32 s30, s2, s8
	s_subb_u32 s31, s3, s9
	v_dual_mov_b32 v1, 0 :: v_dual_and_b32 v4, 0x3e0, v0
	v_and_b32_e32 v5, 15, v2
	s_sub_u32 s34, s10, s28
	s_subb_u32 s35, s11, s29
	s_lshl_b64 s[2:3], s[8:9], 3
	v_min_u32_e32 v7, 0x1e0, v4
	s_add_u32 s37, s6, s2
	s_addc_u32 s38, s7, s3
	v_cmp_eq_u32_e64 s2, 0, v5
	v_cmp_lt_u32_e64 s3, 1, v5
	v_cmp_lt_u32_e64 s4, 3, v5
	;; [unrolled: 1-line block ×3, first 2 shown]
	v_add_nc_u32_e32 v5, -1, v2
	v_lshlrev_b32_e32 v3, 4, v0
	v_or_b32_e32 v7, 31, v7
	v_and_b32_e32 v8, 16, v2
	v_lshrrev_b32_e32 v9, 3, v0
	v_cmp_gt_i32_e32 vcc_lo, 0, v5
	v_and_b32_e32 v6, 0x3e00, v3
	v_cmp_eq_u32_e64 s7, v7, v0
	v_lshrrev_b32_e32 v7, 1, v0
	v_cmp_eq_u32_e64 s6, 0, v8
	v_cndmask_b32_e32 v5, v5, v2, vcc_lo
	v_or_b32_e32 v8, 0x800, v0
	v_and_b32_e32 v21, 0x7c, v9
	v_add_lshl_u32 v25, v7, v3, 2
	v_or_b32_e32 v3, 0x400, v0
	v_lshlrev_b32_e32 v24, 2, v5
	v_add_nc_u32_e32 v5, 0x200, v0
	v_add_nc_u32_e32 v7, 0x600, v0
	v_lshlrev_b32_e32 v22, 2, v0
	v_lshrrev_b32_e32 v3, 3, v3
	v_add_nc_u32_e32 v9, 0xa00, v0
	v_lshrrev_b32_e32 v5, 3, v5
	v_lshrrev_b32_e32 v7, 3, v7
	;; [unrolled: 1-line block ×3, first 2 shown]
	v_and_b32_e32 v3, 0xfc, v3
	v_lshrrev_b32_e32 v9, 3, v9
	v_and_b32_e32 v5, 0xfc, v5
	v_or_b32_e32 v39, v2, v6
	v_or_b32_e32 v4, v2, v4
	v_add_nc_u32_e32 v28, v22, v3
	v_or_b32_e32 v3, 0xc00, v0
	v_add_nc_u32_e32 v27, v22, v5
	v_and_b32_e32 v5, 0x1fc, v7
	v_and_b32_e32 v7, 0x17c, v8
	;; [unrolled: 1-line block ×3, first 2 shown]
	v_lshrrev_b32_e32 v3, 3, v3
	v_or_b32_e32 v9, 0x1400, v0
	v_add_nc_u32_e32 v29, v22, v5
	v_add_nc_u32_e32 v30, v22, v7
	;; [unrolled: 1-line block ×3, first 2 shown]
	v_or_b32_e32 v7, 0x1000, v0
	v_add_nc_u32_e32 v31, v22, v8
	v_add_nc_u32_e32 v8, 0x1200, v0
	v_and_b32_e32 v3, 0x1fc, v3
	v_lshrrev_b32_e32 v5, 3, v5
	v_lshrrev_b32_e32 v7, 3, v7
	;; [unrolled: 1-line block ×4, first 2 shown]
	v_add_nc_u32_e32 v32, v22, v3
	v_and_b32_e32 v5, 0x3fc, v5
	v_and_b32_e32 v3, 0x27c, v7
	v_or_b32_e32 v43, 32, v39
	v_and_b32_e32 v7, 0x2fc, v8
	v_and_b32_e32 v8, 0x2fc, v9
	v_add_nc_u32_e32 v33, v22, v5
	v_add_nc_u32_e32 v5, 0x1600, v0
	;; [unrolled: 1-line block ×3, first 2 shown]
	v_or_b32_e32 v3, 0x1800, v0
	v_add_nc_u32_e32 v35, v22, v7
	v_add_nc_u32_e32 v36, v22, v8
	v_lshrrev_b32_e32 v5, 3, v5
	v_add_nc_u32_e32 v7, 0x1a00, v0
	v_or_b32_e32 v8, 0x1c00, v0
	v_lshrrev_b32_e32 v3, 3, v3
	v_add_nc_u32_e32 v9, 0x1e00, v0
	v_and_b32_e32 v5, 0x3fc, v5
	v_lshrrev_b32_e32 v7, 3, v7
	v_lshrrev_b32_e32 v8, 3, v8
	v_and_b32_e32 v3, 0x37c, v3
	v_lshrrev_b32_e32 v9, 3, v9
	v_add_nc_u32_e32 v37, v22, v5
	v_and_b32_e32 v5, 0x3fc, v7
	v_and_b32_e32 v7, 0x3fc, v8
	v_add_nc_u32_e32 v38, v22, v3
	v_or_b32_e32 v44, 64, v39
	v_or_b32_e32 v45, 0x60, v39
	v_lshrrev_b32_e32 v3, 5, v6
	v_and_b32_e32 v8, 0x7fc, v9
	v_add_nc_u32_e32 v40, v22, v5
	v_add_nc_u32_e32 v41, v22, v7
	v_or_b32_e32 v46, 0x80, v39
	v_or_b32_e32 v47, 0xa0, v39
	;; [unrolled: 1-line block ×4, first 2 shown]
	v_lshrrev_b32_e32 v5, 5, v43
	v_lshrrev_b32_e32 v7, 5, v44
	v_add_lshl_u32 v58, v3, v39, 2
	v_lshrrev_b32_e32 v3, 5, v45
	v_add_nc_u32_e32 v42, v22, v8
	v_or_b32_e32 v49, 0xe0, v39
	v_or_b32_e32 v51, 0x120, v39
	;; [unrolled: 1-line block ×4, first 2 shown]
	v_add_lshl_u32 v59, v5, v43, 2
	v_add_lshl_u32 v60, v7, v44, 2
	v_lshrrev_b32_e32 v5, 5, v46
	v_lshrrev_b32_e32 v7, 5, v47
	;; [unrolled: 1-line block ×3, first 2 shown]
	v_add_lshl_u32 v61, v3, v45, 2
	v_lshrrev_b32_e32 v3, 5, v50
	v_or_b32_e32 v54, 0x180, v39
	v_or_b32_e32 v55, 0x1a0, v39
	;; [unrolled: 1-line block ×4, first 2 shown]
	v_lshrrev_b32_e32 v9, 5, v49
	v_add_lshl_u32 v62, v5, v46, 2
	v_add_lshl_u32 v63, v7, v47, 2
	;; [unrolled: 1-line block ×3, first 2 shown]
	v_lshrrev_b32_e32 v5, 5, v51
	v_lshrrev_b32_e32 v7, 5, v52
	;; [unrolled: 1-line block ×3, first 2 shown]
	v_add_lshl_u32 v66, v3, v50, 2
	v_lshlrev_b32_e32 v3, 4, v4
	v_bfe_u32 v4, v4, 1, 27
	v_add_lshl_u32 v65, v9, v49, 2
	v_add_lshl_u32 v67, v5, v51, 2
	;; [unrolled: 1-line block ×4, first 2 shown]
	v_lshrrev_b32_e32 v5, 5, v54
	v_lshrrev_b32_e32 v7, 5, v55
	v_lshrrev_b32_e32 v8, 5, v56
	v_lshrrev_b32_e32 v9, 5, v57
	v_add_lshl_u32 v70, v4, v3, 2
	v_cmp_gt_u32_e64 s8, 16, v0
	v_cmp_lt_u32_e64 s9, 31, v0
	v_add_nc_u32_e32 v23, -4, v21
	v_cmp_eq_u32_e64 s10, 0, v2
	v_cmp_eq_u32_e64 s11, 0, v0
	v_add_nc_u32_e32 v26, v22, v21
	v_add_lshl_u32 v71, v5, v54, 2
	v_add_lshl_u32 v72, v7, v55, 2
	;; [unrolled: 1-line block ×4, first 2 shown]
	v_add_nc_u32_e32 v75, 56, v70
	v_add_nc_u32_e32 v76, 48, v70
	;; [unrolled: 1-line block ×7, first 2 shown]
	v_lshlrev_b32_e32 v82, 2, v2
	v_lshlrev_b32_e32 v83, 2, v6
	s_add_u32 s0, s0, 48
	s_addc_u32 s1, s1, 0
	s_add_i32 s39, s14, -1
	s_mov_b32 s12, 0
	s_branch .LBB904_6
.LBB904_5:                              ;   in Loop: Header=BB904_6 Depth=1
	s_cmp_eq_u32 s39, 0
	s_cselect_b32 s14, -1, 0
	s_delay_alu instid0(SALU_CYCLE_1)
	s_or_b32 s13, s13, s14
	s_add_u32 s34, s34, 0xffffe000
	s_addc_u32 s35, s35, -1
	s_and_not1_b32 vcc_lo, exec_lo, s13
	s_add_i32 s39, s39, -1
	s_cbranch_vccz .LBB904_100
.LBB904_6:                              ; =>This Inner Loop Header: Depth=1
	v_cmp_gt_i64_e64 s13, 0x2000, s[34:35]
	s_delay_alu instid0(VALU_DEP_1)
	s_and_b32 vcc_lo, exec_lo, s13
	s_mov_b32 s13, -1
	s_cbranch_vccz .LBB904_25
; %bb.7:                                ;   in Loop: Header=BB904_6 Depth=1
	v_add_co_u32 v2, s13, s33, v82
	s_delay_alu instid0(VALU_DEP_1) | instskip(SKIP_1) | instid1(VALU_DEP_2)
	v_add_co_ci_u32_e64 v3, null, s36, 0, s13
	s_mov_b32 s13, s12
	v_add_co_u32 v18, vcc_lo, v2, v83
	s_mov_b32 s14, s12
	s_mov_b32 s15, s12
	;; [unrolled: 1-line block ×14, first 2 shown]
	v_add_co_ci_u32_e32 v19, vcc_lo, 0, v3, vcc_lo
	v_dual_mov_b32 v2, s12 :: v_dual_mov_b32 v3, s13
	v_dual_mov_b32 v4, s14 :: v_dual_mov_b32 v5, s15
	;; [unrolled: 1-line block ×8, first 2 shown]
	v_mov_b32_e32 v2, 0
	s_mov_b32 s13, exec_lo
	v_cmpx_gt_u32_e64 s34, v39
	s_cbranch_execnz .LBB904_85
; %bb.8:                                ;   in Loop: Header=BB904_6 Depth=1
	s_or_b32 exec_lo, exec_lo, s13
	s_delay_alu instid0(SALU_CYCLE_1)
	s_mov_b32 s13, exec_lo
	v_cmpx_gt_u32_e64 s34, v43
	s_cbranch_execnz .LBB904_86
.LBB904_9:                              ;   in Loop: Header=BB904_6 Depth=1
	s_or_b32 exec_lo, exec_lo, s13
	s_delay_alu instid0(SALU_CYCLE_1)
	s_mov_b32 s13, exec_lo
	v_cmpx_gt_u32_e64 s34, v44
	s_cbranch_execnz .LBB904_87
.LBB904_10:                             ;   in Loop: Header=BB904_6 Depth=1
	s_or_b32 exec_lo, exec_lo, s13
	s_delay_alu instid0(SALU_CYCLE_1)
	s_mov_b32 s13, exec_lo
	v_cmpx_gt_u32_e64 s34, v45
	s_cbranch_execnz .LBB904_88
.LBB904_11:                             ;   in Loop: Header=BB904_6 Depth=1
	s_or_b32 exec_lo, exec_lo, s13
	s_delay_alu instid0(SALU_CYCLE_1)
	s_mov_b32 s13, exec_lo
	v_cmpx_gt_u32_e64 s34, v46
	s_cbranch_execnz .LBB904_89
.LBB904_12:                             ;   in Loop: Header=BB904_6 Depth=1
	s_or_b32 exec_lo, exec_lo, s13
	s_delay_alu instid0(SALU_CYCLE_1)
	s_mov_b32 s13, exec_lo
	v_cmpx_gt_u32_e64 s34, v47
	s_cbranch_execnz .LBB904_90
.LBB904_13:                             ;   in Loop: Header=BB904_6 Depth=1
	s_or_b32 exec_lo, exec_lo, s13
	s_delay_alu instid0(SALU_CYCLE_1)
	s_mov_b32 s13, exec_lo
	v_cmpx_gt_u32_e64 s34, v48
	s_cbranch_execnz .LBB904_91
.LBB904_14:                             ;   in Loop: Header=BB904_6 Depth=1
	s_or_b32 exec_lo, exec_lo, s13
	s_delay_alu instid0(SALU_CYCLE_1)
	s_mov_b32 s13, exec_lo
	v_cmpx_gt_u32_e64 s34, v49
	s_cbranch_execnz .LBB904_92
.LBB904_15:                             ;   in Loop: Header=BB904_6 Depth=1
	s_or_b32 exec_lo, exec_lo, s13
	s_delay_alu instid0(SALU_CYCLE_1)
	s_mov_b32 s13, exec_lo
	v_cmpx_gt_u32_e64 s34, v50
	s_cbranch_execnz .LBB904_93
.LBB904_16:                             ;   in Loop: Header=BB904_6 Depth=1
	s_or_b32 exec_lo, exec_lo, s13
	s_delay_alu instid0(SALU_CYCLE_1)
	s_mov_b32 s13, exec_lo
	v_cmpx_gt_u32_e64 s34, v51
	s_cbranch_execnz .LBB904_94
.LBB904_17:                             ;   in Loop: Header=BB904_6 Depth=1
	s_or_b32 exec_lo, exec_lo, s13
	s_delay_alu instid0(SALU_CYCLE_1)
	s_mov_b32 s13, exec_lo
	v_cmpx_gt_u32_e64 s34, v52
	s_cbranch_execnz .LBB904_95
.LBB904_18:                             ;   in Loop: Header=BB904_6 Depth=1
	s_or_b32 exec_lo, exec_lo, s13
	s_delay_alu instid0(SALU_CYCLE_1)
	s_mov_b32 s13, exec_lo
	v_cmpx_gt_u32_e64 s34, v53
	s_cbranch_execnz .LBB904_96
.LBB904_19:                             ;   in Loop: Header=BB904_6 Depth=1
	s_or_b32 exec_lo, exec_lo, s13
	s_delay_alu instid0(SALU_CYCLE_1)
	s_mov_b32 s13, exec_lo
	v_cmpx_gt_u32_e64 s34, v54
	s_cbranch_execnz .LBB904_97
.LBB904_20:                             ;   in Loop: Header=BB904_6 Depth=1
	s_or_b32 exec_lo, exec_lo, s13
	s_delay_alu instid0(SALU_CYCLE_1)
	s_mov_b32 s13, exec_lo
	v_cmpx_gt_u32_e64 s34, v55
	s_cbranch_execnz .LBB904_98
.LBB904_21:                             ;   in Loop: Header=BB904_6 Depth=1
	s_or_b32 exec_lo, exec_lo, s13
	s_delay_alu instid0(SALU_CYCLE_1)
	s_mov_b32 s13, exec_lo
	v_cmpx_gt_u32_e64 s34, v56
	s_cbranch_execnz .LBB904_99
.LBB904_22:                             ;   in Loop: Header=BB904_6 Depth=1
	s_or_b32 exec_lo, exec_lo, s13
	s_delay_alu instid0(SALU_CYCLE_1)
	s_mov_b32 s13, exec_lo
	v_cmpx_gt_u32_e64 s34, v57
	s_cbranch_execz .LBB904_24
.LBB904_23:                             ;   in Loop: Header=BB904_6 Depth=1
	global_load_b32 v17, v[18:19], off offset:1920
	s_waitcnt vmcnt(0)
	v_cmp_ne_u32_e32 vcc_lo, 0, v17
	v_cndmask_b32_e64 v17, 0, 1, vcc_lo
.LBB904_24:                             ;   in Loop: Header=BB904_6 Depth=1
	s_or_b32 exec_lo, exec_lo, s13
	s_mov_b32 s13, 0
	ds_store_b32 v58, v2
	ds_store_b32 v59, v3
	;; [unrolled: 1-line block ×16, first 2 shown]
	; wave barrier
.LBB904_25:                             ;   in Loop: Header=BB904_6 Depth=1
	s_and_b32 vcc_lo, exec_lo, s13
	s_cbranch_vccz .LBB904_27
; %bb.26:                               ;   in Loop: Header=BB904_6 Depth=1
	v_add_co_u32 v2, s13, s33, v82
	s_delay_alu instid0(VALU_DEP_1) | instskip(NEXT) | instid1(VALU_DEP_2)
	v_add_co_ci_u32_e64 v3, null, s36, 0, s13
	v_add_co_u32 v2, vcc_lo, v2, v83
	s_delay_alu instid0(VALU_DEP_2)
	v_add_co_ci_u32_e32 v3, vcc_lo, 0, v3, vcc_lo
	s_clause 0xf
	global_load_b32 v4, v[2:3], off
	global_load_b32 v5, v[2:3], off offset:128
	global_load_b32 v6, v[2:3], off offset:256
	;; [unrolled: 1-line block ×15, first 2 shown]
	s_waitcnt vmcnt(15)
	v_cmp_ne_u32_e32 vcc_lo, 0, v4
	v_cndmask_b32_e64 v3, 0, 1, vcc_lo
	s_waitcnt vmcnt(14)
	v_cmp_ne_u32_e32 vcc_lo, 0, v5
	v_cndmask_b32_e64 v4, 0, 1, vcc_lo
	s_waitcnt vmcnt(13)
	v_cmp_ne_u32_e32 vcc_lo, 0, v6
	v_cndmask_b32_e64 v5, 0, 1, vcc_lo
	s_waitcnt vmcnt(12)
	v_cmp_ne_u32_e32 vcc_lo, 0, v7
	v_cndmask_b32_e64 v6, 0, 1, vcc_lo
	s_waitcnt vmcnt(11)
	v_cmp_ne_u32_e32 vcc_lo, 0, v8
	v_cndmask_b32_e64 v7, 0, 1, vcc_lo
	s_waitcnt vmcnt(10)
	v_cmp_ne_u32_e32 vcc_lo, 0, v9
	v_cndmask_b32_e64 v8, 0, 1, vcc_lo
	s_waitcnt vmcnt(9)
	v_cmp_ne_u32_e32 vcc_lo, 0, v10
	v_cndmask_b32_e64 v9, 0, 1, vcc_lo
	s_waitcnt vmcnt(8)
	v_cmp_ne_u32_e32 vcc_lo, 0, v11
	v_cndmask_b32_e64 v10, 0, 1, vcc_lo
	s_waitcnt vmcnt(7)
	v_cmp_ne_u32_e32 vcc_lo, 0, v12
	v_cndmask_b32_e64 v11, 0, 1, vcc_lo
	s_waitcnt vmcnt(6)
	v_cmp_ne_u32_e32 vcc_lo, 0, v13
	v_cndmask_b32_e64 v12, 0, 1, vcc_lo
	s_waitcnt vmcnt(5)
	v_cmp_ne_u32_e32 vcc_lo, 0, v14
	v_cndmask_b32_e64 v13, 0, 1, vcc_lo
	s_waitcnt vmcnt(4)
	v_cmp_ne_u32_e32 vcc_lo, 0, v15
	v_cndmask_b32_e64 v14, 0, 1, vcc_lo
	s_waitcnt vmcnt(3)
	v_cmp_ne_u32_e32 vcc_lo, 0, v16
	v_cndmask_b32_e64 v15, 0, 1, vcc_lo
	s_waitcnt vmcnt(2)
	v_cmp_ne_u32_e32 vcc_lo, 0, v17
	v_cndmask_b32_e64 v16, 0, 1, vcc_lo
	s_waitcnt vmcnt(1)
	v_cmp_ne_u32_e32 vcc_lo, 0, v18
	v_cndmask_b32_e64 v17, 0, 1, vcc_lo
	s_waitcnt vmcnt(0)
	v_cmp_ne_u32_e32 vcc_lo, 0, v2
	v_cndmask_b32_e64 v2, 0, 1, vcc_lo
	ds_store_b32 v58, v3
	ds_store_b32 v59, v4
	;; [unrolled: 1-line block ×16, first 2 shown]
	; wave barrier
.LBB904_27:                             ;   in Loop: Header=BB904_6 Depth=1
	ds_load_2addr_b32 v[16:17], v70 offset1:1
	ds_load_2addr_b32 v[12:13], v81 offset1:1
	;; [unrolled: 1-line block ×6, first 2 shown]
	s_waitcnt lgkmcnt(5)
	v_add_nc_u32_e32 v2, v17, v16
	s_waitcnt lgkmcnt(4)
	s_delay_alu instid0(VALU_DEP_1) | instskip(SKIP_1) | instid1(VALU_DEP_1)
	v_add3_u32 v2, v2, v12, v13
	s_waitcnt lgkmcnt(3)
	v_add3_u32 v18, v2, v8, v9
	ds_load_2addr_b32 v[4:5], v76 offset1:1
	ds_load_2addr_b32 v[2:3], v75 offset1:1
	s_waitcnt lgkmcnt(0)
	s_waitcnt_vscnt null, 0x0
	s_barrier
	buffer_gl0_inv
	v_add3_u32 v18, v18, v6, v7
	s_delay_alu instid0(VALU_DEP_1) | instskip(NEXT) | instid1(VALU_DEP_1)
	v_add3_u32 v18, v18, v14, v15
	v_add3_u32 v18, v18, v10, v11
	s_delay_alu instid0(VALU_DEP_1) | instskip(NEXT) | instid1(VALU_DEP_1)
	v_add3_u32 v18, v18, v4, v5
	v_add3_u32 v18, v18, v2, v3
	s_delay_alu instid0(VALU_DEP_1) | instskip(NEXT) | instid1(VALU_DEP_1)
	v_mov_b32_dpp v19, v18 row_shr:1 row_mask:0xf bank_mask:0xf
	v_cndmask_b32_e64 v19, v19, 0, s2
	s_delay_alu instid0(VALU_DEP_1) | instskip(NEXT) | instid1(VALU_DEP_1)
	v_add_nc_u32_e32 v18, v18, v19
	v_mov_b32_dpp v19, v18 row_shr:2 row_mask:0xf bank_mask:0xf
	s_delay_alu instid0(VALU_DEP_1) | instskip(NEXT) | instid1(VALU_DEP_1)
	v_cndmask_b32_e64 v19, 0, v19, s3
	v_add_nc_u32_e32 v18, v18, v19
	s_delay_alu instid0(VALU_DEP_1) | instskip(NEXT) | instid1(VALU_DEP_1)
	v_mov_b32_dpp v19, v18 row_shr:4 row_mask:0xf bank_mask:0xf
	v_cndmask_b32_e64 v19, 0, v19, s4
	s_delay_alu instid0(VALU_DEP_1) | instskip(NEXT) | instid1(VALU_DEP_1)
	v_add_nc_u32_e32 v18, v18, v19
	v_mov_b32_dpp v19, v18 row_shr:8 row_mask:0xf bank_mask:0xf
	s_delay_alu instid0(VALU_DEP_1) | instskip(NEXT) | instid1(VALU_DEP_1)
	v_cndmask_b32_e64 v19, 0, v19, s5
	v_add_nc_u32_e32 v18, v18, v19
	ds_swizzle_b32 v19, v18 offset:swizzle(BROADCAST,32,15)
	s_waitcnt lgkmcnt(0)
	v_cndmask_b32_e64 v19, v19, 0, s6
	s_delay_alu instid0(VALU_DEP_1)
	v_add_nc_u32_e32 v18, v18, v19
	s_and_saveexec_b32 s13, s7
	s_cbranch_execz .LBB904_29
; %bb.28:                               ;   in Loop: Header=BB904_6 Depth=1
	ds_store_b32 v21, v18
.LBB904_29:                             ;   in Loop: Header=BB904_6 Depth=1
	s_or_b32 exec_lo, exec_lo, s13
	s_waitcnt lgkmcnt(0)
	s_barrier
	buffer_gl0_inv
	s_and_saveexec_b32 s13, s8
	s_cbranch_execz .LBB904_31
; %bb.30:                               ;   in Loop: Header=BB904_6 Depth=1
	ds_load_b32 v19, v22
	s_waitcnt lgkmcnt(0)
	v_mov_b32_dpp v20, v19 row_shr:1 row_mask:0xf bank_mask:0xf
	s_delay_alu instid0(VALU_DEP_1) | instskip(NEXT) | instid1(VALU_DEP_1)
	v_cndmask_b32_e64 v20, v20, 0, s2
	v_add_nc_u32_e32 v19, v20, v19
	s_delay_alu instid0(VALU_DEP_1) | instskip(NEXT) | instid1(VALU_DEP_1)
	v_mov_b32_dpp v20, v19 row_shr:2 row_mask:0xf bank_mask:0xf
	v_cndmask_b32_e64 v20, 0, v20, s3
	s_delay_alu instid0(VALU_DEP_1) | instskip(NEXT) | instid1(VALU_DEP_1)
	v_add_nc_u32_e32 v19, v19, v20
	v_mov_b32_dpp v20, v19 row_shr:4 row_mask:0xf bank_mask:0xf
	s_delay_alu instid0(VALU_DEP_1) | instskip(NEXT) | instid1(VALU_DEP_1)
	v_cndmask_b32_e64 v20, 0, v20, s4
	v_add_nc_u32_e32 v19, v19, v20
	s_delay_alu instid0(VALU_DEP_1) | instskip(NEXT) | instid1(VALU_DEP_1)
	v_mov_b32_dpp v20, v19 row_shr:8 row_mask:0xf bank_mask:0xf
	v_cndmask_b32_e64 v20, 0, v20, s5
	s_delay_alu instid0(VALU_DEP_1)
	v_add_nc_u32_e32 v19, v19, v20
	ds_store_b32 v22, v19
.LBB904_31:                             ;   in Loop: Header=BB904_6 Depth=1
	s_or_b32 exec_lo, exec_lo, s13
	v_mov_b32_e32 v19, 0
	s_waitcnt lgkmcnt(0)
	s_barrier
	buffer_gl0_inv
	s_and_saveexec_b32 s13, s9
	s_cbranch_execz .LBB904_33
; %bb.32:                               ;   in Loop: Header=BB904_6 Depth=1
	ds_load_b32 v19, v23
.LBB904_33:                             ;   in Loop: Header=BB904_6 Depth=1
	s_or_b32 exec_lo, exec_lo, s13
	s_waitcnt lgkmcnt(0)
	v_add_nc_u32_e32 v18, v19, v18
	ds_bpermute_b32 v18, v24, v18
	s_and_saveexec_b32 s13, s11
	s_cbranch_execz .LBB904_35
; %bb.34:                               ;   in Loop: Header=BB904_6 Depth=1
	ds_load_b32 v20, v1 offset:60
	s_waitcnt lgkmcnt(0)
	ds_store_b32 v1, v20 offset:33792
.LBB904_35:                             ;   in Loop: Header=BB904_6 Depth=1
	s_or_b32 exec_lo, exec_lo, s13
	s_waitcnt lgkmcnt(0)
	v_cndmask_b32_e64 v18, v18, v19, s10
	s_barrier
	buffer_gl0_inv
	ds_store_2addr_b32 v25, v16, v17 offset1:1
	ds_store_2addr_b32 v25, v12, v13 offset0:2 offset1:3
	ds_store_2addr_b32 v25, v8, v9 offset0:4 offset1:5
	;; [unrolled: 1-line block ×3, first 2 shown]
	v_cndmask_b32_e64 v18, v18, 0, s11
	ds_store_2addr_b32 v25, v14, v15 offset0:8 offset1:9
	ds_store_2addr_b32 v25, v10, v11 offset0:10 offset1:11
	ds_store_2addr_b32 v25, v4, v5 offset0:12 offset1:13
	ds_store_2addr_b32 v25, v2, v3 offset0:14 offset1:15
	s_waitcnt lgkmcnt(0)
	s_barrier
	buffer_gl0_inv
	v_add_nc_u32_e32 v19, v18, v16
	ds_load_b32 v108, v26
	ds_load_b32 v98, v27 offset:2048
	ds_load_b32 v97, v28 offset:4096
	;; [unrolled: 1-line block ×15, first 2 shown]
	s_waitcnt lgkmcnt(0)
	s_barrier
	v_add_nc_u32_e32 v20, v19, v17
	buffer_gl0_inv
	v_add_nc_u32_e32 v99, v20, v12
	s_delay_alu instid0(VALU_DEP_1) | instskip(NEXT) | instid1(VALU_DEP_1)
	v_add_nc_u32_e32 v100, v99, v13
	v_add_nc_u32_e32 v101, v100, v8
	s_delay_alu instid0(VALU_DEP_1) | instskip(NEXT) | instid1(VALU_DEP_1)
	v_add_nc_u32_e32 v102, v101, v9
	;; [unrolled: 3-line block ×6, first 2 shown]
	v_add_nc_u32_e32 v2, v4, v2
	ds_store_2addr_b32 v25, v18, v19 offset1:1
	ds_store_2addr_b32 v25, v20, v99 offset0:2 offset1:3
	ds_store_2addr_b32 v25, v100, v101 offset0:4 offset1:5
	;; [unrolled: 1-line block ×7, first 2 shown]
	s_waitcnt lgkmcnt(0)
	s_barrier
	buffer_gl0_inv
	ds_load_b32 v18, v27 offset:2048
	ds_load_b32 v17, v28 offset:4096
	ds_load_b32 v16, v29 offset:6144
	ds_load_b32 v15, v30 offset:8192
	ds_load_b32 v14, v31 offset:10240
	ds_load_b32 v13, v32 offset:12288
	ds_load_b32 v12, v33 offset:14336
	ds_load_b32 v11, v34 offset:16384
	ds_load_b32 v10, v35 offset:18432
	ds_load_b32 v9, v36 offset:20480
	ds_load_b32 v8, v37 offset:22528
	ds_load_b32 v7, v38 offset:24576
	ds_load_b32 v6, v40 offset:26624
	ds_load_b32 v5, v41 offset:28672
	ds_load_b32 v4, v42 offset:30720
	v_add_co_u32 v2, s13, s28, v0
	s_delay_alu instid0(VALU_DEP_1)
	v_add_co_ci_u32_e64 v3, null, s29, 0, s13
	s_mov_b32 s13, exec_lo
	v_cmpx_ne_u32_e32 0, v108
	s_cbranch_execz .LBB904_38
; %bb.36:                               ;   in Loop: Header=BB904_6 Depth=1
	ds_load_b32 v19, v26
	s_waitcnt lgkmcnt(0)
	v_ashrrev_i32_e32 v20, 31, v19
	s_delay_alu instid0(VALU_DEP_1)
	v_cmp_gt_i64_e32 vcc_lo, s[30:31], v[19:20]
	s_and_b32 exec_lo, exec_lo, vcc_lo
	s_cbranch_execz .LBB904_38
; %bb.37:                               ;   in Loop: Header=BB904_6 Depth=1
	v_lshlrev_b64 v[19:20], 3, v[19:20]
	s_delay_alu instid0(VALU_DEP_1) | instskip(NEXT) | instid1(VALU_DEP_2)
	v_add_co_u32 v19, vcc_lo, s37, v19
	v_add_co_ci_u32_e32 v20, vcc_lo, s38, v20, vcc_lo
	global_store_b64 v[19:20], v[2:3], off
.LBB904_38:                             ;   in Loop: Header=BB904_6 Depth=1
	s_or_b32 exec_lo, exec_lo, s13
	s_delay_alu instid0(SALU_CYCLE_1)
	s_mov_b32 s13, exec_lo
	v_cmpx_ne_u32_e32 0, v98
	s_cbranch_execz .LBB904_41
; %bb.39:                               ;   in Loop: Header=BB904_6 Depth=1
	s_waitcnt lgkmcnt(14)
	v_ashrrev_i32_e32 v19, 31, v18
	s_delay_alu instid0(VALU_DEP_1)
	v_cmp_gt_i64_e32 vcc_lo, s[30:31], v[18:19]
	s_and_b32 exec_lo, exec_lo, vcc_lo
	s_cbranch_execz .LBB904_41
; %bb.40:                               ;   in Loop: Header=BB904_6 Depth=1
	s_load_b32 s14, s[0:1], 0xc
	v_lshlrev_b64 v[18:19], 3, v[18:19]
	s_waitcnt lgkmcnt(0)
	s_and_b32 s14, s14, 0xffff
	s_delay_alu instid0(SALU_CYCLE_1) | instskip(SKIP_1) | instid1(VALU_DEP_3)
	v_add_co_u32 v98, vcc_lo, v2, s14
	v_add_co_ci_u32_e32 v99, vcc_lo, 0, v3, vcc_lo
	v_add_co_u32 v18, vcc_lo, s37, v18
	v_add_co_ci_u32_e32 v19, vcc_lo, s38, v19, vcc_lo
	global_store_b64 v[18:19], v[98:99], off
.LBB904_41:                             ;   in Loop: Header=BB904_6 Depth=1
	s_or_b32 exec_lo, exec_lo, s13
	s_delay_alu instid0(SALU_CYCLE_1)
	s_mov_b32 s13, exec_lo
	v_cmpx_ne_u32_e32 0, v97
	s_cbranch_execz .LBB904_44
; %bb.42:                               ;   in Loop: Header=BB904_6 Depth=1
	s_waitcnt lgkmcnt(13)
	v_ashrrev_i32_e32 v18, 31, v17
	s_delay_alu instid0(VALU_DEP_1)
	v_cmp_gt_i64_e32 vcc_lo, s[30:31], v[17:18]
	s_and_b32 exec_lo, exec_lo, vcc_lo
	s_cbranch_execz .LBB904_44
; %bb.43:                               ;   in Loop: Header=BB904_6 Depth=1
	s_load_b32 s14, s[0:1], 0xc
	v_lshlrev_b64 v[17:18], 3, v[17:18]
	s_waitcnt lgkmcnt(0)
	s_and_b32 s14, s14, 0xffff
	s_delay_alu instid0(SALU_CYCLE_1) | instskip(NEXT) | instid1(SALU_CYCLE_1)
	s_lshl_b32 s14, s14, 1
	v_add_co_u32 v19, vcc_lo, v2, s14
	v_add_co_ci_u32_e32 v20, vcc_lo, 0, v3, vcc_lo
	v_add_co_u32 v17, vcc_lo, s37, v17
	v_add_co_ci_u32_e32 v18, vcc_lo, s38, v18, vcc_lo
	global_store_b64 v[17:18], v[19:20], off
.LBB904_44:                             ;   in Loop: Header=BB904_6 Depth=1
	s_or_b32 exec_lo, exec_lo, s13
	s_delay_alu instid0(SALU_CYCLE_1)
	s_mov_b32 s13, exec_lo
	v_cmpx_ne_u32_e32 0, v96
	s_cbranch_execz .LBB904_47
; %bb.45:                               ;   in Loop: Header=BB904_6 Depth=1
	s_waitcnt lgkmcnt(12)
	v_ashrrev_i32_e32 v17, 31, v16
	s_delay_alu instid0(VALU_DEP_1)
	v_cmp_gt_i64_e32 vcc_lo, s[30:31], v[16:17]
	s_and_b32 exec_lo, exec_lo, vcc_lo
	s_cbranch_execz .LBB904_47
; %bb.46:                               ;   in Loop: Header=BB904_6 Depth=1
	s_load_b32 s14, s[0:1], 0xc
	v_lshlrev_b64 v[16:17], 3, v[16:17]
	s_delay_alu instid0(VALU_DEP_1) | instskip(NEXT) | instid1(VALU_DEP_2)
	v_add_co_u32 v16, vcc_lo, s37, v16
	v_add_co_ci_u32_e32 v17, vcc_lo, s38, v17, vcc_lo
	s_waitcnt lgkmcnt(0)
	s_and_b32 s14, s14, 0xffff
	s_delay_alu instid0(SALU_CYCLE_1)
	v_mad_u64_u32 v[18:19], null, s14, 3, v[2:3]
	global_store_b64 v[16:17], v[18:19], off
.LBB904_47:                             ;   in Loop: Header=BB904_6 Depth=1
	s_or_b32 exec_lo, exec_lo, s13
	s_delay_alu instid0(SALU_CYCLE_1)
	s_mov_b32 s13, exec_lo
	v_cmpx_ne_u32_e32 0, v95
	s_cbranch_execz .LBB904_50
; %bb.48:                               ;   in Loop: Header=BB904_6 Depth=1
	s_waitcnt lgkmcnt(11)
	v_ashrrev_i32_e32 v16, 31, v15
	s_delay_alu instid0(VALU_DEP_1)
	v_cmp_gt_i64_e32 vcc_lo, s[30:31], v[15:16]
	s_and_b32 exec_lo, exec_lo, vcc_lo
	s_cbranch_execz .LBB904_50
; %bb.49:                               ;   in Loop: Header=BB904_6 Depth=1
	s_load_b32 s14, s[0:1], 0xc
	v_lshlrev_b64 v[15:16], 3, v[15:16]
	s_waitcnt lgkmcnt(0)
	s_and_b32 s14, s14, 0xffff
	s_delay_alu instid0(SALU_CYCLE_1) | instskip(NEXT) | instid1(SALU_CYCLE_1)
	s_lshl_b32 s14, s14, 2
	v_add_co_u32 v17, vcc_lo, v2, s14
	v_add_co_ci_u32_e32 v18, vcc_lo, 0, v3, vcc_lo
	v_add_co_u32 v15, vcc_lo, s37, v15
	v_add_co_ci_u32_e32 v16, vcc_lo, s38, v16, vcc_lo
	global_store_b64 v[15:16], v[17:18], off
.LBB904_50:                             ;   in Loop: Header=BB904_6 Depth=1
	s_or_b32 exec_lo, exec_lo, s13
	s_delay_alu instid0(SALU_CYCLE_1)
	s_mov_b32 s13, exec_lo
	v_cmpx_ne_u32_e32 0, v94
	s_cbranch_execz .LBB904_53
; %bb.51:                               ;   in Loop: Header=BB904_6 Depth=1
	s_waitcnt lgkmcnt(10)
	v_ashrrev_i32_e32 v15, 31, v14
	s_delay_alu instid0(VALU_DEP_1)
	v_cmp_gt_i64_e32 vcc_lo, s[30:31], v[14:15]
	s_and_b32 exec_lo, exec_lo, vcc_lo
	s_cbranch_execz .LBB904_53
; %bb.52:                               ;   in Loop: Header=BB904_6 Depth=1
	s_load_b32 s14, s[0:1], 0xc
	v_lshlrev_b64 v[14:15], 3, v[14:15]
	s_delay_alu instid0(VALU_DEP_1) | instskip(NEXT) | instid1(VALU_DEP_2)
	v_add_co_u32 v14, vcc_lo, s37, v14
	v_add_co_ci_u32_e32 v15, vcc_lo, s38, v15, vcc_lo
	s_waitcnt lgkmcnt(0)
	s_and_b32 s14, s14, 0xffff
	s_delay_alu instid0(SALU_CYCLE_1)
	v_mad_u64_u32 v[16:17], null, s14, 5, v[2:3]
	global_store_b64 v[14:15], v[16:17], off
.LBB904_53:                             ;   in Loop: Header=BB904_6 Depth=1
	s_or_b32 exec_lo, exec_lo, s13
	s_delay_alu instid0(SALU_CYCLE_1)
	s_mov_b32 s13, exec_lo
	v_cmpx_ne_u32_e32 0, v93
	s_cbranch_execz .LBB904_56
; %bb.54:                               ;   in Loop: Header=BB904_6 Depth=1
	s_waitcnt lgkmcnt(9)
	v_ashrrev_i32_e32 v14, 31, v13
	s_delay_alu instid0(VALU_DEP_1)
	v_cmp_gt_i64_e32 vcc_lo, s[30:31], v[13:14]
	s_and_b32 exec_lo, exec_lo, vcc_lo
	s_cbranch_execz .LBB904_56
; %bb.55:                               ;   in Loop: Header=BB904_6 Depth=1
	s_load_b32 s14, s[0:1], 0xc
	v_lshlrev_b64 v[13:14], 3, v[13:14]
	s_delay_alu instid0(VALU_DEP_1) | instskip(NEXT) | instid1(VALU_DEP_2)
	v_add_co_u32 v13, vcc_lo, s37, v13
	v_add_co_ci_u32_e32 v14, vcc_lo, s38, v14, vcc_lo
	s_waitcnt lgkmcnt(0)
	s_and_b32 s14, s14, 0xffff
	s_delay_alu instid0(SALU_CYCLE_1)
	v_mad_u64_u32 v[15:16], null, s14, 6, v[2:3]
	global_store_b64 v[13:14], v[15:16], off
.LBB904_56:                             ;   in Loop: Header=BB904_6 Depth=1
	s_or_b32 exec_lo, exec_lo, s13
	s_delay_alu instid0(SALU_CYCLE_1)
	s_mov_b32 s13, exec_lo
	v_cmpx_ne_u32_e32 0, v92
	s_cbranch_execz .LBB904_59
; %bb.57:                               ;   in Loop: Header=BB904_6 Depth=1
	s_waitcnt lgkmcnt(8)
	v_ashrrev_i32_e32 v13, 31, v12
	s_delay_alu instid0(VALU_DEP_1)
	v_cmp_gt_i64_e32 vcc_lo, s[30:31], v[12:13]
	s_and_b32 exec_lo, exec_lo, vcc_lo
	s_cbranch_execz .LBB904_59
; %bb.58:                               ;   in Loop: Header=BB904_6 Depth=1
	s_load_b32 s14, s[0:1], 0xc
	v_lshlrev_b64 v[12:13], 3, v[12:13]
	s_delay_alu instid0(VALU_DEP_1) | instskip(NEXT) | instid1(VALU_DEP_2)
	v_add_co_u32 v12, vcc_lo, s37, v12
	v_add_co_ci_u32_e32 v13, vcc_lo, s38, v13, vcc_lo
	s_waitcnt lgkmcnt(0)
	s_and_b32 s14, s14, 0xffff
	s_delay_alu instid0(SALU_CYCLE_1)
	v_mad_u64_u32 v[14:15], null, s14, 7, v[2:3]
	global_store_b64 v[12:13], v[14:15], off
.LBB904_59:                             ;   in Loop: Header=BB904_6 Depth=1
	s_or_b32 exec_lo, exec_lo, s13
	s_delay_alu instid0(SALU_CYCLE_1)
	s_mov_b32 s13, exec_lo
	v_cmpx_ne_u32_e32 0, v91
	s_cbranch_execz .LBB904_62
; %bb.60:                               ;   in Loop: Header=BB904_6 Depth=1
	s_waitcnt lgkmcnt(7)
	v_ashrrev_i32_e32 v12, 31, v11
	s_delay_alu instid0(VALU_DEP_1)
	v_cmp_gt_i64_e32 vcc_lo, s[30:31], v[11:12]
	s_and_b32 exec_lo, exec_lo, vcc_lo
	s_cbranch_execz .LBB904_62
; %bb.61:                               ;   in Loop: Header=BB904_6 Depth=1
	s_load_b32 s14, s[0:1], 0xc
	v_lshlrev_b64 v[11:12], 3, v[11:12]
	s_waitcnt lgkmcnt(0)
	s_and_b32 s14, s14, 0xffff
	s_delay_alu instid0(SALU_CYCLE_1) | instskip(NEXT) | instid1(SALU_CYCLE_1)
	s_lshl_b32 s14, s14, 3
	v_add_co_u32 v13, vcc_lo, v2, s14
	v_add_co_ci_u32_e32 v14, vcc_lo, 0, v3, vcc_lo
	v_add_co_u32 v11, vcc_lo, s37, v11
	v_add_co_ci_u32_e32 v12, vcc_lo, s38, v12, vcc_lo
	global_store_b64 v[11:12], v[13:14], off
.LBB904_62:                             ;   in Loop: Header=BB904_6 Depth=1
	s_or_b32 exec_lo, exec_lo, s13
	s_delay_alu instid0(SALU_CYCLE_1)
	s_mov_b32 s13, exec_lo
	v_cmpx_ne_u32_e32 0, v90
	s_cbranch_execz .LBB904_65
; %bb.63:                               ;   in Loop: Header=BB904_6 Depth=1
	s_waitcnt lgkmcnt(6)
	v_ashrrev_i32_e32 v11, 31, v10
	s_delay_alu instid0(VALU_DEP_1)
	v_cmp_gt_i64_e32 vcc_lo, s[30:31], v[10:11]
	s_and_b32 exec_lo, exec_lo, vcc_lo
	s_cbranch_execz .LBB904_65
; %bb.64:                               ;   in Loop: Header=BB904_6 Depth=1
	s_load_b32 s14, s[0:1], 0xc
	v_lshlrev_b64 v[10:11], 3, v[10:11]
	s_delay_alu instid0(VALU_DEP_1) | instskip(NEXT) | instid1(VALU_DEP_2)
	v_add_co_u32 v10, vcc_lo, s37, v10
	v_add_co_ci_u32_e32 v11, vcc_lo, s38, v11, vcc_lo
	s_waitcnt lgkmcnt(0)
	s_and_b32 s14, s14, 0xffff
	s_delay_alu instid0(SALU_CYCLE_1)
	v_mad_u64_u32 v[12:13], null, s14, 9, v[2:3]
	global_store_b64 v[10:11], v[12:13], off
.LBB904_65:                             ;   in Loop: Header=BB904_6 Depth=1
	s_or_b32 exec_lo, exec_lo, s13
	s_delay_alu instid0(SALU_CYCLE_1)
	s_mov_b32 s13, exec_lo
	v_cmpx_ne_u32_e32 0, v89
	s_cbranch_execz .LBB904_68
; %bb.66:                               ;   in Loop: Header=BB904_6 Depth=1
	s_waitcnt lgkmcnt(5)
	v_ashrrev_i32_e32 v10, 31, v9
	s_delay_alu instid0(VALU_DEP_1)
	v_cmp_gt_i64_e32 vcc_lo, s[30:31], v[9:10]
	s_and_b32 exec_lo, exec_lo, vcc_lo
	s_cbranch_execz .LBB904_68
; %bb.67:                               ;   in Loop: Header=BB904_6 Depth=1
	s_load_b32 s14, s[0:1], 0xc
	v_lshlrev_b64 v[9:10], 3, v[9:10]
	s_delay_alu instid0(VALU_DEP_1) | instskip(NEXT) | instid1(VALU_DEP_2)
	v_add_co_u32 v9, vcc_lo, s37, v9
	v_add_co_ci_u32_e32 v10, vcc_lo, s38, v10, vcc_lo
	s_waitcnt lgkmcnt(0)
	s_and_b32 s14, s14, 0xffff
	s_delay_alu instid0(SALU_CYCLE_1)
	v_mad_u64_u32 v[11:12], null, s14, 10, v[2:3]
	global_store_b64 v[9:10], v[11:12], off
.LBB904_68:                             ;   in Loop: Header=BB904_6 Depth=1
	;; [unrolled: 24-line block ×6, first 2 shown]
	s_or_b32 exec_lo, exec_lo, s13
	s_delay_alu instid0(SALU_CYCLE_1)
	s_mov_b32 s13, exec_lo
	v_cmpx_ne_u32_e32 0, v84
	s_cbranch_execz .LBB904_83
; %bb.81:                               ;   in Loop: Header=BB904_6 Depth=1
	s_waitcnt lgkmcnt(0)
	v_ashrrev_i32_e32 v5, 31, v4
	s_delay_alu instid0(VALU_DEP_1)
	v_cmp_gt_i64_e32 vcc_lo, s[30:31], v[4:5]
	s_and_b32 exec_lo, exec_lo, vcc_lo
	s_cbranch_execz .LBB904_83
; %bb.82:                               ;   in Loop: Header=BB904_6 Depth=1
	s_load_b32 s14, s[0:1], 0xc
	v_lshlrev_b64 v[4:5], 3, v[4:5]
	s_waitcnt lgkmcnt(0)
	s_and_b32 s14, s14, 0xffff
	s_delay_alu instid0(SALU_CYCLE_1) | instskip(NEXT) | instid1(VALU_DEP_2)
	v_mad_u64_u32 v[6:7], null, s14, 15, v[2:3]
	v_add_co_u32 v2, vcc_lo, s37, v4
	s_delay_alu instid0(VALU_DEP_3)
	v_add_co_ci_u32_e32 v3, vcc_lo, s38, v5, vcc_lo
	global_store_b64 v[2:3], v[6:7], off
.LBB904_83:                             ;   in Loop: Header=BB904_6 Depth=1
	s_or_b32 exec_lo, exec_lo, s13
	ds_load_b32 v2, v1 offset:33792
	v_cmp_gt_i64_e64 s13, 0x2001, s[34:35]
	s_waitcnt lgkmcnt(0)
	v_readfirstlane_b32 s14, v2
	s_delay_alu instid0(VALU_DEP_1) | instskip(SKIP_2) | instid1(SALU_CYCLE_1)
	s_ashr_i32 s15, s14, 31
	s_sub_u32 s30, s30, s14
	s_subb_u32 s31, s31, s15
	v_cmp_lt_i64_e64 s16, s[30:31], 1
	s_delay_alu instid0(VALU_DEP_1) | instskip(NEXT) | instid1(SALU_CYCLE_1)
	s_or_b32 s13, s13, s16
	s_and_b32 vcc_lo, exec_lo, s13
	s_cbranch_vccnz .LBB904_5
; %bb.84:                               ;   in Loop: Header=BB904_6 Depth=1
	s_add_u32 s28, s28, 0x2000
	s_addc_u32 s29, s29, 0
	s_add_u32 s33, s33, 0x8000
	s_addc_u32 s36, s36, 0
	s_lshl_b64 s[14:15], s[14:15], 3
	s_waitcnt_vscnt null, 0x0
	s_add_u32 s37, s37, s14
	s_addc_u32 s38, s38, s15
	s_barrier
	buffer_gl0_inv
	s_branch .LBB904_5
.LBB904_85:                             ;   in Loop: Header=BB904_6 Depth=1
	global_load_b32 v20, v[18:19], off
	v_mov_b32_e32 v15, v1
	v_mov_b32_e32 v2, v1
	;; [unrolled: 1-line block ×15, first 2 shown]
	s_delay_alu instid0(VALU_DEP_2)
	v_dual_mov_b32 v16, v14 :: v_dual_mov_b32 v15, v13
	v_mov_b32_e32 v14, v12
	v_mov_b32_e32 v13, v11
	v_mov_b32_e32 v12, v10
	v_mov_b32_e32 v11, v9
	v_mov_b32_e32 v10, v8
	v_mov_b32_e32 v9, v7
	v_mov_b32_e32 v8, v6
	v_mov_b32_e32 v7, v5
	v_mov_b32_e32 v6, v4
	v_mov_b32_e32 v5, v3
	v_mov_b32_e32 v4, v2
	v_mov_b32_e32 v3, v1
	v_mov_b32_e32 v2, v0
	s_waitcnt vmcnt(0)
	v_cmp_ne_u32_e32 vcc_lo, 0, v20
	v_cndmask_b32_e64 v2, 0, 1, vcc_lo
	s_or_b32 exec_lo, exec_lo, s13
	s_delay_alu instid0(SALU_CYCLE_1)
	s_mov_b32 s13, exec_lo
	v_cmpx_gt_u32_e64 s34, v43
	s_cbranch_execz .LBB904_9
.LBB904_86:                             ;   in Loop: Header=BB904_6 Depth=1
	global_load_b32 v3, v[18:19], off offset:128
	s_waitcnt vmcnt(0)
	v_cmp_ne_u32_e32 vcc_lo, 0, v3
	v_cndmask_b32_e64 v3, 0, 1, vcc_lo
	s_or_b32 exec_lo, exec_lo, s13
	s_delay_alu instid0(SALU_CYCLE_1)
	s_mov_b32 s13, exec_lo
	v_cmpx_gt_u32_e64 s34, v44
	s_cbranch_execz .LBB904_10
.LBB904_87:                             ;   in Loop: Header=BB904_6 Depth=1
	global_load_b32 v4, v[18:19], off offset:256
	s_waitcnt vmcnt(0)
	v_cmp_ne_u32_e32 vcc_lo, 0, v4
	v_cndmask_b32_e64 v4, 0, 1, vcc_lo
	s_or_b32 exec_lo, exec_lo, s13
	s_delay_alu instid0(SALU_CYCLE_1)
	s_mov_b32 s13, exec_lo
	v_cmpx_gt_u32_e64 s34, v45
	s_cbranch_execz .LBB904_11
.LBB904_88:                             ;   in Loop: Header=BB904_6 Depth=1
	global_load_b32 v5, v[18:19], off offset:384
	s_waitcnt vmcnt(0)
	v_cmp_ne_u32_e32 vcc_lo, 0, v5
	v_cndmask_b32_e64 v5, 0, 1, vcc_lo
	s_or_b32 exec_lo, exec_lo, s13
	s_delay_alu instid0(SALU_CYCLE_1)
	s_mov_b32 s13, exec_lo
	v_cmpx_gt_u32_e64 s34, v46
	s_cbranch_execz .LBB904_12
.LBB904_89:                             ;   in Loop: Header=BB904_6 Depth=1
	global_load_b32 v6, v[18:19], off offset:512
	s_waitcnt vmcnt(0)
	v_cmp_ne_u32_e32 vcc_lo, 0, v6
	v_cndmask_b32_e64 v6, 0, 1, vcc_lo
	s_or_b32 exec_lo, exec_lo, s13
	s_delay_alu instid0(SALU_CYCLE_1)
	s_mov_b32 s13, exec_lo
	v_cmpx_gt_u32_e64 s34, v47
	s_cbranch_execz .LBB904_13
.LBB904_90:                             ;   in Loop: Header=BB904_6 Depth=1
	global_load_b32 v7, v[18:19], off offset:640
	s_waitcnt vmcnt(0)
	v_cmp_ne_u32_e32 vcc_lo, 0, v7
	v_cndmask_b32_e64 v7, 0, 1, vcc_lo
	s_or_b32 exec_lo, exec_lo, s13
	s_delay_alu instid0(SALU_CYCLE_1)
	s_mov_b32 s13, exec_lo
	v_cmpx_gt_u32_e64 s34, v48
	s_cbranch_execz .LBB904_14
.LBB904_91:                             ;   in Loop: Header=BB904_6 Depth=1
	global_load_b32 v8, v[18:19], off offset:768
	s_waitcnt vmcnt(0)
	v_cmp_ne_u32_e32 vcc_lo, 0, v8
	v_cndmask_b32_e64 v8, 0, 1, vcc_lo
	s_or_b32 exec_lo, exec_lo, s13
	s_delay_alu instid0(SALU_CYCLE_1)
	s_mov_b32 s13, exec_lo
	v_cmpx_gt_u32_e64 s34, v49
	s_cbranch_execz .LBB904_15
.LBB904_92:                             ;   in Loop: Header=BB904_6 Depth=1
	global_load_b32 v9, v[18:19], off offset:896
	s_waitcnt vmcnt(0)
	v_cmp_ne_u32_e32 vcc_lo, 0, v9
	v_cndmask_b32_e64 v9, 0, 1, vcc_lo
	s_or_b32 exec_lo, exec_lo, s13
	s_delay_alu instid0(SALU_CYCLE_1)
	s_mov_b32 s13, exec_lo
	v_cmpx_gt_u32_e64 s34, v50
	s_cbranch_execz .LBB904_16
.LBB904_93:                             ;   in Loop: Header=BB904_6 Depth=1
	global_load_b32 v10, v[18:19], off offset:1024
	s_waitcnt vmcnt(0)
	v_cmp_ne_u32_e32 vcc_lo, 0, v10
	v_cndmask_b32_e64 v10, 0, 1, vcc_lo
	s_or_b32 exec_lo, exec_lo, s13
	s_delay_alu instid0(SALU_CYCLE_1)
	s_mov_b32 s13, exec_lo
	v_cmpx_gt_u32_e64 s34, v51
	s_cbranch_execz .LBB904_17
.LBB904_94:                             ;   in Loop: Header=BB904_6 Depth=1
	global_load_b32 v11, v[18:19], off offset:1152
	s_waitcnt vmcnt(0)
	v_cmp_ne_u32_e32 vcc_lo, 0, v11
	v_cndmask_b32_e64 v11, 0, 1, vcc_lo
	s_or_b32 exec_lo, exec_lo, s13
	s_delay_alu instid0(SALU_CYCLE_1)
	s_mov_b32 s13, exec_lo
	v_cmpx_gt_u32_e64 s34, v52
	s_cbranch_execz .LBB904_18
.LBB904_95:                             ;   in Loop: Header=BB904_6 Depth=1
	global_load_b32 v12, v[18:19], off offset:1280
	s_waitcnt vmcnt(0)
	v_cmp_ne_u32_e32 vcc_lo, 0, v12
	v_cndmask_b32_e64 v12, 0, 1, vcc_lo
	s_or_b32 exec_lo, exec_lo, s13
	s_delay_alu instid0(SALU_CYCLE_1)
	s_mov_b32 s13, exec_lo
	v_cmpx_gt_u32_e64 s34, v53
	s_cbranch_execz .LBB904_19
.LBB904_96:                             ;   in Loop: Header=BB904_6 Depth=1
	global_load_b32 v13, v[18:19], off offset:1408
	s_waitcnt vmcnt(0)
	v_cmp_ne_u32_e32 vcc_lo, 0, v13
	v_cndmask_b32_e64 v13, 0, 1, vcc_lo
	s_or_b32 exec_lo, exec_lo, s13
	s_delay_alu instid0(SALU_CYCLE_1)
	s_mov_b32 s13, exec_lo
	v_cmpx_gt_u32_e64 s34, v54
	s_cbranch_execz .LBB904_20
.LBB904_97:                             ;   in Loop: Header=BB904_6 Depth=1
	global_load_b32 v14, v[18:19], off offset:1536
	s_waitcnt vmcnt(0)
	v_cmp_ne_u32_e32 vcc_lo, 0, v14
	v_cndmask_b32_e64 v14, 0, 1, vcc_lo
	s_or_b32 exec_lo, exec_lo, s13
	s_delay_alu instid0(SALU_CYCLE_1)
	s_mov_b32 s13, exec_lo
	v_cmpx_gt_u32_e64 s34, v55
	s_cbranch_execz .LBB904_21
.LBB904_98:                             ;   in Loop: Header=BB904_6 Depth=1
	global_load_b32 v15, v[18:19], off offset:1664
	s_waitcnt vmcnt(0)
	v_cmp_ne_u32_e32 vcc_lo, 0, v15
	v_cndmask_b32_e64 v15, 0, 1, vcc_lo
	s_or_b32 exec_lo, exec_lo, s13
	s_delay_alu instid0(SALU_CYCLE_1)
	s_mov_b32 s13, exec_lo
	v_cmpx_gt_u32_e64 s34, v56
	s_cbranch_execz .LBB904_22
.LBB904_99:                             ;   in Loop: Header=BB904_6 Depth=1
	global_load_b32 v16, v[18:19], off offset:1792
	s_waitcnt vmcnt(0)
	v_cmp_ne_u32_e32 vcc_lo, 0, v16
	v_cndmask_b32_e64 v16, 0, 1, vcc_lo
	s_or_b32 exec_lo, exec_lo, s13
	s_delay_alu instid0(SALU_CYCLE_1)
	s_mov_b32 s13, exec_lo
	v_cmpx_gt_u32_e64 s34, v57
	s_cbranch_execnz .LBB904_23
	s_branch .LBB904_24
.LBB904_100:
	s_nop 0
	s_sendmsg sendmsg(MSG_DEALLOC_VGPRS)
	s_endpgm
	.section	.rodata,"a",@progbits
	.p2align	6, 0x0
	.amdhsa_kernel _ZN2at6native12_GLOBAL__N_111flag_kernelILi512ELi16EiEEvPKT1_PlPKllli
		.amdhsa_group_segment_fixed_size 33796
		.amdhsa_private_segment_fixed_size 0
		.amdhsa_kernarg_size 304
		.amdhsa_user_sgpr_count 15
		.amdhsa_user_sgpr_dispatch_ptr 0
		.amdhsa_user_sgpr_queue_ptr 0
		.amdhsa_user_sgpr_kernarg_segment_ptr 1
		.amdhsa_user_sgpr_dispatch_id 0
		.amdhsa_user_sgpr_private_segment_size 0
		.amdhsa_wavefront_size32 1
		.amdhsa_uses_dynamic_stack 0
		.amdhsa_enable_private_segment 0
		.amdhsa_system_sgpr_workgroup_id_x 1
		.amdhsa_system_sgpr_workgroup_id_y 0
		.amdhsa_system_sgpr_workgroup_id_z 0
		.amdhsa_system_sgpr_workgroup_info 0
		.amdhsa_system_vgpr_workitem_id 0
		.amdhsa_next_free_vgpr 109
		.amdhsa_next_free_sgpr 40
		.amdhsa_reserve_vcc 1
		.amdhsa_float_round_mode_32 0
		.amdhsa_float_round_mode_16_64 0
		.amdhsa_float_denorm_mode_32 3
		.amdhsa_float_denorm_mode_16_64 3
		.amdhsa_dx10_clamp 1
		.amdhsa_ieee_mode 1
		.amdhsa_fp16_overflow 0
		.amdhsa_workgroup_processor_mode 1
		.amdhsa_memory_ordered 1
		.amdhsa_forward_progress 0
		.amdhsa_shared_vgpr_count 0
		.amdhsa_exception_fp_ieee_invalid_op 0
		.amdhsa_exception_fp_denorm_src 0
		.amdhsa_exception_fp_ieee_div_zero 0
		.amdhsa_exception_fp_ieee_overflow 0
		.amdhsa_exception_fp_ieee_underflow 0
		.amdhsa_exception_fp_ieee_inexact 0
		.amdhsa_exception_int_div_zero 0
	.end_amdhsa_kernel
	.section	.text._ZN2at6native12_GLOBAL__N_111flag_kernelILi512ELi16EiEEvPKT1_PlPKllli,"axG",@progbits,_ZN2at6native12_GLOBAL__N_111flag_kernelILi512ELi16EiEEvPKT1_PlPKllli,comdat
.Lfunc_end904:
	.size	_ZN2at6native12_GLOBAL__N_111flag_kernelILi512ELi16EiEEvPKT1_PlPKllli, .Lfunc_end904-_ZN2at6native12_GLOBAL__N_111flag_kernelILi512ELi16EiEEvPKT1_PlPKllli
                                        ; -- End function
	.section	.AMDGPU.csdata,"",@progbits
; Kernel info:
; codeLenInByte = 6260
; NumSgprs: 42
; NumVgprs: 109
; ScratchSize: 0
; MemoryBound: 0
; FloatMode: 240
; IeeeMode: 1
; LDSByteSize: 33796 bytes/workgroup (compile time only)
; SGPRBlocks: 5
; VGPRBlocks: 13
; NumSGPRsForWavesPerEU: 42
; NumVGPRsForWavesPerEU: 109
; Occupancy: 12
; WaveLimiterHint : 1
; COMPUTE_PGM_RSRC2:SCRATCH_EN: 0
; COMPUTE_PGM_RSRC2:USER_SGPR: 15
; COMPUTE_PGM_RSRC2:TRAP_HANDLER: 0
; COMPUTE_PGM_RSRC2:TGID_X_EN: 1
; COMPUTE_PGM_RSRC2:TGID_Y_EN: 0
; COMPUTE_PGM_RSRC2:TGID_Z_EN: 0
; COMPUTE_PGM_RSRC2:TIDIG_COMP_CNT: 0
	.section	.text._ZN2at4cuda3cub15calc_block_sumsILi512ELi16ELb1EliEEvPKT2_PT3_li,"axG",@progbits,_ZN2at4cuda3cub15calc_block_sumsILi512ELi16ELb1EliEEvPKT2_PT3_li,comdat
	.protected	_ZN2at4cuda3cub15calc_block_sumsILi512ELi16ELb1EliEEvPKT2_PT3_li ; -- Begin function _ZN2at4cuda3cub15calc_block_sumsILi512ELi16ELb1EliEEvPKT2_PT3_li
	.globl	_ZN2at4cuda3cub15calc_block_sumsILi512ELi16ELb1EliEEvPKT2_PT3_li
	.p2align	8
	.type	_ZN2at4cuda3cub15calc_block_sumsILi512ELi16ELb1EliEEvPKT2_PT3_li,@function
_ZN2at4cuda3cub15calc_block_sumsILi512ELi16ELb1EliEEvPKT2_PT3_li: ; @_ZN2at4cuda3cub15calc_block_sumsILi512ELi16ELb1EliEEvPKT2_PT3_li
; %bb.0:
	s_clause 0x1
	s_load_b32 s26, s[0:1], 0x18
	s_load_b64 s[4:5], s[0:1], 0x10
	s_waitcnt lgkmcnt(0)
	s_lshl_b32 s3, s26, 13
	s_delay_alu instid0(SALU_CYCLE_1)
	s_ashr_i32 s6, s3, 31
	s_mul_hi_u32 s8, s3, s15
	s_mul_i32 s7, s6, s15
	s_mul_i32 s6, s3, s15
	s_add_i32 s7, s8, s7
	s_sub_u32 s24, s4, s6
	s_subb_u32 s25, s5, s7
	s_delay_alu instid0(SALU_CYCLE_1) | instskip(NEXT) | instid1(VALU_DEP_1)
	v_cmp_lt_i64_e64 s3, s[24:25], 1
	s_and_b32 vcc_lo, exec_lo, s3
	s_cbranch_vccnz .LBB905_58
; %bb.1:
	s_load_b128 s[20:23], s[0:1], 0x0
	s_mov_b32 s2, s15
	s_cmp_gt_i32 s26, 0
	s_mov_b32 s3, 0
	s_cbranch_scc1 .LBB905_3
; %bb.2:
	s_mov_b32 s0, 0
	s_mov_b32 s1, s3
	v_mov_b32_e32 v21, s0
	s_and_not1_b32 vcc_lo, exec_lo, s1
	s_mov_b32 s5, s3
	s_cbranch_vccz .LBB905_4
	s_branch .LBB905_56
.LBB905_3:
                                        ; implicit-def: $sgpr0
	v_mov_b32_e32 v21, s0
	s_mov_b32 s5, s3
.LBB905_4:
	v_lshrrev_b32_e32 v1, 3, v0
	s_mul_i32 s0, s2, s26
	v_dual_mov_b32 v21, 0 :: v_dual_add_nc_u32 v22, 0x200, v0
	s_lshl_b32 s1, s0, 13
	s_delay_alu instid0(VALU_DEP_2)
	v_dual_mov_b32 v2, 0 :: v_dual_and_b32 v37, 0x7c, v1
	v_lshlrev_b32_e32 v1, 3, v0
	s_sub_i32 s27, s4, s1
	s_lshl_b64 s[4:5], s[6:7], 3
	v_or_b32_e32 v23, 0x400, v0
	s_waitcnt lgkmcnt(0)
	s_add_u32 s1, s20, s4
	s_addc_u32 s4, s21, s5
	v_add_co_u32 v19, s1, s1, v1
	v_add_nc_u32_e32 v24, 0x600, v0
	v_or_b32_e32 v25, 0x800, v0
	v_add_nc_u32_e32 v26, 0xa00, v0
	v_or_b32_e32 v27, 0xc00, v0
	;; [unrolled: 2-line block ×6, first 2 shown]
	v_add_nc_u32_e32 v36, 0x1e00, v0
	v_cmp_gt_u32_e64 s0, 32, v0
	v_add_co_ci_u32_e64 v20, null, s4, 0, s1
	v_mbcnt_lo_u32_b32 v38, -1, 0
	s_mov_b32 s4, 0
	s_mov_b32 s1, -1
	s_mov_b32 s20, 0
	v_cmp_gt_i64_e64 s5, 0x2000, s[24:25]
                                        ; implicit-def: $vgpr1
	s_delay_alu instid0(VALU_DEP_1)
	s_and_b32 vcc_lo, exec_lo, s5
	s_mov_b32 s5, -1
	s_cbranch_vccnz .LBB905_8
.LBB905_5:
	s_and_b32 vcc_lo, exec_lo, s5
	s_cbranch_vccnz .LBB905_30
.LBB905_6:
	v_cmp_lt_i64_e64 s5, 0x2000, s[24:25]
	s_delay_alu instid0(VALU_DEP_2) | instskip(NEXT) | instid1(VALU_DEP_2)
	v_add_nc_u32_e32 v21, v1, v21
	s_and_b32 vcc_lo, exec_lo, s5
	s_cbranch_vccz .LBB905_35
.LBB905_7:
	s_add_u32 s24, s24, 0xffffe000
	s_addc_u32 s25, s25, -1
	s_add_i32 s20, s20, 1
	v_add_co_u32 v19, vcc_lo, 0x10000, v19
	s_cmp_lt_i32 s20, s26
	v_add_co_ci_u32_e32 v20, vcc_lo, 0, v20, vcc_lo
	s_cselect_b32 s5, -1, 0
	s_addk_i32 s27, 0xe000
	s_cmp_eq_u32 s26, s20
	s_mov_b32 s6, 0
	s_cselect_b32 s7, -1, 0
	s_barrier
	buffer_gl0_inv
	s_and_not1_b32 vcc_lo, exec_lo, s7
	s_cbranch_vccnz .LBB905_36
	s_branch .LBB905_52
.LBB905_8:
	s_mov_b32 s5, s4
	s_mov_b32 s6, s4
	;; [unrolled: 1-line block ×15, first 2 shown]
	v_dual_mov_b32 v3, s4 :: v_dual_mov_b32 v4, s5
	v_dual_mov_b32 v5, s6 :: v_dual_mov_b32 v6, s7
	;; [unrolled: 1-line block ×8, first 2 shown]
	s_mov_b32 s5, exec_lo
	v_cmpx_gt_u32_e64 s27, v0
	s_cbranch_execnz .LBB905_37
; %bb.9:
	s_or_b32 exec_lo, exec_lo, s5
	s_delay_alu instid0(SALU_CYCLE_1)
	s_mov_b32 s5, exec_lo
	v_cmpx_gt_u32_e64 s27, v22
	s_cbranch_execnz .LBB905_38
.LBB905_10:
	s_or_b32 exec_lo, exec_lo, s5
	s_delay_alu instid0(SALU_CYCLE_1)
	s_mov_b32 s5, exec_lo
	v_cmpx_gt_u32_e64 s27, v23
	s_cbranch_execnz .LBB905_39
.LBB905_11:
	s_or_b32 exec_lo, exec_lo, s5
	s_delay_alu instid0(SALU_CYCLE_1)
	s_mov_b32 s5, exec_lo
	v_cmpx_gt_u32_e64 s27, v24
	s_cbranch_execnz .LBB905_40
.LBB905_12:
	s_or_b32 exec_lo, exec_lo, s5
	s_delay_alu instid0(SALU_CYCLE_1)
	s_mov_b32 s5, exec_lo
	v_cmpx_gt_u32_e64 s27, v25
	s_cbranch_execnz .LBB905_41
.LBB905_13:
	s_or_b32 exec_lo, exec_lo, s5
	s_delay_alu instid0(SALU_CYCLE_1)
	s_mov_b32 s5, exec_lo
	v_cmpx_gt_u32_e64 s27, v26
	s_cbranch_execnz .LBB905_42
.LBB905_14:
	s_or_b32 exec_lo, exec_lo, s5
	s_delay_alu instid0(SALU_CYCLE_1)
	s_mov_b32 s5, exec_lo
	v_cmpx_gt_u32_e64 s27, v27
	s_cbranch_execnz .LBB905_43
.LBB905_15:
	s_or_b32 exec_lo, exec_lo, s5
	s_delay_alu instid0(SALU_CYCLE_1)
	s_mov_b32 s5, exec_lo
	v_cmpx_gt_u32_e64 s27, v28
	s_cbranch_execnz .LBB905_44
.LBB905_16:
	s_or_b32 exec_lo, exec_lo, s5
	s_delay_alu instid0(SALU_CYCLE_1)
	s_mov_b32 s5, exec_lo
	v_cmpx_gt_u32_e64 s27, v29
	s_cbranch_execnz .LBB905_45
.LBB905_17:
	s_or_b32 exec_lo, exec_lo, s5
	s_delay_alu instid0(SALU_CYCLE_1)
	s_mov_b32 s5, exec_lo
	v_cmpx_gt_u32_e64 s27, v30
	s_cbranch_execnz .LBB905_46
.LBB905_18:
	s_or_b32 exec_lo, exec_lo, s5
	s_delay_alu instid0(SALU_CYCLE_1)
	s_mov_b32 s5, exec_lo
	v_cmpx_gt_u32_e64 s27, v31
	s_cbranch_execnz .LBB905_47
.LBB905_19:
	s_or_b32 exec_lo, exec_lo, s5
	s_delay_alu instid0(SALU_CYCLE_1)
	s_mov_b32 s5, exec_lo
	v_cmpx_gt_u32_e64 s27, v32
	s_cbranch_execnz .LBB905_48
.LBB905_20:
	s_or_b32 exec_lo, exec_lo, s5
	s_delay_alu instid0(SALU_CYCLE_1)
	s_mov_b32 s5, exec_lo
	v_cmpx_gt_u32_e64 s27, v33
	s_cbranch_execnz .LBB905_49
.LBB905_21:
	s_or_b32 exec_lo, exec_lo, s5
	s_delay_alu instid0(SALU_CYCLE_1)
	s_mov_b32 s5, exec_lo
	v_cmpx_gt_u32_e64 s27, v34
	s_cbranch_execnz .LBB905_50
.LBB905_22:
	s_or_b32 exec_lo, exec_lo, s5
	s_delay_alu instid0(SALU_CYCLE_1)
	s_mov_b32 s5, exec_lo
	v_cmpx_gt_u32_e64 s27, v35
	s_cbranch_execnz .LBB905_51
.LBB905_23:
	s_or_b32 exec_lo, exec_lo, s5
	s_delay_alu instid0(SALU_CYCLE_1)
	s_mov_b32 s5, exec_lo
	v_cmpx_gt_u32_e64 s27, v36
	s_cbranch_execz .LBB905_25
.LBB905_24:
	v_add_co_u32 v39, vcc_lo, 0xf000, v19
	v_add_co_ci_u32_e32 v40, vcc_lo, 0, v20, vcc_lo
	global_load_b64 v[39:40], v[39:40], off
	s_waitcnt vmcnt(0)
	v_cmp_ne_u64_e32 vcc_lo, 0, v[39:40]
	v_cndmask_b32_e64 v18, 0, 1, vcc_lo
.LBB905_25:
	s_or_b32 exec_lo, exec_lo, s5
	v_add_nc_u32_e32 v1, v4, v3
	s_mov_b32 s5, exec_lo
	s_barrier
	buffer_gl0_inv
	v_add3_u32 v1, v1, v5, v6
	s_delay_alu instid0(VALU_DEP_1) | instskip(NEXT) | instid1(VALU_DEP_1)
	v_add3_u32 v1, v1, v7, v8
	v_add3_u32 v1, v1, v9, v10
	s_delay_alu instid0(VALU_DEP_1) | instskip(NEXT) | instid1(VALU_DEP_1)
	v_add3_u32 v1, v1, v11, v12
	;; [unrolled: 3-line block ×3, first 2 shown]
	v_add3_u32 v1, v1, v17, v18
	s_delay_alu instid0(VALU_DEP_1) | instskip(NEXT) | instid1(VALU_DEP_1)
	v_mov_b32_dpp v3, v1 quad_perm:[1,0,3,2] row_mask:0xf bank_mask:0xf
	v_add_nc_u32_e32 v1, v1, v3
	s_delay_alu instid0(VALU_DEP_1) | instskip(NEXT) | instid1(VALU_DEP_1)
	v_mov_b32_dpp v3, v1 quad_perm:[2,3,0,1] row_mask:0xf bank_mask:0xf
	v_add_nc_u32_e32 v1, v1, v3
	s_delay_alu instid0(VALU_DEP_1) | instskip(NEXT) | instid1(VALU_DEP_1)
	v_mov_b32_dpp v3, v1 row_ror:4 row_mask:0xf bank_mask:0xf
	v_add_nc_u32_e32 v1, v1, v3
	s_delay_alu instid0(VALU_DEP_1) | instskip(NEXT) | instid1(VALU_DEP_1)
	v_mov_b32_dpp v3, v1 row_ror:8 row_mask:0xf bank_mask:0xf
	v_add_nc_u32_e32 v1, v1, v3
	ds_swizzle_b32 v3, v1 offset:swizzle(BROADCAST,32,15)
	s_waitcnt lgkmcnt(0)
	v_add_nc_u32_e32 v1, v1, v3
	ds_bpermute_b32 v1, v2, v1 offset:124
	v_cmpx_eq_u32_e32 0, v38
	s_cbranch_execz .LBB905_27
; %bb.26:
	s_waitcnt lgkmcnt(0)
	ds_store_b32 v37, v1
.LBB905_27:
	s_or_b32 exec_lo, exec_lo, s5
	s_waitcnt lgkmcnt(0)
	s_barrier
	buffer_gl0_inv
	s_and_saveexec_b32 s5, s0
	s_cbranch_execz .LBB905_29
; %bb.28:
	v_and_b32_e32 v1, 15, v38
	s_delay_alu instid0(VALU_DEP_1) | instskip(SKIP_4) | instid1(VALU_DEP_2)
	v_lshlrev_b32_e32 v3, 2, v1
	v_cmp_ne_u32_e32 vcc_lo, 15, v1
	ds_load_b32 v3, v3
	v_add_co_ci_u32_e32 v4, vcc_lo, 0, v38, vcc_lo
	v_cmp_gt_u32_e32 vcc_lo, 14, v1
	v_lshlrev_b32_e32 v4, 2, v4
	v_cndmask_b32_e64 v5, 0, 1, vcc_lo
	v_cmp_gt_u32_e32 vcc_lo, 12, v1
	s_delay_alu instid0(VALU_DEP_2) | instskip(NEXT) | instid1(VALU_DEP_1)
	v_lshlrev_b32_e32 v5, 1, v5
	v_add_lshl_u32 v5, v5, v38, 2
	s_waitcnt lgkmcnt(0)
	ds_bpermute_b32 v4, v4, v3
	s_waitcnt lgkmcnt(0)
	v_add_nc_u32_e32 v3, v4, v3
	ds_bpermute_b32 v4, v5, v3
	v_cndmask_b32_e64 v5, 0, 1, vcc_lo
	v_cmp_gt_u32_e32 vcc_lo, 8, v1
	s_delay_alu instid0(VALU_DEP_2) | instskip(SKIP_1) | instid1(VALU_DEP_2)
	v_lshlrev_b32_e32 v5, 2, v5
	v_cndmask_b32_e64 v1, 0, 1, vcc_lo
	v_add_lshl_u32 v5, v5, v38, 2
	s_delay_alu instid0(VALU_DEP_2) | instskip(NEXT) | instid1(VALU_DEP_1)
	v_lshlrev_b32_e32 v1, 3, v1
	v_add_lshl_u32 v1, v1, v38, 2
	s_waitcnt lgkmcnt(0)
	v_add_nc_u32_e32 v3, v4, v3
	ds_bpermute_b32 v4, v5, v3
	s_waitcnt lgkmcnt(0)
	v_add_nc_u32_e32 v3, v4, v3
	ds_bpermute_b32 v1, v1, v3
	s_waitcnt lgkmcnt(0)
	v_add_nc_u32_e32 v1, v1, v3
.LBB905_29:
	s_or_b32 exec_lo, exec_lo, s5
	s_branch .LBB905_6
.LBB905_30:
	v_add_co_u32 v3, vcc_lo, v19, 0x2000
	v_add_co_ci_u32_e32 v4, vcc_lo, 0, v20, vcc_lo
	v_add_co_u32 v5, vcc_lo, v19, 0x4000
	v_add_co_ci_u32_e32 v6, vcc_lo, 0, v20, vcc_lo
	s_clause 0x4
	global_load_b64 v[7:8], v[19:20], off
	global_load_b64 v[9:10], v[3:4], off offset:-4096
	global_load_b64 v[3:4], v[3:4], off
	global_load_b64 v[11:12], v[5:6], off offset:-4096
	global_load_b64 v[5:6], v[5:6], off
	v_add_co_u32 v13, vcc_lo, v19, 0x6000
	v_add_co_ci_u32_e32 v14, vcc_lo, 0, v20, vcc_lo
	v_add_co_u32 v15, vcc_lo, v19, 0x8000
	v_add_co_ci_u32_e32 v16, vcc_lo, 0, v20, vcc_lo
	;; [unrolled: 2-line block ×3, first 2 shown]
	s_clause 0x5
	global_load_b64 v[39:40], v[13:14], off offset:-4096
	global_load_b64 v[13:14], v[13:14], off
	global_load_b64 v[41:42], v[15:16], off offset:-4096
	global_load_b64 v[15:16], v[15:16], off
	;; [unrolled: 2-line block ×3, first 2 shown]
	v_add_co_u32 v45, vcc_lo, v19, 0xc000
	v_add_co_ci_u32_e32 v46, vcc_lo, 0, v20, vcc_lo
	v_add_co_u32 v47, vcc_lo, v19, 0xe000
	v_add_co_ci_u32_e32 v48, vcc_lo, 0, v20, vcc_lo
	s_clause 0x3
	global_load_b64 v[49:50], v[45:46], off
	global_load_b64 v[45:46], v[45:46], off offset:-4096
	global_load_b64 v[51:52], v[47:48], off offset:-4096
	global_load_b64 v[47:48], v[47:48], off
	v_add_co_u32 v53, vcc_lo, 0xf000, v19
	v_add_co_ci_u32_e32 v54, vcc_lo, 0, v20, vcc_lo
	s_mov_b32 s5, exec_lo
	global_load_b64 v[53:54], v[53:54], off
	s_waitcnt vmcnt(0)
	s_barrier
	buffer_gl0_inv
	v_cmp_ne_u64_e32 vcc_lo, 0, v[7:8]
	v_cndmask_b32_e64 v1, 0, 1, vcc_lo
	v_cmp_ne_u64_e32 vcc_lo, 0, v[3:4]
	v_cndmask_b32_e64 v3, 0, 1, vcc_lo
	v_cmp_ne_u64_e32 vcc_lo, 0, v[9:10]
	s_delay_alu instid0(VALU_DEP_4) | instskip(SKIP_3) | instid1(VALU_DEP_4)
	v_add_co_ci_u32_e32 v1, vcc_lo, 0, v1, vcc_lo
	v_cmp_ne_u64_e32 vcc_lo, 0, v[5:6]
	v_cndmask_b32_e64 v4, 0, 1, vcc_lo
	v_cmp_ne_u64_e32 vcc_lo, 0, v[11:12]
	v_add_co_ci_u32_e32 v1, vcc_lo, v1, v3, vcc_lo
	v_cmp_ne_u64_e32 vcc_lo, 0, v[13:14]
	v_cndmask_b32_e64 v3, 0, 1, vcc_lo
	v_cmp_ne_u64_e32 vcc_lo, 0, v[39:40]
	s_delay_alu instid0(VALU_DEP_4) | instskip(SKIP_3) | instid1(VALU_DEP_4)
	v_add_co_ci_u32_e32 v1, vcc_lo, v1, v4, vcc_lo
	v_cmp_ne_u64_e32 vcc_lo, 0, v[15:16]
	v_cndmask_b32_e64 v4, 0, 1, vcc_lo
	v_cmp_ne_u64_e32 vcc_lo, 0, v[41:42]
	v_add_co_ci_u32_e32 v1, vcc_lo, v1, v3, vcc_lo
	;; [unrolled: 9-line block ×3, first 2 shown]
	v_cmp_ne_u64_e32 vcc_lo, 0, v[47:48]
	v_cndmask_b32_e64 v3, 0, 1, vcc_lo
	v_cmp_ne_u64_e32 vcc_lo, 0, v[51:52]
	s_delay_alu instid0(VALU_DEP_4) | instskip(SKIP_1) | instid1(VALU_DEP_2)
	v_add_co_ci_u32_e32 v1, vcc_lo, v1, v4, vcc_lo
	v_cmp_ne_u64_e32 vcc_lo, 0, v[53:54]
	v_add_co_ci_u32_e32 v1, vcc_lo, v1, v3, vcc_lo
	s_delay_alu instid0(VALU_DEP_1) | instskip(NEXT) | instid1(VALU_DEP_1)
	v_mov_b32_dpp v3, v1 quad_perm:[1,0,3,2] row_mask:0xf bank_mask:0xf
	v_add_nc_u32_e32 v1, v3, v1
	s_delay_alu instid0(VALU_DEP_1) | instskip(NEXT) | instid1(VALU_DEP_1)
	v_mov_b32_dpp v3, v1 quad_perm:[2,3,0,1] row_mask:0xf bank_mask:0xf
	v_add_nc_u32_e32 v1, v1, v3
	s_delay_alu instid0(VALU_DEP_1) | instskip(NEXT) | instid1(VALU_DEP_1)
	v_mov_b32_dpp v3, v1 row_ror:4 row_mask:0xf bank_mask:0xf
	v_add_nc_u32_e32 v1, v1, v3
	s_delay_alu instid0(VALU_DEP_1) | instskip(NEXT) | instid1(VALU_DEP_1)
	v_mov_b32_dpp v3, v1 row_ror:8 row_mask:0xf bank_mask:0xf
	v_add_nc_u32_e32 v1, v1, v3
	ds_swizzle_b32 v3, v1 offset:swizzle(BROADCAST,32,15)
	s_waitcnt lgkmcnt(0)
	v_add_nc_u32_e32 v1, v1, v3
	ds_bpermute_b32 v1, v2, v1 offset:124
	v_cmpx_eq_u32_e32 0, v38
	s_cbranch_execz .LBB905_32
; %bb.31:
	s_waitcnt lgkmcnt(0)
	ds_store_b32 v37, v1
.LBB905_32:
	s_or_b32 exec_lo, exec_lo, s5
	s_waitcnt lgkmcnt(0)
	s_barrier
	buffer_gl0_inv
	s_and_saveexec_b32 s5, s0
	s_cbranch_execz .LBB905_34
; %bb.33:
	v_and_b32_e32 v1, 15, v38
	s_delay_alu instid0(VALU_DEP_1) | instskip(SKIP_4) | instid1(VALU_DEP_2)
	v_lshlrev_b32_e32 v3, 2, v1
	v_cmp_ne_u32_e32 vcc_lo, 15, v1
	ds_load_b32 v3, v3
	v_add_co_ci_u32_e32 v4, vcc_lo, 0, v38, vcc_lo
	v_cmp_gt_u32_e32 vcc_lo, 14, v1
	v_lshlrev_b32_e32 v4, 2, v4
	v_cndmask_b32_e64 v5, 0, 1, vcc_lo
	v_cmp_gt_u32_e32 vcc_lo, 12, v1
	s_delay_alu instid0(VALU_DEP_2) | instskip(NEXT) | instid1(VALU_DEP_1)
	v_lshlrev_b32_e32 v5, 1, v5
	v_add_lshl_u32 v5, v5, v38, 2
	s_waitcnt lgkmcnt(0)
	ds_bpermute_b32 v4, v4, v3
	s_waitcnt lgkmcnt(0)
	v_add_nc_u32_e32 v3, v4, v3
	ds_bpermute_b32 v4, v5, v3
	v_cndmask_b32_e64 v5, 0, 1, vcc_lo
	v_cmp_gt_u32_e32 vcc_lo, 8, v1
	s_delay_alu instid0(VALU_DEP_2) | instskip(SKIP_1) | instid1(VALU_DEP_2)
	v_lshlrev_b32_e32 v5, 2, v5
	v_cndmask_b32_e64 v1, 0, 1, vcc_lo
	v_add_lshl_u32 v5, v5, v38, 2
	s_delay_alu instid0(VALU_DEP_2) | instskip(NEXT) | instid1(VALU_DEP_1)
	v_lshlrev_b32_e32 v1, 3, v1
	v_add_lshl_u32 v1, v1, v38, 2
	s_waitcnt lgkmcnt(0)
	v_add_nc_u32_e32 v3, v4, v3
	ds_bpermute_b32 v4, v5, v3
	s_waitcnt lgkmcnt(0)
	v_add_nc_u32_e32 v3, v4, v3
	ds_bpermute_b32 v1, v1, v3
	s_waitcnt lgkmcnt(0)
	v_add_nc_u32_e32 v1, v1, v3
.LBB905_34:
	s_or_b32 exec_lo, exec_lo, s5
	v_cmp_lt_i64_e64 s5, 0x2000, s[24:25]
	s_delay_alu instid0(VALU_DEP_2) | instskip(NEXT) | instid1(VALU_DEP_2)
	v_add_nc_u32_e32 v21, v1, v21
	s_and_b32 vcc_lo, exec_lo, s5
	s_cbranch_vccnz .LBB905_7
.LBB905_35:
	s_mov_b32 s6, -1
                                        ; implicit-def: $sgpr20
                                        ; implicit-def: $sgpr24_sgpr25
                                        ; implicit-def: $sgpr27
                                        ; implicit-def: $vgpr19_vgpr20
                                        ; implicit-def: $sgpr5
	s_branch .LBB905_52
.LBB905_36:
	s_mov_b32 s1, s5
	v_cmp_gt_i64_e64 s5, 0x2000, s[24:25]
                                        ; implicit-def: $vgpr1
	s_delay_alu instid0(VALU_DEP_1)
	s_and_b32 vcc_lo, exec_lo, s5
	s_mov_b32 s5, -1
	s_cbranch_vccnz .LBB905_8
	s_branch .LBB905_5
.LBB905_37:
	global_load_b64 v[12:13], v[19:20], off
	v_mov_b32_e32 v16, v2
	v_mov_b32_e32 v3, v2
	;; [unrolled: 1-line block ×11, first 2 shown]
	s_waitcnt vmcnt(0)
	v_cmp_ne_u64_e32 vcc_lo, 0, v[12:13]
	v_mov_b32_e32 v12, v2
	v_mov_b32_e32 v13, v2
	v_cndmask_b32_e64 v1, 0, 1, vcc_lo
	s_delay_alu instid0(VALU_DEP_1)
	v_dual_mov_b32 v4, v2 :: v_dual_and_b32 v1, 0xffff, v1
	v_mov_b32_e32 v18, v16
	v_dual_mov_b32 v17, v15 :: v_dual_mov_b32 v16, v14
	v_mov_b32_e32 v15, v13
	v_mov_b32_e32 v14, v12
	;; [unrolled: 1-line block ×13, first 2 shown]
	s_or_b32 exec_lo, exec_lo, s5
	s_delay_alu instid0(SALU_CYCLE_1)
	s_mov_b32 s5, exec_lo
	v_cmpx_gt_u32_e64 s27, v22
	s_cbranch_execz .LBB905_10
.LBB905_38:
	v_add_co_u32 v39, vcc_lo, 0x1000, v19
	v_add_co_ci_u32_e32 v40, vcc_lo, 0, v20, vcc_lo
	global_load_b64 v[39:40], v[39:40], off
	s_waitcnt vmcnt(0)
	v_cmp_ne_u64_e32 vcc_lo, 0, v[39:40]
	v_cndmask_b32_e64 v4, 0, 1, vcc_lo
	s_or_b32 exec_lo, exec_lo, s5
	s_delay_alu instid0(SALU_CYCLE_1)
	s_mov_b32 s5, exec_lo
	v_cmpx_gt_u32_e64 s27, v23
	s_cbranch_execz .LBB905_11
.LBB905_39:
	v_add_co_u32 v39, vcc_lo, 0x2000, v19
	v_add_co_ci_u32_e32 v40, vcc_lo, 0, v20, vcc_lo
	global_load_b64 v[39:40], v[39:40], off
	s_waitcnt vmcnt(0)
	v_cmp_ne_u64_e32 vcc_lo, 0, v[39:40]
	v_cndmask_b32_e64 v5, 0, 1, vcc_lo
	s_or_b32 exec_lo, exec_lo, s5
	s_delay_alu instid0(SALU_CYCLE_1)
	s_mov_b32 s5, exec_lo
	v_cmpx_gt_u32_e64 s27, v24
	s_cbranch_execz .LBB905_12
.LBB905_40:
	v_add_co_u32 v39, vcc_lo, 0x3000, v19
	v_add_co_ci_u32_e32 v40, vcc_lo, 0, v20, vcc_lo
	global_load_b64 v[39:40], v[39:40], off
	s_waitcnt vmcnt(0)
	v_cmp_ne_u64_e32 vcc_lo, 0, v[39:40]
	v_cndmask_b32_e64 v6, 0, 1, vcc_lo
	s_or_b32 exec_lo, exec_lo, s5
	s_delay_alu instid0(SALU_CYCLE_1)
	s_mov_b32 s5, exec_lo
	v_cmpx_gt_u32_e64 s27, v25
	s_cbranch_execz .LBB905_13
.LBB905_41:
	v_add_co_u32 v39, vcc_lo, 0x4000, v19
	v_add_co_ci_u32_e32 v40, vcc_lo, 0, v20, vcc_lo
	global_load_b64 v[39:40], v[39:40], off
	s_waitcnt vmcnt(0)
	v_cmp_ne_u64_e32 vcc_lo, 0, v[39:40]
	v_cndmask_b32_e64 v7, 0, 1, vcc_lo
	s_or_b32 exec_lo, exec_lo, s5
	s_delay_alu instid0(SALU_CYCLE_1)
	s_mov_b32 s5, exec_lo
	v_cmpx_gt_u32_e64 s27, v26
	s_cbranch_execz .LBB905_14
.LBB905_42:
	v_add_co_u32 v39, vcc_lo, 0x5000, v19
	v_add_co_ci_u32_e32 v40, vcc_lo, 0, v20, vcc_lo
	global_load_b64 v[39:40], v[39:40], off
	s_waitcnt vmcnt(0)
	v_cmp_ne_u64_e32 vcc_lo, 0, v[39:40]
	v_cndmask_b32_e64 v8, 0, 1, vcc_lo
	s_or_b32 exec_lo, exec_lo, s5
	s_delay_alu instid0(SALU_CYCLE_1)
	s_mov_b32 s5, exec_lo
	v_cmpx_gt_u32_e64 s27, v27
	s_cbranch_execz .LBB905_15
.LBB905_43:
	v_add_co_u32 v39, vcc_lo, 0x6000, v19
	v_add_co_ci_u32_e32 v40, vcc_lo, 0, v20, vcc_lo
	global_load_b64 v[39:40], v[39:40], off
	s_waitcnt vmcnt(0)
	v_cmp_ne_u64_e32 vcc_lo, 0, v[39:40]
	v_cndmask_b32_e64 v9, 0, 1, vcc_lo
	s_or_b32 exec_lo, exec_lo, s5
	s_delay_alu instid0(SALU_CYCLE_1)
	s_mov_b32 s5, exec_lo
	v_cmpx_gt_u32_e64 s27, v28
	s_cbranch_execz .LBB905_16
.LBB905_44:
	v_add_co_u32 v39, vcc_lo, 0x7000, v19
	v_add_co_ci_u32_e32 v40, vcc_lo, 0, v20, vcc_lo
	global_load_b64 v[39:40], v[39:40], off
	s_waitcnt vmcnt(0)
	v_cmp_ne_u64_e32 vcc_lo, 0, v[39:40]
	v_cndmask_b32_e64 v10, 0, 1, vcc_lo
	s_or_b32 exec_lo, exec_lo, s5
	s_delay_alu instid0(SALU_CYCLE_1)
	s_mov_b32 s5, exec_lo
	v_cmpx_gt_u32_e64 s27, v29
	s_cbranch_execz .LBB905_17
.LBB905_45:
	v_add_co_u32 v39, vcc_lo, 0x8000, v19
	v_add_co_ci_u32_e32 v40, vcc_lo, 0, v20, vcc_lo
	global_load_b64 v[39:40], v[39:40], off
	s_waitcnt vmcnt(0)
	v_cmp_ne_u64_e32 vcc_lo, 0, v[39:40]
	v_cndmask_b32_e64 v11, 0, 1, vcc_lo
	s_or_b32 exec_lo, exec_lo, s5
	s_delay_alu instid0(SALU_CYCLE_1)
	s_mov_b32 s5, exec_lo
	v_cmpx_gt_u32_e64 s27, v30
	s_cbranch_execz .LBB905_18
.LBB905_46:
	v_add_co_u32 v39, vcc_lo, 0x9000, v19
	v_add_co_ci_u32_e32 v40, vcc_lo, 0, v20, vcc_lo
	global_load_b64 v[39:40], v[39:40], off
	s_waitcnt vmcnt(0)
	v_cmp_ne_u64_e32 vcc_lo, 0, v[39:40]
	v_cndmask_b32_e64 v12, 0, 1, vcc_lo
	s_or_b32 exec_lo, exec_lo, s5
	s_delay_alu instid0(SALU_CYCLE_1)
	s_mov_b32 s5, exec_lo
	v_cmpx_gt_u32_e64 s27, v31
	s_cbranch_execz .LBB905_19
.LBB905_47:
	v_add_co_u32 v39, vcc_lo, 0xa000, v19
	v_add_co_ci_u32_e32 v40, vcc_lo, 0, v20, vcc_lo
	global_load_b64 v[39:40], v[39:40], off
	s_waitcnt vmcnt(0)
	v_cmp_ne_u64_e32 vcc_lo, 0, v[39:40]
	v_cndmask_b32_e64 v13, 0, 1, vcc_lo
	s_or_b32 exec_lo, exec_lo, s5
	s_delay_alu instid0(SALU_CYCLE_1)
	s_mov_b32 s5, exec_lo
	v_cmpx_gt_u32_e64 s27, v32
	s_cbranch_execz .LBB905_20
.LBB905_48:
	v_add_co_u32 v39, vcc_lo, 0xb000, v19
	v_add_co_ci_u32_e32 v40, vcc_lo, 0, v20, vcc_lo
	global_load_b64 v[39:40], v[39:40], off
	s_waitcnt vmcnt(0)
	v_cmp_ne_u64_e32 vcc_lo, 0, v[39:40]
	v_cndmask_b32_e64 v14, 0, 1, vcc_lo
	s_or_b32 exec_lo, exec_lo, s5
	s_delay_alu instid0(SALU_CYCLE_1)
	s_mov_b32 s5, exec_lo
	v_cmpx_gt_u32_e64 s27, v33
	s_cbranch_execz .LBB905_21
.LBB905_49:
	v_add_co_u32 v39, vcc_lo, 0xc000, v19
	v_add_co_ci_u32_e32 v40, vcc_lo, 0, v20, vcc_lo
	global_load_b64 v[39:40], v[39:40], off
	s_waitcnt vmcnt(0)
	v_cmp_ne_u64_e32 vcc_lo, 0, v[39:40]
	v_cndmask_b32_e64 v15, 0, 1, vcc_lo
	s_or_b32 exec_lo, exec_lo, s5
	s_delay_alu instid0(SALU_CYCLE_1)
	s_mov_b32 s5, exec_lo
	v_cmpx_gt_u32_e64 s27, v34
	s_cbranch_execz .LBB905_22
.LBB905_50:
	v_add_co_u32 v39, vcc_lo, 0xd000, v19
	v_add_co_ci_u32_e32 v40, vcc_lo, 0, v20, vcc_lo
	global_load_b64 v[39:40], v[39:40], off
	s_waitcnt vmcnt(0)
	v_cmp_ne_u64_e32 vcc_lo, 0, v[39:40]
	v_cndmask_b32_e64 v16, 0, 1, vcc_lo
	s_or_b32 exec_lo, exec_lo, s5
	s_delay_alu instid0(SALU_CYCLE_1)
	s_mov_b32 s5, exec_lo
	v_cmpx_gt_u32_e64 s27, v35
	s_cbranch_execz .LBB905_23
.LBB905_51:
	v_add_co_u32 v39, vcc_lo, 0xe000, v19
	v_add_co_ci_u32_e32 v40, vcc_lo, 0, v20, vcc_lo
	global_load_b64 v[39:40], v[39:40], off
	s_waitcnt vmcnt(0)
	v_cmp_ne_u64_e32 vcc_lo, 0, v[39:40]
	v_cndmask_b32_e64 v17, 0, 1, vcc_lo
	s_or_b32 exec_lo, exec_lo, s5
	s_delay_alu instid0(SALU_CYCLE_1)
	s_mov_b32 s5, exec_lo
	v_cmpx_gt_u32_e64 s27, v36
	s_cbranch_execnz .LBB905_24
	s_branch .LBB905_25
.LBB905_52:
	s_and_b32 vcc_lo, exec_lo, s6
	s_cbranch_vccz .LBB905_56
; %bb.53:
	s_mov_b32 s0, exec_lo
	v_cmpx_eq_u32_e32 0, v0
	s_cbranch_execz .LBB905_55
; %bb.54:
	s_lshl_b64 s[4:5], s[2:3], 2
	v_mov_b32_e32 v0, 0
	s_add_u32 s4, s22, s4
	s_addc_u32 s5, s23, s5
	global_store_b32 v0, v21, s[4:5]
.LBB905_55:
	s_or_b32 exec_lo, exec_lo, s0
	s_mov_b32 s5, s1
.LBB905_56:
	v_cmp_eq_u32_e32 vcc_lo, 0, v0
	s_xor_b32 s0, s5, -1
	s_delay_alu instid0(SALU_CYCLE_1) | instskip(NEXT) | instid1(SALU_CYCLE_1)
	s_and_b32 s0, vcc_lo, s0
	s_and_saveexec_b32 s1, s0
	s_cbranch_execz .LBB905_58
; %bb.57:
	s_lshl_b64 s[0:1], s[2:3], 2
	v_mov_b32_e32 v0, 0
	s_waitcnt lgkmcnt(0)
	s_add_u32 s0, s22, s0
	s_addc_u32 s1, s23, s1
	global_store_b32 v0, v21, s[0:1]
.LBB905_58:
	s_nop 0
	s_sendmsg sendmsg(MSG_DEALLOC_VGPRS)
	s_endpgm
	.section	.rodata,"a",@progbits
	.p2align	6, 0x0
	.amdhsa_kernel _ZN2at4cuda3cub15calc_block_sumsILi512ELi16ELb1EliEEvPKT2_PT3_li
		.amdhsa_group_segment_fixed_size 64
		.amdhsa_private_segment_fixed_size 0
		.amdhsa_kernarg_size 28
		.amdhsa_user_sgpr_count 15
		.amdhsa_user_sgpr_dispatch_ptr 0
		.amdhsa_user_sgpr_queue_ptr 0
		.amdhsa_user_sgpr_kernarg_segment_ptr 1
		.amdhsa_user_sgpr_dispatch_id 0
		.amdhsa_user_sgpr_private_segment_size 0
		.amdhsa_wavefront_size32 1
		.amdhsa_uses_dynamic_stack 0
		.amdhsa_enable_private_segment 0
		.amdhsa_system_sgpr_workgroup_id_x 1
		.amdhsa_system_sgpr_workgroup_id_y 0
		.amdhsa_system_sgpr_workgroup_id_z 0
		.amdhsa_system_sgpr_workgroup_info 0
		.amdhsa_system_vgpr_workitem_id 0
		.amdhsa_next_free_vgpr 55
		.amdhsa_next_free_sgpr 28
		.amdhsa_reserve_vcc 1
		.amdhsa_float_round_mode_32 0
		.amdhsa_float_round_mode_16_64 0
		.amdhsa_float_denorm_mode_32 3
		.amdhsa_float_denorm_mode_16_64 3
		.amdhsa_dx10_clamp 1
		.amdhsa_ieee_mode 1
		.amdhsa_fp16_overflow 0
		.amdhsa_workgroup_processor_mode 1
		.amdhsa_memory_ordered 1
		.amdhsa_forward_progress 0
		.amdhsa_shared_vgpr_count 0
		.amdhsa_exception_fp_ieee_invalid_op 0
		.amdhsa_exception_fp_denorm_src 0
		.amdhsa_exception_fp_ieee_div_zero 0
		.amdhsa_exception_fp_ieee_overflow 0
		.amdhsa_exception_fp_ieee_underflow 0
		.amdhsa_exception_fp_ieee_inexact 0
		.amdhsa_exception_int_div_zero 0
	.end_amdhsa_kernel
	.section	.text._ZN2at4cuda3cub15calc_block_sumsILi512ELi16ELb1EliEEvPKT2_PT3_li,"axG",@progbits,_ZN2at4cuda3cub15calc_block_sumsILi512ELi16ELb1EliEEvPKT2_PT3_li,comdat
.Lfunc_end905:
	.size	_ZN2at4cuda3cub15calc_block_sumsILi512ELi16ELb1EliEEvPKT2_PT3_li, .Lfunc_end905-_ZN2at4cuda3cub15calc_block_sumsILi512ELi16ELb1EliEEvPKT2_PT3_li
                                        ; -- End function
	.section	.AMDGPU.csdata,"",@progbits
; Kernel info:
; codeLenInByte = 3520
; NumSgprs: 30
; NumVgprs: 55
; ScratchSize: 0
; MemoryBound: 0
; FloatMode: 240
; IeeeMode: 1
; LDSByteSize: 64 bytes/workgroup (compile time only)
; SGPRBlocks: 3
; VGPRBlocks: 6
; NumSGPRsForWavesPerEU: 30
; NumVGPRsForWavesPerEU: 55
; Occupancy: 16
; WaveLimiterHint : 1
; COMPUTE_PGM_RSRC2:SCRATCH_EN: 0
; COMPUTE_PGM_RSRC2:USER_SGPR: 15
; COMPUTE_PGM_RSRC2:TRAP_HANDLER: 0
; COMPUTE_PGM_RSRC2:TGID_X_EN: 1
; COMPUTE_PGM_RSRC2:TGID_Y_EN: 0
; COMPUTE_PGM_RSRC2:TGID_Z_EN: 0
; COMPUTE_PGM_RSRC2:TIDIG_COMP_CNT: 0
	.section	.text._ZN2at6native12_GLOBAL__N_111flag_kernelILi512ELi16ElEEvPKT1_PlPKllli,"axG",@progbits,_ZN2at6native12_GLOBAL__N_111flag_kernelILi512ELi16ElEEvPKT1_PlPKllli,comdat
	.globl	_ZN2at6native12_GLOBAL__N_111flag_kernelILi512ELi16ElEEvPKT1_PlPKllli ; -- Begin function _ZN2at6native12_GLOBAL__N_111flag_kernelILi512ELi16ElEEvPKT1_PlPKllli
	.p2align	8
	.type	_ZN2at6native12_GLOBAL__N_111flag_kernelILi512ELi16ElEEvPKT1_PlPKllli,@function
_ZN2at6native12_GLOBAL__N_111flag_kernelILi512ELi16ElEEvPKT1_PlPKllli: ; @_ZN2at6native12_GLOBAL__N_111flag_kernelILi512ELi16ElEEvPKT1_PlPKllli
; %bb.0:
	s_clause 0x1
	s_load_b32 s14, s[0:1], 0x28
	s_load_b256 s[4:11], s[0:1], 0x0
	s_waitcnt lgkmcnt(0)
	s_lshl_b32 s2, s14, 13
	s_delay_alu instid0(SALU_CYCLE_1) | instskip(SKIP_4) | instid1(SALU_CYCLE_1)
	s_ashr_i32 s3, s2, 31
	s_mul_hi_u32 s12, s2, s15
	s_mul_i32 s3, s3, s15
	s_mul_i32 s28, s2, s15
	s_add_i32 s29, s12, s3
	v_cmp_le_i64_e64 s2, s[10:11], s[28:29]
	s_delay_alu instid0(VALU_DEP_1)
	s_and_b32 vcc_lo, exec_lo, s2
	s_cbranch_vccnz .LBB906_100
; %bb.1:
	s_load_b64 s[2:3], s[0:1], 0x20
	s_cmp_eq_u32 s15, 0
	s_mov_b32 s13, 0
	s_cbranch_scc1 .LBB906_3
; %bb.2:
	s_add_i32 s12, s15, -1
	s_delay_alu instid0(SALU_CYCLE_1) | instskip(NEXT) | instid1(SALU_CYCLE_1)
	s_lshl_b64 s[12:13], s[12:13], 3
	s_add_u32 s8, s8, s12
	s_addc_u32 s9, s9, s13
	s_load_b64 s[8:9], s[8:9], 0x0
	s_cmp_lt_i32 s14, 1
	s_cbranch_scc0 .LBB906_4
	s_branch .LBB906_100
.LBB906_3:
	s_mov_b64 s[8:9], 0
	s_cmp_lt_i32 s14, 1
	s_cbranch_scc1 .LBB906_100
.LBB906_4:
	s_lshl_b64 s[12:13], s[28:29], 3
	v_mbcnt_lo_u32_b32 v2, -1, 0
	s_add_u32 s33, s4, s12
	s_addc_u32 s36, s5, s13
	s_waitcnt lgkmcnt(0)
	s_sub_u32 s30, s2, s8
	s_subb_u32 s31, s3, s9
	v_dual_mov_b32 v1, 0 :: v_dual_and_b32 v4, 0x3e0, v0
	v_and_b32_e32 v5, 15, v2
	s_sub_u32 s34, s10, s28
	s_subb_u32 s35, s11, s29
	s_lshl_b64 s[2:3], s[8:9], 3
	v_min_u32_e32 v7, 0x1e0, v4
	s_add_u32 s37, s6, s2
	s_addc_u32 s38, s7, s3
	v_cmp_eq_u32_e64 s2, 0, v5
	v_cmp_lt_u32_e64 s3, 1, v5
	v_cmp_lt_u32_e64 s4, 3, v5
	;; [unrolled: 1-line block ×3, first 2 shown]
	v_add_nc_u32_e32 v5, -1, v2
	v_lshlrev_b32_e32 v3, 4, v0
	v_or_b32_e32 v7, 31, v7
	v_and_b32_e32 v8, 16, v2
	v_lshrrev_b32_e32 v9, 3, v0
	v_cmp_gt_i32_e32 vcc_lo, 0, v5
	v_and_b32_e32 v6, 0x3e00, v3
	v_cmp_eq_u32_e64 s7, v7, v0
	v_lshrrev_b32_e32 v7, 1, v0
	v_cmp_eq_u32_e64 s6, 0, v8
	v_cndmask_b32_e32 v5, v5, v2, vcc_lo
	v_or_b32_e32 v8, 0x800, v0
	v_and_b32_e32 v21, 0x7c, v9
	v_add_lshl_u32 v25, v7, v3, 2
	v_or_b32_e32 v3, 0x400, v0
	v_lshlrev_b32_e32 v24, 2, v5
	v_add_nc_u32_e32 v5, 0x200, v0
	v_add_nc_u32_e32 v7, 0x600, v0
	v_lshlrev_b32_e32 v22, 2, v0
	v_lshrrev_b32_e32 v3, 3, v3
	v_add_nc_u32_e32 v9, 0xa00, v0
	v_lshrrev_b32_e32 v5, 3, v5
	v_lshrrev_b32_e32 v7, 3, v7
	v_lshrrev_b32_e32 v8, 3, v8
	v_and_b32_e32 v3, 0xfc, v3
	v_lshrrev_b32_e32 v9, 3, v9
	v_and_b32_e32 v5, 0xfc, v5
	v_or_b32_e32 v39, v2, v6
	v_or_b32_e32 v4, v2, v4
	v_add_nc_u32_e32 v28, v22, v3
	v_or_b32_e32 v3, 0xc00, v0
	v_add_nc_u32_e32 v27, v22, v5
	v_and_b32_e32 v5, 0x1fc, v7
	v_and_b32_e32 v7, 0x17c, v8
	;; [unrolled: 1-line block ×3, first 2 shown]
	v_lshrrev_b32_e32 v3, 3, v3
	v_or_b32_e32 v9, 0x1400, v0
	v_add_nc_u32_e32 v29, v22, v5
	v_add_nc_u32_e32 v30, v22, v7
	;; [unrolled: 1-line block ×3, first 2 shown]
	v_or_b32_e32 v7, 0x1000, v0
	v_add_nc_u32_e32 v31, v22, v8
	v_add_nc_u32_e32 v8, 0x1200, v0
	v_and_b32_e32 v3, 0x1fc, v3
	v_lshrrev_b32_e32 v5, 3, v5
	v_lshrrev_b32_e32 v7, 3, v7
	;; [unrolled: 1-line block ×4, first 2 shown]
	v_add_nc_u32_e32 v32, v22, v3
	v_and_b32_e32 v5, 0x3fc, v5
	v_and_b32_e32 v3, 0x27c, v7
	v_or_b32_e32 v43, 32, v39
	v_and_b32_e32 v7, 0x2fc, v8
	v_and_b32_e32 v8, 0x2fc, v9
	v_add_nc_u32_e32 v33, v22, v5
	v_add_nc_u32_e32 v5, 0x1600, v0
	;; [unrolled: 1-line block ×3, first 2 shown]
	v_or_b32_e32 v3, 0x1800, v0
	v_add_nc_u32_e32 v35, v22, v7
	v_add_nc_u32_e32 v36, v22, v8
	v_lshrrev_b32_e32 v5, 3, v5
	v_add_nc_u32_e32 v7, 0x1a00, v0
	v_or_b32_e32 v8, 0x1c00, v0
	v_lshrrev_b32_e32 v3, 3, v3
	v_add_nc_u32_e32 v9, 0x1e00, v0
	v_and_b32_e32 v5, 0x3fc, v5
	v_lshrrev_b32_e32 v7, 3, v7
	v_lshrrev_b32_e32 v8, 3, v8
	v_and_b32_e32 v3, 0x37c, v3
	v_lshrrev_b32_e32 v9, 3, v9
	v_add_nc_u32_e32 v37, v22, v5
	v_and_b32_e32 v5, 0x3fc, v7
	v_and_b32_e32 v7, 0x3fc, v8
	v_add_nc_u32_e32 v38, v22, v3
	v_or_b32_e32 v44, 64, v39
	v_or_b32_e32 v45, 0x60, v39
	v_lshrrev_b32_e32 v3, 5, v6
	v_and_b32_e32 v8, 0x7fc, v9
	v_add_nc_u32_e32 v40, v22, v5
	v_add_nc_u32_e32 v41, v22, v7
	v_or_b32_e32 v46, 0x80, v39
	v_or_b32_e32 v47, 0xa0, v39
	;; [unrolled: 1-line block ×4, first 2 shown]
	v_lshrrev_b32_e32 v5, 5, v43
	v_lshrrev_b32_e32 v7, 5, v44
	v_add_lshl_u32 v58, v3, v39, 2
	v_lshrrev_b32_e32 v3, 5, v45
	v_add_nc_u32_e32 v42, v22, v8
	v_or_b32_e32 v49, 0xe0, v39
	v_or_b32_e32 v51, 0x120, v39
	;; [unrolled: 1-line block ×4, first 2 shown]
	v_add_lshl_u32 v59, v5, v43, 2
	v_add_lshl_u32 v60, v7, v44, 2
	v_lshrrev_b32_e32 v5, 5, v46
	v_lshrrev_b32_e32 v7, 5, v47
	;; [unrolled: 1-line block ×3, first 2 shown]
	v_add_lshl_u32 v61, v3, v45, 2
	v_lshrrev_b32_e32 v3, 5, v50
	v_or_b32_e32 v54, 0x180, v39
	v_or_b32_e32 v55, 0x1a0, v39
	;; [unrolled: 1-line block ×4, first 2 shown]
	v_lshrrev_b32_e32 v9, 5, v49
	v_add_lshl_u32 v62, v5, v46, 2
	v_add_lshl_u32 v63, v7, v47, 2
	;; [unrolled: 1-line block ×3, first 2 shown]
	v_lshrrev_b32_e32 v5, 5, v51
	v_lshrrev_b32_e32 v7, 5, v52
	;; [unrolled: 1-line block ×3, first 2 shown]
	v_add_lshl_u32 v66, v3, v50, 2
	v_lshlrev_b32_e32 v3, 4, v4
	v_bfe_u32 v4, v4, 1, 27
	v_add_lshl_u32 v65, v9, v49, 2
	v_add_lshl_u32 v67, v5, v51, 2
	;; [unrolled: 1-line block ×4, first 2 shown]
	v_lshrrev_b32_e32 v5, 5, v54
	v_lshrrev_b32_e32 v7, 5, v55
	v_lshrrev_b32_e32 v8, 5, v56
	v_lshrrev_b32_e32 v9, 5, v57
	v_add_lshl_u32 v70, v4, v3, 2
	v_cmp_gt_u32_e64 s8, 16, v0
	v_cmp_lt_u32_e64 s9, 31, v0
	v_add_nc_u32_e32 v23, -4, v21
	v_cmp_eq_u32_e64 s10, 0, v2
	v_cmp_eq_u32_e64 s11, 0, v0
	v_add_nc_u32_e32 v26, v22, v21
	v_add_lshl_u32 v71, v5, v54, 2
	v_add_lshl_u32 v72, v7, v55, 2
	;; [unrolled: 1-line block ×4, first 2 shown]
	v_add_nc_u32_e32 v75, 56, v70
	v_add_nc_u32_e32 v76, 48, v70
	;; [unrolled: 1-line block ×7, first 2 shown]
	v_lshlrev_b32_e32 v82, 3, v2
	v_lshlrev_b32_e32 v83, 3, v6
	s_add_u32 s0, s0, 48
	s_addc_u32 s1, s1, 0
	s_add_i32 s39, s14, -1
	s_mov_b32 s12, 0
	s_branch .LBB906_6
.LBB906_5:                              ;   in Loop: Header=BB906_6 Depth=1
	s_cmp_eq_u32 s39, 0
	s_cselect_b32 s14, -1, 0
	s_delay_alu instid0(SALU_CYCLE_1)
	s_or_b32 s13, s13, s14
	s_add_u32 s34, s34, 0xffffe000
	s_addc_u32 s35, s35, -1
	s_and_not1_b32 vcc_lo, exec_lo, s13
	s_add_i32 s39, s39, -1
	s_cbranch_vccz .LBB906_100
.LBB906_6:                              ; =>This Inner Loop Header: Depth=1
	v_cmp_gt_i64_e64 s13, 0x2000, s[34:35]
	s_delay_alu instid0(VALU_DEP_1)
	s_and_b32 vcc_lo, exec_lo, s13
	s_mov_b32 s13, -1
	s_cbranch_vccz .LBB906_25
; %bb.7:                                ;   in Loop: Header=BB906_6 Depth=1
	v_add_co_u32 v2, s13, s33, v82
	s_delay_alu instid0(VALU_DEP_1) | instskip(SKIP_1) | instid1(VALU_DEP_2)
	v_add_co_ci_u32_e64 v3, null, s36, 0, s13
	s_mov_b32 s13, s12
	v_add_co_u32 v18, vcc_lo, v2, v83
	s_mov_b32 s14, s12
	s_mov_b32 s15, s12
	;; [unrolled: 1-line block ×14, first 2 shown]
	v_add_co_ci_u32_e32 v19, vcc_lo, 0, v3, vcc_lo
	v_dual_mov_b32 v2, s12 :: v_dual_mov_b32 v3, s13
	v_dual_mov_b32 v4, s14 :: v_dual_mov_b32 v5, s15
	;; [unrolled: 1-line block ×8, first 2 shown]
	v_mov_b32_e32 v2, 0
	s_mov_b32 s13, exec_lo
	v_cmpx_gt_u32_e64 s34, v39
	s_cbranch_execnz .LBB906_85
; %bb.8:                                ;   in Loop: Header=BB906_6 Depth=1
	s_or_b32 exec_lo, exec_lo, s13
	s_delay_alu instid0(SALU_CYCLE_1)
	s_mov_b32 s13, exec_lo
	v_cmpx_gt_u32_e64 s34, v43
	s_cbranch_execnz .LBB906_86
.LBB906_9:                              ;   in Loop: Header=BB906_6 Depth=1
	s_or_b32 exec_lo, exec_lo, s13
	s_delay_alu instid0(SALU_CYCLE_1)
	s_mov_b32 s13, exec_lo
	v_cmpx_gt_u32_e64 s34, v44
	s_cbranch_execnz .LBB906_87
.LBB906_10:                             ;   in Loop: Header=BB906_6 Depth=1
	s_or_b32 exec_lo, exec_lo, s13
	s_delay_alu instid0(SALU_CYCLE_1)
	s_mov_b32 s13, exec_lo
	v_cmpx_gt_u32_e64 s34, v45
	s_cbranch_execnz .LBB906_88
.LBB906_11:                             ;   in Loop: Header=BB906_6 Depth=1
	s_or_b32 exec_lo, exec_lo, s13
	s_delay_alu instid0(SALU_CYCLE_1)
	s_mov_b32 s13, exec_lo
	v_cmpx_gt_u32_e64 s34, v46
	s_cbranch_execnz .LBB906_89
.LBB906_12:                             ;   in Loop: Header=BB906_6 Depth=1
	s_or_b32 exec_lo, exec_lo, s13
	s_delay_alu instid0(SALU_CYCLE_1)
	s_mov_b32 s13, exec_lo
	v_cmpx_gt_u32_e64 s34, v47
	s_cbranch_execnz .LBB906_90
.LBB906_13:                             ;   in Loop: Header=BB906_6 Depth=1
	s_or_b32 exec_lo, exec_lo, s13
	s_delay_alu instid0(SALU_CYCLE_1)
	s_mov_b32 s13, exec_lo
	v_cmpx_gt_u32_e64 s34, v48
	s_cbranch_execnz .LBB906_91
.LBB906_14:                             ;   in Loop: Header=BB906_6 Depth=1
	s_or_b32 exec_lo, exec_lo, s13
	s_delay_alu instid0(SALU_CYCLE_1)
	s_mov_b32 s13, exec_lo
	v_cmpx_gt_u32_e64 s34, v49
	s_cbranch_execnz .LBB906_92
.LBB906_15:                             ;   in Loop: Header=BB906_6 Depth=1
	s_or_b32 exec_lo, exec_lo, s13
	s_delay_alu instid0(SALU_CYCLE_1)
	s_mov_b32 s13, exec_lo
	v_cmpx_gt_u32_e64 s34, v50
	s_cbranch_execnz .LBB906_93
.LBB906_16:                             ;   in Loop: Header=BB906_6 Depth=1
	s_or_b32 exec_lo, exec_lo, s13
	s_delay_alu instid0(SALU_CYCLE_1)
	s_mov_b32 s13, exec_lo
	v_cmpx_gt_u32_e64 s34, v51
	s_cbranch_execnz .LBB906_94
.LBB906_17:                             ;   in Loop: Header=BB906_6 Depth=1
	s_or_b32 exec_lo, exec_lo, s13
	s_delay_alu instid0(SALU_CYCLE_1)
	s_mov_b32 s13, exec_lo
	v_cmpx_gt_u32_e64 s34, v52
	s_cbranch_execnz .LBB906_95
.LBB906_18:                             ;   in Loop: Header=BB906_6 Depth=1
	s_or_b32 exec_lo, exec_lo, s13
	s_delay_alu instid0(SALU_CYCLE_1)
	s_mov_b32 s13, exec_lo
	v_cmpx_gt_u32_e64 s34, v53
	s_cbranch_execnz .LBB906_96
.LBB906_19:                             ;   in Loop: Header=BB906_6 Depth=1
	s_or_b32 exec_lo, exec_lo, s13
	s_delay_alu instid0(SALU_CYCLE_1)
	s_mov_b32 s13, exec_lo
	v_cmpx_gt_u32_e64 s34, v54
	s_cbranch_execnz .LBB906_97
.LBB906_20:                             ;   in Loop: Header=BB906_6 Depth=1
	s_or_b32 exec_lo, exec_lo, s13
	s_delay_alu instid0(SALU_CYCLE_1)
	s_mov_b32 s13, exec_lo
	v_cmpx_gt_u32_e64 s34, v55
	s_cbranch_execnz .LBB906_98
.LBB906_21:                             ;   in Loop: Header=BB906_6 Depth=1
	s_or_b32 exec_lo, exec_lo, s13
	s_delay_alu instid0(SALU_CYCLE_1)
	s_mov_b32 s13, exec_lo
	v_cmpx_gt_u32_e64 s34, v56
	s_cbranch_execnz .LBB906_99
.LBB906_22:                             ;   in Loop: Header=BB906_6 Depth=1
	s_or_b32 exec_lo, exec_lo, s13
	s_delay_alu instid0(SALU_CYCLE_1)
	s_mov_b32 s13, exec_lo
	v_cmpx_gt_u32_e64 s34, v57
	s_cbranch_execz .LBB906_24
.LBB906_23:                             ;   in Loop: Header=BB906_6 Depth=1
	global_load_b64 v[17:18], v[18:19], off offset:3840
	s_waitcnt vmcnt(0)
	v_cmp_ne_u64_e32 vcc_lo, 0, v[17:18]
	v_cndmask_b32_e64 v17, 0, 1, vcc_lo
.LBB906_24:                             ;   in Loop: Header=BB906_6 Depth=1
	s_or_b32 exec_lo, exec_lo, s13
	s_mov_b32 s13, 0
	ds_store_b32 v58, v2
	ds_store_b32 v59, v3
	;; [unrolled: 1-line block ×16, first 2 shown]
	; wave barrier
.LBB906_25:                             ;   in Loop: Header=BB906_6 Depth=1
	s_and_b32 vcc_lo, exec_lo, s13
	s_cbranch_vccz .LBB906_27
; %bb.26:                               ;   in Loop: Header=BB906_6 Depth=1
	v_add_co_u32 v2, s13, s33, v82
	s_delay_alu instid0(VALU_DEP_1) | instskip(NEXT) | instid1(VALU_DEP_2)
	v_add_co_ci_u32_e64 v3, null, s36, 0, s13
	v_add_co_u32 v2, vcc_lo, v2, v83
	s_delay_alu instid0(VALU_DEP_2)
	v_add_co_ci_u32_e32 v3, vcc_lo, 0, v3, vcc_lo
	s_clause 0xf
	global_load_b64 v[4:5], v[2:3], off
	global_load_b64 v[6:7], v[2:3], off offset:256
	global_load_b64 v[8:9], v[2:3], off offset:512
	global_load_b64 v[10:11], v[2:3], off offset:768
	global_load_b64 v[12:13], v[2:3], off offset:1024
	global_load_b64 v[14:15], v[2:3], off offset:1280
	global_load_b64 v[16:17], v[2:3], off offset:1536
	global_load_b64 v[18:19], v[2:3], off offset:1792
	global_load_b64 v[84:85], v[2:3], off offset:2048
	global_load_b64 v[86:87], v[2:3], off offset:2304
	global_load_b64 v[88:89], v[2:3], off offset:2560
	global_load_b64 v[90:91], v[2:3], off offset:2816
	global_load_b64 v[92:93], v[2:3], off offset:3072
	global_load_b64 v[94:95], v[2:3], off offset:3328
	global_load_b64 v[96:97], v[2:3], off offset:3584
	global_load_b64 v[2:3], v[2:3], off offset:3840
	s_waitcnt vmcnt(15)
	v_cmp_ne_u64_e32 vcc_lo, 0, v[4:5]
	v_cndmask_b32_e64 v4, 0, 1, vcc_lo
	s_waitcnt vmcnt(14)
	v_cmp_ne_u64_e32 vcc_lo, 0, v[6:7]
	v_cndmask_b32_e64 v5, 0, 1, vcc_lo
	;; [unrolled: 3-line block ×16, first 2 shown]
	ds_store_b32 v58, v4
	ds_store_b32 v59, v5
	;; [unrolled: 1-line block ×16, first 2 shown]
	; wave barrier
.LBB906_27:                             ;   in Loop: Header=BB906_6 Depth=1
	ds_load_2addr_b32 v[16:17], v70 offset1:1
	ds_load_2addr_b32 v[12:13], v81 offset1:1
	;; [unrolled: 1-line block ×6, first 2 shown]
	s_waitcnt lgkmcnt(5)
	v_add_nc_u32_e32 v2, v17, v16
	s_waitcnt lgkmcnt(4)
	s_delay_alu instid0(VALU_DEP_1) | instskip(SKIP_1) | instid1(VALU_DEP_1)
	v_add3_u32 v2, v2, v12, v13
	s_waitcnt lgkmcnt(3)
	v_add3_u32 v18, v2, v8, v9
	ds_load_2addr_b32 v[4:5], v76 offset1:1
	ds_load_2addr_b32 v[2:3], v75 offset1:1
	s_waitcnt lgkmcnt(0)
	s_waitcnt_vscnt null, 0x0
	s_barrier
	buffer_gl0_inv
	v_add3_u32 v18, v18, v6, v7
	s_delay_alu instid0(VALU_DEP_1) | instskip(NEXT) | instid1(VALU_DEP_1)
	v_add3_u32 v18, v18, v14, v15
	v_add3_u32 v18, v18, v10, v11
	s_delay_alu instid0(VALU_DEP_1) | instskip(NEXT) | instid1(VALU_DEP_1)
	v_add3_u32 v18, v18, v4, v5
	v_add3_u32 v18, v18, v2, v3
	s_delay_alu instid0(VALU_DEP_1) | instskip(NEXT) | instid1(VALU_DEP_1)
	v_mov_b32_dpp v19, v18 row_shr:1 row_mask:0xf bank_mask:0xf
	v_cndmask_b32_e64 v19, v19, 0, s2
	s_delay_alu instid0(VALU_DEP_1) | instskip(NEXT) | instid1(VALU_DEP_1)
	v_add_nc_u32_e32 v18, v18, v19
	v_mov_b32_dpp v19, v18 row_shr:2 row_mask:0xf bank_mask:0xf
	s_delay_alu instid0(VALU_DEP_1) | instskip(NEXT) | instid1(VALU_DEP_1)
	v_cndmask_b32_e64 v19, 0, v19, s3
	v_add_nc_u32_e32 v18, v18, v19
	s_delay_alu instid0(VALU_DEP_1) | instskip(NEXT) | instid1(VALU_DEP_1)
	v_mov_b32_dpp v19, v18 row_shr:4 row_mask:0xf bank_mask:0xf
	v_cndmask_b32_e64 v19, 0, v19, s4
	s_delay_alu instid0(VALU_DEP_1) | instskip(NEXT) | instid1(VALU_DEP_1)
	v_add_nc_u32_e32 v18, v18, v19
	v_mov_b32_dpp v19, v18 row_shr:8 row_mask:0xf bank_mask:0xf
	s_delay_alu instid0(VALU_DEP_1) | instskip(NEXT) | instid1(VALU_DEP_1)
	v_cndmask_b32_e64 v19, 0, v19, s5
	v_add_nc_u32_e32 v18, v18, v19
	ds_swizzle_b32 v19, v18 offset:swizzle(BROADCAST,32,15)
	s_waitcnt lgkmcnt(0)
	v_cndmask_b32_e64 v19, v19, 0, s6
	s_delay_alu instid0(VALU_DEP_1)
	v_add_nc_u32_e32 v18, v18, v19
	s_and_saveexec_b32 s13, s7
	s_cbranch_execz .LBB906_29
; %bb.28:                               ;   in Loop: Header=BB906_6 Depth=1
	ds_store_b32 v21, v18
.LBB906_29:                             ;   in Loop: Header=BB906_6 Depth=1
	s_or_b32 exec_lo, exec_lo, s13
	s_waitcnt lgkmcnt(0)
	s_barrier
	buffer_gl0_inv
	s_and_saveexec_b32 s13, s8
	s_cbranch_execz .LBB906_31
; %bb.30:                               ;   in Loop: Header=BB906_6 Depth=1
	ds_load_b32 v19, v22
	s_waitcnt lgkmcnt(0)
	v_mov_b32_dpp v20, v19 row_shr:1 row_mask:0xf bank_mask:0xf
	s_delay_alu instid0(VALU_DEP_1) | instskip(NEXT) | instid1(VALU_DEP_1)
	v_cndmask_b32_e64 v20, v20, 0, s2
	v_add_nc_u32_e32 v19, v20, v19
	s_delay_alu instid0(VALU_DEP_1) | instskip(NEXT) | instid1(VALU_DEP_1)
	v_mov_b32_dpp v20, v19 row_shr:2 row_mask:0xf bank_mask:0xf
	v_cndmask_b32_e64 v20, 0, v20, s3
	s_delay_alu instid0(VALU_DEP_1) | instskip(NEXT) | instid1(VALU_DEP_1)
	v_add_nc_u32_e32 v19, v19, v20
	v_mov_b32_dpp v20, v19 row_shr:4 row_mask:0xf bank_mask:0xf
	s_delay_alu instid0(VALU_DEP_1) | instskip(NEXT) | instid1(VALU_DEP_1)
	v_cndmask_b32_e64 v20, 0, v20, s4
	v_add_nc_u32_e32 v19, v19, v20
	s_delay_alu instid0(VALU_DEP_1) | instskip(NEXT) | instid1(VALU_DEP_1)
	v_mov_b32_dpp v20, v19 row_shr:8 row_mask:0xf bank_mask:0xf
	v_cndmask_b32_e64 v20, 0, v20, s5
	s_delay_alu instid0(VALU_DEP_1)
	v_add_nc_u32_e32 v19, v19, v20
	ds_store_b32 v22, v19
.LBB906_31:                             ;   in Loop: Header=BB906_6 Depth=1
	s_or_b32 exec_lo, exec_lo, s13
	v_mov_b32_e32 v19, 0
	s_waitcnt lgkmcnt(0)
	s_barrier
	buffer_gl0_inv
	s_and_saveexec_b32 s13, s9
	s_cbranch_execz .LBB906_33
; %bb.32:                               ;   in Loop: Header=BB906_6 Depth=1
	ds_load_b32 v19, v23
.LBB906_33:                             ;   in Loop: Header=BB906_6 Depth=1
	s_or_b32 exec_lo, exec_lo, s13
	s_waitcnt lgkmcnt(0)
	v_add_nc_u32_e32 v18, v19, v18
	ds_bpermute_b32 v18, v24, v18
	s_and_saveexec_b32 s13, s11
	s_cbranch_execz .LBB906_35
; %bb.34:                               ;   in Loop: Header=BB906_6 Depth=1
	ds_load_b32 v20, v1 offset:60
	s_waitcnt lgkmcnt(0)
	ds_store_b32 v1, v20 offset:33792
.LBB906_35:                             ;   in Loop: Header=BB906_6 Depth=1
	s_or_b32 exec_lo, exec_lo, s13
	s_waitcnt lgkmcnt(0)
	v_cndmask_b32_e64 v18, v18, v19, s10
	s_barrier
	buffer_gl0_inv
	ds_store_2addr_b32 v25, v16, v17 offset1:1
	ds_store_2addr_b32 v25, v12, v13 offset0:2 offset1:3
	ds_store_2addr_b32 v25, v8, v9 offset0:4 offset1:5
	ds_store_2addr_b32 v25, v6, v7 offset0:6 offset1:7
	v_cndmask_b32_e64 v18, v18, 0, s11
	ds_store_2addr_b32 v25, v14, v15 offset0:8 offset1:9
	ds_store_2addr_b32 v25, v10, v11 offset0:10 offset1:11
	;; [unrolled: 1-line block ×4, first 2 shown]
	s_waitcnt lgkmcnt(0)
	s_barrier
	buffer_gl0_inv
	v_add_nc_u32_e32 v19, v18, v16
	ds_load_b32 v108, v26
	ds_load_b32 v98, v27 offset:2048
	ds_load_b32 v97, v28 offset:4096
	;; [unrolled: 1-line block ×15, first 2 shown]
	s_waitcnt lgkmcnt(0)
	s_barrier
	v_add_nc_u32_e32 v20, v19, v17
	buffer_gl0_inv
	v_add_nc_u32_e32 v99, v20, v12
	s_delay_alu instid0(VALU_DEP_1) | instskip(NEXT) | instid1(VALU_DEP_1)
	v_add_nc_u32_e32 v100, v99, v13
	v_add_nc_u32_e32 v101, v100, v8
	s_delay_alu instid0(VALU_DEP_1) | instskip(NEXT) | instid1(VALU_DEP_1)
	v_add_nc_u32_e32 v102, v101, v9
	;; [unrolled: 3-line block ×6, first 2 shown]
	v_add_nc_u32_e32 v2, v4, v2
	ds_store_2addr_b32 v25, v18, v19 offset1:1
	ds_store_2addr_b32 v25, v20, v99 offset0:2 offset1:3
	ds_store_2addr_b32 v25, v100, v101 offset0:4 offset1:5
	;; [unrolled: 1-line block ×7, first 2 shown]
	s_waitcnt lgkmcnt(0)
	s_barrier
	buffer_gl0_inv
	ds_load_b32 v18, v27 offset:2048
	ds_load_b32 v17, v28 offset:4096
	;; [unrolled: 1-line block ×15, first 2 shown]
	v_add_co_u32 v2, s13, s28, v0
	s_delay_alu instid0(VALU_DEP_1)
	v_add_co_ci_u32_e64 v3, null, s29, 0, s13
	s_mov_b32 s13, exec_lo
	v_cmpx_ne_u32_e32 0, v108
	s_cbranch_execz .LBB906_38
; %bb.36:                               ;   in Loop: Header=BB906_6 Depth=1
	ds_load_b32 v19, v26
	s_waitcnt lgkmcnt(0)
	v_ashrrev_i32_e32 v20, 31, v19
	s_delay_alu instid0(VALU_DEP_1)
	v_cmp_gt_i64_e32 vcc_lo, s[30:31], v[19:20]
	s_and_b32 exec_lo, exec_lo, vcc_lo
	s_cbranch_execz .LBB906_38
; %bb.37:                               ;   in Loop: Header=BB906_6 Depth=1
	v_lshlrev_b64 v[19:20], 3, v[19:20]
	s_delay_alu instid0(VALU_DEP_1) | instskip(NEXT) | instid1(VALU_DEP_2)
	v_add_co_u32 v19, vcc_lo, s37, v19
	v_add_co_ci_u32_e32 v20, vcc_lo, s38, v20, vcc_lo
	global_store_b64 v[19:20], v[2:3], off
.LBB906_38:                             ;   in Loop: Header=BB906_6 Depth=1
	s_or_b32 exec_lo, exec_lo, s13
	s_delay_alu instid0(SALU_CYCLE_1)
	s_mov_b32 s13, exec_lo
	v_cmpx_ne_u32_e32 0, v98
	s_cbranch_execz .LBB906_41
; %bb.39:                               ;   in Loop: Header=BB906_6 Depth=1
	s_waitcnt lgkmcnt(14)
	v_ashrrev_i32_e32 v19, 31, v18
	s_delay_alu instid0(VALU_DEP_1)
	v_cmp_gt_i64_e32 vcc_lo, s[30:31], v[18:19]
	s_and_b32 exec_lo, exec_lo, vcc_lo
	s_cbranch_execz .LBB906_41
; %bb.40:                               ;   in Loop: Header=BB906_6 Depth=1
	s_load_b32 s14, s[0:1], 0xc
	v_lshlrev_b64 v[18:19], 3, v[18:19]
	s_waitcnt lgkmcnt(0)
	s_and_b32 s14, s14, 0xffff
	s_delay_alu instid0(SALU_CYCLE_1) | instskip(SKIP_1) | instid1(VALU_DEP_3)
	v_add_co_u32 v98, vcc_lo, v2, s14
	v_add_co_ci_u32_e32 v99, vcc_lo, 0, v3, vcc_lo
	v_add_co_u32 v18, vcc_lo, s37, v18
	v_add_co_ci_u32_e32 v19, vcc_lo, s38, v19, vcc_lo
	global_store_b64 v[18:19], v[98:99], off
.LBB906_41:                             ;   in Loop: Header=BB906_6 Depth=1
	s_or_b32 exec_lo, exec_lo, s13
	s_delay_alu instid0(SALU_CYCLE_1)
	s_mov_b32 s13, exec_lo
	v_cmpx_ne_u32_e32 0, v97
	s_cbranch_execz .LBB906_44
; %bb.42:                               ;   in Loop: Header=BB906_6 Depth=1
	s_waitcnt lgkmcnt(13)
	v_ashrrev_i32_e32 v18, 31, v17
	s_delay_alu instid0(VALU_DEP_1)
	v_cmp_gt_i64_e32 vcc_lo, s[30:31], v[17:18]
	s_and_b32 exec_lo, exec_lo, vcc_lo
	s_cbranch_execz .LBB906_44
; %bb.43:                               ;   in Loop: Header=BB906_6 Depth=1
	s_load_b32 s14, s[0:1], 0xc
	v_lshlrev_b64 v[17:18], 3, v[17:18]
	s_waitcnt lgkmcnt(0)
	s_and_b32 s14, s14, 0xffff
	s_delay_alu instid0(SALU_CYCLE_1) | instskip(NEXT) | instid1(SALU_CYCLE_1)
	s_lshl_b32 s14, s14, 1
	v_add_co_u32 v19, vcc_lo, v2, s14
	v_add_co_ci_u32_e32 v20, vcc_lo, 0, v3, vcc_lo
	v_add_co_u32 v17, vcc_lo, s37, v17
	v_add_co_ci_u32_e32 v18, vcc_lo, s38, v18, vcc_lo
	global_store_b64 v[17:18], v[19:20], off
.LBB906_44:                             ;   in Loop: Header=BB906_6 Depth=1
	s_or_b32 exec_lo, exec_lo, s13
	s_delay_alu instid0(SALU_CYCLE_1)
	s_mov_b32 s13, exec_lo
	v_cmpx_ne_u32_e32 0, v96
	s_cbranch_execz .LBB906_47
; %bb.45:                               ;   in Loop: Header=BB906_6 Depth=1
	s_waitcnt lgkmcnt(12)
	v_ashrrev_i32_e32 v17, 31, v16
	s_delay_alu instid0(VALU_DEP_1)
	v_cmp_gt_i64_e32 vcc_lo, s[30:31], v[16:17]
	s_and_b32 exec_lo, exec_lo, vcc_lo
	s_cbranch_execz .LBB906_47
; %bb.46:                               ;   in Loop: Header=BB906_6 Depth=1
	s_load_b32 s14, s[0:1], 0xc
	v_lshlrev_b64 v[16:17], 3, v[16:17]
	s_delay_alu instid0(VALU_DEP_1) | instskip(NEXT) | instid1(VALU_DEP_2)
	v_add_co_u32 v16, vcc_lo, s37, v16
	v_add_co_ci_u32_e32 v17, vcc_lo, s38, v17, vcc_lo
	s_waitcnt lgkmcnt(0)
	s_and_b32 s14, s14, 0xffff
	s_delay_alu instid0(SALU_CYCLE_1)
	v_mad_u64_u32 v[18:19], null, s14, 3, v[2:3]
	global_store_b64 v[16:17], v[18:19], off
.LBB906_47:                             ;   in Loop: Header=BB906_6 Depth=1
	s_or_b32 exec_lo, exec_lo, s13
	s_delay_alu instid0(SALU_CYCLE_1)
	s_mov_b32 s13, exec_lo
	v_cmpx_ne_u32_e32 0, v95
	s_cbranch_execz .LBB906_50
; %bb.48:                               ;   in Loop: Header=BB906_6 Depth=1
	s_waitcnt lgkmcnt(11)
	v_ashrrev_i32_e32 v16, 31, v15
	s_delay_alu instid0(VALU_DEP_1)
	v_cmp_gt_i64_e32 vcc_lo, s[30:31], v[15:16]
	s_and_b32 exec_lo, exec_lo, vcc_lo
	s_cbranch_execz .LBB906_50
; %bb.49:                               ;   in Loop: Header=BB906_6 Depth=1
	s_load_b32 s14, s[0:1], 0xc
	v_lshlrev_b64 v[15:16], 3, v[15:16]
	s_waitcnt lgkmcnt(0)
	s_and_b32 s14, s14, 0xffff
	s_delay_alu instid0(SALU_CYCLE_1) | instskip(NEXT) | instid1(SALU_CYCLE_1)
	s_lshl_b32 s14, s14, 2
	v_add_co_u32 v17, vcc_lo, v2, s14
	v_add_co_ci_u32_e32 v18, vcc_lo, 0, v3, vcc_lo
	v_add_co_u32 v15, vcc_lo, s37, v15
	v_add_co_ci_u32_e32 v16, vcc_lo, s38, v16, vcc_lo
	global_store_b64 v[15:16], v[17:18], off
.LBB906_50:                             ;   in Loop: Header=BB906_6 Depth=1
	s_or_b32 exec_lo, exec_lo, s13
	s_delay_alu instid0(SALU_CYCLE_1)
	s_mov_b32 s13, exec_lo
	v_cmpx_ne_u32_e32 0, v94
	s_cbranch_execz .LBB906_53
; %bb.51:                               ;   in Loop: Header=BB906_6 Depth=1
	s_waitcnt lgkmcnt(10)
	v_ashrrev_i32_e32 v15, 31, v14
	s_delay_alu instid0(VALU_DEP_1)
	v_cmp_gt_i64_e32 vcc_lo, s[30:31], v[14:15]
	s_and_b32 exec_lo, exec_lo, vcc_lo
	s_cbranch_execz .LBB906_53
; %bb.52:                               ;   in Loop: Header=BB906_6 Depth=1
	s_load_b32 s14, s[0:1], 0xc
	v_lshlrev_b64 v[14:15], 3, v[14:15]
	s_delay_alu instid0(VALU_DEP_1) | instskip(NEXT) | instid1(VALU_DEP_2)
	v_add_co_u32 v14, vcc_lo, s37, v14
	v_add_co_ci_u32_e32 v15, vcc_lo, s38, v15, vcc_lo
	s_waitcnt lgkmcnt(0)
	s_and_b32 s14, s14, 0xffff
	s_delay_alu instid0(SALU_CYCLE_1)
	v_mad_u64_u32 v[16:17], null, s14, 5, v[2:3]
	global_store_b64 v[14:15], v[16:17], off
.LBB906_53:                             ;   in Loop: Header=BB906_6 Depth=1
	s_or_b32 exec_lo, exec_lo, s13
	s_delay_alu instid0(SALU_CYCLE_1)
	s_mov_b32 s13, exec_lo
	v_cmpx_ne_u32_e32 0, v93
	s_cbranch_execz .LBB906_56
; %bb.54:                               ;   in Loop: Header=BB906_6 Depth=1
	s_waitcnt lgkmcnt(9)
	v_ashrrev_i32_e32 v14, 31, v13
	s_delay_alu instid0(VALU_DEP_1)
	v_cmp_gt_i64_e32 vcc_lo, s[30:31], v[13:14]
	s_and_b32 exec_lo, exec_lo, vcc_lo
	s_cbranch_execz .LBB906_56
; %bb.55:                               ;   in Loop: Header=BB906_6 Depth=1
	s_load_b32 s14, s[0:1], 0xc
	v_lshlrev_b64 v[13:14], 3, v[13:14]
	s_delay_alu instid0(VALU_DEP_1) | instskip(NEXT) | instid1(VALU_DEP_2)
	v_add_co_u32 v13, vcc_lo, s37, v13
	v_add_co_ci_u32_e32 v14, vcc_lo, s38, v14, vcc_lo
	s_waitcnt lgkmcnt(0)
	s_and_b32 s14, s14, 0xffff
	s_delay_alu instid0(SALU_CYCLE_1)
	v_mad_u64_u32 v[15:16], null, s14, 6, v[2:3]
	global_store_b64 v[13:14], v[15:16], off
.LBB906_56:                             ;   in Loop: Header=BB906_6 Depth=1
	;; [unrolled: 24-line block ×3, first 2 shown]
	s_or_b32 exec_lo, exec_lo, s13
	s_delay_alu instid0(SALU_CYCLE_1)
	s_mov_b32 s13, exec_lo
	v_cmpx_ne_u32_e32 0, v91
	s_cbranch_execz .LBB906_62
; %bb.60:                               ;   in Loop: Header=BB906_6 Depth=1
	s_waitcnt lgkmcnt(7)
	v_ashrrev_i32_e32 v12, 31, v11
	s_delay_alu instid0(VALU_DEP_1)
	v_cmp_gt_i64_e32 vcc_lo, s[30:31], v[11:12]
	s_and_b32 exec_lo, exec_lo, vcc_lo
	s_cbranch_execz .LBB906_62
; %bb.61:                               ;   in Loop: Header=BB906_6 Depth=1
	s_load_b32 s14, s[0:1], 0xc
	v_lshlrev_b64 v[11:12], 3, v[11:12]
	s_waitcnt lgkmcnt(0)
	s_and_b32 s14, s14, 0xffff
	s_delay_alu instid0(SALU_CYCLE_1) | instskip(NEXT) | instid1(SALU_CYCLE_1)
	s_lshl_b32 s14, s14, 3
	v_add_co_u32 v13, vcc_lo, v2, s14
	v_add_co_ci_u32_e32 v14, vcc_lo, 0, v3, vcc_lo
	v_add_co_u32 v11, vcc_lo, s37, v11
	v_add_co_ci_u32_e32 v12, vcc_lo, s38, v12, vcc_lo
	global_store_b64 v[11:12], v[13:14], off
.LBB906_62:                             ;   in Loop: Header=BB906_6 Depth=1
	s_or_b32 exec_lo, exec_lo, s13
	s_delay_alu instid0(SALU_CYCLE_1)
	s_mov_b32 s13, exec_lo
	v_cmpx_ne_u32_e32 0, v90
	s_cbranch_execz .LBB906_65
; %bb.63:                               ;   in Loop: Header=BB906_6 Depth=1
	s_waitcnt lgkmcnt(6)
	v_ashrrev_i32_e32 v11, 31, v10
	s_delay_alu instid0(VALU_DEP_1)
	v_cmp_gt_i64_e32 vcc_lo, s[30:31], v[10:11]
	s_and_b32 exec_lo, exec_lo, vcc_lo
	s_cbranch_execz .LBB906_65
; %bb.64:                               ;   in Loop: Header=BB906_6 Depth=1
	s_load_b32 s14, s[0:1], 0xc
	v_lshlrev_b64 v[10:11], 3, v[10:11]
	s_delay_alu instid0(VALU_DEP_1) | instskip(NEXT) | instid1(VALU_DEP_2)
	v_add_co_u32 v10, vcc_lo, s37, v10
	v_add_co_ci_u32_e32 v11, vcc_lo, s38, v11, vcc_lo
	s_waitcnt lgkmcnt(0)
	s_and_b32 s14, s14, 0xffff
	s_delay_alu instid0(SALU_CYCLE_1)
	v_mad_u64_u32 v[12:13], null, s14, 9, v[2:3]
	global_store_b64 v[10:11], v[12:13], off
.LBB906_65:                             ;   in Loop: Header=BB906_6 Depth=1
	s_or_b32 exec_lo, exec_lo, s13
	s_delay_alu instid0(SALU_CYCLE_1)
	s_mov_b32 s13, exec_lo
	v_cmpx_ne_u32_e32 0, v89
	s_cbranch_execz .LBB906_68
; %bb.66:                               ;   in Loop: Header=BB906_6 Depth=1
	s_waitcnt lgkmcnt(5)
	v_ashrrev_i32_e32 v10, 31, v9
	s_delay_alu instid0(VALU_DEP_1)
	v_cmp_gt_i64_e32 vcc_lo, s[30:31], v[9:10]
	s_and_b32 exec_lo, exec_lo, vcc_lo
	s_cbranch_execz .LBB906_68
; %bb.67:                               ;   in Loop: Header=BB906_6 Depth=1
	s_load_b32 s14, s[0:1], 0xc
	v_lshlrev_b64 v[9:10], 3, v[9:10]
	s_delay_alu instid0(VALU_DEP_1) | instskip(NEXT) | instid1(VALU_DEP_2)
	v_add_co_u32 v9, vcc_lo, s37, v9
	v_add_co_ci_u32_e32 v10, vcc_lo, s38, v10, vcc_lo
	s_waitcnt lgkmcnt(0)
	s_and_b32 s14, s14, 0xffff
	s_delay_alu instid0(SALU_CYCLE_1)
	v_mad_u64_u32 v[11:12], null, s14, 10, v[2:3]
	global_store_b64 v[9:10], v[11:12], off
.LBB906_68:                             ;   in Loop: Header=BB906_6 Depth=1
	;; [unrolled: 24-line block ×6, first 2 shown]
	s_or_b32 exec_lo, exec_lo, s13
	s_delay_alu instid0(SALU_CYCLE_1)
	s_mov_b32 s13, exec_lo
	v_cmpx_ne_u32_e32 0, v84
	s_cbranch_execz .LBB906_83
; %bb.81:                               ;   in Loop: Header=BB906_6 Depth=1
	s_waitcnt lgkmcnt(0)
	v_ashrrev_i32_e32 v5, 31, v4
	s_delay_alu instid0(VALU_DEP_1)
	v_cmp_gt_i64_e32 vcc_lo, s[30:31], v[4:5]
	s_and_b32 exec_lo, exec_lo, vcc_lo
	s_cbranch_execz .LBB906_83
; %bb.82:                               ;   in Loop: Header=BB906_6 Depth=1
	s_load_b32 s14, s[0:1], 0xc
	v_lshlrev_b64 v[4:5], 3, v[4:5]
	s_waitcnt lgkmcnt(0)
	s_and_b32 s14, s14, 0xffff
	s_delay_alu instid0(SALU_CYCLE_1) | instskip(NEXT) | instid1(VALU_DEP_2)
	v_mad_u64_u32 v[6:7], null, s14, 15, v[2:3]
	v_add_co_u32 v2, vcc_lo, s37, v4
	s_delay_alu instid0(VALU_DEP_3)
	v_add_co_ci_u32_e32 v3, vcc_lo, s38, v5, vcc_lo
	global_store_b64 v[2:3], v[6:7], off
.LBB906_83:                             ;   in Loop: Header=BB906_6 Depth=1
	s_or_b32 exec_lo, exec_lo, s13
	ds_load_b32 v2, v1 offset:33792
	v_cmp_gt_i64_e64 s13, 0x2001, s[34:35]
	s_waitcnt lgkmcnt(0)
	v_readfirstlane_b32 s14, v2
	s_delay_alu instid0(VALU_DEP_1) | instskip(SKIP_2) | instid1(SALU_CYCLE_1)
	s_ashr_i32 s15, s14, 31
	s_sub_u32 s30, s30, s14
	s_subb_u32 s31, s31, s15
	v_cmp_lt_i64_e64 s16, s[30:31], 1
	s_delay_alu instid0(VALU_DEP_1) | instskip(NEXT) | instid1(SALU_CYCLE_1)
	s_or_b32 s13, s13, s16
	s_and_b32 vcc_lo, exec_lo, s13
	s_cbranch_vccnz .LBB906_5
; %bb.84:                               ;   in Loop: Header=BB906_6 Depth=1
	s_add_u32 s28, s28, 0x2000
	s_addc_u32 s29, s29, 0
	s_add_u32 s33, s33, 0x10000
	s_addc_u32 s36, s36, 0
	s_lshl_b64 s[14:15], s[14:15], 3
	s_waitcnt_vscnt null, 0x0
	s_add_u32 s37, s37, s14
	s_addc_u32 s38, s38, s15
	s_barrier
	buffer_gl0_inv
	s_branch .LBB906_5
.LBB906_85:                             ;   in Loop: Header=BB906_6 Depth=1
	global_load_b64 v[84:85], v[18:19], off
	v_mov_b32_e32 v15, v1
	v_mov_b32_e32 v2, v1
	;; [unrolled: 1-line block ×15, first 2 shown]
	s_delay_alu instid0(VALU_DEP_2)
	v_dual_mov_b32 v16, v14 :: v_dual_mov_b32 v15, v13
	v_mov_b32_e32 v14, v12
	v_mov_b32_e32 v13, v11
	;; [unrolled: 1-line block ×13, first 2 shown]
	s_waitcnt vmcnt(0)
	v_cmp_ne_u64_e32 vcc_lo, 0, v[84:85]
	v_cndmask_b32_e64 v2, 0, 1, vcc_lo
	s_or_b32 exec_lo, exec_lo, s13
	s_delay_alu instid0(SALU_CYCLE_1)
	s_mov_b32 s13, exec_lo
	v_cmpx_gt_u32_e64 s34, v43
	s_cbranch_execz .LBB906_9
.LBB906_86:                             ;   in Loop: Header=BB906_6 Depth=1
	global_load_b64 v[84:85], v[18:19], off offset:256
	s_waitcnt vmcnt(0)
	v_cmp_ne_u64_e32 vcc_lo, 0, v[84:85]
	v_cndmask_b32_e64 v3, 0, 1, vcc_lo
	s_or_b32 exec_lo, exec_lo, s13
	s_delay_alu instid0(SALU_CYCLE_1)
	s_mov_b32 s13, exec_lo
	v_cmpx_gt_u32_e64 s34, v44
	s_cbranch_execz .LBB906_10
.LBB906_87:                             ;   in Loop: Header=BB906_6 Depth=1
	global_load_b64 v[84:85], v[18:19], off offset:512
	s_waitcnt vmcnt(0)
	v_cmp_ne_u64_e32 vcc_lo, 0, v[84:85]
	v_cndmask_b32_e64 v4, 0, 1, vcc_lo
	s_or_b32 exec_lo, exec_lo, s13
	s_delay_alu instid0(SALU_CYCLE_1)
	s_mov_b32 s13, exec_lo
	v_cmpx_gt_u32_e64 s34, v45
	s_cbranch_execz .LBB906_11
.LBB906_88:                             ;   in Loop: Header=BB906_6 Depth=1
	global_load_b64 v[84:85], v[18:19], off offset:768
	s_waitcnt vmcnt(0)
	v_cmp_ne_u64_e32 vcc_lo, 0, v[84:85]
	v_cndmask_b32_e64 v5, 0, 1, vcc_lo
	s_or_b32 exec_lo, exec_lo, s13
	s_delay_alu instid0(SALU_CYCLE_1)
	s_mov_b32 s13, exec_lo
	v_cmpx_gt_u32_e64 s34, v46
	s_cbranch_execz .LBB906_12
.LBB906_89:                             ;   in Loop: Header=BB906_6 Depth=1
	global_load_b64 v[84:85], v[18:19], off offset:1024
	s_waitcnt vmcnt(0)
	v_cmp_ne_u64_e32 vcc_lo, 0, v[84:85]
	v_cndmask_b32_e64 v6, 0, 1, vcc_lo
	s_or_b32 exec_lo, exec_lo, s13
	s_delay_alu instid0(SALU_CYCLE_1)
	s_mov_b32 s13, exec_lo
	v_cmpx_gt_u32_e64 s34, v47
	s_cbranch_execz .LBB906_13
.LBB906_90:                             ;   in Loop: Header=BB906_6 Depth=1
	global_load_b64 v[84:85], v[18:19], off offset:1280
	s_waitcnt vmcnt(0)
	v_cmp_ne_u64_e32 vcc_lo, 0, v[84:85]
	v_cndmask_b32_e64 v7, 0, 1, vcc_lo
	s_or_b32 exec_lo, exec_lo, s13
	s_delay_alu instid0(SALU_CYCLE_1)
	s_mov_b32 s13, exec_lo
	v_cmpx_gt_u32_e64 s34, v48
	s_cbranch_execz .LBB906_14
.LBB906_91:                             ;   in Loop: Header=BB906_6 Depth=1
	global_load_b64 v[84:85], v[18:19], off offset:1536
	s_waitcnt vmcnt(0)
	v_cmp_ne_u64_e32 vcc_lo, 0, v[84:85]
	v_cndmask_b32_e64 v8, 0, 1, vcc_lo
	s_or_b32 exec_lo, exec_lo, s13
	s_delay_alu instid0(SALU_CYCLE_1)
	s_mov_b32 s13, exec_lo
	v_cmpx_gt_u32_e64 s34, v49
	s_cbranch_execz .LBB906_15
.LBB906_92:                             ;   in Loop: Header=BB906_6 Depth=1
	global_load_b64 v[84:85], v[18:19], off offset:1792
	s_waitcnt vmcnt(0)
	v_cmp_ne_u64_e32 vcc_lo, 0, v[84:85]
	v_cndmask_b32_e64 v9, 0, 1, vcc_lo
	s_or_b32 exec_lo, exec_lo, s13
	s_delay_alu instid0(SALU_CYCLE_1)
	s_mov_b32 s13, exec_lo
	v_cmpx_gt_u32_e64 s34, v50
	s_cbranch_execz .LBB906_16
.LBB906_93:                             ;   in Loop: Header=BB906_6 Depth=1
	global_load_b64 v[84:85], v[18:19], off offset:2048
	s_waitcnt vmcnt(0)
	v_cmp_ne_u64_e32 vcc_lo, 0, v[84:85]
	v_cndmask_b32_e64 v10, 0, 1, vcc_lo
	s_or_b32 exec_lo, exec_lo, s13
	s_delay_alu instid0(SALU_CYCLE_1)
	s_mov_b32 s13, exec_lo
	v_cmpx_gt_u32_e64 s34, v51
	s_cbranch_execz .LBB906_17
.LBB906_94:                             ;   in Loop: Header=BB906_6 Depth=1
	global_load_b64 v[84:85], v[18:19], off offset:2304
	s_waitcnt vmcnt(0)
	v_cmp_ne_u64_e32 vcc_lo, 0, v[84:85]
	v_cndmask_b32_e64 v11, 0, 1, vcc_lo
	s_or_b32 exec_lo, exec_lo, s13
	s_delay_alu instid0(SALU_CYCLE_1)
	s_mov_b32 s13, exec_lo
	v_cmpx_gt_u32_e64 s34, v52
	s_cbranch_execz .LBB906_18
.LBB906_95:                             ;   in Loop: Header=BB906_6 Depth=1
	global_load_b64 v[84:85], v[18:19], off offset:2560
	s_waitcnt vmcnt(0)
	v_cmp_ne_u64_e32 vcc_lo, 0, v[84:85]
	v_cndmask_b32_e64 v12, 0, 1, vcc_lo
	s_or_b32 exec_lo, exec_lo, s13
	s_delay_alu instid0(SALU_CYCLE_1)
	s_mov_b32 s13, exec_lo
	v_cmpx_gt_u32_e64 s34, v53
	s_cbranch_execz .LBB906_19
.LBB906_96:                             ;   in Loop: Header=BB906_6 Depth=1
	global_load_b64 v[84:85], v[18:19], off offset:2816
	s_waitcnt vmcnt(0)
	v_cmp_ne_u64_e32 vcc_lo, 0, v[84:85]
	v_cndmask_b32_e64 v13, 0, 1, vcc_lo
	s_or_b32 exec_lo, exec_lo, s13
	s_delay_alu instid0(SALU_CYCLE_1)
	s_mov_b32 s13, exec_lo
	v_cmpx_gt_u32_e64 s34, v54
	s_cbranch_execz .LBB906_20
.LBB906_97:                             ;   in Loop: Header=BB906_6 Depth=1
	global_load_b64 v[84:85], v[18:19], off offset:3072
	s_waitcnt vmcnt(0)
	v_cmp_ne_u64_e32 vcc_lo, 0, v[84:85]
	v_cndmask_b32_e64 v14, 0, 1, vcc_lo
	s_or_b32 exec_lo, exec_lo, s13
	s_delay_alu instid0(SALU_CYCLE_1)
	s_mov_b32 s13, exec_lo
	v_cmpx_gt_u32_e64 s34, v55
	s_cbranch_execz .LBB906_21
.LBB906_98:                             ;   in Loop: Header=BB906_6 Depth=1
	global_load_b64 v[84:85], v[18:19], off offset:3328
	s_waitcnt vmcnt(0)
	v_cmp_ne_u64_e32 vcc_lo, 0, v[84:85]
	v_cndmask_b32_e64 v15, 0, 1, vcc_lo
	s_or_b32 exec_lo, exec_lo, s13
	s_delay_alu instid0(SALU_CYCLE_1)
	s_mov_b32 s13, exec_lo
	v_cmpx_gt_u32_e64 s34, v56
	s_cbranch_execz .LBB906_22
.LBB906_99:                             ;   in Loop: Header=BB906_6 Depth=1
	global_load_b64 v[84:85], v[18:19], off offset:3584
	s_waitcnt vmcnt(0)
	v_cmp_ne_u64_e32 vcc_lo, 0, v[84:85]
	v_cndmask_b32_e64 v16, 0, 1, vcc_lo
	s_or_b32 exec_lo, exec_lo, s13
	s_delay_alu instid0(SALU_CYCLE_1)
	s_mov_b32 s13, exec_lo
	v_cmpx_gt_u32_e64 s34, v57
	s_cbranch_execnz .LBB906_23
	s_branch .LBB906_24
.LBB906_100:
	s_nop 0
	s_sendmsg sendmsg(MSG_DEALLOC_VGPRS)
	s_endpgm
	.section	.rodata,"a",@progbits
	.p2align	6, 0x0
	.amdhsa_kernel _ZN2at6native12_GLOBAL__N_111flag_kernelILi512ELi16ElEEvPKT1_PlPKllli
		.amdhsa_group_segment_fixed_size 33796
		.amdhsa_private_segment_fixed_size 0
		.amdhsa_kernarg_size 304
		.amdhsa_user_sgpr_count 15
		.amdhsa_user_sgpr_dispatch_ptr 0
		.amdhsa_user_sgpr_queue_ptr 0
		.amdhsa_user_sgpr_kernarg_segment_ptr 1
		.amdhsa_user_sgpr_dispatch_id 0
		.amdhsa_user_sgpr_private_segment_size 0
		.amdhsa_wavefront_size32 1
		.amdhsa_uses_dynamic_stack 0
		.amdhsa_enable_private_segment 0
		.amdhsa_system_sgpr_workgroup_id_x 1
		.amdhsa_system_sgpr_workgroup_id_y 0
		.amdhsa_system_sgpr_workgroup_id_z 0
		.amdhsa_system_sgpr_workgroup_info 0
		.amdhsa_system_vgpr_workitem_id 0
		.amdhsa_next_free_vgpr 109
		.amdhsa_next_free_sgpr 40
		.amdhsa_reserve_vcc 1
		.amdhsa_float_round_mode_32 0
		.amdhsa_float_round_mode_16_64 0
		.amdhsa_float_denorm_mode_32 3
		.amdhsa_float_denorm_mode_16_64 3
		.amdhsa_dx10_clamp 1
		.amdhsa_ieee_mode 1
		.amdhsa_fp16_overflow 0
		.amdhsa_workgroup_processor_mode 1
		.amdhsa_memory_ordered 1
		.amdhsa_forward_progress 0
		.amdhsa_shared_vgpr_count 0
		.amdhsa_exception_fp_ieee_invalid_op 0
		.amdhsa_exception_fp_denorm_src 0
		.amdhsa_exception_fp_ieee_div_zero 0
		.amdhsa_exception_fp_ieee_overflow 0
		.amdhsa_exception_fp_ieee_underflow 0
		.amdhsa_exception_fp_ieee_inexact 0
		.amdhsa_exception_int_div_zero 0
	.end_amdhsa_kernel
	.section	.text._ZN2at6native12_GLOBAL__N_111flag_kernelILi512ELi16ElEEvPKT1_PlPKllli,"axG",@progbits,_ZN2at6native12_GLOBAL__N_111flag_kernelILi512ELi16ElEEvPKT1_PlPKllli,comdat
.Lfunc_end906:
	.size	_ZN2at6native12_GLOBAL__N_111flag_kernelILi512ELi16ElEEvPKT1_PlPKllli, .Lfunc_end906-_ZN2at6native12_GLOBAL__N_111flag_kernelILi512ELi16ElEEvPKT1_PlPKllli
                                        ; -- End function
	.section	.AMDGPU.csdata,"",@progbits
; Kernel info:
; codeLenInByte = 6260
; NumSgprs: 42
; NumVgprs: 109
; ScratchSize: 0
; MemoryBound: 0
; FloatMode: 240
; IeeeMode: 1
; LDSByteSize: 33796 bytes/workgroup (compile time only)
; SGPRBlocks: 5
; VGPRBlocks: 13
; NumSGPRsForWavesPerEU: 42
; NumVGPRsForWavesPerEU: 109
; Occupancy: 12
; WaveLimiterHint : 1
; COMPUTE_PGM_RSRC2:SCRATCH_EN: 0
; COMPUTE_PGM_RSRC2:USER_SGPR: 15
; COMPUTE_PGM_RSRC2:TRAP_HANDLER: 0
; COMPUTE_PGM_RSRC2:TGID_X_EN: 1
; COMPUTE_PGM_RSRC2:TGID_Y_EN: 0
; COMPUTE_PGM_RSRC2:TGID_Z_EN: 0
; COMPUTE_PGM_RSRC2:TIDIG_COMP_CNT: 0
	.section	.text._ZN2at4cuda3cub15calc_block_sumsILi512ELi16ELb1EsiEEvPKT2_PT3_li,"axG",@progbits,_ZN2at4cuda3cub15calc_block_sumsILi512ELi16ELb1EsiEEvPKT2_PT3_li,comdat
	.protected	_ZN2at4cuda3cub15calc_block_sumsILi512ELi16ELb1EsiEEvPKT2_PT3_li ; -- Begin function _ZN2at4cuda3cub15calc_block_sumsILi512ELi16ELb1EsiEEvPKT2_PT3_li
	.globl	_ZN2at4cuda3cub15calc_block_sumsILi512ELi16ELb1EsiEEvPKT2_PT3_li
	.p2align	8
	.type	_ZN2at4cuda3cub15calc_block_sumsILi512ELi16ELb1EsiEEvPKT2_PT3_li,@function
_ZN2at4cuda3cub15calc_block_sumsILi512ELi16ELb1EsiEEvPKT2_PT3_li: ; @_ZN2at4cuda3cub15calc_block_sumsILi512ELi16ELb1EsiEEvPKT2_PT3_li
; %bb.0:
	s_clause 0x1
	s_load_b32 s26, s[0:1], 0x18
	s_load_b64 s[4:5], s[0:1], 0x10
	s_waitcnt lgkmcnt(0)
	s_lshl_b32 s3, s26, 13
	s_delay_alu instid0(SALU_CYCLE_1)
	s_ashr_i32 s6, s3, 31
	s_mul_hi_u32 s8, s3, s15
	s_mul_i32 s7, s6, s15
	s_mul_i32 s6, s3, s15
	s_add_i32 s7, s8, s7
	s_sub_u32 s24, s4, s6
	s_subb_u32 s25, s5, s7
	s_delay_alu instid0(SALU_CYCLE_1) | instskip(NEXT) | instid1(VALU_DEP_1)
	v_cmp_lt_i64_e64 s3, s[24:25], 1
	s_and_b32 vcc_lo, exec_lo, s3
	s_cbranch_vccnz .LBB907_58
; %bb.1:
	s_load_b128 s[20:23], s[0:1], 0x0
	s_mov_b32 s2, s15
	s_cmp_gt_i32 s26, 0
	s_mov_b32 s3, 0
	s_cbranch_scc1 .LBB907_3
; %bb.2:
	s_mov_b32 s0, 0
	s_mov_b32 s1, s3
	v_mov_b32_e32 v21, s0
	s_and_not1_b32 vcc_lo, exec_lo, s1
	s_mov_b32 s5, s3
	s_cbranch_vccz .LBB907_4
	s_branch .LBB907_56
.LBB907_3:
                                        ; implicit-def: $sgpr0
	v_mov_b32_e32 v21, s0
	s_mov_b32 s5, s3
.LBB907_4:
	v_lshrrev_b32_e32 v1, 3, v0
	s_mul_i32 s0, s2, s26
	v_dual_mov_b32 v21, 0 :: v_dual_add_nc_u32 v22, 0x200, v0
	s_lshl_b32 s1, s0, 13
	s_delay_alu instid0(VALU_DEP_2)
	v_dual_mov_b32 v2, 0 :: v_dual_and_b32 v37, 0x7c, v1
	v_lshlrev_b32_e32 v1, 1, v0
	s_sub_i32 s27, s4, s1
	s_lshl_b64 s[4:5], s[6:7], 1
	v_or_b32_e32 v23, 0x400, v0
	s_waitcnt lgkmcnt(0)
	s_add_u32 s1, s20, s4
	s_addc_u32 s4, s21, s5
	v_add_co_u32 v19, s1, s1, v1
	v_add_nc_u32_e32 v24, 0x600, v0
	v_or_b32_e32 v25, 0x800, v0
	v_add_nc_u32_e32 v26, 0xa00, v0
	v_or_b32_e32 v27, 0xc00, v0
	;; [unrolled: 2-line block ×6, first 2 shown]
	v_add_nc_u32_e32 v36, 0x1e00, v0
	v_cmp_gt_u32_e64 s0, 32, v0
	v_add_co_ci_u32_e64 v20, null, s4, 0, s1
	v_mbcnt_lo_u32_b32 v38, -1, 0
	s_mov_b32 s4, 0
	s_mov_b32 s1, -1
	s_mov_b32 s20, 0
	v_cmp_gt_i64_e64 s5, 0x2000, s[24:25]
                                        ; implicit-def: $vgpr1
	s_delay_alu instid0(VALU_DEP_1)
	s_and_b32 vcc_lo, exec_lo, s5
	s_mov_b32 s5, -1
	s_cbranch_vccnz .LBB907_8
.LBB907_5:
	s_and_b32 vcc_lo, exec_lo, s5
	s_cbranch_vccnz .LBB907_30
.LBB907_6:
	v_cmp_lt_i64_e64 s5, 0x2000, s[24:25]
	s_delay_alu instid0(VALU_DEP_2) | instskip(NEXT) | instid1(VALU_DEP_2)
	v_add_nc_u32_e32 v21, v1, v21
	s_and_b32 vcc_lo, exec_lo, s5
	s_cbranch_vccz .LBB907_35
.LBB907_7:
	s_add_u32 s24, s24, 0xffffe000
	s_addc_u32 s25, s25, -1
	s_add_i32 s20, s20, 1
	v_add_co_u32 v19, vcc_lo, 0x4000, v19
	s_cmp_lt_i32 s20, s26
	v_add_co_ci_u32_e32 v20, vcc_lo, 0, v20, vcc_lo
	s_cselect_b32 s5, -1, 0
	s_addk_i32 s27, 0xe000
	s_cmp_eq_u32 s26, s20
	s_mov_b32 s6, 0
	s_cselect_b32 s7, -1, 0
	s_barrier
	buffer_gl0_inv
	s_and_not1_b32 vcc_lo, exec_lo, s7
	s_cbranch_vccnz .LBB907_36
	s_branch .LBB907_52
.LBB907_8:
	s_mov_b32 s5, s4
	s_mov_b32 s6, s4
	;; [unrolled: 1-line block ×15, first 2 shown]
	v_dual_mov_b32 v3, s4 :: v_dual_mov_b32 v4, s5
	v_dual_mov_b32 v5, s6 :: v_dual_mov_b32 v6, s7
	;; [unrolled: 1-line block ×8, first 2 shown]
	s_mov_b32 s5, exec_lo
	v_cmpx_gt_u32_e64 s27, v0
	s_cbranch_execnz .LBB907_37
; %bb.9:
	s_or_b32 exec_lo, exec_lo, s5
	s_delay_alu instid0(SALU_CYCLE_1)
	s_mov_b32 s5, exec_lo
	v_cmpx_gt_u32_e64 s27, v22
	s_cbranch_execnz .LBB907_38
.LBB907_10:
	s_or_b32 exec_lo, exec_lo, s5
	s_delay_alu instid0(SALU_CYCLE_1)
	s_mov_b32 s5, exec_lo
	v_cmpx_gt_u32_e64 s27, v23
	s_cbranch_execnz .LBB907_39
.LBB907_11:
	s_or_b32 exec_lo, exec_lo, s5
	s_delay_alu instid0(SALU_CYCLE_1)
	s_mov_b32 s5, exec_lo
	v_cmpx_gt_u32_e64 s27, v24
	s_cbranch_execnz .LBB907_40
.LBB907_12:
	s_or_b32 exec_lo, exec_lo, s5
	s_delay_alu instid0(SALU_CYCLE_1)
	s_mov_b32 s5, exec_lo
	v_cmpx_gt_u32_e64 s27, v25
	s_cbranch_execnz .LBB907_41
.LBB907_13:
	s_or_b32 exec_lo, exec_lo, s5
	s_delay_alu instid0(SALU_CYCLE_1)
	s_mov_b32 s5, exec_lo
	v_cmpx_gt_u32_e64 s27, v26
	s_cbranch_execnz .LBB907_42
.LBB907_14:
	s_or_b32 exec_lo, exec_lo, s5
	s_delay_alu instid0(SALU_CYCLE_1)
	s_mov_b32 s5, exec_lo
	v_cmpx_gt_u32_e64 s27, v27
	s_cbranch_execnz .LBB907_43
.LBB907_15:
	s_or_b32 exec_lo, exec_lo, s5
	s_delay_alu instid0(SALU_CYCLE_1)
	s_mov_b32 s5, exec_lo
	v_cmpx_gt_u32_e64 s27, v28
	s_cbranch_execnz .LBB907_44
.LBB907_16:
	s_or_b32 exec_lo, exec_lo, s5
	s_delay_alu instid0(SALU_CYCLE_1)
	s_mov_b32 s5, exec_lo
	v_cmpx_gt_u32_e64 s27, v29
	s_cbranch_execnz .LBB907_45
.LBB907_17:
	s_or_b32 exec_lo, exec_lo, s5
	s_delay_alu instid0(SALU_CYCLE_1)
	s_mov_b32 s5, exec_lo
	v_cmpx_gt_u32_e64 s27, v30
	s_cbranch_execnz .LBB907_46
.LBB907_18:
	s_or_b32 exec_lo, exec_lo, s5
	s_delay_alu instid0(SALU_CYCLE_1)
	s_mov_b32 s5, exec_lo
	v_cmpx_gt_u32_e64 s27, v31
	s_cbranch_execnz .LBB907_47
.LBB907_19:
	s_or_b32 exec_lo, exec_lo, s5
	s_delay_alu instid0(SALU_CYCLE_1)
	s_mov_b32 s5, exec_lo
	v_cmpx_gt_u32_e64 s27, v32
	s_cbranch_execnz .LBB907_48
.LBB907_20:
	s_or_b32 exec_lo, exec_lo, s5
	s_delay_alu instid0(SALU_CYCLE_1)
	s_mov_b32 s5, exec_lo
	v_cmpx_gt_u32_e64 s27, v33
	s_cbranch_execnz .LBB907_49
.LBB907_21:
	s_or_b32 exec_lo, exec_lo, s5
	s_delay_alu instid0(SALU_CYCLE_1)
	s_mov_b32 s5, exec_lo
	v_cmpx_gt_u32_e64 s27, v34
	s_cbranch_execnz .LBB907_50
.LBB907_22:
	s_or_b32 exec_lo, exec_lo, s5
	s_delay_alu instid0(SALU_CYCLE_1)
	s_mov_b32 s5, exec_lo
	v_cmpx_gt_u32_e64 s27, v35
	s_cbranch_execnz .LBB907_51
.LBB907_23:
	s_or_b32 exec_lo, exec_lo, s5
	s_delay_alu instid0(SALU_CYCLE_1)
	s_mov_b32 s5, exec_lo
	v_cmpx_gt_u32_e64 s27, v36
	s_cbranch_execz .LBB907_25
.LBB907_24:
	v_add_co_u32 v39, vcc_lo, 0x3000, v19
	v_add_co_ci_u32_e32 v40, vcc_lo, 0, v20, vcc_lo
	global_load_u16 v1, v[39:40], off offset:3072
	s_waitcnt vmcnt(0)
	v_cmp_ne_u16_e32 vcc_lo, 0, v1
	v_cndmask_b32_e64 v18, 0, 1, vcc_lo
.LBB907_25:
	s_or_b32 exec_lo, exec_lo, s5
	v_add_nc_u32_e32 v1, v4, v3
	s_mov_b32 s5, exec_lo
	s_barrier
	buffer_gl0_inv
	v_add3_u32 v1, v1, v5, v6
	s_delay_alu instid0(VALU_DEP_1) | instskip(NEXT) | instid1(VALU_DEP_1)
	v_add3_u32 v1, v1, v7, v8
	v_add3_u32 v1, v1, v9, v10
	s_delay_alu instid0(VALU_DEP_1) | instskip(NEXT) | instid1(VALU_DEP_1)
	v_add3_u32 v1, v1, v11, v12
	v_add3_u32 v1, v1, v13, v14
	s_delay_alu instid0(VALU_DEP_1) | instskip(NEXT) | instid1(VALU_DEP_1)
	v_add3_u32 v1, v1, v15, v16
	v_add3_u32 v1, v1, v17, v18
	s_delay_alu instid0(VALU_DEP_1) | instskip(NEXT) | instid1(VALU_DEP_1)
	v_mov_b32_dpp v3, v1 quad_perm:[1,0,3,2] row_mask:0xf bank_mask:0xf
	v_add_nc_u32_e32 v1, v1, v3
	s_delay_alu instid0(VALU_DEP_1) | instskip(NEXT) | instid1(VALU_DEP_1)
	v_mov_b32_dpp v3, v1 quad_perm:[2,3,0,1] row_mask:0xf bank_mask:0xf
	v_add_nc_u32_e32 v1, v1, v3
	s_delay_alu instid0(VALU_DEP_1) | instskip(NEXT) | instid1(VALU_DEP_1)
	v_mov_b32_dpp v3, v1 row_ror:4 row_mask:0xf bank_mask:0xf
	v_add_nc_u32_e32 v1, v1, v3
	s_delay_alu instid0(VALU_DEP_1) | instskip(NEXT) | instid1(VALU_DEP_1)
	v_mov_b32_dpp v3, v1 row_ror:8 row_mask:0xf bank_mask:0xf
	v_add_nc_u32_e32 v1, v1, v3
	ds_swizzle_b32 v3, v1 offset:swizzle(BROADCAST,32,15)
	s_waitcnt lgkmcnt(0)
	v_add_nc_u32_e32 v1, v1, v3
	ds_bpermute_b32 v1, v2, v1 offset:124
	v_cmpx_eq_u32_e32 0, v38
	s_cbranch_execz .LBB907_27
; %bb.26:
	s_waitcnt lgkmcnt(0)
	ds_store_b32 v37, v1
.LBB907_27:
	s_or_b32 exec_lo, exec_lo, s5
	s_waitcnt lgkmcnt(0)
	s_barrier
	buffer_gl0_inv
	s_and_saveexec_b32 s5, s0
	s_cbranch_execz .LBB907_29
; %bb.28:
	v_and_b32_e32 v1, 15, v38
	s_delay_alu instid0(VALU_DEP_1) | instskip(SKIP_4) | instid1(VALU_DEP_2)
	v_lshlrev_b32_e32 v3, 2, v1
	v_cmp_ne_u32_e32 vcc_lo, 15, v1
	ds_load_b32 v3, v3
	v_add_co_ci_u32_e32 v4, vcc_lo, 0, v38, vcc_lo
	v_cmp_gt_u32_e32 vcc_lo, 14, v1
	v_lshlrev_b32_e32 v4, 2, v4
	v_cndmask_b32_e64 v5, 0, 1, vcc_lo
	v_cmp_gt_u32_e32 vcc_lo, 12, v1
	s_delay_alu instid0(VALU_DEP_2) | instskip(NEXT) | instid1(VALU_DEP_1)
	v_lshlrev_b32_e32 v5, 1, v5
	v_add_lshl_u32 v5, v5, v38, 2
	s_waitcnt lgkmcnt(0)
	ds_bpermute_b32 v4, v4, v3
	s_waitcnt lgkmcnt(0)
	v_add_nc_u32_e32 v3, v4, v3
	ds_bpermute_b32 v4, v5, v3
	v_cndmask_b32_e64 v5, 0, 1, vcc_lo
	v_cmp_gt_u32_e32 vcc_lo, 8, v1
	s_delay_alu instid0(VALU_DEP_2) | instskip(SKIP_1) | instid1(VALU_DEP_2)
	v_lshlrev_b32_e32 v5, 2, v5
	v_cndmask_b32_e64 v1, 0, 1, vcc_lo
	v_add_lshl_u32 v5, v5, v38, 2
	s_delay_alu instid0(VALU_DEP_2) | instskip(NEXT) | instid1(VALU_DEP_1)
	v_lshlrev_b32_e32 v1, 3, v1
	v_add_lshl_u32 v1, v1, v38, 2
	s_waitcnt lgkmcnt(0)
	v_add_nc_u32_e32 v3, v4, v3
	ds_bpermute_b32 v4, v5, v3
	s_waitcnt lgkmcnt(0)
	v_add_nc_u32_e32 v3, v4, v3
	ds_bpermute_b32 v1, v1, v3
	s_waitcnt lgkmcnt(0)
	v_add_nc_u32_e32 v1, v1, v3
.LBB907_29:
	s_or_b32 exec_lo, exec_lo, s5
	s_branch .LBB907_6
.LBB907_30:
	s_clause 0x2
	global_load_u16 v1, v[19:20], off
	global_load_u16 v9, v[19:20], off offset:1024
	global_load_u16 v10, v[19:20], off offset:2048
	v_add_co_u32 v3, vcc_lo, v19, 0x2000
	v_add_co_ci_u32_e32 v4, vcc_lo, 0, v20, vcc_lo
	v_add_co_u32 v5, vcc_lo, 0x1000, v19
	v_add_co_ci_u32_e32 v6, vcc_lo, 0, v20, vcc_lo
	s_clause 0x2
	global_load_u16 v11, v[3:4], off offset:-4096
	global_load_u16 v12, v[19:20], off offset:3072
	global_load_u16 v13, v[5:6], off offset:2048
	v_add_co_u32 v7, vcc_lo, 0x2000, v19
	v_add_co_ci_u32_e32 v8, vcc_lo, 0, v20, vcc_lo
	s_clause 0x3
	global_load_u16 v14, v[5:6], off offset:1024
	global_load_u16 v5, v[5:6], off offset:3072
	global_load_u16 v6, v[3:4], off
	global_load_u16 v15, v[7:8], off offset:2048
	v_add_co_u32 v3, vcc_lo, 0x3000, v19
	v_add_co_ci_u32_e32 v4, vcc_lo, 0, v20, vcc_lo
	s_clause 0x5
	global_load_u16 v16, v[7:8], off offset:1024
	global_load_u16 v17, v[3:4], off
	global_load_u16 v7, v[7:8], off offset:3072
	global_load_u16 v8, v[3:4], off offset:2048
	;; [unrolled: 1-line block ×4, first 2 shown]
	s_mov_b32 s5, exec_lo
	s_waitcnt vmcnt(0)
	s_barrier
	buffer_gl0_inv
	v_cmp_ne_u16_e32 vcc_lo, 0, v1
	v_cndmask_b32_e64 v1, 0, 1, vcc_lo
	v_cmp_ne_u16_e32 vcc_lo, 0, v10
	v_cndmask_b32_e64 v4, 0, 1, vcc_lo
	v_cmp_ne_u16_e32 vcc_lo, 0, v9
	s_delay_alu instid0(VALU_DEP_4) | instskip(SKIP_3) | instid1(VALU_DEP_4)
	v_add_co_ci_u32_e32 v1, vcc_lo, 0, v1, vcc_lo
	v_cmp_ne_u16_e32 vcc_lo, 0, v11
	v_cndmask_b32_e64 v9, 0, 1, vcc_lo
	v_cmp_ne_u16_e32 vcc_lo, 0, v12
	v_add_co_ci_u32_e32 v1, vcc_lo, v1, v4, vcc_lo
	v_cmp_ne_u16_e32 vcc_lo, 0, v13
	v_cndmask_b32_e64 v4, 0, 1, vcc_lo
	v_cmp_ne_u16_e32 vcc_lo, 0, v14
	s_delay_alu instid0(VALU_DEP_4) | instskip(SKIP_3) | instid1(VALU_DEP_4)
	v_add_co_ci_u32_e32 v1, vcc_lo, v1, v9, vcc_lo
	v_cmp_ne_u16_e32 vcc_lo, 0, v6
	v_cndmask_b32_e64 v6, 0, 1, vcc_lo
	v_cmp_ne_u16_e32 vcc_lo, 0, v5
	v_add_co_ci_u32_e32 v1, vcc_lo, v1, v4, vcc_lo
	;; [unrolled: 9-line block ×3, first 2 shown]
	v_cmp_ne_u16_e32 vcc_lo, 0, v8
	v_cndmask_b32_e64 v4, 0, 1, vcc_lo
	v_cmp_ne_u16_e32 vcc_lo, 0, v18
	s_delay_alu instid0(VALU_DEP_4) | instskip(SKIP_1) | instid1(VALU_DEP_2)
	v_add_co_ci_u32_e32 v1, vcc_lo, v1, v5, vcc_lo
	v_cmp_ne_u16_e32 vcc_lo, 0, v3
	v_add_co_ci_u32_e32 v1, vcc_lo, v1, v4, vcc_lo
	s_delay_alu instid0(VALU_DEP_1) | instskip(NEXT) | instid1(VALU_DEP_1)
	v_mov_b32_dpp v3, v1 quad_perm:[1,0,3,2] row_mask:0xf bank_mask:0xf
	v_add_nc_u32_e32 v1, v3, v1
	s_delay_alu instid0(VALU_DEP_1) | instskip(NEXT) | instid1(VALU_DEP_1)
	v_mov_b32_dpp v3, v1 quad_perm:[2,3,0,1] row_mask:0xf bank_mask:0xf
	v_add_nc_u32_e32 v1, v1, v3
	s_delay_alu instid0(VALU_DEP_1) | instskip(NEXT) | instid1(VALU_DEP_1)
	v_mov_b32_dpp v3, v1 row_ror:4 row_mask:0xf bank_mask:0xf
	v_add_nc_u32_e32 v1, v1, v3
	s_delay_alu instid0(VALU_DEP_1) | instskip(NEXT) | instid1(VALU_DEP_1)
	v_mov_b32_dpp v3, v1 row_ror:8 row_mask:0xf bank_mask:0xf
	v_add_nc_u32_e32 v1, v1, v3
	ds_swizzle_b32 v3, v1 offset:swizzle(BROADCAST,32,15)
	s_waitcnt lgkmcnt(0)
	v_add_nc_u32_e32 v1, v1, v3
	ds_bpermute_b32 v1, v2, v1 offset:124
	v_cmpx_eq_u32_e32 0, v38
	s_cbranch_execz .LBB907_32
; %bb.31:
	s_waitcnt lgkmcnt(0)
	ds_store_b32 v37, v1
.LBB907_32:
	s_or_b32 exec_lo, exec_lo, s5
	s_waitcnt lgkmcnt(0)
	s_barrier
	buffer_gl0_inv
	s_and_saveexec_b32 s5, s0
	s_cbranch_execz .LBB907_34
; %bb.33:
	v_and_b32_e32 v1, 15, v38
	s_delay_alu instid0(VALU_DEP_1) | instskip(SKIP_4) | instid1(VALU_DEP_2)
	v_lshlrev_b32_e32 v3, 2, v1
	v_cmp_ne_u32_e32 vcc_lo, 15, v1
	ds_load_b32 v3, v3
	v_add_co_ci_u32_e32 v4, vcc_lo, 0, v38, vcc_lo
	v_cmp_gt_u32_e32 vcc_lo, 14, v1
	v_lshlrev_b32_e32 v4, 2, v4
	v_cndmask_b32_e64 v5, 0, 1, vcc_lo
	v_cmp_gt_u32_e32 vcc_lo, 12, v1
	s_delay_alu instid0(VALU_DEP_2) | instskip(NEXT) | instid1(VALU_DEP_1)
	v_lshlrev_b32_e32 v5, 1, v5
	v_add_lshl_u32 v5, v5, v38, 2
	s_waitcnt lgkmcnt(0)
	ds_bpermute_b32 v4, v4, v3
	s_waitcnt lgkmcnt(0)
	v_add_nc_u32_e32 v3, v4, v3
	ds_bpermute_b32 v4, v5, v3
	v_cndmask_b32_e64 v5, 0, 1, vcc_lo
	v_cmp_gt_u32_e32 vcc_lo, 8, v1
	s_delay_alu instid0(VALU_DEP_2) | instskip(SKIP_1) | instid1(VALU_DEP_2)
	v_lshlrev_b32_e32 v5, 2, v5
	v_cndmask_b32_e64 v1, 0, 1, vcc_lo
	v_add_lshl_u32 v5, v5, v38, 2
	s_delay_alu instid0(VALU_DEP_2) | instskip(NEXT) | instid1(VALU_DEP_1)
	v_lshlrev_b32_e32 v1, 3, v1
	v_add_lshl_u32 v1, v1, v38, 2
	s_waitcnt lgkmcnt(0)
	v_add_nc_u32_e32 v3, v4, v3
	ds_bpermute_b32 v4, v5, v3
	s_waitcnt lgkmcnt(0)
	v_add_nc_u32_e32 v3, v4, v3
	ds_bpermute_b32 v1, v1, v3
	s_waitcnt lgkmcnt(0)
	v_add_nc_u32_e32 v1, v1, v3
.LBB907_34:
	s_or_b32 exec_lo, exec_lo, s5
	v_cmp_lt_i64_e64 s5, 0x2000, s[24:25]
	s_delay_alu instid0(VALU_DEP_2) | instskip(NEXT) | instid1(VALU_DEP_2)
	v_add_nc_u32_e32 v21, v1, v21
	s_and_b32 vcc_lo, exec_lo, s5
	s_cbranch_vccnz .LBB907_7
.LBB907_35:
	s_mov_b32 s6, -1
                                        ; implicit-def: $sgpr20
                                        ; implicit-def: $sgpr24_sgpr25
                                        ; implicit-def: $sgpr27
                                        ; implicit-def: $vgpr19_vgpr20
                                        ; implicit-def: $sgpr5
	s_branch .LBB907_52
.LBB907_36:
	s_mov_b32 s1, s5
	v_cmp_gt_i64_e64 s5, 0x2000, s[24:25]
                                        ; implicit-def: $vgpr1
	s_delay_alu instid0(VALU_DEP_1)
	s_and_b32 vcc_lo, exec_lo, s5
	s_mov_b32 s5, -1
	s_cbranch_vccnz .LBB907_8
	s_branch .LBB907_5
.LBB907_37:
	global_load_u16 v1, v[19:20], off
	v_mov_b32_e32 v16, v2
	v_mov_b32_e32 v3, v2
	;; [unrolled: 1-line block ×13, first 2 shown]
	s_waitcnt vmcnt(0)
	v_cmp_ne_u16_e32 vcc_lo, 0, v1
	v_cndmask_b32_e64 v1, 0, 1, vcc_lo
	s_delay_alu instid0(VALU_DEP_1)
	v_dual_mov_b32 v4, v2 :: v_dual_and_b32 v1, 0xffff, v1
	v_mov_b32_e32 v18, v16
	v_dual_mov_b32 v17, v15 :: v_dual_mov_b32 v16, v14
	v_mov_b32_e32 v15, v13
	v_mov_b32_e32 v14, v12
	;; [unrolled: 1-line block ×13, first 2 shown]
	s_or_b32 exec_lo, exec_lo, s5
	s_delay_alu instid0(SALU_CYCLE_1)
	s_mov_b32 s5, exec_lo
	v_cmpx_gt_u32_e64 s27, v22
	s_cbranch_execz .LBB907_10
.LBB907_38:
	global_load_u16 v1, v[19:20], off offset:1024
	s_waitcnt vmcnt(0)
	v_cmp_ne_u16_e32 vcc_lo, 0, v1
	v_cndmask_b32_e64 v4, 0, 1, vcc_lo
	s_or_b32 exec_lo, exec_lo, s5
	s_delay_alu instid0(SALU_CYCLE_1)
	s_mov_b32 s5, exec_lo
	v_cmpx_gt_u32_e64 s27, v23
	s_cbranch_execz .LBB907_11
.LBB907_39:
	global_load_u16 v1, v[19:20], off offset:2048
	s_waitcnt vmcnt(0)
	v_cmp_ne_u16_e32 vcc_lo, 0, v1
	v_cndmask_b32_e64 v5, 0, 1, vcc_lo
	s_or_b32 exec_lo, exec_lo, s5
	s_delay_alu instid0(SALU_CYCLE_1)
	s_mov_b32 s5, exec_lo
	v_cmpx_gt_u32_e64 s27, v24
	s_cbranch_execz .LBB907_12
.LBB907_40:
	global_load_u16 v1, v[19:20], off offset:3072
	s_waitcnt vmcnt(0)
	v_cmp_ne_u16_e32 vcc_lo, 0, v1
	v_cndmask_b32_e64 v6, 0, 1, vcc_lo
	s_or_b32 exec_lo, exec_lo, s5
	s_delay_alu instid0(SALU_CYCLE_1)
	s_mov_b32 s5, exec_lo
	v_cmpx_gt_u32_e64 s27, v25
	s_cbranch_execz .LBB907_13
.LBB907_41:
	v_add_co_u32 v39, vcc_lo, 0x1000, v19
	v_add_co_ci_u32_e32 v40, vcc_lo, 0, v20, vcc_lo
	global_load_u16 v1, v[39:40], off
	s_waitcnt vmcnt(0)
	v_cmp_ne_u16_e32 vcc_lo, 0, v1
	v_cndmask_b32_e64 v7, 0, 1, vcc_lo
	s_or_b32 exec_lo, exec_lo, s5
	s_delay_alu instid0(SALU_CYCLE_1)
	s_mov_b32 s5, exec_lo
	v_cmpx_gt_u32_e64 s27, v26
	s_cbranch_execz .LBB907_14
.LBB907_42:
	v_add_co_u32 v39, vcc_lo, 0x1000, v19
	v_add_co_ci_u32_e32 v40, vcc_lo, 0, v20, vcc_lo
	global_load_u16 v1, v[39:40], off offset:1024
	s_waitcnt vmcnt(0)
	v_cmp_ne_u16_e32 vcc_lo, 0, v1
	v_cndmask_b32_e64 v8, 0, 1, vcc_lo
	s_or_b32 exec_lo, exec_lo, s5
	s_delay_alu instid0(SALU_CYCLE_1)
	s_mov_b32 s5, exec_lo
	v_cmpx_gt_u32_e64 s27, v27
	s_cbranch_execz .LBB907_15
.LBB907_43:
	v_add_co_u32 v39, vcc_lo, 0x1000, v19
	v_add_co_ci_u32_e32 v40, vcc_lo, 0, v20, vcc_lo
	global_load_u16 v1, v[39:40], off offset:2048
	s_waitcnt vmcnt(0)
	v_cmp_ne_u16_e32 vcc_lo, 0, v1
	v_cndmask_b32_e64 v9, 0, 1, vcc_lo
	s_or_b32 exec_lo, exec_lo, s5
	s_delay_alu instid0(SALU_CYCLE_1)
	s_mov_b32 s5, exec_lo
	v_cmpx_gt_u32_e64 s27, v28
	s_cbranch_execz .LBB907_16
.LBB907_44:
	v_add_co_u32 v39, vcc_lo, 0x1000, v19
	v_add_co_ci_u32_e32 v40, vcc_lo, 0, v20, vcc_lo
	global_load_u16 v1, v[39:40], off offset:3072
	s_waitcnt vmcnt(0)
	v_cmp_ne_u16_e32 vcc_lo, 0, v1
	v_cndmask_b32_e64 v10, 0, 1, vcc_lo
	s_or_b32 exec_lo, exec_lo, s5
	s_delay_alu instid0(SALU_CYCLE_1)
	s_mov_b32 s5, exec_lo
	v_cmpx_gt_u32_e64 s27, v29
	s_cbranch_execz .LBB907_17
.LBB907_45:
	v_add_co_u32 v39, vcc_lo, 0x2000, v19
	v_add_co_ci_u32_e32 v40, vcc_lo, 0, v20, vcc_lo
	global_load_u16 v1, v[39:40], off
	s_waitcnt vmcnt(0)
	v_cmp_ne_u16_e32 vcc_lo, 0, v1
	v_cndmask_b32_e64 v11, 0, 1, vcc_lo
	s_or_b32 exec_lo, exec_lo, s5
	s_delay_alu instid0(SALU_CYCLE_1)
	s_mov_b32 s5, exec_lo
	v_cmpx_gt_u32_e64 s27, v30
	s_cbranch_execz .LBB907_18
.LBB907_46:
	v_add_co_u32 v39, vcc_lo, 0x2000, v19
	v_add_co_ci_u32_e32 v40, vcc_lo, 0, v20, vcc_lo
	global_load_u16 v1, v[39:40], off offset:1024
	s_waitcnt vmcnt(0)
	v_cmp_ne_u16_e32 vcc_lo, 0, v1
	v_cndmask_b32_e64 v12, 0, 1, vcc_lo
	s_or_b32 exec_lo, exec_lo, s5
	s_delay_alu instid0(SALU_CYCLE_1)
	s_mov_b32 s5, exec_lo
	v_cmpx_gt_u32_e64 s27, v31
	s_cbranch_execz .LBB907_19
.LBB907_47:
	v_add_co_u32 v39, vcc_lo, 0x2000, v19
	v_add_co_ci_u32_e32 v40, vcc_lo, 0, v20, vcc_lo
	global_load_u16 v1, v[39:40], off offset:2048
	s_waitcnt vmcnt(0)
	v_cmp_ne_u16_e32 vcc_lo, 0, v1
	v_cndmask_b32_e64 v13, 0, 1, vcc_lo
	s_or_b32 exec_lo, exec_lo, s5
	s_delay_alu instid0(SALU_CYCLE_1)
	s_mov_b32 s5, exec_lo
	v_cmpx_gt_u32_e64 s27, v32
	s_cbranch_execz .LBB907_20
.LBB907_48:
	v_add_co_u32 v39, vcc_lo, 0x2000, v19
	v_add_co_ci_u32_e32 v40, vcc_lo, 0, v20, vcc_lo
	global_load_u16 v1, v[39:40], off offset:3072
	s_waitcnt vmcnt(0)
	v_cmp_ne_u16_e32 vcc_lo, 0, v1
	v_cndmask_b32_e64 v14, 0, 1, vcc_lo
	s_or_b32 exec_lo, exec_lo, s5
	s_delay_alu instid0(SALU_CYCLE_1)
	s_mov_b32 s5, exec_lo
	v_cmpx_gt_u32_e64 s27, v33
	s_cbranch_execz .LBB907_21
.LBB907_49:
	v_add_co_u32 v39, vcc_lo, 0x3000, v19
	v_add_co_ci_u32_e32 v40, vcc_lo, 0, v20, vcc_lo
	global_load_u16 v1, v[39:40], off
	s_waitcnt vmcnt(0)
	v_cmp_ne_u16_e32 vcc_lo, 0, v1
	v_cndmask_b32_e64 v15, 0, 1, vcc_lo
	s_or_b32 exec_lo, exec_lo, s5
	s_delay_alu instid0(SALU_CYCLE_1)
	s_mov_b32 s5, exec_lo
	v_cmpx_gt_u32_e64 s27, v34
	s_cbranch_execz .LBB907_22
.LBB907_50:
	v_add_co_u32 v39, vcc_lo, 0x3000, v19
	v_add_co_ci_u32_e32 v40, vcc_lo, 0, v20, vcc_lo
	global_load_u16 v1, v[39:40], off offset:1024
	s_waitcnt vmcnt(0)
	v_cmp_ne_u16_e32 vcc_lo, 0, v1
	v_cndmask_b32_e64 v16, 0, 1, vcc_lo
	s_or_b32 exec_lo, exec_lo, s5
	s_delay_alu instid0(SALU_CYCLE_1)
	s_mov_b32 s5, exec_lo
	v_cmpx_gt_u32_e64 s27, v35
	s_cbranch_execz .LBB907_23
.LBB907_51:
	v_add_co_u32 v39, vcc_lo, 0x3000, v19
	v_add_co_ci_u32_e32 v40, vcc_lo, 0, v20, vcc_lo
	global_load_u16 v1, v[39:40], off offset:2048
	s_waitcnt vmcnt(0)
	v_cmp_ne_u16_e32 vcc_lo, 0, v1
	v_cndmask_b32_e64 v17, 0, 1, vcc_lo
	s_or_b32 exec_lo, exec_lo, s5
	s_delay_alu instid0(SALU_CYCLE_1)
	s_mov_b32 s5, exec_lo
	v_cmpx_gt_u32_e64 s27, v36
	s_cbranch_execnz .LBB907_24
	s_branch .LBB907_25
.LBB907_52:
	s_and_b32 vcc_lo, exec_lo, s6
	s_cbranch_vccz .LBB907_56
; %bb.53:
	s_mov_b32 s0, exec_lo
	v_cmpx_eq_u32_e32 0, v0
	s_cbranch_execz .LBB907_55
; %bb.54:
	s_lshl_b64 s[4:5], s[2:3], 2
	v_mov_b32_e32 v0, 0
	s_add_u32 s4, s22, s4
	s_addc_u32 s5, s23, s5
	global_store_b32 v0, v21, s[4:5]
.LBB907_55:
	s_or_b32 exec_lo, exec_lo, s0
	s_mov_b32 s5, s1
.LBB907_56:
	v_cmp_eq_u32_e32 vcc_lo, 0, v0
	s_xor_b32 s0, s5, -1
	s_delay_alu instid0(SALU_CYCLE_1) | instskip(NEXT) | instid1(SALU_CYCLE_1)
	s_and_b32 s0, vcc_lo, s0
	s_and_saveexec_b32 s1, s0
	s_cbranch_execz .LBB907_58
; %bb.57:
	s_lshl_b64 s[0:1], s[2:3], 2
	v_mov_b32_e32 v0, 0
	s_waitcnt lgkmcnt(0)
	s_add_u32 s0, s22, s0
	s_addc_u32 s1, s23, s1
	global_store_b32 v0, v21, s[0:1]
.LBB907_58:
	s_nop 0
	s_sendmsg sendmsg(MSG_DEALLOC_VGPRS)
	s_endpgm
	.section	.rodata,"a",@progbits
	.p2align	6, 0x0
	.amdhsa_kernel _ZN2at4cuda3cub15calc_block_sumsILi512ELi16ELb1EsiEEvPKT2_PT3_li
		.amdhsa_group_segment_fixed_size 64
		.amdhsa_private_segment_fixed_size 0
		.amdhsa_kernarg_size 28
		.amdhsa_user_sgpr_count 15
		.amdhsa_user_sgpr_dispatch_ptr 0
		.amdhsa_user_sgpr_queue_ptr 0
		.amdhsa_user_sgpr_kernarg_segment_ptr 1
		.amdhsa_user_sgpr_dispatch_id 0
		.amdhsa_user_sgpr_private_segment_size 0
		.amdhsa_wavefront_size32 1
		.amdhsa_uses_dynamic_stack 0
		.amdhsa_enable_private_segment 0
		.amdhsa_system_sgpr_workgroup_id_x 1
		.amdhsa_system_sgpr_workgroup_id_y 0
		.amdhsa_system_sgpr_workgroup_id_z 0
		.amdhsa_system_sgpr_workgroup_info 0
		.amdhsa_system_vgpr_workitem_id 0
		.amdhsa_next_free_vgpr 41
		.amdhsa_next_free_sgpr 28
		.amdhsa_reserve_vcc 1
		.amdhsa_float_round_mode_32 0
		.amdhsa_float_round_mode_16_64 0
		.amdhsa_float_denorm_mode_32 3
		.amdhsa_float_denorm_mode_16_64 3
		.amdhsa_dx10_clamp 1
		.amdhsa_ieee_mode 1
		.amdhsa_fp16_overflow 0
		.amdhsa_workgroup_processor_mode 1
		.amdhsa_memory_ordered 1
		.amdhsa_forward_progress 0
		.amdhsa_shared_vgpr_count 0
		.amdhsa_exception_fp_ieee_invalid_op 0
		.amdhsa_exception_fp_denorm_src 0
		.amdhsa_exception_fp_ieee_div_zero 0
		.amdhsa_exception_fp_ieee_overflow 0
		.amdhsa_exception_fp_ieee_underflow 0
		.amdhsa_exception_fp_ieee_inexact 0
		.amdhsa_exception_int_div_zero 0
	.end_amdhsa_kernel
	.section	.text._ZN2at4cuda3cub15calc_block_sumsILi512ELi16ELb1EsiEEvPKT2_PT3_li,"axG",@progbits,_ZN2at4cuda3cub15calc_block_sumsILi512ELi16ELb1EsiEEvPKT2_PT3_li,comdat
.Lfunc_end907:
	.size	_ZN2at4cuda3cub15calc_block_sumsILi512ELi16ELb1EsiEEvPKT2_PT3_li, .Lfunc_end907-_ZN2at4cuda3cub15calc_block_sumsILi512ELi16ELb1EsiEEvPKT2_PT3_li
                                        ; -- End function
	.section	.AMDGPU.csdata,"",@progbits
; Kernel info:
; codeLenInByte = 3412
; NumSgprs: 30
; NumVgprs: 41
; ScratchSize: 0
; MemoryBound: 0
; FloatMode: 240
; IeeeMode: 1
; LDSByteSize: 64 bytes/workgroup (compile time only)
; SGPRBlocks: 3
; VGPRBlocks: 5
; NumSGPRsForWavesPerEU: 30
; NumVGPRsForWavesPerEU: 41
; Occupancy: 16
; WaveLimiterHint : 1
; COMPUTE_PGM_RSRC2:SCRATCH_EN: 0
; COMPUTE_PGM_RSRC2:USER_SGPR: 15
; COMPUTE_PGM_RSRC2:TRAP_HANDLER: 0
; COMPUTE_PGM_RSRC2:TGID_X_EN: 1
; COMPUTE_PGM_RSRC2:TGID_Y_EN: 0
; COMPUTE_PGM_RSRC2:TGID_Z_EN: 0
; COMPUTE_PGM_RSRC2:TIDIG_COMP_CNT: 0
	.section	.text._ZN2at6native12_GLOBAL__N_111flag_kernelILi512ELi16EsEEvPKT1_PlPKllli,"axG",@progbits,_ZN2at6native12_GLOBAL__N_111flag_kernelILi512ELi16EsEEvPKT1_PlPKllli,comdat
	.globl	_ZN2at6native12_GLOBAL__N_111flag_kernelILi512ELi16EsEEvPKT1_PlPKllli ; -- Begin function _ZN2at6native12_GLOBAL__N_111flag_kernelILi512ELi16EsEEvPKT1_PlPKllli
	.p2align	8
	.type	_ZN2at6native12_GLOBAL__N_111flag_kernelILi512ELi16EsEEvPKT1_PlPKllli,@function
_ZN2at6native12_GLOBAL__N_111flag_kernelILi512ELi16EsEEvPKT1_PlPKllli: ; @_ZN2at6native12_GLOBAL__N_111flag_kernelILi512ELi16EsEEvPKT1_PlPKllli
; %bb.0:
	s_clause 0x1
	s_load_b32 s14, s[0:1], 0x28
	s_load_b256 s[4:11], s[0:1], 0x0
	s_waitcnt lgkmcnt(0)
	s_lshl_b32 s2, s14, 13
	s_delay_alu instid0(SALU_CYCLE_1) | instskip(SKIP_4) | instid1(SALU_CYCLE_1)
	s_ashr_i32 s3, s2, 31
	s_mul_hi_u32 s12, s2, s15
	s_mul_i32 s3, s3, s15
	s_mul_i32 s28, s2, s15
	s_add_i32 s29, s12, s3
	v_cmp_le_i64_e64 s2, s[10:11], s[28:29]
	s_delay_alu instid0(VALU_DEP_1)
	s_and_b32 vcc_lo, exec_lo, s2
	s_cbranch_vccnz .LBB908_100
; %bb.1:
	s_load_b64 s[2:3], s[0:1], 0x20
	s_cmp_eq_u32 s15, 0
	s_mov_b32 s13, 0
	s_cbranch_scc1 .LBB908_3
; %bb.2:
	s_add_i32 s12, s15, -1
	s_delay_alu instid0(SALU_CYCLE_1) | instskip(NEXT) | instid1(SALU_CYCLE_1)
	s_lshl_b64 s[12:13], s[12:13], 3
	s_add_u32 s8, s8, s12
	s_addc_u32 s9, s9, s13
	s_load_b64 s[8:9], s[8:9], 0x0
	s_cmp_lt_i32 s14, 1
	s_cbranch_scc0 .LBB908_4
	s_branch .LBB908_100
.LBB908_3:
	s_mov_b64 s[8:9], 0
	s_cmp_lt_i32 s14, 1
	s_cbranch_scc1 .LBB908_100
.LBB908_4:
	s_lshl_b64 s[12:13], s[28:29], 1
	v_mbcnt_lo_u32_b32 v2, -1, 0
	s_add_u32 s33, s4, s12
	s_addc_u32 s36, s5, s13
	s_waitcnt lgkmcnt(0)
	s_sub_u32 s30, s2, s8
	s_subb_u32 s31, s3, s9
	v_dual_mov_b32 v1, 0 :: v_dual_and_b32 v4, 0x3e0, v0
	v_and_b32_e32 v5, 15, v2
	s_sub_u32 s34, s10, s28
	s_subb_u32 s35, s11, s29
	s_lshl_b64 s[2:3], s[8:9], 3
	v_min_u32_e32 v7, 0x1e0, v4
	s_add_u32 s37, s6, s2
	s_addc_u32 s38, s7, s3
	v_cmp_eq_u32_e64 s2, 0, v5
	v_cmp_lt_u32_e64 s3, 1, v5
	v_cmp_lt_u32_e64 s4, 3, v5
	;; [unrolled: 1-line block ×3, first 2 shown]
	v_add_nc_u32_e32 v5, -1, v2
	v_lshlrev_b32_e32 v3, 4, v0
	v_or_b32_e32 v7, 31, v7
	v_and_b32_e32 v8, 16, v2
	v_lshrrev_b32_e32 v9, 3, v0
	v_cmp_gt_i32_e32 vcc_lo, 0, v5
	v_and_b32_e32 v6, 0x3e00, v3
	v_cmp_eq_u32_e64 s7, v7, v0
	v_lshrrev_b32_e32 v7, 1, v0
	v_cmp_eq_u32_e64 s6, 0, v8
	v_cndmask_b32_e32 v5, v5, v2, vcc_lo
	v_or_b32_e32 v8, 0x800, v0
	v_and_b32_e32 v21, 0x7c, v9
	v_add_lshl_u32 v25, v7, v3, 2
	v_or_b32_e32 v3, 0x400, v0
	v_lshlrev_b32_e32 v24, 2, v5
	v_add_nc_u32_e32 v5, 0x200, v0
	v_add_nc_u32_e32 v7, 0x600, v0
	v_lshlrev_b32_e32 v22, 2, v0
	v_lshrrev_b32_e32 v3, 3, v3
	v_add_nc_u32_e32 v9, 0xa00, v0
	v_lshrrev_b32_e32 v5, 3, v5
	v_lshrrev_b32_e32 v7, 3, v7
	;; [unrolled: 1-line block ×3, first 2 shown]
	v_and_b32_e32 v3, 0xfc, v3
	v_lshrrev_b32_e32 v9, 3, v9
	v_and_b32_e32 v5, 0xfc, v5
	v_or_b32_e32 v39, v2, v6
	v_or_b32_e32 v4, v2, v4
	v_add_nc_u32_e32 v28, v22, v3
	v_or_b32_e32 v3, 0xc00, v0
	v_add_nc_u32_e32 v27, v22, v5
	v_and_b32_e32 v5, 0x1fc, v7
	v_and_b32_e32 v7, 0x17c, v8
	;; [unrolled: 1-line block ×3, first 2 shown]
	v_lshrrev_b32_e32 v3, 3, v3
	v_or_b32_e32 v9, 0x1400, v0
	v_add_nc_u32_e32 v29, v22, v5
	v_add_nc_u32_e32 v30, v22, v7
	v_add_nc_u32_e32 v5, 0xe00, v0
	v_or_b32_e32 v7, 0x1000, v0
	v_add_nc_u32_e32 v31, v22, v8
	v_add_nc_u32_e32 v8, 0x1200, v0
	v_and_b32_e32 v3, 0x1fc, v3
	v_lshrrev_b32_e32 v5, 3, v5
	v_lshrrev_b32_e32 v7, 3, v7
	;; [unrolled: 1-line block ×4, first 2 shown]
	v_add_nc_u32_e32 v32, v22, v3
	v_and_b32_e32 v5, 0x3fc, v5
	v_and_b32_e32 v3, 0x27c, v7
	v_or_b32_e32 v43, 32, v39
	v_and_b32_e32 v7, 0x2fc, v8
	v_and_b32_e32 v8, 0x2fc, v9
	v_add_nc_u32_e32 v33, v22, v5
	v_add_nc_u32_e32 v5, 0x1600, v0
	;; [unrolled: 1-line block ×3, first 2 shown]
	v_or_b32_e32 v3, 0x1800, v0
	v_add_nc_u32_e32 v35, v22, v7
	v_add_nc_u32_e32 v36, v22, v8
	v_lshrrev_b32_e32 v5, 3, v5
	v_add_nc_u32_e32 v7, 0x1a00, v0
	v_or_b32_e32 v8, 0x1c00, v0
	v_lshrrev_b32_e32 v3, 3, v3
	v_add_nc_u32_e32 v9, 0x1e00, v0
	v_and_b32_e32 v5, 0x3fc, v5
	v_lshrrev_b32_e32 v7, 3, v7
	v_lshrrev_b32_e32 v8, 3, v8
	v_and_b32_e32 v3, 0x37c, v3
	v_lshrrev_b32_e32 v9, 3, v9
	v_add_nc_u32_e32 v37, v22, v5
	v_and_b32_e32 v5, 0x3fc, v7
	v_and_b32_e32 v7, 0x3fc, v8
	v_add_nc_u32_e32 v38, v22, v3
	v_or_b32_e32 v44, 64, v39
	v_or_b32_e32 v45, 0x60, v39
	v_lshrrev_b32_e32 v3, 5, v6
	v_and_b32_e32 v8, 0x7fc, v9
	v_add_nc_u32_e32 v40, v22, v5
	v_add_nc_u32_e32 v41, v22, v7
	v_or_b32_e32 v46, 0x80, v39
	v_or_b32_e32 v47, 0xa0, v39
	;; [unrolled: 1-line block ×4, first 2 shown]
	v_lshrrev_b32_e32 v5, 5, v43
	v_lshrrev_b32_e32 v7, 5, v44
	v_add_lshl_u32 v58, v3, v39, 2
	v_lshrrev_b32_e32 v3, 5, v45
	v_add_nc_u32_e32 v42, v22, v8
	v_or_b32_e32 v49, 0xe0, v39
	v_or_b32_e32 v51, 0x120, v39
	;; [unrolled: 1-line block ×4, first 2 shown]
	v_add_lshl_u32 v59, v5, v43, 2
	v_add_lshl_u32 v60, v7, v44, 2
	v_lshrrev_b32_e32 v5, 5, v46
	v_lshrrev_b32_e32 v7, 5, v47
	v_lshrrev_b32_e32 v8, 5, v48
	v_add_lshl_u32 v61, v3, v45, 2
	v_lshrrev_b32_e32 v3, 5, v50
	v_or_b32_e32 v54, 0x180, v39
	v_or_b32_e32 v55, 0x1a0, v39
	;; [unrolled: 1-line block ×4, first 2 shown]
	v_lshrrev_b32_e32 v9, 5, v49
	v_add_lshl_u32 v62, v5, v46, 2
	v_add_lshl_u32 v63, v7, v47, 2
	;; [unrolled: 1-line block ×3, first 2 shown]
	v_lshrrev_b32_e32 v5, 5, v51
	v_lshrrev_b32_e32 v7, 5, v52
	;; [unrolled: 1-line block ×3, first 2 shown]
	v_add_lshl_u32 v66, v3, v50, 2
	v_lshlrev_b32_e32 v3, 4, v4
	v_bfe_u32 v4, v4, 1, 27
	v_add_lshl_u32 v65, v9, v49, 2
	v_add_lshl_u32 v67, v5, v51, 2
	;; [unrolled: 1-line block ×4, first 2 shown]
	v_lshrrev_b32_e32 v5, 5, v54
	v_lshrrev_b32_e32 v7, 5, v55
	;; [unrolled: 1-line block ×4, first 2 shown]
	v_add_lshl_u32 v70, v4, v3, 2
	v_cmp_gt_u32_e64 s8, 16, v0
	v_cmp_lt_u32_e64 s9, 31, v0
	v_add_nc_u32_e32 v23, -4, v21
	v_cmp_eq_u32_e64 s10, 0, v2
	v_cmp_eq_u32_e64 s11, 0, v0
	v_add_nc_u32_e32 v26, v22, v21
	v_add_lshl_u32 v71, v5, v54, 2
	v_add_lshl_u32 v72, v7, v55, 2
	;; [unrolled: 1-line block ×4, first 2 shown]
	v_add_nc_u32_e32 v75, 56, v70
	v_add_nc_u32_e32 v76, 48, v70
	;; [unrolled: 1-line block ×7, first 2 shown]
	v_lshlrev_b32_e32 v82, 1, v2
	v_lshlrev_b32_e32 v83, 1, v6
	s_add_u32 s0, s0, 48
	s_addc_u32 s1, s1, 0
	s_add_i32 s39, s14, -1
	s_mov_b32 s12, 0
	s_branch .LBB908_6
.LBB908_5:                              ;   in Loop: Header=BB908_6 Depth=1
	s_cmp_eq_u32 s39, 0
	s_cselect_b32 s14, -1, 0
	s_delay_alu instid0(SALU_CYCLE_1)
	s_or_b32 s13, s13, s14
	s_add_u32 s34, s34, 0xffffe000
	s_addc_u32 s35, s35, -1
	s_and_not1_b32 vcc_lo, exec_lo, s13
	s_add_i32 s39, s39, -1
	s_cbranch_vccz .LBB908_100
.LBB908_6:                              ; =>This Inner Loop Header: Depth=1
	v_cmp_gt_i64_e64 s13, 0x2000, s[34:35]
	s_delay_alu instid0(VALU_DEP_1)
	s_and_b32 vcc_lo, exec_lo, s13
	s_mov_b32 s13, -1
	s_cbranch_vccz .LBB908_25
; %bb.7:                                ;   in Loop: Header=BB908_6 Depth=1
	v_add_co_u32 v2, s13, s33, v82
	s_delay_alu instid0(VALU_DEP_1) | instskip(SKIP_1) | instid1(VALU_DEP_2)
	v_add_co_ci_u32_e64 v3, null, s36, 0, s13
	s_mov_b32 s13, s12
	v_add_co_u32 v18, vcc_lo, v2, v83
	s_mov_b32 s14, s12
	s_mov_b32 s15, s12
	s_mov_b32 s16, s12
	s_mov_b32 s17, s12
	s_mov_b32 s18, s12
	s_mov_b32 s19, s12
	s_mov_b32 s20, s12
	s_mov_b32 s21, s12
	s_mov_b32 s22, s12
	s_mov_b32 s23, s12
	s_mov_b32 s24, s12
	s_mov_b32 s25, s12
	s_mov_b32 s26, s12
	s_mov_b32 s27, s12
	v_add_co_ci_u32_e32 v19, vcc_lo, 0, v3, vcc_lo
	v_dual_mov_b32 v2, s12 :: v_dual_mov_b32 v3, s13
	v_dual_mov_b32 v4, s14 :: v_dual_mov_b32 v5, s15
	;; [unrolled: 1-line block ×8, first 2 shown]
	v_mov_b32_e32 v2, 0
	s_mov_b32 s13, exec_lo
	v_cmpx_gt_u32_e64 s34, v39
	s_cbranch_execnz .LBB908_85
; %bb.8:                                ;   in Loop: Header=BB908_6 Depth=1
	s_or_b32 exec_lo, exec_lo, s13
	s_delay_alu instid0(SALU_CYCLE_1)
	s_mov_b32 s13, exec_lo
	v_cmpx_gt_u32_e64 s34, v43
	s_cbranch_execnz .LBB908_86
.LBB908_9:                              ;   in Loop: Header=BB908_6 Depth=1
	s_or_b32 exec_lo, exec_lo, s13
	s_delay_alu instid0(SALU_CYCLE_1)
	s_mov_b32 s13, exec_lo
	v_cmpx_gt_u32_e64 s34, v44
	s_cbranch_execnz .LBB908_87
.LBB908_10:                             ;   in Loop: Header=BB908_6 Depth=1
	s_or_b32 exec_lo, exec_lo, s13
	s_delay_alu instid0(SALU_CYCLE_1)
	s_mov_b32 s13, exec_lo
	v_cmpx_gt_u32_e64 s34, v45
	s_cbranch_execnz .LBB908_88
.LBB908_11:                             ;   in Loop: Header=BB908_6 Depth=1
	s_or_b32 exec_lo, exec_lo, s13
	s_delay_alu instid0(SALU_CYCLE_1)
	s_mov_b32 s13, exec_lo
	v_cmpx_gt_u32_e64 s34, v46
	s_cbranch_execnz .LBB908_89
.LBB908_12:                             ;   in Loop: Header=BB908_6 Depth=1
	s_or_b32 exec_lo, exec_lo, s13
	s_delay_alu instid0(SALU_CYCLE_1)
	s_mov_b32 s13, exec_lo
	v_cmpx_gt_u32_e64 s34, v47
	s_cbranch_execnz .LBB908_90
.LBB908_13:                             ;   in Loop: Header=BB908_6 Depth=1
	s_or_b32 exec_lo, exec_lo, s13
	s_delay_alu instid0(SALU_CYCLE_1)
	s_mov_b32 s13, exec_lo
	v_cmpx_gt_u32_e64 s34, v48
	s_cbranch_execnz .LBB908_91
.LBB908_14:                             ;   in Loop: Header=BB908_6 Depth=1
	s_or_b32 exec_lo, exec_lo, s13
	s_delay_alu instid0(SALU_CYCLE_1)
	s_mov_b32 s13, exec_lo
	v_cmpx_gt_u32_e64 s34, v49
	s_cbranch_execnz .LBB908_92
.LBB908_15:                             ;   in Loop: Header=BB908_6 Depth=1
	s_or_b32 exec_lo, exec_lo, s13
	s_delay_alu instid0(SALU_CYCLE_1)
	s_mov_b32 s13, exec_lo
	v_cmpx_gt_u32_e64 s34, v50
	s_cbranch_execnz .LBB908_93
.LBB908_16:                             ;   in Loop: Header=BB908_6 Depth=1
	s_or_b32 exec_lo, exec_lo, s13
	s_delay_alu instid0(SALU_CYCLE_1)
	s_mov_b32 s13, exec_lo
	v_cmpx_gt_u32_e64 s34, v51
	s_cbranch_execnz .LBB908_94
.LBB908_17:                             ;   in Loop: Header=BB908_6 Depth=1
	s_or_b32 exec_lo, exec_lo, s13
	s_delay_alu instid0(SALU_CYCLE_1)
	s_mov_b32 s13, exec_lo
	v_cmpx_gt_u32_e64 s34, v52
	s_cbranch_execnz .LBB908_95
.LBB908_18:                             ;   in Loop: Header=BB908_6 Depth=1
	s_or_b32 exec_lo, exec_lo, s13
	s_delay_alu instid0(SALU_CYCLE_1)
	s_mov_b32 s13, exec_lo
	v_cmpx_gt_u32_e64 s34, v53
	s_cbranch_execnz .LBB908_96
.LBB908_19:                             ;   in Loop: Header=BB908_6 Depth=1
	s_or_b32 exec_lo, exec_lo, s13
	s_delay_alu instid0(SALU_CYCLE_1)
	s_mov_b32 s13, exec_lo
	v_cmpx_gt_u32_e64 s34, v54
	s_cbranch_execnz .LBB908_97
.LBB908_20:                             ;   in Loop: Header=BB908_6 Depth=1
	s_or_b32 exec_lo, exec_lo, s13
	s_delay_alu instid0(SALU_CYCLE_1)
	s_mov_b32 s13, exec_lo
	v_cmpx_gt_u32_e64 s34, v55
	s_cbranch_execnz .LBB908_98
.LBB908_21:                             ;   in Loop: Header=BB908_6 Depth=1
	s_or_b32 exec_lo, exec_lo, s13
	s_delay_alu instid0(SALU_CYCLE_1)
	s_mov_b32 s13, exec_lo
	v_cmpx_gt_u32_e64 s34, v56
	s_cbranch_execnz .LBB908_99
.LBB908_22:                             ;   in Loop: Header=BB908_6 Depth=1
	s_or_b32 exec_lo, exec_lo, s13
	s_delay_alu instid0(SALU_CYCLE_1)
	s_mov_b32 s13, exec_lo
	v_cmpx_gt_u32_e64 s34, v57
	s_cbranch_execz .LBB908_24
.LBB908_23:                             ;   in Loop: Header=BB908_6 Depth=1
	global_load_u16 v17, v[18:19], off offset:960
	s_waitcnt vmcnt(0)
	v_cmp_ne_u16_e32 vcc_lo, 0, v17
	v_cndmask_b32_e64 v17, 0, 1, vcc_lo
.LBB908_24:                             ;   in Loop: Header=BB908_6 Depth=1
	s_or_b32 exec_lo, exec_lo, s13
	s_mov_b32 s13, 0
	ds_store_b32 v58, v2
	ds_store_b32 v59, v3
	;; [unrolled: 1-line block ×16, first 2 shown]
	; wave barrier
.LBB908_25:                             ;   in Loop: Header=BB908_6 Depth=1
	s_and_b32 vcc_lo, exec_lo, s13
	s_cbranch_vccz .LBB908_27
; %bb.26:                               ;   in Loop: Header=BB908_6 Depth=1
	v_add_co_u32 v2, s13, s33, v82
	s_delay_alu instid0(VALU_DEP_1) | instskip(NEXT) | instid1(VALU_DEP_2)
	v_add_co_ci_u32_e64 v3, null, s36, 0, s13
	v_add_co_u32 v2, vcc_lo, v2, v83
	s_delay_alu instid0(VALU_DEP_2)
	v_add_co_ci_u32_e32 v3, vcc_lo, 0, v3, vcc_lo
	s_clause 0xf
	global_load_u16 v4, v[2:3], off
	global_load_u16 v5, v[2:3], off offset:64
	global_load_u16 v6, v[2:3], off offset:128
	;; [unrolled: 1-line block ×15, first 2 shown]
	s_waitcnt vmcnt(15)
	v_cmp_ne_u16_e32 vcc_lo, 0, v4
	v_cndmask_b32_e64 v3, 0, 1, vcc_lo
	s_waitcnt vmcnt(14)
	v_cmp_ne_u16_e32 vcc_lo, 0, v5
	v_cndmask_b32_e64 v4, 0, 1, vcc_lo
	s_waitcnt vmcnt(13)
	v_cmp_ne_u16_e32 vcc_lo, 0, v6
	v_cndmask_b32_e64 v5, 0, 1, vcc_lo
	s_waitcnt vmcnt(12)
	v_cmp_ne_u16_e32 vcc_lo, 0, v7
	v_cndmask_b32_e64 v6, 0, 1, vcc_lo
	s_waitcnt vmcnt(11)
	v_cmp_ne_u16_e32 vcc_lo, 0, v8
	v_cndmask_b32_e64 v7, 0, 1, vcc_lo
	s_waitcnt vmcnt(10)
	v_cmp_ne_u16_e32 vcc_lo, 0, v9
	v_cndmask_b32_e64 v8, 0, 1, vcc_lo
	s_waitcnt vmcnt(9)
	v_cmp_ne_u16_e32 vcc_lo, 0, v10
	v_cndmask_b32_e64 v9, 0, 1, vcc_lo
	s_waitcnt vmcnt(8)
	v_cmp_ne_u16_e32 vcc_lo, 0, v11
	v_cndmask_b32_e64 v10, 0, 1, vcc_lo
	s_waitcnt vmcnt(7)
	v_cmp_ne_u16_e32 vcc_lo, 0, v12
	v_cndmask_b32_e64 v11, 0, 1, vcc_lo
	s_waitcnt vmcnt(6)
	v_cmp_ne_u16_e32 vcc_lo, 0, v13
	v_cndmask_b32_e64 v12, 0, 1, vcc_lo
	s_waitcnt vmcnt(5)
	v_cmp_ne_u16_e32 vcc_lo, 0, v14
	v_cndmask_b32_e64 v13, 0, 1, vcc_lo
	s_waitcnt vmcnt(4)
	v_cmp_ne_u16_e32 vcc_lo, 0, v15
	v_cndmask_b32_e64 v14, 0, 1, vcc_lo
	s_waitcnt vmcnt(3)
	v_cmp_ne_u16_e32 vcc_lo, 0, v16
	v_cndmask_b32_e64 v15, 0, 1, vcc_lo
	s_waitcnt vmcnt(2)
	v_cmp_ne_u16_e32 vcc_lo, 0, v17
	v_cndmask_b32_e64 v16, 0, 1, vcc_lo
	s_waitcnt vmcnt(1)
	v_cmp_ne_u16_e32 vcc_lo, 0, v18
	v_cndmask_b32_e64 v17, 0, 1, vcc_lo
	s_waitcnt vmcnt(0)
	v_cmp_ne_u16_e32 vcc_lo, 0, v2
	v_cndmask_b32_e64 v2, 0, 1, vcc_lo
	ds_store_b32 v58, v3
	ds_store_b32 v59, v4
	;; [unrolled: 1-line block ×16, first 2 shown]
	; wave barrier
.LBB908_27:                             ;   in Loop: Header=BB908_6 Depth=1
	ds_load_2addr_b32 v[16:17], v70 offset1:1
	ds_load_2addr_b32 v[12:13], v81 offset1:1
	;; [unrolled: 1-line block ×6, first 2 shown]
	s_waitcnt lgkmcnt(5)
	v_add_nc_u32_e32 v2, v17, v16
	s_waitcnt lgkmcnt(4)
	s_delay_alu instid0(VALU_DEP_1) | instskip(SKIP_1) | instid1(VALU_DEP_1)
	v_add3_u32 v2, v2, v12, v13
	s_waitcnt lgkmcnt(3)
	v_add3_u32 v18, v2, v8, v9
	ds_load_2addr_b32 v[4:5], v76 offset1:1
	ds_load_2addr_b32 v[2:3], v75 offset1:1
	s_waitcnt lgkmcnt(0)
	s_waitcnt_vscnt null, 0x0
	s_barrier
	buffer_gl0_inv
	v_add3_u32 v18, v18, v6, v7
	s_delay_alu instid0(VALU_DEP_1) | instskip(NEXT) | instid1(VALU_DEP_1)
	v_add3_u32 v18, v18, v14, v15
	v_add3_u32 v18, v18, v10, v11
	s_delay_alu instid0(VALU_DEP_1) | instskip(NEXT) | instid1(VALU_DEP_1)
	v_add3_u32 v18, v18, v4, v5
	v_add3_u32 v18, v18, v2, v3
	s_delay_alu instid0(VALU_DEP_1) | instskip(NEXT) | instid1(VALU_DEP_1)
	v_mov_b32_dpp v19, v18 row_shr:1 row_mask:0xf bank_mask:0xf
	v_cndmask_b32_e64 v19, v19, 0, s2
	s_delay_alu instid0(VALU_DEP_1) | instskip(NEXT) | instid1(VALU_DEP_1)
	v_add_nc_u32_e32 v18, v18, v19
	v_mov_b32_dpp v19, v18 row_shr:2 row_mask:0xf bank_mask:0xf
	s_delay_alu instid0(VALU_DEP_1) | instskip(NEXT) | instid1(VALU_DEP_1)
	v_cndmask_b32_e64 v19, 0, v19, s3
	v_add_nc_u32_e32 v18, v18, v19
	s_delay_alu instid0(VALU_DEP_1) | instskip(NEXT) | instid1(VALU_DEP_1)
	v_mov_b32_dpp v19, v18 row_shr:4 row_mask:0xf bank_mask:0xf
	v_cndmask_b32_e64 v19, 0, v19, s4
	s_delay_alu instid0(VALU_DEP_1) | instskip(NEXT) | instid1(VALU_DEP_1)
	v_add_nc_u32_e32 v18, v18, v19
	v_mov_b32_dpp v19, v18 row_shr:8 row_mask:0xf bank_mask:0xf
	s_delay_alu instid0(VALU_DEP_1) | instskip(NEXT) | instid1(VALU_DEP_1)
	v_cndmask_b32_e64 v19, 0, v19, s5
	v_add_nc_u32_e32 v18, v18, v19
	ds_swizzle_b32 v19, v18 offset:swizzle(BROADCAST,32,15)
	s_waitcnt lgkmcnt(0)
	v_cndmask_b32_e64 v19, v19, 0, s6
	s_delay_alu instid0(VALU_DEP_1)
	v_add_nc_u32_e32 v18, v18, v19
	s_and_saveexec_b32 s13, s7
	s_cbranch_execz .LBB908_29
; %bb.28:                               ;   in Loop: Header=BB908_6 Depth=1
	ds_store_b32 v21, v18
.LBB908_29:                             ;   in Loop: Header=BB908_6 Depth=1
	s_or_b32 exec_lo, exec_lo, s13
	s_waitcnt lgkmcnt(0)
	s_barrier
	buffer_gl0_inv
	s_and_saveexec_b32 s13, s8
	s_cbranch_execz .LBB908_31
; %bb.30:                               ;   in Loop: Header=BB908_6 Depth=1
	ds_load_b32 v19, v22
	s_waitcnt lgkmcnt(0)
	v_mov_b32_dpp v20, v19 row_shr:1 row_mask:0xf bank_mask:0xf
	s_delay_alu instid0(VALU_DEP_1) | instskip(NEXT) | instid1(VALU_DEP_1)
	v_cndmask_b32_e64 v20, v20, 0, s2
	v_add_nc_u32_e32 v19, v20, v19
	s_delay_alu instid0(VALU_DEP_1) | instskip(NEXT) | instid1(VALU_DEP_1)
	v_mov_b32_dpp v20, v19 row_shr:2 row_mask:0xf bank_mask:0xf
	v_cndmask_b32_e64 v20, 0, v20, s3
	s_delay_alu instid0(VALU_DEP_1) | instskip(NEXT) | instid1(VALU_DEP_1)
	v_add_nc_u32_e32 v19, v19, v20
	v_mov_b32_dpp v20, v19 row_shr:4 row_mask:0xf bank_mask:0xf
	s_delay_alu instid0(VALU_DEP_1) | instskip(NEXT) | instid1(VALU_DEP_1)
	v_cndmask_b32_e64 v20, 0, v20, s4
	v_add_nc_u32_e32 v19, v19, v20
	s_delay_alu instid0(VALU_DEP_1) | instskip(NEXT) | instid1(VALU_DEP_1)
	v_mov_b32_dpp v20, v19 row_shr:8 row_mask:0xf bank_mask:0xf
	v_cndmask_b32_e64 v20, 0, v20, s5
	s_delay_alu instid0(VALU_DEP_1)
	v_add_nc_u32_e32 v19, v19, v20
	ds_store_b32 v22, v19
.LBB908_31:                             ;   in Loop: Header=BB908_6 Depth=1
	s_or_b32 exec_lo, exec_lo, s13
	v_mov_b32_e32 v19, 0
	s_waitcnt lgkmcnt(0)
	s_barrier
	buffer_gl0_inv
	s_and_saveexec_b32 s13, s9
	s_cbranch_execz .LBB908_33
; %bb.32:                               ;   in Loop: Header=BB908_6 Depth=1
	ds_load_b32 v19, v23
.LBB908_33:                             ;   in Loop: Header=BB908_6 Depth=1
	s_or_b32 exec_lo, exec_lo, s13
	s_waitcnt lgkmcnt(0)
	v_add_nc_u32_e32 v18, v19, v18
	ds_bpermute_b32 v18, v24, v18
	s_and_saveexec_b32 s13, s11
	s_cbranch_execz .LBB908_35
; %bb.34:                               ;   in Loop: Header=BB908_6 Depth=1
	ds_load_b32 v20, v1 offset:60
	s_waitcnt lgkmcnt(0)
	ds_store_b32 v1, v20 offset:33792
.LBB908_35:                             ;   in Loop: Header=BB908_6 Depth=1
	s_or_b32 exec_lo, exec_lo, s13
	s_waitcnt lgkmcnt(0)
	v_cndmask_b32_e64 v18, v18, v19, s10
	s_barrier
	buffer_gl0_inv
	ds_store_2addr_b32 v25, v16, v17 offset1:1
	ds_store_2addr_b32 v25, v12, v13 offset0:2 offset1:3
	ds_store_2addr_b32 v25, v8, v9 offset0:4 offset1:5
	ds_store_2addr_b32 v25, v6, v7 offset0:6 offset1:7
	v_cndmask_b32_e64 v18, v18, 0, s11
	ds_store_2addr_b32 v25, v14, v15 offset0:8 offset1:9
	ds_store_2addr_b32 v25, v10, v11 offset0:10 offset1:11
	;; [unrolled: 1-line block ×4, first 2 shown]
	s_waitcnt lgkmcnt(0)
	s_barrier
	buffer_gl0_inv
	v_add_nc_u32_e32 v19, v18, v16
	ds_load_b32 v108, v26
	ds_load_b32 v98, v27 offset:2048
	ds_load_b32 v97, v28 offset:4096
	ds_load_b32 v96, v29 offset:6144
	ds_load_b32 v95, v30 offset:8192
	ds_load_b32 v94, v31 offset:10240
	ds_load_b32 v93, v32 offset:12288
	ds_load_b32 v92, v33 offset:14336
	ds_load_b32 v91, v34 offset:16384
	ds_load_b32 v90, v35 offset:18432
	ds_load_b32 v89, v36 offset:20480
	ds_load_b32 v88, v37 offset:22528
	ds_load_b32 v87, v38 offset:24576
	ds_load_b32 v86, v40 offset:26624
	ds_load_b32 v85, v41 offset:28672
	ds_load_b32 v84, v42 offset:30720
	s_waitcnt lgkmcnt(0)
	s_barrier
	v_add_nc_u32_e32 v20, v19, v17
	buffer_gl0_inv
	v_add_nc_u32_e32 v99, v20, v12
	s_delay_alu instid0(VALU_DEP_1) | instskip(NEXT) | instid1(VALU_DEP_1)
	v_add_nc_u32_e32 v100, v99, v13
	v_add_nc_u32_e32 v101, v100, v8
	s_delay_alu instid0(VALU_DEP_1) | instskip(NEXT) | instid1(VALU_DEP_1)
	v_add_nc_u32_e32 v102, v101, v9
	;; [unrolled: 3-line block ×6, first 2 shown]
	v_add_nc_u32_e32 v2, v4, v2
	ds_store_2addr_b32 v25, v18, v19 offset1:1
	ds_store_2addr_b32 v25, v20, v99 offset0:2 offset1:3
	ds_store_2addr_b32 v25, v100, v101 offset0:4 offset1:5
	;; [unrolled: 1-line block ×7, first 2 shown]
	s_waitcnt lgkmcnt(0)
	s_barrier
	buffer_gl0_inv
	ds_load_b32 v18, v27 offset:2048
	ds_load_b32 v17, v28 offset:4096
	;; [unrolled: 1-line block ×15, first 2 shown]
	v_add_co_u32 v2, s13, s28, v0
	s_delay_alu instid0(VALU_DEP_1)
	v_add_co_ci_u32_e64 v3, null, s29, 0, s13
	s_mov_b32 s13, exec_lo
	v_cmpx_ne_u32_e32 0, v108
	s_cbranch_execz .LBB908_38
; %bb.36:                               ;   in Loop: Header=BB908_6 Depth=1
	ds_load_b32 v19, v26
	s_waitcnt lgkmcnt(0)
	v_ashrrev_i32_e32 v20, 31, v19
	s_delay_alu instid0(VALU_DEP_1)
	v_cmp_gt_i64_e32 vcc_lo, s[30:31], v[19:20]
	s_and_b32 exec_lo, exec_lo, vcc_lo
	s_cbranch_execz .LBB908_38
; %bb.37:                               ;   in Loop: Header=BB908_6 Depth=1
	v_lshlrev_b64 v[19:20], 3, v[19:20]
	s_delay_alu instid0(VALU_DEP_1) | instskip(NEXT) | instid1(VALU_DEP_2)
	v_add_co_u32 v19, vcc_lo, s37, v19
	v_add_co_ci_u32_e32 v20, vcc_lo, s38, v20, vcc_lo
	global_store_b64 v[19:20], v[2:3], off
.LBB908_38:                             ;   in Loop: Header=BB908_6 Depth=1
	s_or_b32 exec_lo, exec_lo, s13
	s_delay_alu instid0(SALU_CYCLE_1)
	s_mov_b32 s13, exec_lo
	v_cmpx_ne_u32_e32 0, v98
	s_cbranch_execz .LBB908_41
; %bb.39:                               ;   in Loop: Header=BB908_6 Depth=1
	s_waitcnt lgkmcnt(14)
	v_ashrrev_i32_e32 v19, 31, v18
	s_delay_alu instid0(VALU_DEP_1)
	v_cmp_gt_i64_e32 vcc_lo, s[30:31], v[18:19]
	s_and_b32 exec_lo, exec_lo, vcc_lo
	s_cbranch_execz .LBB908_41
; %bb.40:                               ;   in Loop: Header=BB908_6 Depth=1
	s_load_b32 s14, s[0:1], 0xc
	v_lshlrev_b64 v[18:19], 3, v[18:19]
	s_waitcnt lgkmcnt(0)
	s_and_b32 s14, s14, 0xffff
	s_delay_alu instid0(SALU_CYCLE_1) | instskip(SKIP_1) | instid1(VALU_DEP_3)
	v_add_co_u32 v98, vcc_lo, v2, s14
	v_add_co_ci_u32_e32 v99, vcc_lo, 0, v3, vcc_lo
	v_add_co_u32 v18, vcc_lo, s37, v18
	v_add_co_ci_u32_e32 v19, vcc_lo, s38, v19, vcc_lo
	global_store_b64 v[18:19], v[98:99], off
.LBB908_41:                             ;   in Loop: Header=BB908_6 Depth=1
	s_or_b32 exec_lo, exec_lo, s13
	s_delay_alu instid0(SALU_CYCLE_1)
	s_mov_b32 s13, exec_lo
	v_cmpx_ne_u32_e32 0, v97
	s_cbranch_execz .LBB908_44
; %bb.42:                               ;   in Loop: Header=BB908_6 Depth=1
	s_waitcnt lgkmcnt(13)
	v_ashrrev_i32_e32 v18, 31, v17
	s_delay_alu instid0(VALU_DEP_1)
	v_cmp_gt_i64_e32 vcc_lo, s[30:31], v[17:18]
	s_and_b32 exec_lo, exec_lo, vcc_lo
	s_cbranch_execz .LBB908_44
; %bb.43:                               ;   in Loop: Header=BB908_6 Depth=1
	s_load_b32 s14, s[0:1], 0xc
	v_lshlrev_b64 v[17:18], 3, v[17:18]
	s_waitcnt lgkmcnt(0)
	s_and_b32 s14, s14, 0xffff
	s_delay_alu instid0(SALU_CYCLE_1) | instskip(NEXT) | instid1(SALU_CYCLE_1)
	s_lshl_b32 s14, s14, 1
	v_add_co_u32 v19, vcc_lo, v2, s14
	v_add_co_ci_u32_e32 v20, vcc_lo, 0, v3, vcc_lo
	v_add_co_u32 v17, vcc_lo, s37, v17
	v_add_co_ci_u32_e32 v18, vcc_lo, s38, v18, vcc_lo
	global_store_b64 v[17:18], v[19:20], off
.LBB908_44:                             ;   in Loop: Header=BB908_6 Depth=1
	s_or_b32 exec_lo, exec_lo, s13
	s_delay_alu instid0(SALU_CYCLE_1)
	s_mov_b32 s13, exec_lo
	v_cmpx_ne_u32_e32 0, v96
	s_cbranch_execz .LBB908_47
; %bb.45:                               ;   in Loop: Header=BB908_6 Depth=1
	s_waitcnt lgkmcnt(12)
	v_ashrrev_i32_e32 v17, 31, v16
	s_delay_alu instid0(VALU_DEP_1)
	v_cmp_gt_i64_e32 vcc_lo, s[30:31], v[16:17]
	s_and_b32 exec_lo, exec_lo, vcc_lo
	s_cbranch_execz .LBB908_47
; %bb.46:                               ;   in Loop: Header=BB908_6 Depth=1
	s_load_b32 s14, s[0:1], 0xc
	v_lshlrev_b64 v[16:17], 3, v[16:17]
	s_delay_alu instid0(VALU_DEP_1) | instskip(NEXT) | instid1(VALU_DEP_2)
	v_add_co_u32 v16, vcc_lo, s37, v16
	v_add_co_ci_u32_e32 v17, vcc_lo, s38, v17, vcc_lo
	s_waitcnt lgkmcnt(0)
	s_and_b32 s14, s14, 0xffff
	s_delay_alu instid0(SALU_CYCLE_1)
	v_mad_u64_u32 v[18:19], null, s14, 3, v[2:3]
	global_store_b64 v[16:17], v[18:19], off
.LBB908_47:                             ;   in Loop: Header=BB908_6 Depth=1
	s_or_b32 exec_lo, exec_lo, s13
	s_delay_alu instid0(SALU_CYCLE_1)
	s_mov_b32 s13, exec_lo
	v_cmpx_ne_u32_e32 0, v95
	s_cbranch_execz .LBB908_50
; %bb.48:                               ;   in Loop: Header=BB908_6 Depth=1
	s_waitcnt lgkmcnt(11)
	v_ashrrev_i32_e32 v16, 31, v15
	s_delay_alu instid0(VALU_DEP_1)
	v_cmp_gt_i64_e32 vcc_lo, s[30:31], v[15:16]
	s_and_b32 exec_lo, exec_lo, vcc_lo
	s_cbranch_execz .LBB908_50
; %bb.49:                               ;   in Loop: Header=BB908_6 Depth=1
	s_load_b32 s14, s[0:1], 0xc
	v_lshlrev_b64 v[15:16], 3, v[15:16]
	s_waitcnt lgkmcnt(0)
	s_and_b32 s14, s14, 0xffff
	s_delay_alu instid0(SALU_CYCLE_1) | instskip(NEXT) | instid1(SALU_CYCLE_1)
	s_lshl_b32 s14, s14, 2
	v_add_co_u32 v17, vcc_lo, v2, s14
	v_add_co_ci_u32_e32 v18, vcc_lo, 0, v3, vcc_lo
	v_add_co_u32 v15, vcc_lo, s37, v15
	v_add_co_ci_u32_e32 v16, vcc_lo, s38, v16, vcc_lo
	global_store_b64 v[15:16], v[17:18], off
.LBB908_50:                             ;   in Loop: Header=BB908_6 Depth=1
	s_or_b32 exec_lo, exec_lo, s13
	s_delay_alu instid0(SALU_CYCLE_1)
	s_mov_b32 s13, exec_lo
	v_cmpx_ne_u32_e32 0, v94
	s_cbranch_execz .LBB908_53
; %bb.51:                               ;   in Loop: Header=BB908_6 Depth=1
	s_waitcnt lgkmcnt(10)
	v_ashrrev_i32_e32 v15, 31, v14
	s_delay_alu instid0(VALU_DEP_1)
	v_cmp_gt_i64_e32 vcc_lo, s[30:31], v[14:15]
	s_and_b32 exec_lo, exec_lo, vcc_lo
	s_cbranch_execz .LBB908_53
; %bb.52:                               ;   in Loop: Header=BB908_6 Depth=1
	s_load_b32 s14, s[0:1], 0xc
	v_lshlrev_b64 v[14:15], 3, v[14:15]
	s_delay_alu instid0(VALU_DEP_1) | instskip(NEXT) | instid1(VALU_DEP_2)
	v_add_co_u32 v14, vcc_lo, s37, v14
	v_add_co_ci_u32_e32 v15, vcc_lo, s38, v15, vcc_lo
	s_waitcnt lgkmcnt(0)
	s_and_b32 s14, s14, 0xffff
	s_delay_alu instid0(SALU_CYCLE_1)
	v_mad_u64_u32 v[16:17], null, s14, 5, v[2:3]
	global_store_b64 v[14:15], v[16:17], off
.LBB908_53:                             ;   in Loop: Header=BB908_6 Depth=1
	s_or_b32 exec_lo, exec_lo, s13
	s_delay_alu instid0(SALU_CYCLE_1)
	s_mov_b32 s13, exec_lo
	v_cmpx_ne_u32_e32 0, v93
	s_cbranch_execz .LBB908_56
; %bb.54:                               ;   in Loop: Header=BB908_6 Depth=1
	s_waitcnt lgkmcnt(9)
	v_ashrrev_i32_e32 v14, 31, v13
	s_delay_alu instid0(VALU_DEP_1)
	v_cmp_gt_i64_e32 vcc_lo, s[30:31], v[13:14]
	s_and_b32 exec_lo, exec_lo, vcc_lo
	s_cbranch_execz .LBB908_56
; %bb.55:                               ;   in Loop: Header=BB908_6 Depth=1
	s_load_b32 s14, s[0:1], 0xc
	v_lshlrev_b64 v[13:14], 3, v[13:14]
	s_delay_alu instid0(VALU_DEP_1) | instskip(NEXT) | instid1(VALU_DEP_2)
	v_add_co_u32 v13, vcc_lo, s37, v13
	v_add_co_ci_u32_e32 v14, vcc_lo, s38, v14, vcc_lo
	s_waitcnt lgkmcnt(0)
	s_and_b32 s14, s14, 0xffff
	s_delay_alu instid0(SALU_CYCLE_1)
	v_mad_u64_u32 v[15:16], null, s14, 6, v[2:3]
	global_store_b64 v[13:14], v[15:16], off
.LBB908_56:                             ;   in Loop: Header=BB908_6 Depth=1
	;; [unrolled: 24-line block ×3, first 2 shown]
	s_or_b32 exec_lo, exec_lo, s13
	s_delay_alu instid0(SALU_CYCLE_1)
	s_mov_b32 s13, exec_lo
	v_cmpx_ne_u32_e32 0, v91
	s_cbranch_execz .LBB908_62
; %bb.60:                               ;   in Loop: Header=BB908_6 Depth=1
	s_waitcnt lgkmcnt(7)
	v_ashrrev_i32_e32 v12, 31, v11
	s_delay_alu instid0(VALU_DEP_1)
	v_cmp_gt_i64_e32 vcc_lo, s[30:31], v[11:12]
	s_and_b32 exec_lo, exec_lo, vcc_lo
	s_cbranch_execz .LBB908_62
; %bb.61:                               ;   in Loop: Header=BB908_6 Depth=1
	s_load_b32 s14, s[0:1], 0xc
	v_lshlrev_b64 v[11:12], 3, v[11:12]
	s_waitcnt lgkmcnt(0)
	s_and_b32 s14, s14, 0xffff
	s_delay_alu instid0(SALU_CYCLE_1) | instskip(NEXT) | instid1(SALU_CYCLE_1)
	s_lshl_b32 s14, s14, 3
	v_add_co_u32 v13, vcc_lo, v2, s14
	v_add_co_ci_u32_e32 v14, vcc_lo, 0, v3, vcc_lo
	v_add_co_u32 v11, vcc_lo, s37, v11
	v_add_co_ci_u32_e32 v12, vcc_lo, s38, v12, vcc_lo
	global_store_b64 v[11:12], v[13:14], off
.LBB908_62:                             ;   in Loop: Header=BB908_6 Depth=1
	s_or_b32 exec_lo, exec_lo, s13
	s_delay_alu instid0(SALU_CYCLE_1)
	s_mov_b32 s13, exec_lo
	v_cmpx_ne_u32_e32 0, v90
	s_cbranch_execz .LBB908_65
; %bb.63:                               ;   in Loop: Header=BB908_6 Depth=1
	s_waitcnt lgkmcnt(6)
	v_ashrrev_i32_e32 v11, 31, v10
	s_delay_alu instid0(VALU_DEP_1)
	v_cmp_gt_i64_e32 vcc_lo, s[30:31], v[10:11]
	s_and_b32 exec_lo, exec_lo, vcc_lo
	s_cbranch_execz .LBB908_65
; %bb.64:                               ;   in Loop: Header=BB908_6 Depth=1
	s_load_b32 s14, s[0:1], 0xc
	v_lshlrev_b64 v[10:11], 3, v[10:11]
	s_delay_alu instid0(VALU_DEP_1) | instskip(NEXT) | instid1(VALU_DEP_2)
	v_add_co_u32 v10, vcc_lo, s37, v10
	v_add_co_ci_u32_e32 v11, vcc_lo, s38, v11, vcc_lo
	s_waitcnt lgkmcnt(0)
	s_and_b32 s14, s14, 0xffff
	s_delay_alu instid0(SALU_CYCLE_1)
	v_mad_u64_u32 v[12:13], null, s14, 9, v[2:3]
	global_store_b64 v[10:11], v[12:13], off
.LBB908_65:                             ;   in Loop: Header=BB908_6 Depth=1
	s_or_b32 exec_lo, exec_lo, s13
	s_delay_alu instid0(SALU_CYCLE_1)
	s_mov_b32 s13, exec_lo
	v_cmpx_ne_u32_e32 0, v89
	s_cbranch_execz .LBB908_68
; %bb.66:                               ;   in Loop: Header=BB908_6 Depth=1
	s_waitcnt lgkmcnt(5)
	v_ashrrev_i32_e32 v10, 31, v9
	s_delay_alu instid0(VALU_DEP_1)
	v_cmp_gt_i64_e32 vcc_lo, s[30:31], v[9:10]
	s_and_b32 exec_lo, exec_lo, vcc_lo
	s_cbranch_execz .LBB908_68
; %bb.67:                               ;   in Loop: Header=BB908_6 Depth=1
	s_load_b32 s14, s[0:1], 0xc
	v_lshlrev_b64 v[9:10], 3, v[9:10]
	s_delay_alu instid0(VALU_DEP_1) | instskip(NEXT) | instid1(VALU_DEP_2)
	v_add_co_u32 v9, vcc_lo, s37, v9
	v_add_co_ci_u32_e32 v10, vcc_lo, s38, v10, vcc_lo
	s_waitcnt lgkmcnt(0)
	s_and_b32 s14, s14, 0xffff
	s_delay_alu instid0(SALU_CYCLE_1)
	v_mad_u64_u32 v[11:12], null, s14, 10, v[2:3]
	global_store_b64 v[9:10], v[11:12], off
.LBB908_68:                             ;   in Loop: Header=BB908_6 Depth=1
	;; [unrolled: 24-line block ×6, first 2 shown]
	s_or_b32 exec_lo, exec_lo, s13
	s_delay_alu instid0(SALU_CYCLE_1)
	s_mov_b32 s13, exec_lo
	v_cmpx_ne_u32_e32 0, v84
	s_cbranch_execz .LBB908_83
; %bb.81:                               ;   in Loop: Header=BB908_6 Depth=1
	s_waitcnt lgkmcnt(0)
	v_ashrrev_i32_e32 v5, 31, v4
	s_delay_alu instid0(VALU_DEP_1)
	v_cmp_gt_i64_e32 vcc_lo, s[30:31], v[4:5]
	s_and_b32 exec_lo, exec_lo, vcc_lo
	s_cbranch_execz .LBB908_83
; %bb.82:                               ;   in Loop: Header=BB908_6 Depth=1
	s_load_b32 s14, s[0:1], 0xc
	v_lshlrev_b64 v[4:5], 3, v[4:5]
	s_waitcnt lgkmcnt(0)
	s_and_b32 s14, s14, 0xffff
	s_delay_alu instid0(SALU_CYCLE_1) | instskip(NEXT) | instid1(VALU_DEP_2)
	v_mad_u64_u32 v[6:7], null, s14, 15, v[2:3]
	v_add_co_u32 v2, vcc_lo, s37, v4
	s_delay_alu instid0(VALU_DEP_3)
	v_add_co_ci_u32_e32 v3, vcc_lo, s38, v5, vcc_lo
	global_store_b64 v[2:3], v[6:7], off
.LBB908_83:                             ;   in Loop: Header=BB908_6 Depth=1
	s_or_b32 exec_lo, exec_lo, s13
	ds_load_b32 v2, v1 offset:33792
	v_cmp_gt_i64_e64 s13, 0x2001, s[34:35]
	s_waitcnt lgkmcnt(0)
	v_readfirstlane_b32 s14, v2
	s_delay_alu instid0(VALU_DEP_1) | instskip(SKIP_2) | instid1(SALU_CYCLE_1)
	s_ashr_i32 s15, s14, 31
	s_sub_u32 s30, s30, s14
	s_subb_u32 s31, s31, s15
	v_cmp_lt_i64_e64 s16, s[30:31], 1
	s_delay_alu instid0(VALU_DEP_1) | instskip(NEXT) | instid1(SALU_CYCLE_1)
	s_or_b32 s13, s13, s16
	s_and_b32 vcc_lo, exec_lo, s13
	s_cbranch_vccnz .LBB908_5
; %bb.84:                               ;   in Loop: Header=BB908_6 Depth=1
	s_add_u32 s28, s28, 0x2000
	s_addc_u32 s29, s29, 0
	s_add_u32 s33, s33, 0x4000
	s_addc_u32 s36, s36, 0
	s_lshl_b64 s[14:15], s[14:15], 3
	s_waitcnt_vscnt null, 0x0
	s_add_u32 s37, s37, s14
	s_addc_u32 s38, s38, s15
	s_barrier
	buffer_gl0_inv
	s_branch .LBB908_5
.LBB908_85:                             ;   in Loop: Header=BB908_6 Depth=1
	global_load_u16 v20, v[18:19], off
	v_mov_b32_e32 v15, v1
	v_mov_b32_e32 v2, v1
	;; [unrolled: 1-line block ×15, first 2 shown]
	s_delay_alu instid0(VALU_DEP_2)
	v_dual_mov_b32 v16, v14 :: v_dual_mov_b32 v15, v13
	v_mov_b32_e32 v14, v12
	v_mov_b32_e32 v13, v11
	;; [unrolled: 1-line block ×13, first 2 shown]
	s_waitcnt vmcnt(0)
	v_cmp_ne_u16_e32 vcc_lo, 0, v20
	v_cndmask_b32_e64 v2, 0, 1, vcc_lo
	s_or_b32 exec_lo, exec_lo, s13
	s_delay_alu instid0(SALU_CYCLE_1)
	s_mov_b32 s13, exec_lo
	v_cmpx_gt_u32_e64 s34, v43
	s_cbranch_execz .LBB908_9
.LBB908_86:                             ;   in Loop: Header=BB908_6 Depth=1
	global_load_u16 v3, v[18:19], off offset:64
	s_waitcnt vmcnt(0)
	v_cmp_ne_u16_e32 vcc_lo, 0, v3
	v_cndmask_b32_e64 v3, 0, 1, vcc_lo
	s_or_b32 exec_lo, exec_lo, s13
	s_delay_alu instid0(SALU_CYCLE_1)
	s_mov_b32 s13, exec_lo
	v_cmpx_gt_u32_e64 s34, v44
	s_cbranch_execz .LBB908_10
.LBB908_87:                             ;   in Loop: Header=BB908_6 Depth=1
	global_load_u16 v4, v[18:19], off offset:128
	s_waitcnt vmcnt(0)
	v_cmp_ne_u16_e32 vcc_lo, 0, v4
	v_cndmask_b32_e64 v4, 0, 1, vcc_lo
	s_or_b32 exec_lo, exec_lo, s13
	s_delay_alu instid0(SALU_CYCLE_1)
	s_mov_b32 s13, exec_lo
	v_cmpx_gt_u32_e64 s34, v45
	s_cbranch_execz .LBB908_11
.LBB908_88:                             ;   in Loop: Header=BB908_6 Depth=1
	global_load_u16 v5, v[18:19], off offset:192
	s_waitcnt vmcnt(0)
	v_cmp_ne_u16_e32 vcc_lo, 0, v5
	v_cndmask_b32_e64 v5, 0, 1, vcc_lo
	s_or_b32 exec_lo, exec_lo, s13
	s_delay_alu instid0(SALU_CYCLE_1)
	s_mov_b32 s13, exec_lo
	v_cmpx_gt_u32_e64 s34, v46
	s_cbranch_execz .LBB908_12
.LBB908_89:                             ;   in Loop: Header=BB908_6 Depth=1
	global_load_u16 v6, v[18:19], off offset:256
	s_waitcnt vmcnt(0)
	v_cmp_ne_u16_e32 vcc_lo, 0, v6
	v_cndmask_b32_e64 v6, 0, 1, vcc_lo
	s_or_b32 exec_lo, exec_lo, s13
	s_delay_alu instid0(SALU_CYCLE_1)
	s_mov_b32 s13, exec_lo
	v_cmpx_gt_u32_e64 s34, v47
	s_cbranch_execz .LBB908_13
.LBB908_90:                             ;   in Loop: Header=BB908_6 Depth=1
	global_load_u16 v7, v[18:19], off offset:320
	s_waitcnt vmcnt(0)
	v_cmp_ne_u16_e32 vcc_lo, 0, v7
	v_cndmask_b32_e64 v7, 0, 1, vcc_lo
	s_or_b32 exec_lo, exec_lo, s13
	s_delay_alu instid0(SALU_CYCLE_1)
	s_mov_b32 s13, exec_lo
	v_cmpx_gt_u32_e64 s34, v48
	s_cbranch_execz .LBB908_14
.LBB908_91:                             ;   in Loop: Header=BB908_6 Depth=1
	global_load_u16 v8, v[18:19], off offset:384
	s_waitcnt vmcnt(0)
	v_cmp_ne_u16_e32 vcc_lo, 0, v8
	v_cndmask_b32_e64 v8, 0, 1, vcc_lo
	s_or_b32 exec_lo, exec_lo, s13
	s_delay_alu instid0(SALU_CYCLE_1)
	s_mov_b32 s13, exec_lo
	v_cmpx_gt_u32_e64 s34, v49
	s_cbranch_execz .LBB908_15
.LBB908_92:                             ;   in Loop: Header=BB908_6 Depth=1
	global_load_u16 v9, v[18:19], off offset:448
	s_waitcnt vmcnt(0)
	v_cmp_ne_u16_e32 vcc_lo, 0, v9
	v_cndmask_b32_e64 v9, 0, 1, vcc_lo
	s_or_b32 exec_lo, exec_lo, s13
	s_delay_alu instid0(SALU_CYCLE_1)
	s_mov_b32 s13, exec_lo
	v_cmpx_gt_u32_e64 s34, v50
	s_cbranch_execz .LBB908_16
.LBB908_93:                             ;   in Loop: Header=BB908_6 Depth=1
	global_load_u16 v10, v[18:19], off offset:512
	s_waitcnt vmcnt(0)
	v_cmp_ne_u16_e32 vcc_lo, 0, v10
	v_cndmask_b32_e64 v10, 0, 1, vcc_lo
	s_or_b32 exec_lo, exec_lo, s13
	s_delay_alu instid0(SALU_CYCLE_1)
	s_mov_b32 s13, exec_lo
	v_cmpx_gt_u32_e64 s34, v51
	s_cbranch_execz .LBB908_17
.LBB908_94:                             ;   in Loop: Header=BB908_6 Depth=1
	global_load_u16 v11, v[18:19], off offset:576
	s_waitcnt vmcnt(0)
	v_cmp_ne_u16_e32 vcc_lo, 0, v11
	v_cndmask_b32_e64 v11, 0, 1, vcc_lo
	s_or_b32 exec_lo, exec_lo, s13
	s_delay_alu instid0(SALU_CYCLE_1)
	s_mov_b32 s13, exec_lo
	v_cmpx_gt_u32_e64 s34, v52
	s_cbranch_execz .LBB908_18
.LBB908_95:                             ;   in Loop: Header=BB908_6 Depth=1
	global_load_u16 v12, v[18:19], off offset:640
	s_waitcnt vmcnt(0)
	v_cmp_ne_u16_e32 vcc_lo, 0, v12
	v_cndmask_b32_e64 v12, 0, 1, vcc_lo
	s_or_b32 exec_lo, exec_lo, s13
	s_delay_alu instid0(SALU_CYCLE_1)
	s_mov_b32 s13, exec_lo
	v_cmpx_gt_u32_e64 s34, v53
	s_cbranch_execz .LBB908_19
.LBB908_96:                             ;   in Loop: Header=BB908_6 Depth=1
	global_load_u16 v13, v[18:19], off offset:704
	s_waitcnt vmcnt(0)
	v_cmp_ne_u16_e32 vcc_lo, 0, v13
	v_cndmask_b32_e64 v13, 0, 1, vcc_lo
	s_or_b32 exec_lo, exec_lo, s13
	s_delay_alu instid0(SALU_CYCLE_1)
	s_mov_b32 s13, exec_lo
	v_cmpx_gt_u32_e64 s34, v54
	s_cbranch_execz .LBB908_20
.LBB908_97:                             ;   in Loop: Header=BB908_6 Depth=1
	global_load_u16 v14, v[18:19], off offset:768
	s_waitcnt vmcnt(0)
	v_cmp_ne_u16_e32 vcc_lo, 0, v14
	v_cndmask_b32_e64 v14, 0, 1, vcc_lo
	s_or_b32 exec_lo, exec_lo, s13
	s_delay_alu instid0(SALU_CYCLE_1)
	s_mov_b32 s13, exec_lo
	v_cmpx_gt_u32_e64 s34, v55
	s_cbranch_execz .LBB908_21
.LBB908_98:                             ;   in Loop: Header=BB908_6 Depth=1
	global_load_u16 v15, v[18:19], off offset:832
	s_waitcnt vmcnt(0)
	v_cmp_ne_u16_e32 vcc_lo, 0, v15
	v_cndmask_b32_e64 v15, 0, 1, vcc_lo
	s_or_b32 exec_lo, exec_lo, s13
	s_delay_alu instid0(SALU_CYCLE_1)
	s_mov_b32 s13, exec_lo
	v_cmpx_gt_u32_e64 s34, v56
	s_cbranch_execz .LBB908_22
.LBB908_99:                             ;   in Loop: Header=BB908_6 Depth=1
	global_load_u16 v16, v[18:19], off offset:896
	s_waitcnt vmcnt(0)
	v_cmp_ne_u16_e32 vcc_lo, 0, v16
	v_cndmask_b32_e64 v16, 0, 1, vcc_lo
	s_or_b32 exec_lo, exec_lo, s13
	s_delay_alu instid0(SALU_CYCLE_1)
	s_mov_b32 s13, exec_lo
	v_cmpx_gt_u32_e64 s34, v57
	s_cbranch_execnz .LBB908_23
	s_branch .LBB908_24
.LBB908_100:
	s_nop 0
	s_sendmsg sendmsg(MSG_DEALLOC_VGPRS)
	s_endpgm
	.section	.rodata,"a",@progbits
	.p2align	6, 0x0
	.amdhsa_kernel _ZN2at6native12_GLOBAL__N_111flag_kernelILi512ELi16EsEEvPKT1_PlPKllli
		.amdhsa_group_segment_fixed_size 33796
		.amdhsa_private_segment_fixed_size 0
		.amdhsa_kernarg_size 304
		.amdhsa_user_sgpr_count 15
		.amdhsa_user_sgpr_dispatch_ptr 0
		.amdhsa_user_sgpr_queue_ptr 0
		.amdhsa_user_sgpr_kernarg_segment_ptr 1
		.amdhsa_user_sgpr_dispatch_id 0
		.amdhsa_user_sgpr_private_segment_size 0
		.amdhsa_wavefront_size32 1
		.amdhsa_uses_dynamic_stack 0
		.amdhsa_enable_private_segment 0
		.amdhsa_system_sgpr_workgroup_id_x 1
		.amdhsa_system_sgpr_workgroup_id_y 0
		.amdhsa_system_sgpr_workgroup_id_z 0
		.amdhsa_system_sgpr_workgroup_info 0
		.amdhsa_system_vgpr_workitem_id 0
		.amdhsa_next_free_vgpr 109
		.amdhsa_next_free_sgpr 40
		.amdhsa_reserve_vcc 1
		.amdhsa_float_round_mode_32 0
		.amdhsa_float_round_mode_16_64 0
		.amdhsa_float_denorm_mode_32 3
		.amdhsa_float_denorm_mode_16_64 3
		.amdhsa_dx10_clamp 1
		.amdhsa_ieee_mode 1
		.amdhsa_fp16_overflow 0
		.amdhsa_workgroup_processor_mode 1
		.amdhsa_memory_ordered 1
		.amdhsa_forward_progress 0
		.amdhsa_shared_vgpr_count 0
		.amdhsa_exception_fp_ieee_invalid_op 0
		.amdhsa_exception_fp_denorm_src 0
		.amdhsa_exception_fp_ieee_div_zero 0
		.amdhsa_exception_fp_ieee_overflow 0
		.amdhsa_exception_fp_ieee_underflow 0
		.amdhsa_exception_fp_ieee_inexact 0
		.amdhsa_exception_int_div_zero 0
	.end_amdhsa_kernel
	.section	.text._ZN2at6native12_GLOBAL__N_111flag_kernelILi512ELi16EsEEvPKT1_PlPKllli,"axG",@progbits,_ZN2at6native12_GLOBAL__N_111flag_kernelILi512ELi16EsEEvPKT1_PlPKllli,comdat
.Lfunc_end908:
	.size	_ZN2at6native12_GLOBAL__N_111flag_kernelILi512ELi16EsEEvPKT1_PlPKllli, .Lfunc_end908-_ZN2at6native12_GLOBAL__N_111flag_kernelILi512ELi16EsEEvPKT1_PlPKllli
                                        ; -- End function
	.section	.AMDGPU.csdata,"",@progbits
; Kernel info:
; codeLenInByte = 6260
; NumSgprs: 42
; NumVgprs: 109
; ScratchSize: 0
; MemoryBound: 0
; FloatMode: 240
; IeeeMode: 1
; LDSByteSize: 33796 bytes/workgroup (compile time only)
; SGPRBlocks: 5
; VGPRBlocks: 13
; NumSGPRsForWavesPerEU: 42
; NumVGPRsForWavesPerEU: 109
; Occupancy: 12
; WaveLimiterHint : 0
; COMPUTE_PGM_RSRC2:SCRATCH_EN: 0
; COMPUTE_PGM_RSRC2:USER_SGPR: 15
; COMPUTE_PGM_RSRC2:TRAP_HANDLER: 0
; COMPUTE_PGM_RSRC2:TGID_X_EN: 1
; COMPUTE_PGM_RSRC2:TGID_Y_EN: 0
; COMPUTE_PGM_RSRC2:TGID_Z_EN: 0
; COMPUTE_PGM_RSRC2:TIDIG_COMP_CNT: 0
	.section	.text._ZN2at4cuda3cub15calc_block_sumsILi512ELi16ELb1EdiEEvPKT2_PT3_li,"axG",@progbits,_ZN2at4cuda3cub15calc_block_sumsILi512ELi16ELb1EdiEEvPKT2_PT3_li,comdat
	.protected	_ZN2at4cuda3cub15calc_block_sumsILi512ELi16ELb1EdiEEvPKT2_PT3_li ; -- Begin function _ZN2at4cuda3cub15calc_block_sumsILi512ELi16ELb1EdiEEvPKT2_PT3_li
	.globl	_ZN2at4cuda3cub15calc_block_sumsILi512ELi16ELb1EdiEEvPKT2_PT3_li
	.p2align	8
	.type	_ZN2at4cuda3cub15calc_block_sumsILi512ELi16ELb1EdiEEvPKT2_PT3_li,@function
_ZN2at4cuda3cub15calc_block_sumsILi512ELi16ELb1EdiEEvPKT2_PT3_li: ; @_ZN2at4cuda3cub15calc_block_sumsILi512ELi16ELb1EdiEEvPKT2_PT3_li
; %bb.0:
	s_clause 0x1
	s_load_b32 s26, s[0:1], 0x18
	s_load_b64 s[4:5], s[0:1], 0x10
	s_waitcnt lgkmcnt(0)
	s_lshl_b32 s3, s26, 13
	s_delay_alu instid0(SALU_CYCLE_1)
	s_ashr_i32 s6, s3, 31
	s_mul_hi_u32 s8, s3, s15
	s_mul_i32 s7, s6, s15
	s_mul_i32 s6, s3, s15
	s_add_i32 s7, s8, s7
	s_sub_u32 s24, s4, s6
	s_subb_u32 s25, s5, s7
	s_delay_alu instid0(SALU_CYCLE_1) | instskip(NEXT) | instid1(VALU_DEP_1)
	v_cmp_lt_i64_e64 s3, s[24:25], 1
	s_and_b32 vcc_lo, exec_lo, s3
	s_cbranch_vccnz .LBB909_58
; %bb.1:
	s_load_b128 s[20:23], s[0:1], 0x0
	s_mov_b32 s2, s15
	s_cmp_gt_i32 s26, 0
	s_mov_b32 s3, 0
	s_cbranch_scc1 .LBB909_3
; %bb.2:
	s_mov_b32 s0, 0
	s_mov_b32 s1, s3
	v_mov_b32_e32 v21, s0
	s_and_not1_b32 vcc_lo, exec_lo, s1
	s_mov_b32 s5, s3
	s_cbranch_vccz .LBB909_4
	s_branch .LBB909_56
.LBB909_3:
                                        ; implicit-def: $sgpr0
	v_mov_b32_e32 v21, s0
	s_mov_b32 s5, s3
.LBB909_4:
	v_lshrrev_b32_e32 v1, 3, v0
	s_mul_i32 s0, s2, s26
	v_dual_mov_b32 v21, 0 :: v_dual_add_nc_u32 v22, 0x200, v0
	s_lshl_b32 s1, s0, 13
	s_delay_alu instid0(VALU_DEP_2)
	v_dual_mov_b32 v2, 0 :: v_dual_and_b32 v37, 0x7c, v1
	v_lshlrev_b32_e32 v1, 3, v0
	s_sub_i32 s27, s4, s1
	s_lshl_b64 s[4:5], s[6:7], 3
	v_or_b32_e32 v23, 0x400, v0
	s_waitcnt lgkmcnt(0)
	s_add_u32 s1, s20, s4
	s_addc_u32 s4, s21, s5
	v_add_co_u32 v19, s1, s1, v1
	v_add_nc_u32_e32 v24, 0x600, v0
	v_or_b32_e32 v25, 0x800, v0
	v_add_nc_u32_e32 v26, 0xa00, v0
	v_or_b32_e32 v27, 0xc00, v0
	;; [unrolled: 2-line block ×6, first 2 shown]
	v_add_nc_u32_e32 v36, 0x1e00, v0
	v_cmp_gt_u32_e64 s0, 32, v0
	v_add_co_ci_u32_e64 v20, null, s4, 0, s1
	v_mbcnt_lo_u32_b32 v38, -1, 0
	s_mov_b32 s4, 0
	s_mov_b32 s1, -1
	s_mov_b32 s20, 0
	v_cmp_gt_i64_e64 s5, 0x2000, s[24:25]
                                        ; implicit-def: $vgpr1
	s_delay_alu instid0(VALU_DEP_1)
	s_and_b32 vcc_lo, exec_lo, s5
	s_mov_b32 s5, -1
	s_cbranch_vccnz .LBB909_8
.LBB909_5:
	s_and_b32 vcc_lo, exec_lo, s5
	s_cbranch_vccnz .LBB909_30
.LBB909_6:
	v_cmp_lt_i64_e64 s5, 0x2000, s[24:25]
	s_delay_alu instid0(VALU_DEP_2) | instskip(NEXT) | instid1(VALU_DEP_2)
	v_add_nc_u32_e32 v21, v1, v21
	s_and_b32 vcc_lo, exec_lo, s5
	s_cbranch_vccz .LBB909_35
.LBB909_7:
	s_add_u32 s24, s24, 0xffffe000
	s_addc_u32 s25, s25, -1
	s_add_i32 s20, s20, 1
	v_add_co_u32 v19, vcc_lo, 0x10000, v19
	s_cmp_lt_i32 s20, s26
	v_add_co_ci_u32_e32 v20, vcc_lo, 0, v20, vcc_lo
	s_cselect_b32 s5, -1, 0
	s_addk_i32 s27, 0xe000
	s_cmp_eq_u32 s26, s20
	s_mov_b32 s6, 0
	s_cselect_b32 s7, -1, 0
	s_barrier
	buffer_gl0_inv
	s_and_not1_b32 vcc_lo, exec_lo, s7
	s_cbranch_vccnz .LBB909_36
	s_branch .LBB909_52
.LBB909_8:
	s_mov_b32 s5, s4
	s_mov_b32 s6, s4
	;; [unrolled: 1-line block ×15, first 2 shown]
	v_dual_mov_b32 v3, s4 :: v_dual_mov_b32 v4, s5
	v_dual_mov_b32 v5, s6 :: v_dual_mov_b32 v6, s7
	;; [unrolled: 1-line block ×8, first 2 shown]
	s_mov_b32 s5, exec_lo
	v_cmpx_gt_u32_e64 s27, v0
	s_cbranch_execnz .LBB909_37
; %bb.9:
	s_or_b32 exec_lo, exec_lo, s5
	s_delay_alu instid0(SALU_CYCLE_1)
	s_mov_b32 s5, exec_lo
	v_cmpx_gt_u32_e64 s27, v22
	s_cbranch_execnz .LBB909_38
.LBB909_10:
	s_or_b32 exec_lo, exec_lo, s5
	s_delay_alu instid0(SALU_CYCLE_1)
	s_mov_b32 s5, exec_lo
	v_cmpx_gt_u32_e64 s27, v23
	s_cbranch_execnz .LBB909_39
.LBB909_11:
	s_or_b32 exec_lo, exec_lo, s5
	s_delay_alu instid0(SALU_CYCLE_1)
	s_mov_b32 s5, exec_lo
	v_cmpx_gt_u32_e64 s27, v24
	s_cbranch_execnz .LBB909_40
.LBB909_12:
	s_or_b32 exec_lo, exec_lo, s5
	s_delay_alu instid0(SALU_CYCLE_1)
	s_mov_b32 s5, exec_lo
	v_cmpx_gt_u32_e64 s27, v25
	s_cbranch_execnz .LBB909_41
.LBB909_13:
	s_or_b32 exec_lo, exec_lo, s5
	s_delay_alu instid0(SALU_CYCLE_1)
	s_mov_b32 s5, exec_lo
	v_cmpx_gt_u32_e64 s27, v26
	s_cbranch_execnz .LBB909_42
.LBB909_14:
	s_or_b32 exec_lo, exec_lo, s5
	s_delay_alu instid0(SALU_CYCLE_1)
	s_mov_b32 s5, exec_lo
	v_cmpx_gt_u32_e64 s27, v27
	s_cbranch_execnz .LBB909_43
.LBB909_15:
	s_or_b32 exec_lo, exec_lo, s5
	s_delay_alu instid0(SALU_CYCLE_1)
	s_mov_b32 s5, exec_lo
	v_cmpx_gt_u32_e64 s27, v28
	s_cbranch_execnz .LBB909_44
.LBB909_16:
	s_or_b32 exec_lo, exec_lo, s5
	s_delay_alu instid0(SALU_CYCLE_1)
	s_mov_b32 s5, exec_lo
	v_cmpx_gt_u32_e64 s27, v29
	s_cbranch_execnz .LBB909_45
.LBB909_17:
	s_or_b32 exec_lo, exec_lo, s5
	s_delay_alu instid0(SALU_CYCLE_1)
	s_mov_b32 s5, exec_lo
	v_cmpx_gt_u32_e64 s27, v30
	s_cbranch_execnz .LBB909_46
.LBB909_18:
	s_or_b32 exec_lo, exec_lo, s5
	s_delay_alu instid0(SALU_CYCLE_1)
	s_mov_b32 s5, exec_lo
	v_cmpx_gt_u32_e64 s27, v31
	s_cbranch_execnz .LBB909_47
.LBB909_19:
	s_or_b32 exec_lo, exec_lo, s5
	s_delay_alu instid0(SALU_CYCLE_1)
	s_mov_b32 s5, exec_lo
	v_cmpx_gt_u32_e64 s27, v32
	s_cbranch_execnz .LBB909_48
.LBB909_20:
	s_or_b32 exec_lo, exec_lo, s5
	s_delay_alu instid0(SALU_CYCLE_1)
	s_mov_b32 s5, exec_lo
	v_cmpx_gt_u32_e64 s27, v33
	s_cbranch_execnz .LBB909_49
.LBB909_21:
	s_or_b32 exec_lo, exec_lo, s5
	s_delay_alu instid0(SALU_CYCLE_1)
	s_mov_b32 s5, exec_lo
	v_cmpx_gt_u32_e64 s27, v34
	s_cbranch_execnz .LBB909_50
.LBB909_22:
	s_or_b32 exec_lo, exec_lo, s5
	s_delay_alu instid0(SALU_CYCLE_1)
	s_mov_b32 s5, exec_lo
	v_cmpx_gt_u32_e64 s27, v35
	s_cbranch_execnz .LBB909_51
.LBB909_23:
	s_or_b32 exec_lo, exec_lo, s5
	s_delay_alu instid0(SALU_CYCLE_1)
	s_mov_b32 s5, exec_lo
	v_cmpx_gt_u32_e64 s27, v36
	s_cbranch_execz .LBB909_25
.LBB909_24:
	v_add_co_u32 v39, vcc_lo, 0xf000, v19
	v_add_co_ci_u32_e32 v40, vcc_lo, 0, v20, vcc_lo
	global_load_b64 v[39:40], v[39:40], off
	s_waitcnt vmcnt(0)
	v_cmp_neq_f64_e32 vcc_lo, 0, v[39:40]
	v_cndmask_b32_e64 v18, 0, 1, vcc_lo
.LBB909_25:
	s_or_b32 exec_lo, exec_lo, s5
	v_add_nc_u32_e32 v1, v4, v3
	s_mov_b32 s5, exec_lo
	s_barrier
	buffer_gl0_inv
	v_add3_u32 v1, v1, v5, v6
	s_delay_alu instid0(VALU_DEP_1) | instskip(NEXT) | instid1(VALU_DEP_1)
	v_add3_u32 v1, v1, v7, v8
	v_add3_u32 v1, v1, v9, v10
	s_delay_alu instid0(VALU_DEP_1) | instskip(NEXT) | instid1(VALU_DEP_1)
	v_add3_u32 v1, v1, v11, v12
	;; [unrolled: 3-line block ×3, first 2 shown]
	v_add3_u32 v1, v1, v17, v18
	s_delay_alu instid0(VALU_DEP_1) | instskip(NEXT) | instid1(VALU_DEP_1)
	v_mov_b32_dpp v3, v1 quad_perm:[1,0,3,2] row_mask:0xf bank_mask:0xf
	v_add_nc_u32_e32 v1, v1, v3
	s_delay_alu instid0(VALU_DEP_1) | instskip(NEXT) | instid1(VALU_DEP_1)
	v_mov_b32_dpp v3, v1 quad_perm:[2,3,0,1] row_mask:0xf bank_mask:0xf
	v_add_nc_u32_e32 v1, v1, v3
	s_delay_alu instid0(VALU_DEP_1) | instskip(NEXT) | instid1(VALU_DEP_1)
	v_mov_b32_dpp v3, v1 row_ror:4 row_mask:0xf bank_mask:0xf
	v_add_nc_u32_e32 v1, v1, v3
	s_delay_alu instid0(VALU_DEP_1) | instskip(NEXT) | instid1(VALU_DEP_1)
	v_mov_b32_dpp v3, v1 row_ror:8 row_mask:0xf bank_mask:0xf
	v_add_nc_u32_e32 v1, v1, v3
	ds_swizzle_b32 v3, v1 offset:swizzle(BROADCAST,32,15)
	s_waitcnt lgkmcnt(0)
	v_add_nc_u32_e32 v1, v1, v3
	ds_bpermute_b32 v1, v2, v1 offset:124
	v_cmpx_eq_u32_e32 0, v38
	s_cbranch_execz .LBB909_27
; %bb.26:
	s_waitcnt lgkmcnt(0)
	ds_store_b32 v37, v1
.LBB909_27:
	s_or_b32 exec_lo, exec_lo, s5
	s_waitcnt lgkmcnt(0)
	s_barrier
	buffer_gl0_inv
	s_and_saveexec_b32 s5, s0
	s_cbranch_execz .LBB909_29
; %bb.28:
	v_and_b32_e32 v1, 15, v38
	s_delay_alu instid0(VALU_DEP_1) | instskip(SKIP_4) | instid1(VALU_DEP_2)
	v_lshlrev_b32_e32 v3, 2, v1
	v_cmp_ne_u32_e32 vcc_lo, 15, v1
	ds_load_b32 v3, v3
	v_add_co_ci_u32_e32 v4, vcc_lo, 0, v38, vcc_lo
	v_cmp_gt_u32_e32 vcc_lo, 14, v1
	v_lshlrev_b32_e32 v4, 2, v4
	v_cndmask_b32_e64 v5, 0, 1, vcc_lo
	v_cmp_gt_u32_e32 vcc_lo, 12, v1
	s_delay_alu instid0(VALU_DEP_2) | instskip(NEXT) | instid1(VALU_DEP_1)
	v_lshlrev_b32_e32 v5, 1, v5
	v_add_lshl_u32 v5, v5, v38, 2
	s_waitcnt lgkmcnt(0)
	ds_bpermute_b32 v4, v4, v3
	s_waitcnt lgkmcnt(0)
	v_add_nc_u32_e32 v3, v4, v3
	ds_bpermute_b32 v4, v5, v3
	v_cndmask_b32_e64 v5, 0, 1, vcc_lo
	v_cmp_gt_u32_e32 vcc_lo, 8, v1
	s_delay_alu instid0(VALU_DEP_2) | instskip(SKIP_1) | instid1(VALU_DEP_2)
	v_lshlrev_b32_e32 v5, 2, v5
	v_cndmask_b32_e64 v1, 0, 1, vcc_lo
	v_add_lshl_u32 v5, v5, v38, 2
	s_delay_alu instid0(VALU_DEP_2) | instskip(NEXT) | instid1(VALU_DEP_1)
	v_lshlrev_b32_e32 v1, 3, v1
	v_add_lshl_u32 v1, v1, v38, 2
	s_waitcnt lgkmcnt(0)
	v_add_nc_u32_e32 v3, v4, v3
	ds_bpermute_b32 v4, v5, v3
	s_waitcnt lgkmcnt(0)
	v_add_nc_u32_e32 v3, v4, v3
	ds_bpermute_b32 v1, v1, v3
	s_waitcnt lgkmcnt(0)
	v_add_nc_u32_e32 v1, v1, v3
.LBB909_29:
	s_or_b32 exec_lo, exec_lo, s5
	s_branch .LBB909_6
.LBB909_30:
	v_add_co_u32 v3, vcc_lo, v19, 0x2000
	v_add_co_ci_u32_e32 v4, vcc_lo, 0, v20, vcc_lo
	v_add_co_u32 v5, vcc_lo, v19, 0x4000
	v_add_co_ci_u32_e32 v6, vcc_lo, 0, v20, vcc_lo
	s_clause 0x4
	global_load_b64 v[7:8], v[19:20], off
	global_load_b64 v[9:10], v[3:4], off offset:-4096
	global_load_b64 v[3:4], v[3:4], off
	global_load_b64 v[11:12], v[5:6], off offset:-4096
	global_load_b64 v[5:6], v[5:6], off
	v_add_co_u32 v13, vcc_lo, v19, 0x6000
	v_add_co_ci_u32_e32 v14, vcc_lo, 0, v20, vcc_lo
	v_add_co_u32 v15, vcc_lo, v19, 0x8000
	v_add_co_ci_u32_e32 v16, vcc_lo, 0, v20, vcc_lo
	;; [unrolled: 2-line block ×3, first 2 shown]
	s_clause 0x5
	global_load_b64 v[39:40], v[13:14], off offset:-4096
	global_load_b64 v[13:14], v[13:14], off
	global_load_b64 v[41:42], v[15:16], off offset:-4096
	global_load_b64 v[15:16], v[15:16], off
	;; [unrolled: 2-line block ×3, first 2 shown]
	v_add_co_u32 v45, vcc_lo, v19, 0xc000
	v_add_co_ci_u32_e32 v46, vcc_lo, 0, v20, vcc_lo
	v_add_co_u32 v47, vcc_lo, v19, 0xe000
	v_add_co_ci_u32_e32 v48, vcc_lo, 0, v20, vcc_lo
	;; [unrolled: 2-line block ×3, first 2 shown]
	s_clause 0x3
	global_load_b64 v[49:50], v[45:46], off
	global_load_b64 v[45:46], v[45:46], off offset:-4096
	global_load_b64 v[51:52], v[47:48], off offset:-4096
	global_load_b64 v[47:48], v[47:48], off
	s_mov_b32 s5, exec_lo
	global_load_b64 v[53:54], v[53:54], off
	s_waitcnt vmcnt(0)
	s_barrier
	buffer_gl0_inv
	v_cmp_neq_f64_e32 vcc_lo, 0, v[7:8]
	v_cndmask_b32_e64 v1, 0, 1, vcc_lo
	v_cmp_neq_f64_e32 vcc_lo, 0, v[3:4]
	v_cndmask_b32_e64 v3, 0, 1, vcc_lo
	v_cmp_neq_f64_e32 vcc_lo, 0, v[9:10]
	s_delay_alu instid0(VALU_DEP_4) | instskip(SKIP_3) | instid1(VALU_DEP_4)
	v_add_co_ci_u32_e32 v1, vcc_lo, 0, v1, vcc_lo
	v_cmp_neq_f64_e32 vcc_lo, 0, v[5:6]
	v_cndmask_b32_e64 v4, 0, 1, vcc_lo
	v_cmp_neq_f64_e32 vcc_lo, 0, v[11:12]
	v_add_co_ci_u32_e32 v1, vcc_lo, v1, v3, vcc_lo
	v_cmp_neq_f64_e32 vcc_lo, 0, v[13:14]
	v_cndmask_b32_e64 v3, 0, 1, vcc_lo
	v_cmp_neq_f64_e32 vcc_lo, 0, v[39:40]
	s_delay_alu instid0(VALU_DEP_4) | instskip(SKIP_3) | instid1(VALU_DEP_4)
	v_add_co_ci_u32_e32 v1, vcc_lo, v1, v4, vcc_lo
	v_cmp_neq_f64_e32 vcc_lo, 0, v[15:16]
	v_cndmask_b32_e64 v4, 0, 1, vcc_lo
	v_cmp_neq_f64_e32 vcc_lo, 0, v[41:42]
	v_add_co_ci_u32_e32 v1, vcc_lo, v1, v3, vcc_lo
	;; [unrolled: 9-line block ×3, first 2 shown]
	v_cmp_neq_f64_e32 vcc_lo, 0, v[47:48]
	v_cndmask_b32_e64 v3, 0, 1, vcc_lo
	v_cmp_neq_f64_e32 vcc_lo, 0, v[51:52]
	s_delay_alu instid0(VALU_DEP_4) | instskip(SKIP_1) | instid1(VALU_DEP_2)
	v_add_co_ci_u32_e32 v1, vcc_lo, v1, v4, vcc_lo
	v_cmp_neq_f64_e32 vcc_lo, 0, v[53:54]
	v_add_co_ci_u32_e32 v1, vcc_lo, v1, v3, vcc_lo
	s_delay_alu instid0(VALU_DEP_1) | instskip(NEXT) | instid1(VALU_DEP_1)
	v_mov_b32_dpp v3, v1 quad_perm:[1,0,3,2] row_mask:0xf bank_mask:0xf
	v_add_nc_u32_e32 v1, v3, v1
	s_delay_alu instid0(VALU_DEP_1) | instskip(NEXT) | instid1(VALU_DEP_1)
	v_mov_b32_dpp v3, v1 quad_perm:[2,3,0,1] row_mask:0xf bank_mask:0xf
	v_add_nc_u32_e32 v1, v1, v3
	s_delay_alu instid0(VALU_DEP_1) | instskip(NEXT) | instid1(VALU_DEP_1)
	v_mov_b32_dpp v3, v1 row_ror:4 row_mask:0xf bank_mask:0xf
	v_add_nc_u32_e32 v1, v1, v3
	s_delay_alu instid0(VALU_DEP_1) | instskip(NEXT) | instid1(VALU_DEP_1)
	v_mov_b32_dpp v3, v1 row_ror:8 row_mask:0xf bank_mask:0xf
	v_add_nc_u32_e32 v1, v1, v3
	ds_swizzle_b32 v3, v1 offset:swizzle(BROADCAST,32,15)
	s_waitcnt lgkmcnt(0)
	v_add_nc_u32_e32 v1, v1, v3
	ds_bpermute_b32 v1, v2, v1 offset:124
	v_cmpx_eq_u32_e32 0, v38
	s_cbranch_execz .LBB909_32
; %bb.31:
	s_waitcnt lgkmcnt(0)
	ds_store_b32 v37, v1
.LBB909_32:
	s_or_b32 exec_lo, exec_lo, s5
	s_waitcnt lgkmcnt(0)
	s_barrier
	buffer_gl0_inv
	s_and_saveexec_b32 s5, s0
	s_cbranch_execz .LBB909_34
; %bb.33:
	v_and_b32_e32 v1, 15, v38
	s_delay_alu instid0(VALU_DEP_1) | instskip(SKIP_4) | instid1(VALU_DEP_2)
	v_lshlrev_b32_e32 v3, 2, v1
	v_cmp_ne_u32_e32 vcc_lo, 15, v1
	ds_load_b32 v3, v3
	v_add_co_ci_u32_e32 v4, vcc_lo, 0, v38, vcc_lo
	v_cmp_gt_u32_e32 vcc_lo, 14, v1
	v_lshlrev_b32_e32 v4, 2, v4
	v_cndmask_b32_e64 v5, 0, 1, vcc_lo
	v_cmp_gt_u32_e32 vcc_lo, 12, v1
	s_delay_alu instid0(VALU_DEP_2) | instskip(NEXT) | instid1(VALU_DEP_1)
	v_lshlrev_b32_e32 v5, 1, v5
	v_add_lshl_u32 v5, v5, v38, 2
	s_waitcnt lgkmcnt(0)
	ds_bpermute_b32 v4, v4, v3
	s_waitcnt lgkmcnt(0)
	v_add_nc_u32_e32 v3, v4, v3
	ds_bpermute_b32 v4, v5, v3
	v_cndmask_b32_e64 v5, 0, 1, vcc_lo
	v_cmp_gt_u32_e32 vcc_lo, 8, v1
	s_delay_alu instid0(VALU_DEP_2) | instskip(SKIP_1) | instid1(VALU_DEP_2)
	v_lshlrev_b32_e32 v5, 2, v5
	v_cndmask_b32_e64 v1, 0, 1, vcc_lo
	v_add_lshl_u32 v5, v5, v38, 2
	s_delay_alu instid0(VALU_DEP_2) | instskip(NEXT) | instid1(VALU_DEP_1)
	v_lshlrev_b32_e32 v1, 3, v1
	v_add_lshl_u32 v1, v1, v38, 2
	s_waitcnt lgkmcnt(0)
	v_add_nc_u32_e32 v3, v4, v3
	ds_bpermute_b32 v4, v5, v3
	s_waitcnt lgkmcnt(0)
	v_add_nc_u32_e32 v3, v4, v3
	ds_bpermute_b32 v1, v1, v3
	s_waitcnt lgkmcnt(0)
	v_add_nc_u32_e32 v1, v1, v3
.LBB909_34:
	s_or_b32 exec_lo, exec_lo, s5
	v_cmp_lt_i64_e64 s5, 0x2000, s[24:25]
	s_delay_alu instid0(VALU_DEP_2) | instskip(NEXT) | instid1(VALU_DEP_2)
	v_add_nc_u32_e32 v21, v1, v21
	s_and_b32 vcc_lo, exec_lo, s5
	s_cbranch_vccnz .LBB909_7
.LBB909_35:
	s_mov_b32 s6, -1
                                        ; implicit-def: $sgpr20
                                        ; implicit-def: $sgpr24_sgpr25
                                        ; implicit-def: $sgpr27
                                        ; implicit-def: $vgpr19_vgpr20
                                        ; implicit-def: $sgpr5
	s_branch .LBB909_52
.LBB909_36:
	s_mov_b32 s1, s5
	v_cmp_gt_i64_e64 s5, 0x2000, s[24:25]
                                        ; implicit-def: $vgpr1
	s_delay_alu instid0(VALU_DEP_1)
	s_and_b32 vcc_lo, exec_lo, s5
	s_mov_b32 s5, -1
	s_cbranch_vccnz .LBB909_8
	s_branch .LBB909_5
.LBB909_37:
	global_load_b64 v[12:13], v[19:20], off
	v_mov_b32_e32 v16, v2
	v_mov_b32_e32 v3, v2
	;; [unrolled: 1-line block ×11, first 2 shown]
	s_waitcnt vmcnt(0)
	v_cmp_neq_f64_e32 vcc_lo, 0, v[12:13]
	v_mov_b32_e32 v12, v2
	v_mov_b32_e32 v13, v2
	v_cndmask_b32_e64 v1, 0, 1, vcc_lo
	s_delay_alu instid0(VALU_DEP_1)
	v_dual_mov_b32 v4, v2 :: v_dual_and_b32 v1, 0xffff, v1
	v_mov_b32_e32 v18, v16
	v_dual_mov_b32 v17, v15 :: v_dual_mov_b32 v16, v14
	v_mov_b32_e32 v15, v13
	v_mov_b32_e32 v14, v12
	;; [unrolled: 1-line block ×13, first 2 shown]
	s_or_b32 exec_lo, exec_lo, s5
	s_delay_alu instid0(SALU_CYCLE_1)
	s_mov_b32 s5, exec_lo
	v_cmpx_gt_u32_e64 s27, v22
	s_cbranch_execz .LBB909_10
.LBB909_38:
	v_add_co_u32 v39, vcc_lo, 0x1000, v19
	v_add_co_ci_u32_e32 v40, vcc_lo, 0, v20, vcc_lo
	global_load_b64 v[39:40], v[39:40], off
	s_waitcnt vmcnt(0)
	v_cmp_neq_f64_e32 vcc_lo, 0, v[39:40]
	v_cndmask_b32_e64 v4, 0, 1, vcc_lo
	s_or_b32 exec_lo, exec_lo, s5
	s_delay_alu instid0(SALU_CYCLE_1)
	s_mov_b32 s5, exec_lo
	v_cmpx_gt_u32_e64 s27, v23
	s_cbranch_execz .LBB909_11
.LBB909_39:
	v_add_co_u32 v39, vcc_lo, 0x2000, v19
	v_add_co_ci_u32_e32 v40, vcc_lo, 0, v20, vcc_lo
	global_load_b64 v[39:40], v[39:40], off
	s_waitcnt vmcnt(0)
	v_cmp_neq_f64_e32 vcc_lo, 0, v[39:40]
	v_cndmask_b32_e64 v5, 0, 1, vcc_lo
	s_or_b32 exec_lo, exec_lo, s5
	s_delay_alu instid0(SALU_CYCLE_1)
	s_mov_b32 s5, exec_lo
	v_cmpx_gt_u32_e64 s27, v24
	s_cbranch_execz .LBB909_12
.LBB909_40:
	v_add_co_u32 v39, vcc_lo, 0x3000, v19
	v_add_co_ci_u32_e32 v40, vcc_lo, 0, v20, vcc_lo
	global_load_b64 v[39:40], v[39:40], off
	s_waitcnt vmcnt(0)
	v_cmp_neq_f64_e32 vcc_lo, 0, v[39:40]
	v_cndmask_b32_e64 v6, 0, 1, vcc_lo
	s_or_b32 exec_lo, exec_lo, s5
	s_delay_alu instid0(SALU_CYCLE_1)
	s_mov_b32 s5, exec_lo
	v_cmpx_gt_u32_e64 s27, v25
	s_cbranch_execz .LBB909_13
.LBB909_41:
	v_add_co_u32 v39, vcc_lo, 0x4000, v19
	v_add_co_ci_u32_e32 v40, vcc_lo, 0, v20, vcc_lo
	global_load_b64 v[39:40], v[39:40], off
	s_waitcnt vmcnt(0)
	v_cmp_neq_f64_e32 vcc_lo, 0, v[39:40]
	v_cndmask_b32_e64 v7, 0, 1, vcc_lo
	s_or_b32 exec_lo, exec_lo, s5
	s_delay_alu instid0(SALU_CYCLE_1)
	s_mov_b32 s5, exec_lo
	v_cmpx_gt_u32_e64 s27, v26
	s_cbranch_execz .LBB909_14
.LBB909_42:
	v_add_co_u32 v39, vcc_lo, 0x5000, v19
	v_add_co_ci_u32_e32 v40, vcc_lo, 0, v20, vcc_lo
	global_load_b64 v[39:40], v[39:40], off
	s_waitcnt vmcnt(0)
	v_cmp_neq_f64_e32 vcc_lo, 0, v[39:40]
	v_cndmask_b32_e64 v8, 0, 1, vcc_lo
	s_or_b32 exec_lo, exec_lo, s5
	s_delay_alu instid0(SALU_CYCLE_1)
	s_mov_b32 s5, exec_lo
	v_cmpx_gt_u32_e64 s27, v27
	s_cbranch_execz .LBB909_15
.LBB909_43:
	v_add_co_u32 v39, vcc_lo, 0x6000, v19
	v_add_co_ci_u32_e32 v40, vcc_lo, 0, v20, vcc_lo
	global_load_b64 v[39:40], v[39:40], off
	s_waitcnt vmcnt(0)
	v_cmp_neq_f64_e32 vcc_lo, 0, v[39:40]
	v_cndmask_b32_e64 v9, 0, 1, vcc_lo
	s_or_b32 exec_lo, exec_lo, s5
	s_delay_alu instid0(SALU_CYCLE_1)
	s_mov_b32 s5, exec_lo
	v_cmpx_gt_u32_e64 s27, v28
	s_cbranch_execz .LBB909_16
.LBB909_44:
	v_add_co_u32 v39, vcc_lo, 0x7000, v19
	v_add_co_ci_u32_e32 v40, vcc_lo, 0, v20, vcc_lo
	global_load_b64 v[39:40], v[39:40], off
	s_waitcnt vmcnt(0)
	v_cmp_neq_f64_e32 vcc_lo, 0, v[39:40]
	v_cndmask_b32_e64 v10, 0, 1, vcc_lo
	s_or_b32 exec_lo, exec_lo, s5
	s_delay_alu instid0(SALU_CYCLE_1)
	s_mov_b32 s5, exec_lo
	v_cmpx_gt_u32_e64 s27, v29
	s_cbranch_execz .LBB909_17
.LBB909_45:
	v_add_co_u32 v39, vcc_lo, 0x8000, v19
	v_add_co_ci_u32_e32 v40, vcc_lo, 0, v20, vcc_lo
	global_load_b64 v[39:40], v[39:40], off
	s_waitcnt vmcnt(0)
	v_cmp_neq_f64_e32 vcc_lo, 0, v[39:40]
	v_cndmask_b32_e64 v11, 0, 1, vcc_lo
	s_or_b32 exec_lo, exec_lo, s5
	s_delay_alu instid0(SALU_CYCLE_1)
	s_mov_b32 s5, exec_lo
	v_cmpx_gt_u32_e64 s27, v30
	s_cbranch_execz .LBB909_18
.LBB909_46:
	v_add_co_u32 v39, vcc_lo, 0x9000, v19
	v_add_co_ci_u32_e32 v40, vcc_lo, 0, v20, vcc_lo
	global_load_b64 v[39:40], v[39:40], off
	s_waitcnt vmcnt(0)
	v_cmp_neq_f64_e32 vcc_lo, 0, v[39:40]
	v_cndmask_b32_e64 v12, 0, 1, vcc_lo
	s_or_b32 exec_lo, exec_lo, s5
	s_delay_alu instid0(SALU_CYCLE_1)
	s_mov_b32 s5, exec_lo
	v_cmpx_gt_u32_e64 s27, v31
	s_cbranch_execz .LBB909_19
.LBB909_47:
	v_add_co_u32 v39, vcc_lo, 0xa000, v19
	v_add_co_ci_u32_e32 v40, vcc_lo, 0, v20, vcc_lo
	global_load_b64 v[39:40], v[39:40], off
	s_waitcnt vmcnt(0)
	v_cmp_neq_f64_e32 vcc_lo, 0, v[39:40]
	v_cndmask_b32_e64 v13, 0, 1, vcc_lo
	s_or_b32 exec_lo, exec_lo, s5
	s_delay_alu instid0(SALU_CYCLE_1)
	s_mov_b32 s5, exec_lo
	v_cmpx_gt_u32_e64 s27, v32
	s_cbranch_execz .LBB909_20
.LBB909_48:
	v_add_co_u32 v39, vcc_lo, 0xb000, v19
	v_add_co_ci_u32_e32 v40, vcc_lo, 0, v20, vcc_lo
	global_load_b64 v[39:40], v[39:40], off
	s_waitcnt vmcnt(0)
	v_cmp_neq_f64_e32 vcc_lo, 0, v[39:40]
	v_cndmask_b32_e64 v14, 0, 1, vcc_lo
	s_or_b32 exec_lo, exec_lo, s5
	s_delay_alu instid0(SALU_CYCLE_1)
	s_mov_b32 s5, exec_lo
	v_cmpx_gt_u32_e64 s27, v33
	s_cbranch_execz .LBB909_21
.LBB909_49:
	v_add_co_u32 v39, vcc_lo, 0xc000, v19
	v_add_co_ci_u32_e32 v40, vcc_lo, 0, v20, vcc_lo
	global_load_b64 v[39:40], v[39:40], off
	s_waitcnt vmcnt(0)
	v_cmp_neq_f64_e32 vcc_lo, 0, v[39:40]
	v_cndmask_b32_e64 v15, 0, 1, vcc_lo
	s_or_b32 exec_lo, exec_lo, s5
	s_delay_alu instid0(SALU_CYCLE_1)
	s_mov_b32 s5, exec_lo
	v_cmpx_gt_u32_e64 s27, v34
	s_cbranch_execz .LBB909_22
.LBB909_50:
	v_add_co_u32 v39, vcc_lo, 0xd000, v19
	v_add_co_ci_u32_e32 v40, vcc_lo, 0, v20, vcc_lo
	global_load_b64 v[39:40], v[39:40], off
	s_waitcnt vmcnt(0)
	v_cmp_neq_f64_e32 vcc_lo, 0, v[39:40]
	v_cndmask_b32_e64 v16, 0, 1, vcc_lo
	s_or_b32 exec_lo, exec_lo, s5
	s_delay_alu instid0(SALU_CYCLE_1)
	s_mov_b32 s5, exec_lo
	v_cmpx_gt_u32_e64 s27, v35
	s_cbranch_execz .LBB909_23
.LBB909_51:
	v_add_co_u32 v39, vcc_lo, 0xe000, v19
	v_add_co_ci_u32_e32 v40, vcc_lo, 0, v20, vcc_lo
	global_load_b64 v[39:40], v[39:40], off
	s_waitcnt vmcnt(0)
	v_cmp_neq_f64_e32 vcc_lo, 0, v[39:40]
	v_cndmask_b32_e64 v17, 0, 1, vcc_lo
	s_or_b32 exec_lo, exec_lo, s5
	s_delay_alu instid0(SALU_CYCLE_1)
	s_mov_b32 s5, exec_lo
	v_cmpx_gt_u32_e64 s27, v36
	s_cbranch_execnz .LBB909_24
	s_branch .LBB909_25
.LBB909_52:
	s_and_b32 vcc_lo, exec_lo, s6
	s_cbranch_vccz .LBB909_56
; %bb.53:
	s_mov_b32 s0, exec_lo
	v_cmpx_eq_u32_e32 0, v0
	s_cbranch_execz .LBB909_55
; %bb.54:
	s_lshl_b64 s[4:5], s[2:3], 2
	v_mov_b32_e32 v0, 0
	s_add_u32 s4, s22, s4
	s_addc_u32 s5, s23, s5
	global_store_b32 v0, v21, s[4:5]
.LBB909_55:
	s_or_b32 exec_lo, exec_lo, s0
	s_mov_b32 s5, s1
.LBB909_56:
	v_cmp_eq_u32_e32 vcc_lo, 0, v0
	s_xor_b32 s0, s5, -1
	s_delay_alu instid0(SALU_CYCLE_1) | instskip(NEXT) | instid1(SALU_CYCLE_1)
	s_and_b32 s0, vcc_lo, s0
	s_and_saveexec_b32 s1, s0
	s_cbranch_execz .LBB909_58
; %bb.57:
	s_lshl_b64 s[0:1], s[2:3], 2
	v_mov_b32_e32 v0, 0
	s_waitcnt lgkmcnt(0)
	s_add_u32 s0, s22, s0
	s_addc_u32 s1, s23, s1
	global_store_b32 v0, v21, s[0:1]
.LBB909_58:
	s_nop 0
	s_sendmsg sendmsg(MSG_DEALLOC_VGPRS)
	s_endpgm
	.section	.rodata,"a",@progbits
	.p2align	6, 0x0
	.amdhsa_kernel _ZN2at4cuda3cub15calc_block_sumsILi512ELi16ELb1EdiEEvPKT2_PT3_li
		.amdhsa_group_segment_fixed_size 64
		.amdhsa_private_segment_fixed_size 0
		.amdhsa_kernarg_size 28
		.amdhsa_user_sgpr_count 15
		.amdhsa_user_sgpr_dispatch_ptr 0
		.amdhsa_user_sgpr_queue_ptr 0
		.amdhsa_user_sgpr_kernarg_segment_ptr 1
		.amdhsa_user_sgpr_dispatch_id 0
		.amdhsa_user_sgpr_private_segment_size 0
		.amdhsa_wavefront_size32 1
		.amdhsa_uses_dynamic_stack 0
		.amdhsa_enable_private_segment 0
		.amdhsa_system_sgpr_workgroup_id_x 1
		.amdhsa_system_sgpr_workgroup_id_y 0
		.amdhsa_system_sgpr_workgroup_id_z 0
		.amdhsa_system_sgpr_workgroup_info 0
		.amdhsa_system_vgpr_workitem_id 0
		.amdhsa_next_free_vgpr 55
		.amdhsa_next_free_sgpr 28
		.amdhsa_reserve_vcc 1
		.amdhsa_float_round_mode_32 0
		.amdhsa_float_round_mode_16_64 0
		.amdhsa_float_denorm_mode_32 3
		.amdhsa_float_denorm_mode_16_64 3
		.amdhsa_dx10_clamp 1
		.amdhsa_ieee_mode 1
		.amdhsa_fp16_overflow 0
		.amdhsa_workgroup_processor_mode 1
		.amdhsa_memory_ordered 1
		.amdhsa_forward_progress 0
		.amdhsa_shared_vgpr_count 0
		.amdhsa_exception_fp_ieee_invalid_op 0
		.amdhsa_exception_fp_denorm_src 0
		.amdhsa_exception_fp_ieee_div_zero 0
		.amdhsa_exception_fp_ieee_overflow 0
		.amdhsa_exception_fp_ieee_underflow 0
		.amdhsa_exception_fp_ieee_inexact 0
		.amdhsa_exception_int_div_zero 0
	.end_amdhsa_kernel
	.section	.text._ZN2at4cuda3cub15calc_block_sumsILi512ELi16ELb1EdiEEvPKT2_PT3_li,"axG",@progbits,_ZN2at4cuda3cub15calc_block_sumsILi512ELi16ELb1EdiEEvPKT2_PT3_li,comdat
.Lfunc_end909:
	.size	_ZN2at4cuda3cub15calc_block_sumsILi512ELi16ELb1EdiEEvPKT2_PT3_li, .Lfunc_end909-_ZN2at4cuda3cub15calc_block_sumsILi512ELi16ELb1EdiEEvPKT2_PT3_li
                                        ; -- End function
	.section	.AMDGPU.csdata,"",@progbits
; Kernel info:
; codeLenInByte = 3520
; NumSgprs: 30
; NumVgprs: 55
; ScratchSize: 0
; MemoryBound: 0
; FloatMode: 240
; IeeeMode: 1
; LDSByteSize: 64 bytes/workgroup (compile time only)
; SGPRBlocks: 3
; VGPRBlocks: 6
; NumSGPRsForWavesPerEU: 30
; NumVGPRsForWavesPerEU: 55
; Occupancy: 16
; WaveLimiterHint : 1
; COMPUTE_PGM_RSRC2:SCRATCH_EN: 0
; COMPUTE_PGM_RSRC2:USER_SGPR: 15
; COMPUTE_PGM_RSRC2:TRAP_HANDLER: 0
; COMPUTE_PGM_RSRC2:TGID_X_EN: 1
; COMPUTE_PGM_RSRC2:TGID_Y_EN: 0
; COMPUTE_PGM_RSRC2:TGID_Z_EN: 0
; COMPUTE_PGM_RSRC2:TIDIG_COMP_CNT: 0
	.section	.text._ZN2at6native12_GLOBAL__N_111flag_kernelILi512ELi16EdEEvPKT1_PlPKllli,"axG",@progbits,_ZN2at6native12_GLOBAL__N_111flag_kernelILi512ELi16EdEEvPKT1_PlPKllli,comdat
	.globl	_ZN2at6native12_GLOBAL__N_111flag_kernelILi512ELi16EdEEvPKT1_PlPKllli ; -- Begin function _ZN2at6native12_GLOBAL__N_111flag_kernelILi512ELi16EdEEvPKT1_PlPKllli
	.p2align	8
	.type	_ZN2at6native12_GLOBAL__N_111flag_kernelILi512ELi16EdEEvPKT1_PlPKllli,@function
_ZN2at6native12_GLOBAL__N_111flag_kernelILi512ELi16EdEEvPKT1_PlPKllli: ; @_ZN2at6native12_GLOBAL__N_111flag_kernelILi512ELi16EdEEvPKT1_PlPKllli
; %bb.0:
	s_clause 0x1
	s_load_b32 s14, s[0:1], 0x28
	s_load_b256 s[4:11], s[0:1], 0x0
	s_waitcnt lgkmcnt(0)
	s_lshl_b32 s2, s14, 13
	s_delay_alu instid0(SALU_CYCLE_1) | instskip(SKIP_4) | instid1(SALU_CYCLE_1)
	s_ashr_i32 s3, s2, 31
	s_mul_hi_u32 s12, s2, s15
	s_mul_i32 s3, s3, s15
	s_mul_i32 s28, s2, s15
	s_add_i32 s29, s12, s3
	v_cmp_le_i64_e64 s2, s[10:11], s[28:29]
	s_delay_alu instid0(VALU_DEP_1)
	s_and_b32 vcc_lo, exec_lo, s2
	s_cbranch_vccnz .LBB910_100
; %bb.1:
	s_load_b64 s[2:3], s[0:1], 0x20
	s_cmp_eq_u32 s15, 0
	s_mov_b32 s13, 0
	s_cbranch_scc1 .LBB910_3
; %bb.2:
	s_add_i32 s12, s15, -1
	s_delay_alu instid0(SALU_CYCLE_1) | instskip(NEXT) | instid1(SALU_CYCLE_1)
	s_lshl_b64 s[12:13], s[12:13], 3
	s_add_u32 s8, s8, s12
	s_addc_u32 s9, s9, s13
	s_load_b64 s[8:9], s[8:9], 0x0
	s_cmp_lt_i32 s14, 1
	s_cbranch_scc0 .LBB910_4
	s_branch .LBB910_100
.LBB910_3:
	s_mov_b64 s[8:9], 0
	s_cmp_lt_i32 s14, 1
	s_cbranch_scc1 .LBB910_100
.LBB910_4:
	s_lshl_b64 s[12:13], s[28:29], 3
	v_mbcnt_lo_u32_b32 v2, -1, 0
	s_add_u32 s33, s4, s12
	s_addc_u32 s36, s5, s13
	s_waitcnt lgkmcnt(0)
	s_sub_u32 s30, s2, s8
	s_subb_u32 s31, s3, s9
	v_dual_mov_b32 v1, 0 :: v_dual_and_b32 v4, 0x3e0, v0
	v_and_b32_e32 v5, 15, v2
	s_sub_u32 s34, s10, s28
	s_subb_u32 s35, s11, s29
	s_lshl_b64 s[2:3], s[8:9], 3
	v_min_u32_e32 v7, 0x1e0, v4
	s_add_u32 s37, s6, s2
	s_addc_u32 s38, s7, s3
	v_cmp_eq_u32_e64 s2, 0, v5
	v_cmp_lt_u32_e64 s3, 1, v5
	v_cmp_lt_u32_e64 s4, 3, v5
	;; [unrolled: 1-line block ×3, first 2 shown]
	v_add_nc_u32_e32 v5, -1, v2
	v_lshlrev_b32_e32 v3, 4, v0
	v_or_b32_e32 v7, 31, v7
	v_and_b32_e32 v8, 16, v2
	v_lshrrev_b32_e32 v9, 3, v0
	v_cmp_gt_i32_e32 vcc_lo, 0, v5
	v_and_b32_e32 v6, 0x3e00, v3
	v_cmp_eq_u32_e64 s7, v7, v0
	v_lshrrev_b32_e32 v7, 1, v0
	v_cmp_eq_u32_e64 s6, 0, v8
	v_cndmask_b32_e32 v5, v5, v2, vcc_lo
	v_or_b32_e32 v8, 0x800, v0
	v_and_b32_e32 v21, 0x7c, v9
	v_add_lshl_u32 v25, v7, v3, 2
	v_or_b32_e32 v3, 0x400, v0
	v_lshlrev_b32_e32 v24, 2, v5
	v_add_nc_u32_e32 v5, 0x200, v0
	v_add_nc_u32_e32 v7, 0x600, v0
	v_lshlrev_b32_e32 v22, 2, v0
	v_lshrrev_b32_e32 v3, 3, v3
	v_add_nc_u32_e32 v9, 0xa00, v0
	v_lshrrev_b32_e32 v5, 3, v5
	v_lshrrev_b32_e32 v7, 3, v7
	;; [unrolled: 1-line block ×3, first 2 shown]
	v_and_b32_e32 v3, 0xfc, v3
	v_lshrrev_b32_e32 v9, 3, v9
	v_and_b32_e32 v5, 0xfc, v5
	v_or_b32_e32 v39, v2, v6
	v_or_b32_e32 v4, v2, v4
	v_add_nc_u32_e32 v28, v22, v3
	v_or_b32_e32 v3, 0xc00, v0
	v_add_nc_u32_e32 v27, v22, v5
	v_and_b32_e32 v5, 0x1fc, v7
	v_and_b32_e32 v7, 0x17c, v8
	v_and_b32_e32 v8, 0x1fc, v9
	v_lshrrev_b32_e32 v3, 3, v3
	v_or_b32_e32 v9, 0x1400, v0
	v_add_nc_u32_e32 v29, v22, v5
	v_add_nc_u32_e32 v30, v22, v7
	;; [unrolled: 1-line block ×3, first 2 shown]
	v_or_b32_e32 v7, 0x1000, v0
	v_add_nc_u32_e32 v31, v22, v8
	v_add_nc_u32_e32 v8, 0x1200, v0
	v_and_b32_e32 v3, 0x1fc, v3
	v_lshrrev_b32_e32 v5, 3, v5
	v_lshrrev_b32_e32 v7, 3, v7
	;; [unrolled: 1-line block ×4, first 2 shown]
	v_add_nc_u32_e32 v32, v22, v3
	v_and_b32_e32 v5, 0x3fc, v5
	v_and_b32_e32 v3, 0x27c, v7
	v_or_b32_e32 v43, 32, v39
	v_and_b32_e32 v7, 0x2fc, v8
	v_and_b32_e32 v8, 0x2fc, v9
	v_add_nc_u32_e32 v33, v22, v5
	v_add_nc_u32_e32 v5, 0x1600, v0
	;; [unrolled: 1-line block ×3, first 2 shown]
	v_or_b32_e32 v3, 0x1800, v0
	v_add_nc_u32_e32 v35, v22, v7
	v_add_nc_u32_e32 v36, v22, v8
	v_lshrrev_b32_e32 v5, 3, v5
	v_add_nc_u32_e32 v7, 0x1a00, v0
	v_or_b32_e32 v8, 0x1c00, v0
	v_lshrrev_b32_e32 v3, 3, v3
	v_add_nc_u32_e32 v9, 0x1e00, v0
	v_and_b32_e32 v5, 0x3fc, v5
	v_lshrrev_b32_e32 v7, 3, v7
	v_lshrrev_b32_e32 v8, 3, v8
	v_and_b32_e32 v3, 0x37c, v3
	v_lshrrev_b32_e32 v9, 3, v9
	v_add_nc_u32_e32 v37, v22, v5
	v_and_b32_e32 v5, 0x3fc, v7
	v_and_b32_e32 v7, 0x3fc, v8
	v_add_nc_u32_e32 v38, v22, v3
	v_or_b32_e32 v44, 64, v39
	v_or_b32_e32 v45, 0x60, v39
	v_lshrrev_b32_e32 v3, 5, v6
	v_and_b32_e32 v8, 0x7fc, v9
	v_add_nc_u32_e32 v40, v22, v5
	v_add_nc_u32_e32 v41, v22, v7
	v_or_b32_e32 v46, 0x80, v39
	v_or_b32_e32 v47, 0xa0, v39
	;; [unrolled: 1-line block ×4, first 2 shown]
	v_lshrrev_b32_e32 v5, 5, v43
	v_lshrrev_b32_e32 v7, 5, v44
	v_add_lshl_u32 v58, v3, v39, 2
	v_lshrrev_b32_e32 v3, 5, v45
	v_add_nc_u32_e32 v42, v22, v8
	v_or_b32_e32 v49, 0xe0, v39
	v_or_b32_e32 v51, 0x120, v39
	;; [unrolled: 1-line block ×4, first 2 shown]
	v_add_lshl_u32 v59, v5, v43, 2
	v_add_lshl_u32 v60, v7, v44, 2
	v_lshrrev_b32_e32 v5, 5, v46
	v_lshrrev_b32_e32 v7, 5, v47
	;; [unrolled: 1-line block ×3, first 2 shown]
	v_add_lshl_u32 v61, v3, v45, 2
	v_lshrrev_b32_e32 v3, 5, v50
	v_or_b32_e32 v54, 0x180, v39
	v_or_b32_e32 v55, 0x1a0, v39
	;; [unrolled: 1-line block ×4, first 2 shown]
	v_lshrrev_b32_e32 v9, 5, v49
	v_add_lshl_u32 v62, v5, v46, 2
	v_add_lshl_u32 v63, v7, v47, 2
	;; [unrolled: 1-line block ×3, first 2 shown]
	v_lshrrev_b32_e32 v5, 5, v51
	v_lshrrev_b32_e32 v7, 5, v52
	;; [unrolled: 1-line block ×3, first 2 shown]
	v_add_lshl_u32 v66, v3, v50, 2
	v_lshlrev_b32_e32 v3, 4, v4
	v_bfe_u32 v4, v4, 1, 27
	v_add_lshl_u32 v65, v9, v49, 2
	v_add_lshl_u32 v67, v5, v51, 2
	;; [unrolled: 1-line block ×4, first 2 shown]
	v_lshrrev_b32_e32 v5, 5, v54
	v_lshrrev_b32_e32 v7, 5, v55
	;; [unrolled: 1-line block ×4, first 2 shown]
	v_add_lshl_u32 v70, v4, v3, 2
	v_cmp_gt_u32_e64 s8, 16, v0
	v_cmp_lt_u32_e64 s9, 31, v0
	v_add_nc_u32_e32 v23, -4, v21
	v_cmp_eq_u32_e64 s10, 0, v2
	v_cmp_eq_u32_e64 s11, 0, v0
	v_add_nc_u32_e32 v26, v22, v21
	v_add_lshl_u32 v71, v5, v54, 2
	v_add_lshl_u32 v72, v7, v55, 2
	v_add_lshl_u32 v73, v8, v56, 2
	v_add_lshl_u32 v74, v9, v57, 2
	v_add_nc_u32_e32 v75, 56, v70
	v_add_nc_u32_e32 v76, 48, v70
	;; [unrolled: 1-line block ×7, first 2 shown]
	v_lshlrev_b32_e32 v82, 3, v2
	v_lshlrev_b32_e32 v83, 3, v6
	s_add_u32 s0, s0, 48
	s_addc_u32 s1, s1, 0
	s_add_i32 s39, s14, -1
	s_mov_b32 s12, 0
	s_branch .LBB910_6
.LBB910_5:                              ;   in Loop: Header=BB910_6 Depth=1
	s_cmp_eq_u32 s39, 0
	s_cselect_b32 s14, -1, 0
	s_delay_alu instid0(SALU_CYCLE_1)
	s_or_b32 s13, s13, s14
	s_add_u32 s34, s34, 0xffffe000
	s_addc_u32 s35, s35, -1
	s_and_not1_b32 vcc_lo, exec_lo, s13
	s_add_i32 s39, s39, -1
	s_cbranch_vccz .LBB910_100
.LBB910_6:                              ; =>This Inner Loop Header: Depth=1
	v_cmp_gt_i64_e64 s13, 0x2000, s[34:35]
	s_delay_alu instid0(VALU_DEP_1)
	s_and_b32 vcc_lo, exec_lo, s13
	s_mov_b32 s13, -1
	s_cbranch_vccz .LBB910_25
; %bb.7:                                ;   in Loop: Header=BB910_6 Depth=1
	v_add_co_u32 v2, s13, s33, v82
	s_delay_alu instid0(VALU_DEP_1) | instskip(SKIP_1) | instid1(VALU_DEP_2)
	v_add_co_ci_u32_e64 v3, null, s36, 0, s13
	s_mov_b32 s13, s12
	v_add_co_u32 v18, vcc_lo, v2, v83
	s_mov_b32 s14, s12
	s_mov_b32 s15, s12
	;; [unrolled: 1-line block ×14, first 2 shown]
	v_add_co_ci_u32_e32 v19, vcc_lo, 0, v3, vcc_lo
	v_dual_mov_b32 v2, s12 :: v_dual_mov_b32 v3, s13
	v_dual_mov_b32 v4, s14 :: v_dual_mov_b32 v5, s15
	v_dual_mov_b32 v6, s16 :: v_dual_mov_b32 v7, s17
	v_dual_mov_b32 v8, s18 :: v_dual_mov_b32 v9, s19
	v_dual_mov_b32 v10, s20 :: v_dual_mov_b32 v11, s21
	v_dual_mov_b32 v12, s22 :: v_dual_mov_b32 v13, s23
	v_dual_mov_b32 v14, s24 :: v_dual_mov_b32 v15, s25
	v_dual_mov_b32 v16, s26 :: v_dual_mov_b32 v17, s27
	v_mov_b32_e32 v2, 0
	s_mov_b32 s13, exec_lo
	v_cmpx_gt_u32_e64 s34, v39
	s_cbranch_execnz .LBB910_85
; %bb.8:                                ;   in Loop: Header=BB910_6 Depth=1
	s_or_b32 exec_lo, exec_lo, s13
	s_delay_alu instid0(SALU_CYCLE_1)
	s_mov_b32 s13, exec_lo
	v_cmpx_gt_u32_e64 s34, v43
	s_cbranch_execnz .LBB910_86
.LBB910_9:                              ;   in Loop: Header=BB910_6 Depth=1
	s_or_b32 exec_lo, exec_lo, s13
	s_delay_alu instid0(SALU_CYCLE_1)
	s_mov_b32 s13, exec_lo
	v_cmpx_gt_u32_e64 s34, v44
	s_cbranch_execnz .LBB910_87
.LBB910_10:                             ;   in Loop: Header=BB910_6 Depth=1
	s_or_b32 exec_lo, exec_lo, s13
	s_delay_alu instid0(SALU_CYCLE_1)
	s_mov_b32 s13, exec_lo
	v_cmpx_gt_u32_e64 s34, v45
	s_cbranch_execnz .LBB910_88
.LBB910_11:                             ;   in Loop: Header=BB910_6 Depth=1
	s_or_b32 exec_lo, exec_lo, s13
	s_delay_alu instid0(SALU_CYCLE_1)
	s_mov_b32 s13, exec_lo
	v_cmpx_gt_u32_e64 s34, v46
	s_cbranch_execnz .LBB910_89
.LBB910_12:                             ;   in Loop: Header=BB910_6 Depth=1
	s_or_b32 exec_lo, exec_lo, s13
	s_delay_alu instid0(SALU_CYCLE_1)
	s_mov_b32 s13, exec_lo
	v_cmpx_gt_u32_e64 s34, v47
	s_cbranch_execnz .LBB910_90
.LBB910_13:                             ;   in Loop: Header=BB910_6 Depth=1
	s_or_b32 exec_lo, exec_lo, s13
	s_delay_alu instid0(SALU_CYCLE_1)
	s_mov_b32 s13, exec_lo
	v_cmpx_gt_u32_e64 s34, v48
	s_cbranch_execnz .LBB910_91
.LBB910_14:                             ;   in Loop: Header=BB910_6 Depth=1
	s_or_b32 exec_lo, exec_lo, s13
	s_delay_alu instid0(SALU_CYCLE_1)
	s_mov_b32 s13, exec_lo
	v_cmpx_gt_u32_e64 s34, v49
	s_cbranch_execnz .LBB910_92
.LBB910_15:                             ;   in Loop: Header=BB910_6 Depth=1
	s_or_b32 exec_lo, exec_lo, s13
	s_delay_alu instid0(SALU_CYCLE_1)
	s_mov_b32 s13, exec_lo
	v_cmpx_gt_u32_e64 s34, v50
	s_cbranch_execnz .LBB910_93
.LBB910_16:                             ;   in Loop: Header=BB910_6 Depth=1
	s_or_b32 exec_lo, exec_lo, s13
	s_delay_alu instid0(SALU_CYCLE_1)
	s_mov_b32 s13, exec_lo
	v_cmpx_gt_u32_e64 s34, v51
	s_cbranch_execnz .LBB910_94
.LBB910_17:                             ;   in Loop: Header=BB910_6 Depth=1
	s_or_b32 exec_lo, exec_lo, s13
	s_delay_alu instid0(SALU_CYCLE_1)
	s_mov_b32 s13, exec_lo
	v_cmpx_gt_u32_e64 s34, v52
	s_cbranch_execnz .LBB910_95
.LBB910_18:                             ;   in Loop: Header=BB910_6 Depth=1
	s_or_b32 exec_lo, exec_lo, s13
	s_delay_alu instid0(SALU_CYCLE_1)
	s_mov_b32 s13, exec_lo
	v_cmpx_gt_u32_e64 s34, v53
	s_cbranch_execnz .LBB910_96
.LBB910_19:                             ;   in Loop: Header=BB910_6 Depth=1
	s_or_b32 exec_lo, exec_lo, s13
	s_delay_alu instid0(SALU_CYCLE_1)
	s_mov_b32 s13, exec_lo
	v_cmpx_gt_u32_e64 s34, v54
	s_cbranch_execnz .LBB910_97
.LBB910_20:                             ;   in Loop: Header=BB910_6 Depth=1
	s_or_b32 exec_lo, exec_lo, s13
	s_delay_alu instid0(SALU_CYCLE_1)
	s_mov_b32 s13, exec_lo
	v_cmpx_gt_u32_e64 s34, v55
	s_cbranch_execnz .LBB910_98
.LBB910_21:                             ;   in Loop: Header=BB910_6 Depth=1
	s_or_b32 exec_lo, exec_lo, s13
	s_delay_alu instid0(SALU_CYCLE_1)
	s_mov_b32 s13, exec_lo
	v_cmpx_gt_u32_e64 s34, v56
	s_cbranch_execnz .LBB910_99
.LBB910_22:                             ;   in Loop: Header=BB910_6 Depth=1
	s_or_b32 exec_lo, exec_lo, s13
	s_delay_alu instid0(SALU_CYCLE_1)
	s_mov_b32 s13, exec_lo
	v_cmpx_gt_u32_e64 s34, v57
	s_cbranch_execz .LBB910_24
.LBB910_23:                             ;   in Loop: Header=BB910_6 Depth=1
	global_load_b64 v[17:18], v[18:19], off offset:3840
	s_waitcnt vmcnt(0)
	v_cmp_neq_f64_e32 vcc_lo, 0, v[17:18]
	v_cndmask_b32_e64 v17, 0, 1, vcc_lo
.LBB910_24:                             ;   in Loop: Header=BB910_6 Depth=1
	s_or_b32 exec_lo, exec_lo, s13
	s_mov_b32 s13, 0
	ds_store_b32 v58, v2
	ds_store_b32 v59, v3
	;; [unrolled: 1-line block ×16, first 2 shown]
	; wave barrier
.LBB910_25:                             ;   in Loop: Header=BB910_6 Depth=1
	s_and_b32 vcc_lo, exec_lo, s13
	s_cbranch_vccz .LBB910_27
; %bb.26:                               ;   in Loop: Header=BB910_6 Depth=1
	v_add_co_u32 v2, s13, s33, v82
	s_delay_alu instid0(VALU_DEP_1) | instskip(NEXT) | instid1(VALU_DEP_2)
	v_add_co_ci_u32_e64 v3, null, s36, 0, s13
	v_add_co_u32 v2, vcc_lo, v2, v83
	s_delay_alu instid0(VALU_DEP_2)
	v_add_co_ci_u32_e32 v3, vcc_lo, 0, v3, vcc_lo
	s_clause 0xf
	global_load_b64 v[4:5], v[2:3], off
	global_load_b64 v[6:7], v[2:3], off offset:256
	global_load_b64 v[8:9], v[2:3], off offset:512
	;; [unrolled: 1-line block ×15, first 2 shown]
	s_waitcnt vmcnt(15)
	v_cmp_neq_f64_e32 vcc_lo, 0, v[4:5]
	v_cndmask_b32_e64 v4, 0, 1, vcc_lo
	s_waitcnt vmcnt(14)
	v_cmp_neq_f64_e32 vcc_lo, 0, v[6:7]
	v_cndmask_b32_e64 v5, 0, 1, vcc_lo
	;; [unrolled: 3-line block ×16, first 2 shown]
	ds_store_b32 v58, v4
	ds_store_b32 v59, v5
	;; [unrolled: 1-line block ×16, first 2 shown]
	; wave barrier
.LBB910_27:                             ;   in Loop: Header=BB910_6 Depth=1
	ds_load_2addr_b32 v[16:17], v70 offset1:1
	ds_load_2addr_b32 v[12:13], v81 offset1:1
	;; [unrolled: 1-line block ×6, first 2 shown]
	s_waitcnt lgkmcnt(5)
	v_add_nc_u32_e32 v2, v17, v16
	s_waitcnt lgkmcnt(4)
	s_delay_alu instid0(VALU_DEP_1) | instskip(SKIP_1) | instid1(VALU_DEP_1)
	v_add3_u32 v2, v2, v12, v13
	s_waitcnt lgkmcnt(3)
	v_add3_u32 v18, v2, v8, v9
	ds_load_2addr_b32 v[4:5], v76 offset1:1
	ds_load_2addr_b32 v[2:3], v75 offset1:1
	s_waitcnt lgkmcnt(0)
	s_waitcnt_vscnt null, 0x0
	s_barrier
	buffer_gl0_inv
	v_add3_u32 v18, v18, v6, v7
	s_delay_alu instid0(VALU_DEP_1) | instskip(NEXT) | instid1(VALU_DEP_1)
	v_add3_u32 v18, v18, v14, v15
	v_add3_u32 v18, v18, v10, v11
	s_delay_alu instid0(VALU_DEP_1) | instskip(NEXT) | instid1(VALU_DEP_1)
	v_add3_u32 v18, v18, v4, v5
	v_add3_u32 v18, v18, v2, v3
	s_delay_alu instid0(VALU_DEP_1) | instskip(NEXT) | instid1(VALU_DEP_1)
	v_mov_b32_dpp v19, v18 row_shr:1 row_mask:0xf bank_mask:0xf
	v_cndmask_b32_e64 v19, v19, 0, s2
	s_delay_alu instid0(VALU_DEP_1) | instskip(NEXT) | instid1(VALU_DEP_1)
	v_add_nc_u32_e32 v18, v18, v19
	v_mov_b32_dpp v19, v18 row_shr:2 row_mask:0xf bank_mask:0xf
	s_delay_alu instid0(VALU_DEP_1) | instskip(NEXT) | instid1(VALU_DEP_1)
	v_cndmask_b32_e64 v19, 0, v19, s3
	v_add_nc_u32_e32 v18, v18, v19
	s_delay_alu instid0(VALU_DEP_1) | instskip(NEXT) | instid1(VALU_DEP_1)
	v_mov_b32_dpp v19, v18 row_shr:4 row_mask:0xf bank_mask:0xf
	v_cndmask_b32_e64 v19, 0, v19, s4
	s_delay_alu instid0(VALU_DEP_1) | instskip(NEXT) | instid1(VALU_DEP_1)
	v_add_nc_u32_e32 v18, v18, v19
	v_mov_b32_dpp v19, v18 row_shr:8 row_mask:0xf bank_mask:0xf
	s_delay_alu instid0(VALU_DEP_1) | instskip(NEXT) | instid1(VALU_DEP_1)
	v_cndmask_b32_e64 v19, 0, v19, s5
	v_add_nc_u32_e32 v18, v18, v19
	ds_swizzle_b32 v19, v18 offset:swizzle(BROADCAST,32,15)
	s_waitcnt lgkmcnt(0)
	v_cndmask_b32_e64 v19, v19, 0, s6
	s_delay_alu instid0(VALU_DEP_1)
	v_add_nc_u32_e32 v18, v18, v19
	s_and_saveexec_b32 s13, s7
	s_cbranch_execz .LBB910_29
; %bb.28:                               ;   in Loop: Header=BB910_6 Depth=1
	ds_store_b32 v21, v18
.LBB910_29:                             ;   in Loop: Header=BB910_6 Depth=1
	s_or_b32 exec_lo, exec_lo, s13
	s_waitcnt lgkmcnt(0)
	s_barrier
	buffer_gl0_inv
	s_and_saveexec_b32 s13, s8
	s_cbranch_execz .LBB910_31
; %bb.30:                               ;   in Loop: Header=BB910_6 Depth=1
	ds_load_b32 v19, v22
	s_waitcnt lgkmcnt(0)
	v_mov_b32_dpp v20, v19 row_shr:1 row_mask:0xf bank_mask:0xf
	s_delay_alu instid0(VALU_DEP_1) | instskip(NEXT) | instid1(VALU_DEP_1)
	v_cndmask_b32_e64 v20, v20, 0, s2
	v_add_nc_u32_e32 v19, v20, v19
	s_delay_alu instid0(VALU_DEP_1) | instskip(NEXT) | instid1(VALU_DEP_1)
	v_mov_b32_dpp v20, v19 row_shr:2 row_mask:0xf bank_mask:0xf
	v_cndmask_b32_e64 v20, 0, v20, s3
	s_delay_alu instid0(VALU_DEP_1) | instskip(NEXT) | instid1(VALU_DEP_1)
	v_add_nc_u32_e32 v19, v19, v20
	v_mov_b32_dpp v20, v19 row_shr:4 row_mask:0xf bank_mask:0xf
	s_delay_alu instid0(VALU_DEP_1) | instskip(NEXT) | instid1(VALU_DEP_1)
	v_cndmask_b32_e64 v20, 0, v20, s4
	v_add_nc_u32_e32 v19, v19, v20
	s_delay_alu instid0(VALU_DEP_1) | instskip(NEXT) | instid1(VALU_DEP_1)
	v_mov_b32_dpp v20, v19 row_shr:8 row_mask:0xf bank_mask:0xf
	v_cndmask_b32_e64 v20, 0, v20, s5
	s_delay_alu instid0(VALU_DEP_1)
	v_add_nc_u32_e32 v19, v19, v20
	ds_store_b32 v22, v19
.LBB910_31:                             ;   in Loop: Header=BB910_6 Depth=1
	s_or_b32 exec_lo, exec_lo, s13
	v_mov_b32_e32 v19, 0
	s_waitcnt lgkmcnt(0)
	s_barrier
	buffer_gl0_inv
	s_and_saveexec_b32 s13, s9
	s_cbranch_execz .LBB910_33
; %bb.32:                               ;   in Loop: Header=BB910_6 Depth=1
	ds_load_b32 v19, v23
.LBB910_33:                             ;   in Loop: Header=BB910_6 Depth=1
	s_or_b32 exec_lo, exec_lo, s13
	s_waitcnt lgkmcnt(0)
	v_add_nc_u32_e32 v18, v19, v18
	ds_bpermute_b32 v18, v24, v18
	s_and_saveexec_b32 s13, s11
	s_cbranch_execz .LBB910_35
; %bb.34:                               ;   in Loop: Header=BB910_6 Depth=1
	ds_load_b32 v20, v1 offset:60
	s_waitcnt lgkmcnt(0)
	ds_store_b32 v1, v20 offset:33792
.LBB910_35:                             ;   in Loop: Header=BB910_6 Depth=1
	s_or_b32 exec_lo, exec_lo, s13
	s_waitcnt lgkmcnt(0)
	v_cndmask_b32_e64 v18, v18, v19, s10
	s_barrier
	buffer_gl0_inv
	ds_store_2addr_b32 v25, v16, v17 offset1:1
	ds_store_2addr_b32 v25, v12, v13 offset0:2 offset1:3
	ds_store_2addr_b32 v25, v8, v9 offset0:4 offset1:5
	;; [unrolled: 1-line block ×3, first 2 shown]
	v_cndmask_b32_e64 v18, v18, 0, s11
	ds_store_2addr_b32 v25, v14, v15 offset0:8 offset1:9
	ds_store_2addr_b32 v25, v10, v11 offset0:10 offset1:11
	;; [unrolled: 1-line block ×4, first 2 shown]
	s_waitcnt lgkmcnt(0)
	s_barrier
	buffer_gl0_inv
	v_add_nc_u32_e32 v19, v18, v16
	ds_load_b32 v108, v26
	ds_load_b32 v98, v27 offset:2048
	ds_load_b32 v97, v28 offset:4096
	;; [unrolled: 1-line block ×15, first 2 shown]
	s_waitcnt lgkmcnt(0)
	s_barrier
	v_add_nc_u32_e32 v20, v19, v17
	buffer_gl0_inv
	v_add_nc_u32_e32 v99, v20, v12
	s_delay_alu instid0(VALU_DEP_1) | instskip(NEXT) | instid1(VALU_DEP_1)
	v_add_nc_u32_e32 v100, v99, v13
	v_add_nc_u32_e32 v101, v100, v8
	s_delay_alu instid0(VALU_DEP_1) | instskip(NEXT) | instid1(VALU_DEP_1)
	v_add_nc_u32_e32 v102, v101, v9
	;; [unrolled: 3-line block ×6, first 2 shown]
	v_add_nc_u32_e32 v2, v4, v2
	ds_store_2addr_b32 v25, v18, v19 offset1:1
	ds_store_2addr_b32 v25, v20, v99 offset0:2 offset1:3
	ds_store_2addr_b32 v25, v100, v101 offset0:4 offset1:5
	;; [unrolled: 1-line block ×7, first 2 shown]
	s_waitcnt lgkmcnt(0)
	s_barrier
	buffer_gl0_inv
	ds_load_b32 v18, v27 offset:2048
	ds_load_b32 v17, v28 offset:4096
	;; [unrolled: 1-line block ×15, first 2 shown]
	v_add_co_u32 v2, s13, s28, v0
	s_delay_alu instid0(VALU_DEP_1)
	v_add_co_ci_u32_e64 v3, null, s29, 0, s13
	s_mov_b32 s13, exec_lo
	v_cmpx_ne_u32_e32 0, v108
	s_cbranch_execz .LBB910_38
; %bb.36:                               ;   in Loop: Header=BB910_6 Depth=1
	ds_load_b32 v19, v26
	s_waitcnt lgkmcnt(0)
	v_ashrrev_i32_e32 v20, 31, v19
	s_delay_alu instid0(VALU_DEP_1)
	v_cmp_gt_i64_e32 vcc_lo, s[30:31], v[19:20]
	s_and_b32 exec_lo, exec_lo, vcc_lo
	s_cbranch_execz .LBB910_38
; %bb.37:                               ;   in Loop: Header=BB910_6 Depth=1
	v_lshlrev_b64 v[19:20], 3, v[19:20]
	s_delay_alu instid0(VALU_DEP_1) | instskip(NEXT) | instid1(VALU_DEP_2)
	v_add_co_u32 v19, vcc_lo, s37, v19
	v_add_co_ci_u32_e32 v20, vcc_lo, s38, v20, vcc_lo
	global_store_b64 v[19:20], v[2:3], off
.LBB910_38:                             ;   in Loop: Header=BB910_6 Depth=1
	s_or_b32 exec_lo, exec_lo, s13
	s_delay_alu instid0(SALU_CYCLE_1)
	s_mov_b32 s13, exec_lo
	v_cmpx_ne_u32_e32 0, v98
	s_cbranch_execz .LBB910_41
; %bb.39:                               ;   in Loop: Header=BB910_6 Depth=1
	s_waitcnt lgkmcnt(14)
	v_ashrrev_i32_e32 v19, 31, v18
	s_delay_alu instid0(VALU_DEP_1)
	v_cmp_gt_i64_e32 vcc_lo, s[30:31], v[18:19]
	s_and_b32 exec_lo, exec_lo, vcc_lo
	s_cbranch_execz .LBB910_41
; %bb.40:                               ;   in Loop: Header=BB910_6 Depth=1
	s_load_b32 s14, s[0:1], 0xc
	v_lshlrev_b64 v[18:19], 3, v[18:19]
	s_waitcnt lgkmcnt(0)
	s_and_b32 s14, s14, 0xffff
	s_delay_alu instid0(SALU_CYCLE_1) | instskip(SKIP_1) | instid1(VALU_DEP_3)
	v_add_co_u32 v98, vcc_lo, v2, s14
	v_add_co_ci_u32_e32 v99, vcc_lo, 0, v3, vcc_lo
	v_add_co_u32 v18, vcc_lo, s37, v18
	v_add_co_ci_u32_e32 v19, vcc_lo, s38, v19, vcc_lo
	global_store_b64 v[18:19], v[98:99], off
.LBB910_41:                             ;   in Loop: Header=BB910_6 Depth=1
	s_or_b32 exec_lo, exec_lo, s13
	s_delay_alu instid0(SALU_CYCLE_1)
	s_mov_b32 s13, exec_lo
	v_cmpx_ne_u32_e32 0, v97
	s_cbranch_execz .LBB910_44
; %bb.42:                               ;   in Loop: Header=BB910_6 Depth=1
	s_waitcnt lgkmcnt(13)
	v_ashrrev_i32_e32 v18, 31, v17
	s_delay_alu instid0(VALU_DEP_1)
	v_cmp_gt_i64_e32 vcc_lo, s[30:31], v[17:18]
	s_and_b32 exec_lo, exec_lo, vcc_lo
	s_cbranch_execz .LBB910_44
; %bb.43:                               ;   in Loop: Header=BB910_6 Depth=1
	s_load_b32 s14, s[0:1], 0xc
	v_lshlrev_b64 v[17:18], 3, v[17:18]
	s_waitcnt lgkmcnt(0)
	s_and_b32 s14, s14, 0xffff
	s_delay_alu instid0(SALU_CYCLE_1) | instskip(NEXT) | instid1(SALU_CYCLE_1)
	s_lshl_b32 s14, s14, 1
	v_add_co_u32 v19, vcc_lo, v2, s14
	v_add_co_ci_u32_e32 v20, vcc_lo, 0, v3, vcc_lo
	v_add_co_u32 v17, vcc_lo, s37, v17
	v_add_co_ci_u32_e32 v18, vcc_lo, s38, v18, vcc_lo
	global_store_b64 v[17:18], v[19:20], off
.LBB910_44:                             ;   in Loop: Header=BB910_6 Depth=1
	s_or_b32 exec_lo, exec_lo, s13
	s_delay_alu instid0(SALU_CYCLE_1)
	s_mov_b32 s13, exec_lo
	v_cmpx_ne_u32_e32 0, v96
	s_cbranch_execz .LBB910_47
; %bb.45:                               ;   in Loop: Header=BB910_6 Depth=1
	s_waitcnt lgkmcnt(12)
	v_ashrrev_i32_e32 v17, 31, v16
	s_delay_alu instid0(VALU_DEP_1)
	v_cmp_gt_i64_e32 vcc_lo, s[30:31], v[16:17]
	s_and_b32 exec_lo, exec_lo, vcc_lo
	s_cbranch_execz .LBB910_47
; %bb.46:                               ;   in Loop: Header=BB910_6 Depth=1
	s_load_b32 s14, s[0:1], 0xc
	v_lshlrev_b64 v[16:17], 3, v[16:17]
	s_delay_alu instid0(VALU_DEP_1) | instskip(NEXT) | instid1(VALU_DEP_2)
	v_add_co_u32 v16, vcc_lo, s37, v16
	v_add_co_ci_u32_e32 v17, vcc_lo, s38, v17, vcc_lo
	s_waitcnt lgkmcnt(0)
	s_and_b32 s14, s14, 0xffff
	s_delay_alu instid0(SALU_CYCLE_1)
	v_mad_u64_u32 v[18:19], null, s14, 3, v[2:3]
	global_store_b64 v[16:17], v[18:19], off
.LBB910_47:                             ;   in Loop: Header=BB910_6 Depth=1
	s_or_b32 exec_lo, exec_lo, s13
	s_delay_alu instid0(SALU_CYCLE_1)
	s_mov_b32 s13, exec_lo
	v_cmpx_ne_u32_e32 0, v95
	s_cbranch_execz .LBB910_50
; %bb.48:                               ;   in Loop: Header=BB910_6 Depth=1
	s_waitcnt lgkmcnt(11)
	v_ashrrev_i32_e32 v16, 31, v15
	s_delay_alu instid0(VALU_DEP_1)
	v_cmp_gt_i64_e32 vcc_lo, s[30:31], v[15:16]
	s_and_b32 exec_lo, exec_lo, vcc_lo
	s_cbranch_execz .LBB910_50
; %bb.49:                               ;   in Loop: Header=BB910_6 Depth=1
	s_load_b32 s14, s[0:1], 0xc
	v_lshlrev_b64 v[15:16], 3, v[15:16]
	s_waitcnt lgkmcnt(0)
	s_and_b32 s14, s14, 0xffff
	s_delay_alu instid0(SALU_CYCLE_1) | instskip(NEXT) | instid1(SALU_CYCLE_1)
	s_lshl_b32 s14, s14, 2
	v_add_co_u32 v17, vcc_lo, v2, s14
	v_add_co_ci_u32_e32 v18, vcc_lo, 0, v3, vcc_lo
	v_add_co_u32 v15, vcc_lo, s37, v15
	v_add_co_ci_u32_e32 v16, vcc_lo, s38, v16, vcc_lo
	global_store_b64 v[15:16], v[17:18], off
.LBB910_50:                             ;   in Loop: Header=BB910_6 Depth=1
	s_or_b32 exec_lo, exec_lo, s13
	s_delay_alu instid0(SALU_CYCLE_1)
	s_mov_b32 s13, exec_lo
	v_cmpx_ne_u32_e32 0, v94
	s_cbranch_execz .LBB910_53
; %bb.51:                               ;   in Loop: Header=BB910_6 Depth=1
	s_waitcnt lgkmcnt(10)
	v_ashrrev_i32_e32 v15, 31, v14
	s_delay_alu instid0(VALU_DEP_1)
	v_cmp_gt_i64_e32 vcc_lo, s[30:31], v[14:15]
	s_and_b32 exec_lo, exec_lo, vcc_lo
	s_cbranch_execz .LBB910_53
; %bb.52:                               ;   in Loop: Header=BB910_6 Depth=1
	s_load_b32 s14, s[0:1], 0xc
	v_lshlrev_b64 v[14:15], 3, v[14:15]
	s_delay_alu instid0(VALU_DEP_1) | instskip(NEXT) | instid1(VALU_DEP_2)
	v_add_co_u32 v14, vcc_lo, s37, v14
	v_add_co_ci_u32_e32 v15, vcc_lo, s38, v15, vcc_lo
	s_waitcnt lgkmcnt(0)
	s_and_b32 s14, s14, 0xffff
	s_delay_alu instid0(SALU_CYCLE_1)
	v_mad_u64_u32 v[16:17], null, s14, 5, v[2:3]
	global_store_b64 v[14:15], v[16:17], off
.LBB910_53:                             ;   in Loop: Header=BB910_6 Depth=1
	s_or_b32 exec_lo, exec_lo, s13
	s_delay_alu instid0(SALU_CYCLE_1)
	s_mov_b32 s13, exec_lo
	v_cmpx_ne_u32_e32 0, v93
	s_cbranch_execz .LBB910_56
; %bb.54:                               ;   in Loop: Header=BB910_6 Depth=1
	s_waitcnt lgkmcnt(9)
	v_ashrrev_i32_e32 v14, 31, v13
	s_delay_alu instid0(VALU_DEP_1)
	v_cmp_gt_i64_e32 vcc_lo, s[30:31], v[13:14]
	s_and_b32 exec_lo, exec_lo, vcc_lo
	s_cbranch_execz .LBB910_56
; %bb.55:                               ;   in Loop: Header=BB910_6 Depth=1
	s_load_b32 s14, s[0:1], 0xc
	v_lshlrev_b64 v[13:14], 3, v[13:14]
	s_delay_alu instid0(VALU_DEP_1) | instskip(NEXT) | instid1(VALU_DEP_2)
	v_add_co_u32 v13, vcc_lo, s37, v13
	v_add_co_ci_u32_e32 v14, vcc_lo, s38, v14, vcc_lo
	s_waitcnt lgkmcnt(0)
	s_and_b32 s14, s14, 0xffff
	s_delay_alu instid0(SALU_CYCLE_1)
	v_mad_u64_u32 v[15:16], null, s14, 6, v[2:3]
	global_store_b64 v[13:14], v[15:16], off
.LBB910_56:                             ;   in Loop: Header=BB910_6 Depth=1
	;; [unrolled: 24-line block ×3, first 2 shown]
	s_or_b32 exec_lo, exec_lo, s13
	s_delay_alu instid0(SALU_CYCLE_1)
	s_mov_b32 s13, exec_lo
	v_cmpx_ne_u32_e32 0, v91
	s_cbranch_execz .LBB910_62
; %bb.60:                               ;   in Loop: Header=BB910_6 Depth=1
	s_waitcnt lgkmcnt(7)
	v_ashrrev_i32_e32 v12, 31, v11
	s_delay_alu instid0(VALU_DEP_1)
	v_cmp_gt_i64_e32 vcc_lo, s[30:31], v[11:12]
	s_and_b32 exec_lo, exec_lo, vcc_lo
	s_cbranch_execz .LBB910_62
; %bb.61:                               ;   in Loop: Header=BB910_6 Depth=1
	s_load_b32 s14, s[0:1], 0xc
	v_lshlrev_b64 v[11:12], 3, v[11:12]
	s_waitcnt lgkmcnt(0)
	s_and_b32 s14, s14, 0xffff
	s_delay_alu instid0(SALU_CYCLE_1) | instskip(NEXT) | instid1(SALU_CYCLE_1)
	s_lshl_b32 s14, s14, 3
	v_add_co_u32 v13, vcc_lo, v2, s14
	v_add_co_ci_u32_e32 v14, vcc_lo, 0, v3, vcc_lo
	v_add_co_u32 v11, vcc_lo, s37, v11
	v_add_co_ci_u32_e32 v12, vcc_lo, s38, v12, vcc_lo
	global_store_b64 v[11:12], v[13:14], off
.LBB910_62:                             ;   in Loop: Header=BB910_6 Depth=1
	s_or_b32 exec_lo, exec_lo, s13
	s_delay_alu instid0(SALU_CYCLE_1)
	s_mov_b32 s13, exec_lo
	v_cmpx_ne_u32_e32 0, v90
	s_cbranch_execz .LBB910_65
; %bb.63:                               ;   in Loop: Header=BB910_6 Depth=1
	s_waitcnt lgkmcnt(6)
	v_ashrrev_i32_e32 v11, 31, v10
	s_delay_alu instid0(VALU_DEP_1)
	v_cmp_gt_i64_e32 vcc_lo, s[30:31], v[10:11]
	s_and_b32 exec_lo, exec_lo, vcc_lo
	s_cbranch_execz .LBB910_65
; %bb.64:                               ;   in Loop: Header=BB910_6 Depth=1
	s_load_b32 s14, s[0:1], 0xc
	v_lshlrev_b64 v[10:11], 3, v[10:11]
	s_delay_alu instid0(VALU_DEP_1) | instskip(NEXT) | instid1(VALU_DEP_2)
	v_add_co_u32 v10, vcc_lo, s37, v10
	v_add_co_ci_u32_e32 v11, vcc_lo, s38, v11, vcc_lo
	s_waitcnt lgkmcnt(0)
	s_and_b32 s14, s14, 0xffff
	s_delay_alu instid0(SALU_CYCLE_1)
	v_mad_u64_u32 v[12:13], null, s14, 9, v[2:3]
	global_store_b64 v[10:11], v[12:13], off
.LBB910_65:                             ;   in Loop: Header=BB910_6 Depth=1
	s_or_b32 exec_lo, exec_lo, s13
	s_delay_alu instid0(SALU_CYCLE_1)
	s_mov_b32 s13, exec_lo
	v_cmpx_ne_u32_e32 0, v89
	s_cbranch_execz .LBB910_68
; %bb.66:                               ;   in Loop: Header=BB910_6 Depth=1
	s_waitcnt lgkmcnt(5)
	v_ashrrev_i32_e32 v10, 31, v9
	s_delay_alu instid0(VALU_DEP_1)
	v_cmp_gt_i64_e32 vcc_lo, s[30:31], v[9:10]
	s_and_b32 exec_lo, exec_lo, vcc_lo
	s_cbranch_execz .LBB910_68
; %bb.67:                               ;   in Loop: Header=BB910_6 Depth=1
	s_load_b32 s14, s[0:1], 0xc
	v_lshlrev_b64 v[9:10], 3, v[9:10]
	s_delay_alu instid0(VALU_DEP_1) | instskip(NEXT) | instid1(VALU_DEP_2)
	v_add_co_u32 v9, vcc_lo, s37, v9
	v_add_co_ci_u32_e32 v10, vcc_lo, s38, v10, vcc_lo
	s_waitcnt lgkmcnt(0)
	s_and_b32 s14, s14, 0xffff
	s_delay_alu instid0(SALU_CYCLE_1)
	v_mad_u64_u32 v[11:12], null, s14, 10, v[2:3]
	global_store_b64 v[9:10], v[11:12], off
.LBB910_68:                             ;   in Loop: Header=BB910_6 Depth=1
	s_or_b32 exec_lo, exec_lo, s13
	s_delay_alu instid0(SALU_CYCLE_1)
	s_mov_b32 s13, exec_lo
	v_cmpx_ne_u32_e32 0, v88
	s_cbranch_execz .LBB910_71
; %bb.69:                               ;   in Loop: Header=BB910_6 Depth=1
	s_waitcnt lgkmcnt(4)
	v_ashrrev_i32_e32 v9, 31, v8
	s_delay_alu instid0(VALU_DEP_1)
	v_cmp_gt_i64_e32 vcc_lo, s[30:31], v[8:9]
	s_and_b32 exec_lo, exec_lo, vcc_lo
	s_cbranch_execz .LBB910_71
; %bb.70:                               ;   in Loop: Header=BB910_6 Depth=1
	s_load_b32 s14, s[0:1], 0xc
	v_lshlrev_b64 v[8:9], 3, v[8:9]
	s_delay_alu instid0(VALU_DEP_1) | instskip(NEXT) | instid1(VALU_DEP_2)
	v_add_co_u32 v8, vcc_lo, s37, v8
	v_add_co_ci_u32_e32 v9, vcc_lo, s38, v9, vcc_lo
	s_waitcnt lgkmcnt(0)
	s_and_b32 s14, s14, 0xffff
	s_delay_alu instid0(SALU_CYCLE_1)
	v_mad_u64_u32 v[10:11], null, s14, 11, v[2:3]
	global_store_b64 v[8:9], v[10:11], off
.LBB910_71:                             ;   in Loop: Header=BB910_6 Depth=1
	s_or_b32 exec_lo, exec_lo, s13
	s_delay_alu instid0(SALU_CYCLE_1)
	s_mov_b32 s13, exec_lo
	v_cmpx_ne_u32_e32 0, v87
	s_cbranch_execz .LBB910_74
; %bb.72:                               ;   in Loop: Header=BB910_6 Depth=1
	s_waitcnt lgkmcnt(3)
	v_ashrrev_i32_e32 v8, 31, v7
	s_delay_alu instid0(VALU_DEP_1)
	v_cmp_gt_i64_e32 vcc_lo, s[30:31], v[7:8]
	s_and_b32 exec_lo, exec_lo, vcc_lo
	s_cbranch_execz .LBB910_74
; %bb.73:                               ;   in Loop: Header=BB910_6 Depth=1
	s_load_b32 s14, s[0:1], 0xc
	v_lshlrev_b64 v[7:8], 3, v[7:8]
	s_delay_alu instid0(VALU_DEP_1) | instskip(NEXT) | instid1(VALU_DEP_2)
	v_add_co_u32 v7, vcc_lo, s37, v7
	v_add_co_ci_u32_e32 v8, vcc_lo, s38, v8, vcc_lo
	s_waitcnt lgkmcnt(0)
	s_and_b32 s14, s14, 0xffff
	s_delay_alu instid0(SALU_CYCLE_1)
	v_mad_u64_u32 v[9:10], null, s14, 12, v[2:3]
	global_store_b64 v[7:8], v[9:10], off
.LBB910_74:                             ;   in Loop: Header=BB910_6 Depth=1
	s_or_b32 exec_lo, exec_lo, s13
	s_delay_alu instid0(SALU_CYCLE_1)
	s_mov_b32 s13, exec_lo
	v_cmpx_ne_u32_e32 0, v86
	s_cbranch_execz .LBB910_77
; %bb.75:                               ;   in Loop: Header=BB910_6 Depth=1
	s_waitcnt lgkmcnt(2)
	v_ashrrev_i32_e32 v7, 31, v6
	s_delay_alu instid0(VALU_DEP_1)
	v_cmp_gt_i64_e32 vcc_lo, s[30:31], v[6:7]
	s_and_b32 exec_lo, exec_lo, vcc_lo
	s_cbranch_execz .LBB910_77
; %bb.76:                               ;   in Loop: Header=BB910_6 Depth=1
	s_load_b32 s14, s[0:1], 0xc
	v_lshlrev_b64 v[6:7], 3, v[6:7]
	s_delay_alu instid0(VALU_DEP_1) | instskip(NEXT) | instid1(VALU_DEP_2)
	v_add_co_u32 v6, vcc_lo, s37, v6
	v_add_co_ci_u32_e32 v7, vcc_lo, s38, v7, vcc_lo
	s_waitcnt lgkmcnt(0)
	s_and_b32 s14, s14, 0xffff
	s_delay_alu instid0(SALU_CYCLE_1)
	v_mad_u64_u32 v[8:9], null, s14, 13, v[2:3]
	global_store_b64 v[6:7], v[8:9], off
.LBB910_77:                             ;   in Loop: Header=BB910_6 Depth=1
	s_or_b32 exec_lo, exec_lo, s13
	s_delay_alu instid0(SALU_CYCLE_1)
	s_mov_b32 s13, exec_lo
	v_cmpx_ne_u32_e32 0, v85
	s_cbranch_execz .LBB910_80
; %bb.78:                               ;   in Loop: Header=BB910_6 Depth=1
	s_waitcnt lgkmcnt(1)
	v_ashrrev_i32_e32 v6, 31, v5
	s_delay_alu instid0(VALU_DEP_1)
	v_cmp_gt_i64_e32 vcc_lo, s[30:31], v[5:6]
	s_and_b32 exec_lo, exec_lo, vcc_lo
	s_cbranch_execz .LBB910_80
; %bb.79:                               ;   in Loop: Header=BB910_6 Depth=1
	s_load_b32 s14, s[0:1], 0xc
	v_lshlrev_b64 v[5:6], 3, v[5:6]
	s_delay_alu instid0(VALU_DEP_1) | instskip(NEXT) | instid1(VALU_DEP_2)
	v_add_co_u32 v5, vcc_lo, s37, v5
	v_add_co_ci_u32_e32 v6, vcc_lo, s38, v6, vcc_lo
	s_waitcnt lgkmcnt(0)
	s_and_b32 s14, s14, 0xffff
	s_delay_alu instid0(SALU_CYCLE_1)
	v_mad_u64_u32 v[7:8], null, s14, 14, v[2:3]
	global_store_b64 v[5:6], v[7:8], off
.LBB910_80:                             ;   in Loop: Header=BB910_6 Depth=1
	s_or_b32 exec_lo, exec_lo, s13
	s_delay_alu instid0(SALU_CYCLE_1)
	s_mov_b32 s13, exec_lo
	v_cmpx_ne_u32_e32 0, v84
	s_cbranch_execz .LBB910_83
; %bb.81:                               ;   in Loop: Header=BB910_6 Depth=1
	s_waitcnt lgkmcnt(0)
	v_ashrrev_i32_e32 v5, 31, v4
	s_delay_alu instid0(VALU_DEP_1)
	v_cmp_gt_i64_e32 vcc_lo, s[30:31], v[4:5]
	s_and_b32 exec_lo, exec_lo, vcc_lo
	s_cbranch_execz .LBB910_83
; %bb.82:                               ;   in Loop: Header=BB910_6 Depth=1
	s_load_b32 s14, s[0:1], 0xc
	v_lshlrev_b64 v[4:5], 3, v[4:5]
	s_waitcnt lgkmcnt(0)
	s_and_b32 s14, s14, 0xffff
	s_delay_alu instid0(SALU_CYCLE_1) | instskip(NEXT) | instid1(VALU_DEP_2)
	v_mad_u64_u32 v[6:7], null, s14, 15, v[2:3]
	v_add_co_u32 v2, vcc_lo, s37, v4
	s_delay_alu instid0(VALU_DEP_3)
	v_add_co_ci_u32_e32 v3, vcc_lo, s38, v5, vcc_lo
	global_store_b64 v[2:3], v[6:7], off
.LBB910_83:                             ;   in Loop: Header=BB910_6 Depth=1
	s_or_b32 exec_lo, exec_lo, s13
	ds_load_b32 v2, v1 offset:33792
	v_cmp_gt_i64_e64 s13, 0x2001, s[34:35]
	s_waitcnt lgkmcnt(0)
	v_readfirstlane_b32 s14, v2
	s_delay_alu instid0(VALU_DEP_1) | instskip(SKIP_2) | instid1(SALU_CYCLE_1)
	s_ashr_i32 s15, s14, 31
	s_sub_u32 s30, s30, s14
	s_subb_u32 s31, s31, s15
	v_cmp_lt_i64_e64 s16, s[30:31], 1
	s_delay_alu instid0(VALU_DEP_1) | instskip(NEXT) | instid1(SALU_CYCLE_1)
	s_or_b32 s13, s13, s16
	s_and_b32 vcc_lo, exec_lo, s13
	s_cbranch_vccnz .LBB910_5
; %bb.84:                               ;   in Loop: Header=BB910_6 Depth=1
	s_add_u32 s28, s28, 0x2000
	s_addc_u32 s29, s29, 0
	s_add_u32 s33, s33, 0x10000
	s_addc_u32 s36, s36, 0
	s_lshl_b64 s[14:15], s[14:15], 3
	s_waitcnt_vscnt null, 0x0
	s_add_u32 s37, s37, s14
	s_addc_u32 s38, s38, s15
	s_barrier
	buffer_gl0_inv
	s_branch .LBB910_5
.LBB910_85:                             ;   in Loop: Header=BB910_6 Depth=1
	global_load_b64 v[84:85], v[18:19], off
	v_mov_b32_e32 v15, v1
	v_mov_b32_e32 v2, v1
	;; [unrolled: 1-line block ×15, first 2 shown]
	s_delay_alu instid0(VALU_DEP_2)
	v_dual_mov_b32 v16, v14 :: v_dual_mov_b32 v15, v13
	v_mov_b32_e32 v14, v12
	v_mov_b32_e32 v13, v11
	;; [unrolled: 1-line block ×13, first 2 shown]
	s_waitcnt vmcnt(0)
	v_cmp_neq_f64_e32 vcc_lo, 0, v[84:85]
	v_cndmask_b32_e64 v2, 0, 1, vcc_lo
	s_or_b32 exec_lo, exec_lo, s13
	s_delay_alu instid0(SALU_CYCLE_1)
	s_mov_b32 s13, exec_lo
	v_cmpx_gt_u32_e64 s34, v43
	s_cbranch_execz .LBB910_9
.LBB910_86:                             ;   in Loop: Header=BB910_6 Depth=1
	global_load_b64 v[84:85], v[18:19], off offset:256
	s_waitcnt vmcnt(0)
	v_cmp_neq_f64_e32 vcc_lo, 0, v[84:85]
	v_cndmask_b32_e64 v3, 0, 1, vcc_lo
	s_or_b32 exec_lo, exec_lo, s13
	s_delay_alu instid0(SALU_CYCLE_1)
	s_mov_b32 s13, exec_lo
	v_cmpx_gt_u32_e64 s34, v44
	s_cbranch_execz .LBB910_10
.LBB910_87:                             ;   in Loop: Header=BB910_6 Depth=1
	global_load_b64 v[84:85], v[18:19], off offset:512
	s_waitcnt vmcnt(0)
	v_cmp_neq_f64_e32 vcc_lo, 0, v[84:85]
	v_cndmask_b32_e64 v4, 0, 1, vcc_lo
	s_or_b32 exec_lo, exec_lo, s13
	s_delay_alu instid0(SALU_CYCLE_1)
	s_mov_b32 s13, exec_lo
	v_cmpx_gt_u32_e64 s34, v45
	s_cbranch_execz .LBB910_11
.LBB910_88:                             ;   in Loop: Header=BB910_6 Depth=1
	global_load_b64 v[84:85], v[18:19], off offset:768
	s_waitcnt vmcnt(0)
	v_cmp_neq_f64_e32 vcc_lo, 0, v[84:85]
	v_cndmask_b32_e64 v5, 0, 1, vcc_lo
	s_or_b32 exec_lo, exec_lo, s13
	s_delay_alu instid0(SALU_CYCLE_1)
	s_mov_b32 s13, exec_lo
	v_cmpx_gt_u32_e64 s34, v46
	s_cbranch_execz .LBB910_12
.LBB910_89:                             ;   in Loop: Header=BB910_6 Depth=1
	global_load_b64 v[84:85], v[18:19], off offset:1024
	s_waitcnt vmcnt(0)
	v_cmp_neq_f64_e32 vcc_lo, 0, v[84:85]
	v_cndmask_b32_e64 v6, 0, 1, vcc_lo
	s_or_b32 exec_lo, exec_lo, s13
	s_delay_alu instid0(SALU_CYCLE_1)
	s_mov_b32 s13, exec_lo
	v_cmpx_gt_u32_e64 s34, v47
	s_cbranch_execz .LBB910_13
.LBB910_90:                             ;   in Loop: Header=BB910_6 Depth=1
	global_load_b64 v[84:85], v[18:19], off offset:1280
	s_waitcnt vmcnt(0)
	v_cmp_neq_f64_e32 vcc_lo, 0, v[84:85]
	v_cndmask_b32_e64 v7, 0, 1, vcc_lo
	s_or_b32 exec_lo, exec_lo, s13
	s_delay_alu instid0(SALU_CYCLE_1)
	s_mov_b32 s13, exec_lo
	v_cmpx_gt_u32_e64 s34, v48
	s_cbranch_execz .LBB910_14
.LBB910_91:                             ;   in Loop: Header=BB910_6 Depth=1
	global_load_b64 v[84:85], v[18:19], off offset:1536
	s_waitcnt vmcnt(0)
	v_cmp_neq_f64_e32 vcc_lo, 0, v[84:85]
	v_cndmask_b32_e64 v8, 0, 1, vcc_lo
	s_or_b32 exec_lo, exec_lo, s13
	s_delay_alu instid0(SALU_CYCLE_1)
	s_mov_b32 s13, exec_lo
	v_cmpx_gt_u32_e64 s34, v49
	s_cbranch_execz .LBB910_15
.LBB910_92:                             ;   in Loop: Header=BB910_6 Depth=1
	global_load_b64 v[84:85], v[18:19], off offset:1792
	s_waitcnt vmcnt(0)
	v_cmp_neq_f64_e32 vcc_lo, 0, v[84:85]
	v_cndmask_b32_e64 v9, 0, 1, vcc_lo
	s_or_b32 exec_lo, exec_lo, s13
	s_delay_alu instid0(SALU_CYCLE_1)
	s_mov_b32 s13, exec_lo
	v_cmpx_gt_u32_e64 s34, v50
	s_cbranch_execz .LBB910_16
.LBB910_93:                             ;   in Loop: Header=BB910_6 Depth=1
	global_load_b64 v[84:85], v[18:19], off offset:2048
	s_waitcnt vmcnt(0)
	v_cmp_neq_f64_e32 vcc_lo, 0, v[84:85]
	v_cndmask_b32_e64 v10, 0, 1, vcc_lo
	s_or_b32 exec_lo, exec_lo, s13
	s_delay_alu instid0(SALU_CYCLE_1)
	s_mov_b32 s13, exec_lo
	v_cmpx_gt_u32_e64 s34, v51
	s_cbranch_execz .LBB910_17
.LBB910_94:                             ;   in Loop: Header=BB910_6 Depth=1
	global_load_b64 v[84:85], v[18:19], off offset:2304
	s_waitcnt vmcnt(0)
	v_cmp_neq_f64_e32 vcc_lo, 0, v[84:85]
	v_cndmask_b32_e64 v11, 0, 1, vcc_lo
	s_or_b32 exec_lo, exec_lo, s13
	s_delay_alu instid0(SALU_CYCLE_1)
	s_mov_b32 s13, exec_lo
	v_cmpx_gt_u32_e64 s34, v52
	s_cbranch_execz .LBB910_18
.LBB910_95:                             ;   in Loop: Header=BB910_6 Depth=1
	global_load_b64 v[84:85], v[18:19], off offset:2560
	s_waitcnt vmcnt(0)
	v_cmp_neq_f64_e32 vcc_lo, 0, v[84:85]
	v_cndmask_b32_e64 v12, 0, 1, vcc_lo
	s_or_b32 exec_lo, exec_lo, s13
	s_delay_alu instid0(SALU_CYCLE_1)
	s_mov_b32 s13, exec_lo
	v_cmpx_gt_u32_e64 s34, v53
	s_cbranch_execz .LBB910_19
.LBB910_96:                             ;   in Loop: Header=BB910_6 Depth=1
	global_load_b64 v[84:85], v[18:19], off offset:2816
	s_waitcnt vmcnt(0)
	v_cmp_neq_f64_e32 vcc_lo, 0, v[84:85]
	v_cndmask_b32_e64 v13, 0, 1, vcc_lo
	s_or_b32 exec_lo, exec_lo, s13
	s_delay_alu instid0(SALU_CYCLE_1)
	s_mov_b32 s13, exec_lo
	v_cmpx_gt_u32_e64 s34, v54
	s_cbranch_execz .LBB910_20
.LBB910_97:                             ;   in Loop: Header=BB910_6 Depth=1
	global_load_b64 v[84:85], v[18:19], off offset:3072
	s_waitcnt vmcnt(0)
	v_cmp_neq_f64_e32 vcc_lo, 0, v[84:85]
	v_cndmask_b32_e64 v14, 0, 1, vcc_lo
	s_or_b32 exec_lo, exec_lo, s13
	s_delay_alu instid0(SALU_CYCLE_1)
	s_mov_b32 s13, exec_lo
	v_cmpx_gt_u32_e64 s34, v55
	s_cbranch_execz .LBB910_21
.LBB910_98:                             ;   in Loop: Header=BB910_6 Depth=1
	global_load_b64 v[84:85], v[18:19], off offset:3328
	s_waitcnt vmcnt(0)
	v_cmp_neq_f64_e32 vcc_lo, 0, v[84:85]
	v_cndmask_b32_e64 v15, 0, 1, vcc_lo
	s_or_b32 exec_lo, exec_lo, s13
	s_delay_alu instid0(SALU_CYCLE_1)
	s_mov_b32 s13, exec_lo
	v_cmpx_gt_u32_e64 s34, v56
	s_cbranch_execz .LBB910_22
.LBB910_99:                             ;   in Loop: Header=BB910_6 Depth=1
	global_load_b64 v[84:85], v[18:19], off offset:3584
	s_waitcnt vmcnt(0)
	v_cmp_neq_f64_e32 vcc_lo, 0, v[84:85]
	v_cndmask_b32_e64 v16, 0, 1, vcc_lo
	s_or_b32 exec_lo, exec_lo, s13
	s_delay_alu instid0(SALU_CYCLE_1)
	s_mov_b32 s13, exec_lo
	v_cmpx_gt_u32_e64 s34, v57
	s_cbranch_execnz .LBB910_23
	s_branch .LBB910_24
.LBB910_100:
	s_nop 0
	s_sendmsg sendmsg(MSG_DEALLOC_VGPRS)
	s_endpgm
	.section	.rodata,"a",@progbits
	.p2align	6, 0x0
	.amdhsa_kernel _ZN2at6native12_GLOBAL__N_111flag_kernelILi512ELi16EdEEvPKT1_PlPKllli
		.amdhsa_group_segment_fixed_size 33796
		.amdhsa_private_segment_fixed_size 0
		.amdhsa_kernarg_size 304
		.amdhsa_user_sgpr_count 15
		.amdhsa_user_sgpr_dispatch_ptr 0
		.amdhsa_user_sgpr_queue_ptr 0
		.amdhsa_user_sgpr_kernarg_segment_ptr 1
		.amdhsa_user_sgpr_dispatch_id 0
		.amdhsa_user_sgpr_private_segment_size 0
		.amdhsa_wavefront_size32 1
		.amdhsa_uses_dynamic_stack 0
		.amdhsa_enable_private_segment 0
		.amdhsa_system_sgpr_workgroup_id_x 1
		.amdhsa_system_sgpr_workgroup_id_y 0
		.amdhsa_system_sgpr_workgroup_id_z 0
		.amdhsa_system_sgpr_workgroup_info 0
		.amdhsa_system_vgpr_workitem_id 0
		.amdhsa_next_free_vgpr 109
		.amdhsa_next_free_sgpr 40
		.amdhsa_reserve_vcc 1
		.amdhsa_float_round_mode_32 0
		.amdhsa_float_round_mode_16_64 0
		.amdhsa_float_denorm_mode_32 3
		.amdhsa_float_denorm_mode_16_64 3
		.amdhsa_dx10_clamp 1
		.amdhsa_ieee_mode 1
		.amdhsa_fp16_overflow 0
		.amdhsa_workgroup_processor_mode 1
		.amdhsa_memory_ordered 1
		.amdhsa_forward_progress 0
		.amdhsa_shared_vgpr_count 0
		.amdhsa_exception_fp_ieee_invalid_op 0
		.amdhsa_exception_fp_denorm_src 0
		.amdhsa_exception_fp_ieee_div_zero 0
		.amdhsa_exception_fp_ieee_overflow 0
		.amdhsa_exception_fp_ieee_underflow 0
		.amdhsa_exception_fp_ieee_inexact 0
		.amdhsa_exception_int_div_zero 0
	.end_amdhsa_kernel
	.section	.text._ZN2at6native12_GLOBAL__N_111flag_kernelILi512ELi16EdEEvPKT1_PlPKllli,"axG",@progbits,_ZN2at6native12_GLOBAL__N_111flag_kernelILi512ELi16EdEEvPKT1_PlPKllli,comdat
.Lfunc_end910:
	.size	_ZN2at6native12_GLOBAL__N_111flag_kernelILi512ELi16EdEEvPKT1_PlPKllli, .Lfunc_end910-_ZN2at6native12_GLOBAL__N_111flag_kernelILi512ELi16EdEEvPKT1_PlPKllli
                                        ; -- End function
	.section	.AMDGPU.csdata,"",@progbits
; Kernel info:
; codeLenInByte = 6260
; NumSgprs: 42
; NumVgprs: 109
; ScratchSize: 0
; MemoryBound: 0
; FloatMode: 240
; IeeeMode: 1
; LDSByteSize: 33796 bytes/workgroup (compile time only)
; SGPRBlocks: 5
; VGPRBlocks: 13
; NumSGPRsForWavesPerEU: 42
; NumVGPRsForWavesPerEU: 109
; Occupancy: 12
; WaveLimiterHint : 1
; COMPUTE_PGM_RSRC2:SCRATCH_EN: 0
; COMPUTE_PGM_RSRC2:USER_SGPR: 15
; COMPUTE_PGM_RSRC2:TRAP_HANDLER: 0
; COMPUTE_PGM_RSRC2:TGID_X_EN: 1
; COMPUTE_PGM_RSRC2:TGID_Y_EN: 0
; COMPUTE_PGM_RSRC2:TGID_Z_EN: 0
; COMPUTE_PGM_RSRC2:TIDIG_COMP_CNT: 0
	.section	.text._ZN2at4cuda3cub15calc_block_sumsILi512ELi16ELb1EfiEEvPKT2_PT3_li,"axG",@progbits,_ZN2at4cuda3cub15calc_block_sumsILi512ELi16ELb1EfiEEvPKT2_PT3_li,comdat
	.protected	_ZN2at4cuda3cub15calc_block_sumsILi512ELi16ELb1EfiEEvPKT2_PT3_li ; -- Begin function _ZN2at4cuda3cub15calc_block_sumsILi512ELi16ELb1EfiEEvPKT2_PT3_li
	.globl	_ZN2at4cuda3cub15calc_block_sumsILi512ELi16ELb1EfiEEvPKT2_PT3_li
	.p2align	8
	.type	_ZN2at4cuda3cub15calc_block_sumsILi512ELi16ELb1EfiEEvPKT2_PT3_li,@function
_ZN2at4cuda3cub15calc_block_sumsILi512ELi16ELb1EfiEEvPKT2_PT3_li: ; @_ZN2at4cuda3cub15calc_block_sumsILi512ELi16ELb1EfiEEvPKT2_PT3_li
; %bb.0:
	s_clause 0x1
	s_load_b32 s26, s[0:1], 0x18
	s_load_b64 s[4:5], s[0:1], 0x10
	s_waitcnt lgkmcnt(0)
	s_lshl_b32 s3, s26, 13
	s_delay_alu instid0(SALU_CYCLE_1)
	s_ashr_i32 s6, s3, 31
	s_mul_hi_u32 s8, s3, s15
	s_mul_i32 s7, s6, s15
	s_mul_i32 s6, s3, s15
	s_add_i32 s7, s8, s7
	s_sub_u32 s24, s4, s6
	s_subb_u32 s25, s5, s7
	s_delay_alu instid0(SALU_CYCLE_1) | instskip(NEXT) | instid1(VALU_DEP_1)
	v_cmp_lt_i64_e64 s3, s[24:25], 1
	s_and_b32 vcc_lo, exec_lo, s3
	s_cbranch_vccnz .LBB911_58
; %bb.1:
	s_load_b128 s[20:23], s[0:1], 0x0
	s_mov_b32 s2, s15
	s_cmp_gt_i32 s26, 0
	s_mov_b32 s3, 0
	s_cbranch_scc1 .LBB911_3
; %bb.2:
	s_mov_b32 s0, 0
	s_mov_b32 s1, s3
	v_mov_b32_e32 v21, s0
	s_and_not1_b32 vcc_lo, exec_lo, s1
	s_mov_b32 s5, s3
	s_cbranch_vccz .LBB911_4
	s_branch .LBB911_56
.LBB911_3:
                                        ; implicit-def: $sgpr0
	v_mov_b32_e32 v21, s0
	s_mov_b32 s5, s3
.LBB911_4:
	v_lshrrev_b32_e32 v1, 3, v0
	s_mul_i32 s0, s2, s26
	v_dual_mov_b32 v21, 0 :: v_dual_add_nc_u32 v22, 0x200, v0
	s_lshl_b32 s1, s0, 13
	s_delay_alu instid0(VALU_DEP_2)
	v_dual_mov_b32 v2, 0 :: v_dual_and_b32 v37, 0x7c, v1
	v_lshlrev_b32_e32 v1, 2, v0
	s_sub_i32 s27, s4, s1
	s_lshl_b64 s[4:5], s[6:7], 2
	v_or_b32_e32 v23, 0x400, v0
	s_waitcnt lgkmcnt(0)
	s_add_u32 s1, s20, s4
	s_addc_u32 s4, s21, s5
	v_add_co_u32 v19, s1, s1, v1
	v_add_nc_u32_e32 v24, 0x600, v0
	v_or_b32_e32 v25, 0x800, v0
	v_add_nc_u32_e32 v26, 0xa00, v0
	v_or_b32_e32 v27, 0xc00, v0
	;; [unrolled: 2-line block ×6, first 2 shown]
	v_add_nc_u32_e32 v36, 0x1e00, v0
	v_cmp_gt_u32_e64 s0, 32, v0
	v_add_co_ci_u32_e64 v20, null, s4, 0, s1
	v_mbcnt_lo_u32_b32 v38, -1, 0
	s_mov_b32 s4, 0
	s_mov_b32 s1, -1
	s_mov_b32 s20, 0
	v_cmp_gt_i64_e64 s5, 0x2000, s[24:25]
                                        ; implicit-def: $vgpr1
	s_delay_alu instid0(VALU_DEP_1)
	s_and_b32 vcc_lo, exec_lo, s5
	s_mov_b32 s5, -1
	s_cbranch_vccnz .LBB911_8
.LBB911_5:
	s_and_b32 vcc_lo, exec_lo, s5
	s_cbranch_vccnz .LBB911_30
.LBB911_6:
	v_cmp_lt_i64_e64 s5, 0x2000, s[24:25]
	s_delay_alu instid0(VALU_DEP_2) | instskip(NEXT) | instid1(VALU_DEP_2)
	v_add_nc_u32_e32 v21, v1, v21
	s_and_b32 vcc_lo, exec_lo, s5
	s_cbranch_vccz .LBB911_35
.LBB911_7:
	s_add_u32 s24, s24, 0xffffe000
	s_addc_u32 s25, s25, -1
	s_add_i32 s20, s20, 1
	v_add_co_u32 v19, vcc_lo, 0x8000, v19
	s_cmp_lt_i32 s20, s26
	v_add_co_ci_u32_e32 v20, vcc_lo, 0, v20, vcc_lo
	s_cselect_b32 s5, -1, 0
	s_addk_i32 s27, 0xe000
	s_cmp_eq_u32 s26, s20
	s_mov_b32 s6, 0
	s_cselect_b32 s7, -1, 0
	s_barrier
	buffer_gl0_inv
	s_and_not1_b32 vcc_lo, exec_lo, s7
	s_cbranch_vccnz .LBB911_36
	s_branch .LBB911_52
.LBB911_8:
	s_mov_b32 s5, s4
	s_mov_b32 s6, s4
	;; [unrolled: 1-line block ×15, first 2 shown]
	v_dual_mov_b32 v3, s4 :: v_dual_mov_b32 v4, s5
	v_dual_mov_b32 v5, s6 :: v_dual_mov_b32 v6, s7
	;; [unrolled: 1-line block ×8, first 2 shown]
	s_mov_b32 s5, exec_lo
	v_cmpx_gt_u32_e64 s27, v0
	s_cbranch_execnz .LBB911_37
; %bb.9:
	s_or_b32 exec_lo, exec_lo, s5
	s_delay_alu instid0(SALU_CYCLE_1)
	s_mov_b32 s5, exec_lo
	v_cmpx_gt_u32_e64 s27, v22
	s_cbranch_execnz .LBB911_38
.LBB911_10:
	s_or_b32 exec_lo, exec_lo, s5
	s_delay_alu instid0(SALU_CYCLE_1)
	s_mov_b32 s5, exec_lo
	v_cmpx_gt_u32_e64 s27, v23
	s_cbranch_execnz .LBB911_39
.LBB911_11:
	s_or_b32 exec_lo, exec_lo, s5
	s_delay_alu instid0(SALU_CYCLE_1)
	s_mov_b32 s5, exec_lo
	v_cmpx_gt_u32_e64 s27, v24
	s_cbranch_execnz .LBB911_40
.LBB911_12:
	s_or_b32 exec_lo, exec_lo, s5
	s_delay_alu instid0(SALU_CYCLE_1)
	s_mov_b32 s5, exec_lo
	v_cmpx_gt_u32_e64 s27, v25
	s_cbranch_execnz .LBB911_41
.LBB911_13:
	s_or_b32 exec_lo, exec_lo, s5
	s_delay_alu instid0(SALU_CYCLE_1)
	s_mov_b32 s5, exec_lo
	v_cmpx_gt_u32_e64 s27, v26
	s_cbranch_execnz .LBB911_42
.LBB911_14:
	s_or_b32 exec_lo, exec_lo, s5
	s_delay_alu instid0(SALU_CYCLE_1)
	s_mov_b32 s5, exec_lo
	v_cmpx_gt_u32_e64 s27, v27
	s_cbranch_execnz .LBB911_43
.LBB911_15:
	s_or_b32 exec_lo, exec_lo, s5
	s_delay_alu instid0(SALU_CYCLE_1)
	s_mov_b32 s5, exec_lo
	v_cmpx_gt_u32_e64 s27, v28
	s_cbranch_execnz .LBB911_44
.LBB911_16:
	s_or_b32 exec_lo, exec_lo, s5
	s_delay_alu instid0(SALU_CYCLE_1)
	s_mov_b32 s5, exec_lo
	v_cmpx_gt_u32_e64 s27, v29
	s_cbranch_execnz .LBB911_45
.LBB911_17:
	s_or_b32 exec_lo, exec_lo, s5
	s_delay_alu instid0(SALU_CYCLE_1)
	s_mov_b32 s5, exec_lo
	v_cmpx_gt_u32_e64 s27, v30
	s_cbranch_execnz .LBB911_46
.LBB911_18:
	s_or_b32 exec_lo, exec_lo, s5
	s_delay_alu instid0(SALU_CYCLE_1)
	s_mov_b32 s5, exec_lo
	v_cmpx_gt_u32_e64 s27, v31
	s_cbranch_execnz .LBB911_47
.LBB911_19:
	s_or_b32 exec_lo, exec_lo, s5
	s_delay_alu instid0(SALU_CYCLE_1)
	s_mov_b32 s5, exec_lo
	v_cmpx_gt_u32_e64 s27, v32
	s_cbranch_execnz .LBB911_48
.LBB911_20:
	s_or_b32 exec_lo, exec_lo, s5
	s_delay_alu instid0(SALU_CYCLE_1)
	s_mov_b32 s5, exec_lo
	v_cmpx_gt_u32_e64 s27, v33
	s_cbranch_execnz .LBB911_49
.LBB911_21:
	s_or_b32 exec_lo, exec_lo, s5
	s_delay_alu instid0(SALU_CYCLE_1)
	s_mov_b32 s5, exec_lo
	v_cmpx_gt_u32_e64 s27, v34
	s_cbranch_execnz .LBB911_50
.LBB911_22:
	s_or_b32 exec_lo, exec_lo, s5
	s_delay_alu instid0(SALU_CYCLE_1)
	s_mov_b32 s5, exec_lo
	v_cmpx_gt_u32_e64 s27, v35
	s_cbranch_execnz .LBB911_51
.LBB911_23:
	s_or_b32 exec_lo, exec_lo, s5
	s_delay_alu instid0(SALU_CYCLE_1)
	s_mov_b32 s5, exec_lo
	v_cmpx_gt_u32_e64 s27, v36
	s_cbranch_execz .LBB911_25
.LBB911_24:
	v_add_co_u32 v39, vcc_lo, 0x7000, v19
	v_add_co_ci_u32_e32 v40, vcc_lo, 0, v20, vcc_lo
	global_load_b32 v1, v[39:40], off offset:2048
	s_waitcnt vmcnt(0)
	v_cmp_neq_f32_e32 vcc_lo, 0, v1
	v_cndmask_b32_e64 v18, 0, 1, vcc_lo
.LBB911_25:
	s_or_b32 exec_lo, exec_lo, s5
	v_add_nc_u32_e32 v1, v4, v3
	s_mov_b32 s5, exec_lo
	s_barrier
	buffer_gl0_inv
	v_add3_u32 v1, v1, v5, v6
	s_delay_alu instid0(VALU_DEP_1) | instskip(NEXT) | instid1(VALU_DEP_1)
	v_add3_u32 v1, v1, v7, v8
	v_add3_u32 v1, v1, v9, v10
	s_delay_alu instid0(VALU_DEP_1) | instskip(NEXT) | instid1(VALU_DEP_1)
	v_add3_u32 v1, v1, v11, v12
	;; [unrolled: 3-line block ×3, first 2 shown]
	v_add3_u32 v1, v1, v17, v18
	s_delay_alu instid0(VALU_DEP_1) | instskip(NEXT) | instid1(VALU_DEP_1)
	v_mov_b32_dpp v3, v1 quad_perm:[1,0,3,2] row_mask:0xf bank_mask:0xf
	v_add_nc_u32_e32 v1, v1, v3
	s_delay_alu instid0(VALU_DEP_1) | instskip(NEXT) | instid1(VALU_DEP_1)
	v_mov_b32_dpp v3, v1 quad_perm:[2,3,0,1] row_mask:0xf bank_mask:0xf
	v_add_nc_u32_e32 v1, v1, v3
	s_delay_alu instid0(VALU_DEP_1) | instskip(NEXT) | instid1(VALU_DEP_1)
	v_mov_b32_dpp v3, v1 row_ror:4 row_mask:0xf bank_mask:0xf
	v_add_nc_u32_e32 v1, v1, v3
	s_delay_alu instid0(VALU_DEP_1) | instskip(NEXT) | instid1(VALU_DEP_1)
	v_mov_b32_dpp v3, v1 row_ror:8 row_mask:0xf bank_mask:0xf
	v_add_nc_u32_e32 v1, v1, v3
	ds_swizzle_b32 v3, v1 offset:swizzle(BROADCAST,32,15)
	s_waitcnt lgkmcnt(0)
	v_add_nc_u32_e32 v1, v1, v3
	ds_bpermute_b32 v1, v2, v1 offset:124
	v_cmpx_eq_u32_e32 0, v38
	s_cbranch_execz .LBB911_27
; %bb.26:
	s_waitcnt lgkmcnt(0)
	ds_store_b32 v37, v1
.LBB911_27:
	s_or_b32 exec_lo, exec_lo, s5
	s_waitcnt lgkmcnt(0)
	s_barrier
	buffer_gl0_inv
	s_and_saveexec_b32 s5, s0
	s_cbranch_execz .LBB911_29
; %bb.28:
	v_and_b32_e32 v1, 15, v38
	s_delay_alu instid0(VALU_DEP_1) | instskip(SKIP_4) | instid1(VALU_DEP_2)
	v_lshlrev_b32_e32 v3, 2, v1
	v_cmp_ne_u32_e32 vcc_lo, 15, v1
	ds_load_b32 v3, v3
	v_add_co_ci_u32_e32 v4, vcc_lo, 0, v38, vcc_lo
	v_cmp_gt_u32_e32 vcc_lo, 14, v1
	v_lshlrev_b32_e32 v4, 2, v4
	v_cndmask_b32_e64 v5, 0, 1, vcc_lo
	v_cmp_gt_u32_e32 vcc_lo, 12, v1
	s_delay_alu instid0(VALU_DEP_2) | instskip(NEXT) | instid1(VALU_DEP_1)
	v_lshlrev_b32_e32 v5, 1, v5
	v_add_lshl_u32 v5, v5, v38, 2
	s_waitcnt lgkmcnt(0)
	ds_bpermute_b32 v4, v4, v3
	s_waitcnt lgkmcnt(0)
	v_add_nc_u32_e32 v3, v4, v3
	ds_bpermute_b32 v4, v5, v3
	v_cndmask_b32_e64 v5, 0, 1, vcc_lo
	v_cmp_gt_u32_e32 vcc_lo, 8, v1
	s_delay_alu instid0(VALU_DEP_2) | instskip(SKIP_1) | instid1(VALU_DEP_2)
	v_lshlrev_b32_e32 v5, 2, v5
	v_cndmask_b32_e64 v1, 0, 1, vcc_lo
	v_add_lshl_u32 v5, v5, v38, 2
	s_delay_alu instid0(VALU_DEP_2) | instskip(NEXT) | instid1(VALU_DEP_1)
	v_lshlrev_b32_e32 v1, 3, v1
	v_add_lshl_u32 v1, v1, v38, 2
	s_waitcnt lgkmcnt(0)
	v_add_nc_u32_e32 v3, v4, v3
	ds_bpermute_b32 v4, v5, v3
	s_waitcnt lgkmcnt(0)
	v_add_nc_u32_e32 v3, v4, v3
	ds_bpermute_b32 v1, v1, v3
	s_waitcnt lgkmcnt(0)
	v_add_nc_u32_e32 v1, v1, v3
.LBB911_29:
	s_or_b32 exec_lo, exec_lo, s5
	s_branch .LBB911_6
.LBB911_30:
	v_add_co_u32 v3, vcc_lo, 0x1000, v19
	v_add_co_ci_u32_e32 v4, vcc_lo, 0, v20, vcc_lo
	v_add_co_u32 v5, vcc_lo, 0x2000, v19
	v_add_co_ci_u32_e32 v6, vcc_lo, 0, v20, vcc_lo
	v_add_co_u32 v7, vcc_lo, v19, 0x2000
	s_clause 0x1
	global_load_b32 v1, v[19:20], off
	global_load_b32 v13, v[19:20], off offset:2048
	v_add_co_ci_u32_e32 v8, vcc_lo, 0, v20, vcc_lo
	s_clause 0x1
	global_load_b32 v14, v[3:4], off offset:2048
	global_load_b32 v15, v[5:6], off offset:2048
	v_add_co_u32 v3, vcc_lo, v19, 0x4000
	v_add_co_ci_u32_e32 v4, vcc_lo, 0, v20, vcc_lo
	s_clause 0x2
	global_load_b32 v16, v[7:8], off offset:-4096
	global_load_b32 v17, v[7:8], off
	global_load_b32 v18, v[3:4], off offset:-4096
	v_add_co_u32 v5, vcc_lo, 0x3000, v19
	v_add_co_ci_u32_e32 v6, vcc_lo, 0, v20, vcc_lo
	v_add_co_u32 v7, vcc_lo, 0x4000, v19
	v_add_co_ci_u32_e32 v8, vcc_lo, 0, v20, vcc_lo
	;; [unrolled: 2-line block ×4, first 2 shown]
	s_clause 0x5
	global_load_b32 v39, v[3:4], off
	global_load_b32 v40, v[9:10], off offset:-4096
	global_load_b32 v41, v[5:6], off offset:2048
	global_load_b32 v7, v[7:8], off offset:2048
	;; [unrolled: 1-line block ×3, first 2 shown]
	global_load_b32 v9, v[9:10], off
	v_add_co_u32 v3, vcc_lo, 0x7000, v19
	v_add_co_ci_u32_e32 v4, vcc_lo, 0, v20, vcc_lo
	v_add_co_u32 v5, vcc_lo, 0x6000, v19
	v_add_co_ci_u32_e32 v6, vcc_lo, 0, v20, vcc_lo
	s_clause 0x2
	global_load_b32 v10, v[3:4], off
	global_load_b32 v5, v[5:6], off offset:2048
	global_load_b32 v3, v[3:4], off offset:2048
	s_mov_b32 s5, exec_lo
	s_waitcnt vmcnt(0)
	s_barrier
	buffer_gl0_inv
	v_cmp_neq_f32_e32 vcc_lo, 0, v1
	v_cndmask_b32_e64 v1, 0, 1, vcc_lo
	v_cmp_neq_f32_e32 vcc_lo, 0, v16
	v_cndmask_b32_e64 v4, 0, 1, vcc_lo
	v_cmp_neq_f32_e32 vcc_lo, 0, v13
	s_delay_alu instid0(VALU_DEP_4) | instskip(SKIP_3) | instid1(VALU_DEP_4)
	v_add_co_ci_u32_e32 v1, vcc_lo, 0, v1, vcc_lo
	v_cmp_neq_f32_e32 vcc_lo, 0, v17
	v_cndmask_b32_e64 v6, 0, 1, vcc_lo
	v_cmp_neq_f32_e32 vcc_lo, 0, v14
	v_add_co_ci_u32_e32 v1, vcc_lo, v1, v4, vcc_lo
	v_cmp_neq_f32_e32 vcc_lo, 0, v18
	v_cndmask_b32_e64 v4, 0, 1, vcc_lo
	v_cmp_neq_f32_e32 vcc_lo, 0, v15
	s_delay_alu instid0(VALU_DEP_4) | instskip(SKIP_3) | instid1(VALU_DEP_4)
	v_add_co_ci_u32_e32 v1, vcc_lo, v1, v6, vcc_lo
	v_cmp_neq_f32_e32 vcc_lo, 0, v39
	v_cndmask_b32_e64 v6, 0, 1, vcc_lo
	v_cmp_neq_f32_e32 vcc_lo, 0, v41
	v_add_co_ci_u32_e32 v1, vcc_lo, v1, v4, vcc_lo
	;; [unrolled: 9-line block ×3, first 2 shown]
	v_cmp_neq_f32_e32 vcc_lo, 0, v10
	v_cndmask_b32_e64 v4, 0, 1, vcc_lo
	v_cmp_neq_f32_e32 vcc_lo, 0, v5
	s_delay_alu instid0(VALU_DEP_4) | instskip(SKIP_1) | instid1(VALU_DEP_2)
	v_add_co_ci_u32_e32 v1, vcc_lo, v1, v6, vcc_lo
	v_cmp_neq_f32_e32 vcc_lo, 0, v3
	v_add_co_ci_u32_e32 v1, vcc_lo, v1, v4, vcc_lo
	s_delay_alu instid0(VALU_DEP_1) | instskip(NEXT) | instid1(VALU_DEP_1)
	v_mov_b32_dpp v3, v1 quad_perm:[1,0,3,2] row_mask:0xf bank_mask:0xf
	v_add_nc_u32_e32 v1, v3, v1
	s_delay_alu instid0(VALU_DEP_1) | instskip(NEXT) | instid1(VALU_DEP_1)
	v_mov_b32_dpp v3, v1 quad_perm:[2,3,0,1] row_mask:0xf bank_mask:0xf
	v_add_nc_u32_e32 v1, v1, v3
	s_delay_alu instid0(VALU_DEP_1) | instskip(NEXT) | instid1(VALU_DEP_1)
	v_mov_b32_dpp v3, v1 row_ror:4 row_mask:0xf bank_mask:0xf
	v_add_nc_u32_e32 v1, v1, v3
	s_delay_alu instid0(VALU_DEP_1) | instskip(NEXT) | instid1(VALU_DEP_1)
	v_mov_b32_dpp v3, v1 row_ror:8 row_mask:0xf bank_mask:0xf
	v_add_nc_u32_e32 v1, v1, v3
	ds_swizzle_b32 v3, v1 offset:swizzle(BROADCAST,32,15)
	s_waitcnt lgkmcnt(0)
	v_add_nc_u32_e32 v1, v1, v3
	ds_bpermute_b32 v1, v2, v1 offset:124
	v_cmpx_eq_u32_e32 0, v38
	s_cbranch_execz .LBB911_32
; %bb.31:
	s_waitcnt lgkmcnt(0)
	ds_store_b32 v37, v1
.LBB911_32:
	s_or_b32 exec_lo, exec_lo, s5
	s_waitcnt lgkmcnt(0)
	s_barrier
	buffer_gl0_inv
	s_and_saveexec_b32 s5, s0
	s_cbranch_execz .LBB911_34
; %bb.33:
	v_and_b32_e32 v1, 15, v38
	s_delay_alu instid0(VALU_DEP_1) | instskip(SKIP_4) | instid1(VALU_DEP_2)
	v_lshlrev_b32_e32 v3, 2, v1
	v_cmp_ne_u32_e32 vcc_lo, 15, v1
	ds_load_b32 v3, v3
	v_add_co_ci_u32_e32 v4, vcc_lo, 0, v38, vcc_lo
	v_cmp_gt_u32_e32 vcc_lo, 14, v1
	v_lshlrev_b32_e32 v4, 2, v4
	v_cndmask_b32_e64 v5, 0, 1, vcc_lo
	v_cmp_gt_u32_e32 vcc_lo, 12, v1
	s_delay_alu instid0(VALU_DEP_2) | instskip(NEXT) | instid1(VALU_DEP_1)
	v_lshlrev_b32_e32 v5, 1, v5
	v_add_lshl_u32 v5, v5, v38, 2
	s_waitcnt lgkmcnt(0)
	ds_bpermute_b32 v4, v4, v3
	s_waitcnt lgkmcnt(0)
	v_add_nc_u32_e32 v3, v4, v3
	ds_bpermute_b32 v4, v5, v3
	v_cndmask_b32_e64 v5, 0, 1, vcc_lo
	v_cmp_gt_u32_e32 vcc_lo, 8, v1
	s_delay_alu instid0(VALU_DEP_2) | instskip(SKIP_1) | instid1(VALU_DEP_2)
	v_lshlrev_b32_e32 v5, 2, v5
	v_cndmask_b32_e64 v1, 0, 1, vcc_lo
	v_add_lshl_u32 v5, v5, v38, 2
	s_delay_alu instid0(VALU_DEP_2) | instskip(NEXT) | instid1(VALU_DEP_1)
	v_lshlrev_b32_e32 v1, 3, v1
	v_add_lshl_u32 v1, v1, v38, 2
	s_waitcnt lgkmcnt(0)
	v_add_nc_u32_e32 v3, v4, v3
	ds_bpermute_b32 v4, v5, v3
	s_waitcnt lgkmcnt(0)
	v_add_nc_u32_e32 v3, v4, v3
	ds_bpermute_b32 v1, v1, v3
	s_waitcnt lgkmcnt(0)
	v_add_nc_u32_e32 v1, v1, v3
.LBB911_34:
	s_or_b32 exec_lo, exec_lo, s5
	v_cmp_lt_i64_e64 s5, 0x2000, s[24:25]
	s_delay_alu instid0(VALU_DEP_2) | instskip(NEXT) | instid1(VALU_DEP_2)
	v_add_nc_u32_e32 v21, v1, v21
	s_and_b32 vcc_lo, exec_lo, s5
	s_cbranch_vccnz .LBB911_7
.LBB911_35:
	s_mov_b32 s6, -1
                                        ; implicit-def: $sgpr20
                                        ; implicit-def: $sgpr24_sgpr25
                                        ; implicit-def: $sgpr27
                                        ; implicit-def: $vgpr19_vgpr20
                                        ; implicit-def: $sgpr5
	s_branch .LBB911_52
.LBB911_36:
	s_mov_b32 s1, s5
	v_cmp_gt_i64_e64 s5, 0x2000, s[24:25]
                                        ; implicit-def: $vgpr1
	s_delay_alu instid0(VALU_DEP_1)
	s_and_b32 vcc_lo, exec_lo, s5
	s_mov_b32 s5, -1
	s_cbranch_vccnz .LBB911_8
	s_branch .LBB911_5
.LBB911_37:
	global_load_b32 v1, v[19:20], off
	v_mov_b32_e32 v16, v2
	v_mov_b32_e32 v3, v2
	;; [unrolled: 1-line block ×13, first 2 shown]
	s_waitcnt vmcnt(0)
	v_cmp_neq_f32_e32 vcc_lo, 0, v1
	v_cndmask_b32_e64 v1, 0, 1, vcc_lo
	s_delay_alu instid0(VALU_DEP_1)
	v_dual_mov_b32 v4, v2 :: v_dual_and_b32 v1, 0xffff, v1
	v_mov_b32_e32 v18, v16
	v_dual_mov_b32 v17, v15 :: v_dual_mov_b32 v16, v14
	v_mov_b32_e32 v15, v13
	v_mov_b32_e32 v14, v12
	;; [unrolled: 1-line block ×13, first 2 shown]
	s_or_b32 exec_lo, exec_lo, s5
	s_delay_alu instid0(SALU_CYCLE_1)
	s_mov_b32 s5, exec_lo
	v_cmpx_gt_u32_e64 s27, v22
	s_cbranch_execz .LBB911_10
.LBB911_38:
	global_load_b32 v1, v[19:20], off offset:2048
	s_waitcnt vmcnt(0)
	v_cmp_neq_f32_e32 vcc_lo, 0, v1
	v_cndmask_b32_e64 v4, 0, 1, vcc_lo
	s_or_b32 exec_lo, exec_lo, s5
	s_delay_alu instid0(SALU_CYCLE_1)
	s_mov_b32 s5, exec_lo
	v_cmpx_gt_u32_e64 s27, v23
	s_cbranch_execz .LBB911_11
.LBB911_39:
	v_add_co_u32 v39, vcc_lo, 0x1000, v19
	v_add_co_ci_u32_e32 v40, vcc_lo, 0, v20, vcc_lo
	global_load_b32 v1, v[39:40], off
	s_waitcnt vmcnt(0)
	v_cmp_neq_f32_e32 vcc_lo, 0, v1
	v_cndmask_b32_e64 v5, 0, 1, vcc_lo
	s_or_b32 exec_lo, exec_lo, s5
	s_delay_alu instid0(SALU_CYCLE_1)
	s_mov_b32 s5, exec_lo
	v_cmpx_gt_u32_e64 s27, v24
	s_cbranch_execz .LBB911_12
.LBB911_40:
	v_add_co_u32 v39, vcc_lo, 0x1000, v19
	v_add_co_ci_u32_e32 v40, vcc_lo, 0, v20, vcc_lo
	global_load_b32 v1, v[39:40], off offset:2048
	s_waitcnt vmcnt(0)
	v_cmp_neq_f32_e32 vcc_lo, 0, v1
	v_cndmask_b32_e64 v6, 0, 1, vcc_lo
	s_or_b32 exec_lo, exec_lo, s5
	s_delay_alu instid0(SALU_CYCLE_1)
	s_mov_b32 s5, exec_lo
	v_cmpx_gt_u32_e64 s27, v25
	s_cbranch_execz .LBB911_13
.LBB911_41:
	v_add_co_u32 v39, vcc_lo, 0x2000, v19
	v_add_co_ci_u32_e32 v40, vcc_lo, 0, v20, vcc_lo
	global_load_b32 v1, v[39:40], off
	s_waitcnt vmcnt(0)
	v_cmp_neq_f32_e32 vcc_lo, 0, v1
	v_cndmask_b32_e64 v7, 0, 1, vcc_lo
	s_or_b32 exec_lo, exec_lo, s5
	s_delay_alu instid0(SALU_CYCLE_1)
	s_mov_b32 s5, exec_lo
	v_cmpx_gt_u32_e64 s27, v26
	s_cbranch_execz .LBB911_14
.LBB911_42:
	v_add_co_u32 v39, vcc_lo, 0x2000, v19
	v_add_co_ci_u32_e32 v40, vcc_lo, 0, v20, vcc_lo
	global_load_b32 v1, v[39:40], off offset:2048
	s_waitcnt vmcnt(0)
	v_cmp_neq_f32_e32 vcc_lo, 0, v1
	v_cndmask_b32_e64 v8, 0, 1, vcc_lo
	s_or_b32 exec_lo, exec_lo, s5
	s_delay_alu instid0(SALU_CYCLE_1)
	s_mov_b32 s5, exec_lo
	v_cmpx_gt_u32_e64 s27, v27
	s_cbranch_execz .LBB911_15
.LBB911_43:
	v_add_co_u32 v39, vcc_lo, 0x3000, v19
	v_add_co_ci_u32_e32 v40, vcc_lo, 0, v20, vcc_lo
	global_load_b32 v1, v[39:40], off
	s_waitcnt vmcnt(0)
	v_cmp_neq_f32_e32 vcc_lo, 0, v1
	v_cndmask_b32_e64 v9, 0, 1, vcc_lo
	s_or_b32 exec_lo, exec_lo, s5
	s_delay_alu instid0(SALU_CYCLE_1)
	s_mov_b32 s5, exec_lo
	v_cmpx_gt_u32_e64 s27, v28
	s_cbranch_execz .LBB911_16
.LBB911_44:
	v_add_co_u32 v39, vcc_lo, 0x3000, v19
	v_add_co_ci_u32_e32 v40, vcc_lo, 0, v20, vcc_lo
	global_load_b32 v1, v[39:40], off offset:2048
	s_waitcnt vmcnt(0)
	v_cmp_neq_f32_e32 vcc_lo, 0, v1
	v_cndmask_b32_e64 v10, 0, 1, vcc_lo
	s_or_b32 exec_lo, exec_lo, s5
	s_delay_alu instid0(SALU_CYCLE_1)
	s_mov_b32 s5, exec_lo
	v_cmpx_gt_u32_e64 s27, v29
	s_cbranch_execz .LBB911_17
.LBB911_45:
	v_add_co_u32 v39, vcc_lo, 0x4000, v19
	v_add_co_ci_u32_e32 v40, vcc_lo, 0, v20, vcc_lo
	global_load_b32 v1, v[39:40], off
	s_waitcnt vmcnt(0)
	v_cmp_neq_f32_e32 vcc_lo, 0, v1
	v_cndmask_b32_e64 v11, 0, 1, vcc_lo
	s_or_b32 exec_lo, exec_lo, s5
	s_delay_alu instid0(SALU_CYCLE_1)
	s_mov_b32 s5, exec_lo
	v_cmpx_gt_u32_e64 s27, v30
	s_cbranch_execz .LBB911_18
.LBB911_46:
	v_add_co_u32 v39, vcc_lo, 0x4000, v19
	v_add_co_ci_u32_e32 v40, vcc_lo, 0, v20, vcc_lo
	global_load_b32 v1, v[39:40], off offset:2048
	s_waitcnt vmcnt(0)
	v_cmp_neq_f32_e32 vcc_lo, 0, v1
	v_cndmask_b32_e64 v12, 0, 1, vcc_lo
	s_or_b32 exec_lo, exec_lo, s5
	s_delay_alu instid0(SALU_CYCLE_1)
	s_mov_b32 s5, exec_lo
	v_cmpx_gt_u32_e64 s27, v31
	s_cbranch_execz .LBB911_19
.LBB911_47:
	v_add_co_u32 v39, vcc_lo, 0x5000, v19
	v_add_co_ci_u32_e32 v40, vcc_lo, 0, v20, vcc_lo
	global_load_b32 v1, v[39:40], off
	s_waitcnt vmcnt(0)
	v_cmp_neq_f32_e32 vcc_lo, 0, v1
	v_cndmask_b32_e64 v13, 0, 1, vcc_lo
	s_or_b32 exec_lo, exec_lo, s5
	s_delay_alu instid0(SALU_CYCLE_1)
	s_mov_b32 s5, exec_lo
	v_cmpx_gt_u32_e64 s27, v32
	s_cbranch_execz .LBB911_20
.LBB911_48:
	v_add_co_u32 v39, vcc_lo, 0x5000, v19
	v_add_co_ci_u32_e32 v40, vcc_lo, 0, v20, vcc_lo
	global_load_b32 v1, v[39:40], off offset:2048
	s_waitcnt vmcnt(0)
	v_cmp_neq_f32_e32 vcc_lo, 0, v1
	v_cndmask_b32_e64 v14, 0, 1, vcc_lo
	s_or_b32 exec_lo, exec_lo, s5
	s_delay_alu instid0(SALU_CYCLE_1)
	s_mov_b32 s5, exec_lo
	v_cmpx_gt_u32_e64 s27, v33
	s_cbranch_execz .LBB911_21
.LBB911_49:
	v_add_co_u32 v39, vcc_lo, 0x6000, v19
	v_add_co_ci_u32_e32 v40, vcc_lo, 0, v20, vcc_lo
	global_load_b32 v1, v[39:40], off
	s_waitcnt vmcnt(0)
	v_cmp_neq_f32_e32 vcc_lo, 0, v1
	v_cndmask_b32_e64 v15, 0, 1, vcc_lo
	s_or_b32 exec_lo, exec_lo, s5
	s_delay_alu instid0(SALU_CYCLE_1)
	s_mov_b32 s5, exec_lo
	v_cmpx_gt_u32_e64 s27, v34
	s_cbranch_execz .LBB911_22
.LBB911_50:
	v_add_co_u32 v39, vcc_lo, 0x6000, v19
	v_add_co_ci_u32_e32 v40, vcc_lo, 0, v20, vcc_lo
	global_load_b32 v1, v[39:40], off offset:2048
	s_waitcnt vmcnt(0)
	v_cmp_neq_f32_e32 vcc_lo, 0, v1
	v_cndmask_b32_e64 v16, 0, 1, vcc_lo
	s_or_b32 exec_lo, exec_lo, s5
	s_delay_alu instid0(SALU_CYCLE_1)
	s_mov_b32 s5, exec_lo
	v_cmpx_gt_u32_e64 s27, v35
	s_cbranch_execz .LBB911_23
.LBB911_51:
	v_add_co_u32 v39, vcc_lo, 0x7000, v19
	v_add_co_ci_u32_e32 v40, vcc_lo, 0, v20, vcc_lo
	global_load_b32 v1, v[39:40], off
	s_waitcnt vmcnt(0)
	v_cmp_neq_f32_e32 vcc_lo, 0, v1
	v_cndmask_b32_e64 v17, 0, 1, vcc_lo
	s_or_b32 exec_lo, exec_lo, s5
	s_delay_alu instid0(SALU_CYCLE_1)
	s_mov_b32 s5, exec_lo
	v_cmpx_gt_u32_e64 s27, v36
	s_cbranch_execnz .LBB911_24
	s_branch .LBB911_25
.LBB911_52:
	s_and_b32 vcc_lo, exec_lo, s6
	s_cbranch_vccz .LBB911_56
; %bb.53:
	s_mov_b32 s0, exec_lo
	v_cmpx_eq_u32_e32 0, v0
	s_cbranch_execz .LBB911_55
; %bb.54:
	s_lshl_b64 s[4:5], s[2:3], 2
	v_mov_b32_e32 v0, 0
	s_add_u32 s4, s22, s4
	s_addc_u32 s5, s23, s5
	global_store_b32 v0, v21, s[4:5]
.LBB911_55:
	s_or_b32 exec_lo, exec_lo, s0
	s_mov_b32 s5, s1
.LBB911_56:
	v_cmp_eq_u32_e32 vcc_lo, 0, v0
	s_xor_b32 s0, s5, -1
	s_delay_alu instid0(SALU_CYCLE_1) | instskip(NEXT) | instid1(SALU_CYCLE_1)
	s_and_b32 s0, vcc_lo, s0
	s_and_saveexec_b32 s1, s0
	s_cbranch_execz .LBB911_58
; %bb.57:
	s_lshl_b64 s[0:1], s[2:3], 2
	v_mov_b32_e32 v0, 0
	s_waitcnt lgkmcnt(0)
	s_add_u32 s0, s22, s0
	s_addc_u32 s1, s23, s1
	global_store_b32 v0, v21, s[0:1]
.LBB911_58:
	s_nop 0
	s_sendmsg sendmsg(MSG_DEALLOC_VGPRS)
	s_endpgm
	.section	.rodata,"a",@progbits
	.p2align	6, 0x0
	.amdhsa_kernel _ZN2at4cuda3cub15calc_block_sumsILi512ELi16ELb1EfiEEvPKT2_PT3_li
		.amdhsa_group_segment_fixed_size 64
		.amdhsa_private_segment_fixed_size 0
		.amdhsa_kernarg_size 28
		.amdhsa_user_sgpr_count 15
		.amdhsa_user_sgpr_dispatch_ptr 0
		.amdhsa_user_sgpr_queue_ptr 0
		.amdhsa_user_sgpr_kernarg_segment_ptr 1
		.amdhsa_user_sgpr_dispatch_id 0
		.amdhsa_user_sgpr_private_segment_size 0
		.amdhsa_wavefront_size32 1
		.amdhsa_uses_dynamic_stack 0
		.amdhsa_enable_private_segment 0
		.amdhsa_system_sgpr_workgroup_id_x 1
		.amdhsa_system_sgpr_workgroup_id_y 0
		.amdhsa_system_sgpr_workgroup_id_z 0
		.amdhsa_system_sgpr_workgroup_info 0
		.amdhsa_system_vgpr_workitem_id 0
		.amdhsa_next_free_vgpr 42
		.amdhsa_next_free_sgpr 28
		.amdhsa_reserve_vcc 1
		.amdhsa_float_round_mode_32 0
		.amdhsa_float_round_mode_16_64 0
		.amdhsa_float_denorm_mode_32 3
		.amdhsa_float_denorm_mode_16_64 3
		.amdhsa_dx10_clamp 1
		.amdhsa_ieee_mode 1
		.amdhsa_fp16_overflow 0
		.amdhsa_workgroup_processor_mode 1
		.amdhsa_memory_ordered 1
		.amdhsa_forward_progress 0
		.amdhsa_shared_vgpr_count 0
		.amdhsa_exception_fp_ieee_invalid_op 0
		.amdhsa_exception_fp_denorm_src 0
		.amdhsa_exception_fp_ieee_div_zero 0
		.amdhsa_exception_fp_ieee_overflow 0
		.amdhsa_exception_fp_ieee_underflow 0
		.amdhsa_exception_fp_ieee_inexact 0
		.amdhsa_exception_int_div_zero 0
	.end_amdhsa_kernel
	.section	.text._ZN2at4cuda3cub15calc_block_sumsILi512ELi16ELb1EfiEEvPKT2_PT3_li,"axG",@progbits,_ZN2at4cuda3cub15calc_block_sumsILi512ELi16ELb1EfiEEvPKT2_PT3_li,comdat
.Lfunc_end911:
	.size	_ZN2at4cuda3cub15calc_block_sumsILi512ELi16ELb1EfiEEvPKT2_PT3_li, .Lfunc_end911-_ZN2at4cuda3cub15calc_block_sumsILi512ELi16ELb1EfiEEvPKT2_PT3_li
                                        ; -- End function
	.section	.AMDGPU.csdata,"",@progbits
; Kernel info:
; codeLenInByte = 3544
; NumSgprs: 30
; NumVgprs: 42
; ScratchSize: 0
; MemoryBound: 0
; FloatMode: 240
; IeeeMode: 1
; LDSByteSize: 64 bytes/workgroup (compile time only)
; SGPRBlocks: 3
; VGPRBlocks: 5
; NumSGPRsForWavesPerEU: 30
; NumVGPRsForWavesPerEU: 42
; Occupancy: 16
; WaveLimiterHint : 1
; COMPUTE_PGM_RSRC2:SCRATCH_EN: 0
; COMPUTE_PGM_RSRC2:USER_SGPR: 15
; COMPUTE_PGM_RSRC2:TRAP_HANDLER: 0
; COMPUTE_PGM_RSRC2:TGID_X_EN: 1
; COMPUTE_PGM_RSRC2:TGID_Y_EN: 0
; COMPUTE_PGM_RSRC2:TGID_Z_EN: 0
; COMPUTE_PGM_RSRC2:TIDIG_COMP_CNT: 0
	.section	.text._ZN2at6native12_GLOBAL__N_111flag_kernelILi512ELi16EfEEvPKT1_PlPKllli,"axG",@progbits,_ZN2at6native12_GLOBAL__N_111flag_kernelILi512ELi16EfEEvPKT1_PlPKllli,comdat
	.globl	_ZN2at6native12_GLOBAL__N_111flag_kernelILi512ELi16EfEEvPKT1_PlPKllli ; -- Begin function _ZN2at6native12_GLOBAL__N_111flag_kernelILi512ELi16EfEEvPKT1_PlPKllli
	.p2align	8
	.type	_ZN2at6native12_GLOBAL__N_111flag_kernelILi512ELi16EfEEvPKT1_PlPKllli,@function
_ZN2at6native12_GLOBAL__N_111flag_kernelILi512ELi16EfEEvPKT1_PlPKllli: ; @_ZN2at6native12_GLOBAL__N_111flag_kernelILi512ELi16EfEEvPKT1_PlPKllli
; %bb.0:
	s_clause 0x1
	s_load_b32 s14, s[0:1], 0x28
	s_load_b256 s[4:11], s[0:1], 0x0
	s_waitcnt lgkmcnt(0)
	s_lshl_b32 s2, s14, 13
	s_delay_alu instid0(SALU_CYCLE_1) | instskip(SKIP_4) | instid1(SALU_CYCLE_1)
	s_ashr_i32 s3, s2, 31
	s_mul_hi_u32 s12, s2, s15
	s_mul_i32 s3, s3, s15
	s_mul_i32 s28, s2, s15
	s_add_i32 s29, s12, s3
	v_cmp_le_i64_e64 s2, s[10:11], s[28:29]
	s_delay_alu instid0(VALU_DEP_1)
	s_and_b32 vcc_lo, exec_lo, s2
	s_cbranch_vccnz .LBB912_100
; %bb.1:
	s_load_b64 s[2:3], s[0:1], 0x20
	s_cmp_eq_u32 s15, 0
	s_mov_b32 s13, 0
	s_cbranch_scc1 .LBB912_3
; %bb.2:
	s_add_i32 s12, s15, -1
	s_delay_alu instid0(SALU_CYCLE_1) | instskip(NEXT) | instid1(SALU_CYCLE_1)
	s_lshl_b64 s[12:13], s[12:13], 3
	s_add_u32 s8, s8, s12
	s_addc_u32 s9, s9, s13
	s_load_b64 s[8:9], s[8:9], 0x0
	s_cmp_lt_i32 s14, 1
	s_cbranch_scc0 .LBB912_4
	s_branch .LBB912_100
.LBB912_3:
	s_mov_b64 s[8:9], 0
	s_cmp_lt_i32 s14, 1
	s_cbranch_scc1 .LBB912_100
.LBB912_4:
	s_lshl_b64 s[12:13], s[28:29], 2
	v_mbcnt_lo_u32_b32 v2, -1, 0
	s_add_u32 s33, s4, s12
	s_addc_u32 s36, s5, s13
	s_waitcnt lgkmcnt(0)
	s_sub_u32 s30, s2, s8
	s_subb_u32 s31, s3, s9
	v_dual_mov_b32 v1, 0 :: v_dual_and_b32 v4, 0x3e0, v0
	v_and_b32_e32 v5, 15, v2
	s_sub_u32 s34, s10, s28
	s_subb_u32 s35, s11, s29
	s_lshl_b64 s[2:3], s[8:9], 3
	v_min_u32_e32 v7, 0x1e0, v4
	s_add_u32 s37, s6, s2
	s_addc_u32 s38, s7, s3
	v_cmp_eq_u32_e64 s2, 0, v5
	v_cmp_lt_u32_e64 s3, 1, v5
	v_cmp_lt_u32_e64 s4, 3, v5
	;; [unrolled: 1-line block ×3, first 2 shown]
	v_add_nc_u32_e32 v5, -1, v2
	v_lshlrev_b32_e32 v3, 4, v0
	v_or_b32_e32 v7, 31, v7
	v_and_b32_e32 v8, 16, v2
	v_lshrrev_b32_e32 v9, 3, v0
	v_cmp_gt_i32_e32 vcc_lo, 0, v5
	v_and_b32_e32 v6, 0x3e00, v3
	v_cmp_eq_u32_e64 s7, v7, v0
	v_lshrrev_b32_e32 v7, 1, v0
	v_cmp_eq_u32_e64 s6, 0, v8
	v_cndmask_b32_e32 v5, v5, v2, vcc_lo
	v_or_b32_e32 v8, 0x800, v0
	v_and_b32_e32 v21, 0x7c, v9
	v_add_lshl_u32 v25, v7, v3, 2
	v_or_b32_e32 v3, 0x400, v0
	v_lshlrev_b32_e32 v24, 2, v5
	v_add_nc_u32_e32 v5, 0x200, v0
	v_add_nc_u32_e32 v7, 0x600, v0
	v_lshlrev_b32_e32 v22, 2, v0
	v_lshrrev_b32_e32 v3, 3, v3
	v_add_nc_u32_e32 v9, 0xa00, v0
	v_lshrrev_b32_e32 v5, 3, v5
	v_lshrrev_b32_e32 v7, 3, v7
	v_lshrrev_b32_e32 v8, 3, v8
	v_and_b32_e32 v3, 0xfc, v3
	v_lshrrev_b32_e32 v9, 3, v9
	v_and_b32_e32 v5, 0xfc, v5
	v_or_b32_e32 v39, v2, v6
	v_or_b32_e32 v4, v2, v4
	v_add_nc_u32_e32 v28, v22, v3
	v_or_b32_e32 v3, 0xc00, v0
	v_add_nc_u32_e32 v27, v22, v5
	v_and_b32_e32 v5, 0x1fc, v7
	v_and_b32_e32 v7, 0x17c, v8
	;; [unrolled: 1-line block ×3, first 2 shown]
	v_lshrrev_b32_e32 v3, 3, v3
	v_or_b32_e32 v9, 0x1400, v0
	v_add_nc_u32_e32 v29, v22, v5
	v_add_nc_u32_e32 v30, v22, v7
	v_add_nc_u32_e32 v5, 0xe00, v0
	v_or_b32_e32 v7, 0x1000, v0
	v_add_nc_u32_e32 v31, v22, v8
	v_add_nc_u32_e32 v8, 0x1200, v0
	v_and_b32_e32 v3, 0x1fc, v3
	v_lshrrev_b32_e32 v5, 3, v5
	v_lshrrev_b32_e32 v7, 3, v7
	;; [unrolled: 1-line block ×4, first 2 shown]
	v_add_nc_u32_e32 v32, v22, v3
	v_and_b32_e32 v5, 0x3fc, v5
	v_and_b32_e32 v3, 0x27c, v7
	v_or_b32_e32 v43, 32, v39
	v_and_b32_e32 v7, 0x2fc, v8
	v_and_b32_e32 v8, 0x2fc, v9
	v_add_nc_u32_e32 v33, v22, v5
	v_add_nc_u32_e32 v5, 0x1600, v0
	;; [unrolled: 1-line block ×3, first 2 shown]
	v_or_b32_e32 v3, 0x1800, v0
	v_add_nc_u32_e32 v35, v22, v7
	v_add_nc_u32_e32 v36, v22, v8
	v_lshrrev_b32_e32 v5, 3, v5
	v_add_nc_u32_e32 v7, 0x1a00, v0
	v_or_b32_e32 v8, 0x1c00, v0
	v_lshrrev_b32_e32 v3, 3, v3
	v_add_nc_u32_e32 v9, 0x1e00, v0
	v_and_b32_e32 v5, 0x3fc, v5
	v_lshrrev_b32_e32 v7, 3, v7
	v_lshrrev_b32_e32 v8, 3, v8
	v_and_b32_e32 v3, 0x37c, v3
	v_lshrrev_b32_e32 v9, 3, v9
	v_add_nc_u32_e32 v37, v22, v5
	v_and_b32_e32 v5, 0x3fc, v7
	v_and_b32_e32 v7, 0x3fc, v8
	v_add_nc_u32_e32 v38, v22, v3
	v_or_b32_e32 v44, 64, v39
	v_or_b32_e32 v45, 0x60, v39
	v_lshrrev_b32_e32 v3, 5, v6
	v_and_b32_e32 v8, 0x7fc, v9
	v_add_nc_u32_e32 v40, v22, v5
	v_add_nc_u32_e32 v41, v22, v7
	v_or_b32_e32 v46, 0x80, v39
	v_or_b32_e32 v47, 0xa0, v39
	;; [unrolled: 1-line block ×4, first 2 shown]
	v_lshrrev_b32_e32 v5, 5, v43
	v_lshrrev_b32_e32 v7, 5, v44
	v_add_lshl_u32 v58, v3, v39, 2
	v_lshrrev_b32_e32 v3, 5, v45
	v_add_nc_u32_e32 v42, v22, v8
	v_or_b32_e32 v49, 0xe0, v39
	v_or_b32_e32 v51, 0x120, v39
	;; [unrolled: 1-line block ×4, first 2 shown]
	v_add_lshl_u32 v59, v5, v43, 2
	v_add_lshl_u32 v60, v7, v44, 2
	v_lshrrev_b32_e32 v5, 5, v46
	v_lshrrev_b32_e32 v7, 5, v47
	;; [unrolled: 1-line block ×3, first 2 shown]
	v_add_lshl_u32 v61, v3, v45, 2
	v_lshrrev_b32_e32 v3, 5, v50
	v_or_b32_e32 v54, 0x180, v39
	v_or_b32_e32 v55, 0x1a0, v39
	;; [unrolled: 1-line block ×4, first 2 shown]
	v_lshrrev_b32_e32 v9, 5, v49
	v_add_lshl_u32 v62, v5, v46, 2
	v_add_lshl_u32 v63, v7, v47, 2
	v_add_lshl_u32 v64, v8, v48, 2
	v_lshrrev_b32_e32 v5, 5, v51
	v_lshrrev_b32_e32 v7, 5, v52
	;; [unrolled: 1-line block ×3, first 2 shown]
	v_add_lshl_u32 v66, v3, v50, 2
	v_lshlrev_b32_e32 v3, 4, v4
	v_bfe_u32 v4, v4, 1, 27
	v_add_lshl_u32 v65, v9, v49, 2
	v_add_lshl_u32 v67, v5, v51, 2
	;; [unrolled: 1-line block ×4, first 2 shown]
	v_lshrrev_b32_e32 v5, 5, v54
	v_lshrrev_b32_e32 v7, 5, v55
	;; [unrolled: 1-line block ×4, first 2 shown]
	v_add_lshl_u32 v70, v4, v3, 2
	v_cmp_gt_u32_e64 s8, 16, v0
	v_cmp_lt_u32_e64 s9, 31, v0
	v_add_nc_u32_e32 v23, -4, v21
	v_cmp_eq_u32_e64 s10, 0, v2
	v_cmp_eq_u32_e64 s11, 0, v0
	v_add_nc_u32_e32 v26, v22, v21
	v_add_lshl_u32 v71, v5, v54, 2
	v_add_lshl_u32 v72, v7, v55, 2
	;; [unrolled: 1-line block ×4, first 2 shown]
	v_add_nc_u32_e32 v75, 56, v70
	v_add_nc_u32_e32 v76, 48, v70
	;; [unrolled: 1-line block ×7, first 2 shown]
	v_lshlrev_b32_e32 v82, 2, v2
	v_lshlrev_b32_e32 v83, 2, v6
	s_add_u32 s0, s0, 48
	s_addc_u32 s1, s1, 0
	s_add_i32 s39, s14, -1
	s_mov_b32 s12, 0
	s_branch .LBB912_6
.LBB912_5:                              ;   in Loop: Header=BB912_6 Depth=1
	s_cmp_eq_u32 s39, 0
	s_cselect_b32 s14, -1, 0
	s_delay_alu instid0(SALU_CYCLE_1)
	s_or_b32 s13, s13, s14
	s_add_u32 s34, s34, 0xffffe000
	s_addc_u32 s35, s35, -1
	s_and_not1_b32 vcc_lo, exec_lo, s13
	s_add_i32 s39, s39, -1
	s_cbranch_vccz .LBB912_100
.LBB912_6:                              ; =>This Inner Loop Header: Depth=1
	v_cmp_gt_i64_e64 s13, 0x2000, s[34:35]
	s_delay_alu instid0(VALU_DEP_1)
	s_and_b32 vcc_lo, exec_lo, s13
	s_mov_b32 s13, -1
	s_cbranch_vccz .LBB912_25
; %bb.7:                                ;   in Loop: Header=BB912_6 Depth=1
	v_add_co_u32 v2, s13, s33, v82
	s_delay_alu instid0(VALU_DEP_1) | instskip(SKIP_1) | instid1(VALU_DEP_2)
	v_add_co_ci_u32_e64 v3, null, s36, 0, s13
	s_mov_b32 s13, s12
	v_add_co_u32 v18, vcc_lo, v2, v83
	s_mov_b32 s14, s12
	s_mov_b32 s15, s12
	;; [unrolled: 1-line block ×14, first 2 shown]
	v_add_co_ci_u32_e32 v19, vcc_lo, 0, v3, vcc_lo
	v_dual_mov_b32 v2, s12 :: v_dual_mov_b32 v3, s13
	v_dual_mov_b32 v4, s14 :: v_dual_mov_b32 v5, s15
	;; [unrolled: 1-line block ×8, first 2 shown]
	v_mov_b32_e32 v2, 0
	s_mov_b32 s13, exec_lo
	v_cmpx_gt_u32_e64 s34, v39
	s_cbranch_execnz .LBB912_85
; %bb.8:                                ;   in Loop: Header=BB912_6 Depth=1
	s_or_b32 exec_lo, exec_lo, s13
	s_delay_alu instid0(SALU_CYCLE_1)
	s_mov_b32 s13, exec_lo
	v_cmpx_gt_u32_e64 s34, v43
	s_cbranch_execnz .LBB912_86
.LBB912_9:                              ;   in Loop: Header=BB912_6 Depth=1
	s_or_b32 exec_lo, exec_lo, s13
	s_delay_alu instid0(SALU_CYCLE_1)
	s_mov_b32 s13, exec_lo
	v_cmpx_gt_u32_e64 s34, v44
	s_cbranch_execnz .LBB912_87
.LBB912_10:                             ;   in Loop: Header=BB912_6 Depth=1
	s_or_b32 exec_lo, exec_lo, s13
	s_delay_alu instid0(SALU_CYCLE_1)
	s_mov_b32 s13, exec_lo
	v_cmpx_gt_u32_e64 s34, v45
	s_cbranch_execnz .LBB912_88
.LBB912_11:                             ;   in Loop: Header=BB912_6 Depth=1
	s_or_b32 exec_lo, exec_lo, s13
	s_delay_alu instid0(SALU_CYCLE_1)
	s_mov_b32 s13, exec_lo
	v_cmpx_gt_u32_e64 s34, v46
	s_cbranch_execnz .LBB912_89
.LBB912_12:                             ;   in Loop: Header=BB912_6 Depth=1
	s_or_b32 exec_lo, exec_lo, s13
	s_delay_alu instid0(SALU_CYCLE_1)
	s_mov_b32 s13, exec_lo
	v_cmpx_gt_u32_e64 s34, v47
	s_cbranch_execnz .LBB912_90
.LBB912_13:                             ;   in Loop: Header=BB912_6 Depth=1
	s_or_b32 exec_lo, exec_lo, s13
	s_delay_alu instid0(SALU_CYCLE_1)
	s_mov_b32 s13, exec_lo
	v_cmpx_gt_u32_e64 s34, v48
	s_cbranch_execnz .LBB912_91
.LBB912_14:                             ;   in Loop: Header=BB912_6 Depth=1
	s_or_b32 exec_lo, exec_lo, s13
	s_delay_alu instid0(SALU_CYCLE_1)
	s_mov_b32 s13, exec_lo
	v_cmpx_gt_u32_e64 s34, v49
	s_cbranch_execnz .LBB912_92
.LBB912_15:                             ;   in Loop: Header=BB912_6 Depth=1
	s_or_b32 exec_lo, exec_lo, s13
	s_delay_alu instid0(SALU_CYCLE_1)
	s_mov_b32 s13, exec_lo
	v_cmpx_gt_u32_e64 s34, v50
	s_cbranch_execnz .LBB912_93
.LBB912_16:                             ;   in Loop: Header=BB912_6 Depth=1
	s_or_b32 exec_lo, exec_lo, s13
	s_delay_alu instid0(SALU_CYCLE_1)
	s_mov_b32 s13, exec_lo
	v_cmpx_gt_u32_e64 s34, v51
	s_cbranch_execnz .LBB912_94
.LBB912_17:                             ;   in Loop: Header=BB912_6 Depth=1
	s_or_b32 exec_lo, exec_lo, s13
	s_delay_alu instid0(SALU_CYCLE_1)
	s_mov_b32 s13, exec_lo
	v_cmpx_gt_u32_e64 s34, v52
	s_cbranch_execnz .LBB912_95
.LBB912_18:                             ;   in Loop: Header=BB912_6 Depth=1
	s_or_b32 exec_lo, exec_lo, s13
	s_delay_alu instid0(SALU_CYCLE_1)
	s_mov_b32 s13, exec_lo
	v_cmpx_gt_u32_e64 s34, v53
	s_cbranch_execnz .LBB912_96
.LBB912_19:                             ;   in Loop: Header=BB912_6 Depth=1
	s_or_b32 exec_lo, exec_lo, s13
	s_delay_alu instid0(SALU_CYCLE_1)
	s_mov_b32 s13, exec_lo
	v_cmpx_gt_u32_e64 s34, v54
	s_cbranch_execnz .LBB912_97
.LBB912_20:                             ;   in Loop: Header=BB912_6 Depth=1
	s_or_b32 exec_lo, exec_lo, s13
	s_delay_alu instid0(SALU_CYCLE_1)
	s_mov_b32 s13, exec_lo
	v_cmpx_gt_u32_e64 s34, v55
	s_cbranch_execnz .LBB912_98
.LBB912_21:                             ;   in Loop: Header=BB912_6 Depth=1
	s_or_b32 exec_lo, exec_lo, s13
	s_delay_alu instid0(SALU_CYCLE_1)
	s_mov_b32 s13, exec_lo
	v_cmpx_gt_u32_e64 s34, v56
	s_cbranch_execnz .LBB912_99
.LBB912_22:                             ;   in Loop: Header=BB912_6 Depth=1
	s_or_b32 exec_lo, exec_lo, s13
	s_delay_alu instid0(SALU_CYCLE_1)
	s_mov_b32 s13, exec_lo
	v_cmpx_gt_u32_e64 s34, v57
	s_cbranch_execz .LBB912_24
.LBB912_23:                             ;   in Loop: Header=BB912_6 Depth=1
	global_load_b32 v17, v[18:19], off offset:1920
	s_waitcnt vmcnt(0)
	v_cmp_neq_f32_e32 vcc_lo, 0, v17
	v_cndmask_b32_e64 v17, 0, 1, vcc_lo
.LBB912_24:                             ;   in Loop: Header=BB912_6 Depth=1
	s_or_b32 exec_lo, exec_lo, s13
	s_mov_b32 s13, 0
	ds_store_b32 v58, v2
	ds_store_b32 v59, v3
	;; [unrolled: 1-line block ×16, first 2 shown]
	; wave barrier
.LBB912_25:                             ;   in Loop: Header=BB912_6 Depth=1
	s_and_b32 vcc_lo, exec_lo, s13
	s_cbranch_vccz .LBB912_27
; %bb.26:                               ;   in Loop: Header=BB912_6 Depth=1
	v_add_co_u32 v2, s13, s33, v82
	s_delay_alu instid0(VALU_DEP_1) | instskip(NEXT) | instid1(VALU_DEP_2)
	v_add_co_ci_u32_e64 v3, null, s36, 0, s13
	v_add_co_u32 v2, vcc_lo, v2, v83
	s_delay_alu instid0(VALU_DEP_2)
	v_add_co_ci_u32_e32 v3, vcc_lo, 0, v3, vcc_lo
	s_clause 0xf
	global_load_b32 v4, v[2:3], off
	global_load_b32 v5, v[2:3], off offset:128
	global_load_b32 v6, v[2:3], off offset:256
	;; [unrolled: 1-line block ×15, first 2 shown]
	s_waitcnt vmcnt(15)
	v_cmp_neq_f32_e32 vcc_lo, 0, v4
	v_cndmask_b32_e64 v3, 0, 1, vcc_lo
	s_waitcnt vmcnt(14)
	v_cmp_neq_f32_e32 vcc_lo, 0, v5
	v_cndmask_b32_e64 v4, 0, 1, vcc_lo
	;; [unrolled: 3-line block ×16, first 2 shown]
	ds_store_b32 v58, v3
	ds_store_b32 v59, v4
	;; [unrolled: 1-line block ×16, first 2 shown]
	; wave barrier
.LBB912_27:                             ;   in Loop: Header=BB912_6 Depth=1
	ds_load_2addr_b32 v[16:17], v70 offset1:1
	ds_load_2addr_b32 v[12:13], v81 offset1:1
	;; [unrolled: 1-line block ×6, first 2 shown]
	s_waitcnt lgkmcnt(5)
	v_add_nc_u32_e32 v2, v17, v16
	s_waitcnt lgkmcnt(4)
	s_delay_alu instid0(VALU_DEP_1) | instskip(SKIP_1) | instid1(VALU_DEP_1)
	v_add3_u32 v2, v2, v12, v13
	s_waitcnt lgkmcnt(3)
	v_add3_u32 v18, v2, v8, v9
	ds_load_2addr_b32 v[4:5], v76 offset1:1
	ds_load_2addr_b32 v[2:3], v75 offset1:1
	s_waitcnt lgkmcnt(0)
	s_waitcnt_vscnt null, 0x0
	s_barrier
	buffer_gl0_inv
	v_add3_u32 v18, v18, v6, v7
	s_delay_alu instid0(VALU_DEP_1) | instskip(NEXT) | instid1(VALU_DEP_1)
	v_add3_u32 v18, v18, v14, v15
	v_add3_u32 v18, v18, v10, v11
	s_delay_alu instid0(VALU_DEP_1) | instskip(NEXT) | instid1(VALU_DEP_1)
	v_add3_u32 v18, v18, v4, v5
	v_add3_u32 v18, v18, v2, v3
	s_delay_alu instid0(VALU_DEP_1) | instskip(NEXT) | instid1(VALU_DEP_1)
	v_mov_b32_dpp v19, v18 row_shr:1 row_mask:0xf bank_mask:0xf
	v_cndmask_b32_e64 v19, v19, 0, s2
	s_delay_alu instid0(VALU_DEP_1) | instskip(NEXT) | instid1(VALU_DEP_1)
	v_add_nc_u32_e32 v18, v18, v19
	v_mov_b32_dpp v19, v18 row_shr:2 row_mask:0xf bank_mask:0xf
	s_delay_alu instid0(VALU_DEP_1) | instskip(NEXT) | instid1(VALU_DEP_1)
	v_cndmask_b32_e64 v19, 0, v19, s3
	v_add_nc_u32_e32 v18, v18, v19
	s_delay_alu instid0(VALU_DEP_1) | instskip(NEXT) | instid1(VALU_DEP_1)
	v_mov_b32_dpp v19, v18 row_shr:4 row_mask:0xf bank_mask:0xf
	v_cndmask_b32_e64 v19, 0, v19, s4
	s_delay_alu instid0(VALU_DEP_1) | instskip(NEXT) | instid1(VALU_DEP_1)
	v_add_nc_u32_e32 v18, v18, v19
	v_mov_b32_dpp v19, v18 row_shr:8 row_mask:0xf bank_mask:0xf
	s_delay_alu instid0(VALU_DEP_1) | instskip(NEXT) | instid1(VALU_DEP_1)
	v_cndmask_b32_e64 v19, 0, v19, s5
	v_add_nc_u32_e32 v18, v18, v19
	ds_swizzle_b32 v19, v18 offset:swizzle(BROADCAST,32,15)
	s_waitcnt lgkmcnt(0)
	v_cndmask_b32_e64 v19, v19, 0, s6
	s_delay_alu instid0(VALU_DEP_1)
	v_add_nc_u32_e32 v18, v18, v19
	s_and_saveexec_b32 s13, s7
	s_cbranch_execz .LBB912_29
; %bb.28:                               ;   in Loop: Header=BB912_6 Depth=1
	ds_store_b32 v21, v18
.LBB912_29:                             ;   in Loop: Header=BB912_6 Depth=1
	s_or_b32 exec_lo, exec_lo, s13
	s_waitcnt lgkmcnt(0)
	s_barrier
	buffer_gl0_inv
	s_and_saveexec_b32 s13, s8
	s_cbranch_execz .LBB912_31
; %bb.30:                               ;   in Loop: Header=BB912_6 Depth=1
	ds_load_b32 v19, v22
	s_waitcnt lgkmcnt(0)
	v_mov_b32_dpp v20, v19 row_shr:1 row_mask:0xf bank_mask:0xf
	s_delay_alu instid0(VALU_DEP_1) | instskip(NEXT) | instid1(VALU_DEP_1)
	v_cndmask_b32_e64 v20, v20, 0, s2
	v_add_nc_u32_e32 v19, v20, v19
	s_delay_alu instid0(VALU_DEP_1) | instskip(NEXT) | instid1(VALU_DEP_1)
	v_mov_b32_dpp v20, v19 row_shr:2 row_mask:0xf bank_mask:0xf
	v_cndmask_b32_e64 v20, 0, v20, s3
	s_delay_alu instid0(VALU_DEP_1) | instskip(NEXT) | instid1(VALU_DEP_1)
	v_add_nc_u32_e32 v19, v19, v20
	v_mov_b32_dpp v20, v19 row_shr:4 row_mask:0xf bank_mask:0xf
	s_delay_alu instid0(VALU_DEP_1) | instskip(NEXT) | instid1(VALU_DEP_1)
	v_cndmask_b32_e64 v20, 0, v20, s4
	v_add_nc_u32_e32 v19, v19, v20
	s_delay_alu instid0(VALU_DEP_1) | instskip(NEXT) | instid1(VALU_DEP_1)
	v_mov_b32_dpp v20, v19 row_shr:8 row_mask:0xf bank_mask:0xf
	v_cndmask_b32_e64 v20, 0, v20, s5
	s_delay_alu instid0(VALU_DEP_1)
	v_add_nc_u32_e32 v19, v19, v20
	ds_store_b32 v22, v19
.LBB912_31:                             ;   in Loop: Header=BB912_6 Depth=1
	s_or_b32 exec_lo, exec_lo, s13
	v_mov_b32_e32 v19, 0
	s_waitcnt lgkmcnt(0)
	s_barrier
	buffer_gl0_inv
	s_and_saveexec_b32 s13, s9
	s_cbranch_execz .LBB912_33
; %bb.32:                               ;   in Loop: Header=BB912_6 Depth=1
	ds_load_b32 v19, v23
.LBB912_33:                             ;   in Loop: Header=BB912_6 Depth=1
	s_or_b32 exec_lo, exec_lo, s13
	s_waitcnt lgkmcnt(0)
	v_add_nc_u32_e32 v18, v19, v18
	ds_bpermute_b32 v18, v24, v18
	s_and_saveexec_b32 s13, s11
	s_cbranch_execz .LBB912_35
; %bb.34:                               ;   in Loop: Header=BB912_6 Depth=1
	ds_load_b32 v20, v1 offset:60
	s_waitcnt lgkmcnt(0)
	ds_store_b32 v1, v20 offset:33792
.LBB912_35:                             ;   in Loop: Header=BB912_6 Depth=1
	s_or_b32 exec_lo, exec_lo, s13
	s_waitcnt lgkmcnt(0)
	v_cndmask_b32_e64 v18, v18, v19, s10
	s_barrier
	buffer_gl0_inv
	ds_store_2addr_b32 v25, v16, v17 offset1:1
	ds_store_2addr_b32 v25, v12, v13 offset0:2 offset1:3
	ds_store_2addr_b32 v25, v8, v9 offset0:4 offset1:5
	;; [unrolled: 1-line block ×3, first 2 shown]
	v_cndmask_b32_e64 v18, v18, 0, s11
	ds_store_2addr_b32 v25, v14, v15 offset0:8 offset1:9
	ds_store_2addr_b32 v25, v10, v11 offset0:10 offset1:11
	;; [unrolled: 1-line block ×4, first 2 shown]
	s_waitcnt lgkmcnt(0)
	s_barrier
	buffer_gl0_inv
	v_add_nc_u32_e32 v19, v18, v16
	ds_load_b32 v108, v26
	ds_load_b32 v98, v27 offset:2048
	ds_load_b32 v97, v28 offset:4096
	;; [unrolled: 1-line block ×15, first 2 shown]
	s_waitcnt lgkmcnt(0)
	s_barrier
	v_add_nc_u32_e32 v20, v19, v17
	buffer_gl0_inv
	v_add_nc_u32_e32 v99, v20, v12
	s_delay_alu instid0(VALU_DEP_1) | instskip(NEXT) | instid1(VALU_DEP_1)
	v_add_nc_u32_e32 v100, v99, v13
	v_add_nc_u32_e32 v101, v100, v8
	s_delay_alu instid0(VALU_DEP_1) | instskip(NEXT) | instid1(VALU_DEP_1)
	v_add_nc_u32_e32 v102, v101, v9
	;; [unrolled: 3-line block ×6, first 2 shown]
	v_add_nc_u32_e32 v2, v4, v2
	ds_store_2addr_b32 v25, v18, v19 offset1:1
	ds_store_2addr_b32 v25, v20, v99 offset0:2 offset1:3
	ds_store_2addr_b32 v25, v100, v101 offset0:4 offset1:5
	;; [unrolled: 1-line block ×7, first 2 shown]
	s_waitcnt lgkmcnt(0)
	s_barrier
	buffer_gl0_inv
	ds_load_b32 v18, v27 offset:2048
	ds_load_b32 v17, v28 offset:4096
	;; [unrolled: 1-line block ×15, first 2 shown]
	v_add_co_u32 v2, s13, s28, v0
	s_delay_alu instid0(VALU_DEP_1)
	v_add_co_ci_u32_e64 v3, null, s29, 0, s13
	s_mov_b32 s13, exec_lo
	v_cmpx_ne_u32_e32 0, v108
	s_cbranch_execz .LBB912_38
; %bb.36:                               ;   in Loop: Header=BB912_6 Depth=1
	ds_load_b32 v19, v26
	s_waitcnt lgkmcnt(0)
	v_ashrrev_i32_e32 v20, 31, v19
	s_delay_alu instid0(VALU_DEP_1)
	v_cmp_gt_i64_e32 vcc_lo, s[30:31], v[19:20]
	s_and_b32 exec_lo, exec_lo, vcc_lo
	s_cbranch_execz .LBB912_38
; %bb.37:                               ;   in Loop: Header=BB912_6 Depth=1
	v_lshlrev_b64 v[19:20], 3, v[19:20]
	s_delay_alu instid0(VALU_DEP_1) | instskip(NEXT) | instid1(VALU_DEP_2)
	v_add_co_u32 v19, vcc_lo, s37, v19
	v_add_co_ci_u32_e32 v20, vcc_lo, s38, v20, vcc_lo
	global_store_b64 v[19:20], v[2:3], off
.LBB912_38:                             ;   in Loop: Header=BB912_6 Depth=1
	s_or_b32 exec_lo, exec_lo, s13
	s_delay_alu instid0(SALU_CYCLE_1)
	s_mov_b32 s13, exec_lo
	v_cmpx_ne_u32_e32 0, v98
	s_cbranch_execz .LBB912_41
; %bb.39:                               ;   in Loop: Header=BB912_6 Depth=1
	s_waitcnt lgkmcnt(14)
	v_ashrrev_i32_e32 v19, 31, v18
	s_delay_alu instid0(VALU_DEP_1)
	v_cmp_gt_i64_e32 vcc_lo, s[30:31], v[18:19]
	s_and_b32 exec_lo, exec_lo, vcc_lo
	s_cbranch_execz .LBB912_41
; %bb.40:                               ;   in Loop: Header=BB912_6 Depth=1
	s_load_b32 s14, s[0:1], 0xc
	v_lshlrev_b64 v[18:19], 3, v[18:19]
	s_waitcnt lgkmcnt(0)
	s_and_b32 s14, s14, 0xffff
	s_delay_alu instid0(SALU_CYCLE_1) | instskip(SKIP_1) | instid1(VALU_DEP_3)
	v_add_co_u32 v98, vcc_lo, v2, s14
	v_add_co_ci_u32_e32 v99, vcc_lo, 0, v3, vcc_lo
	v_add_co_u32 v18, vcc_lo, s37, v18
	v_add_co_ci_u32_e32 v19, vcc_lo, s38, v19, vcc_lo
	global_store_b64 v[18:19], v[98:99], off
.LBB912_41:                             ;   in Loop: Header=BB912_6 Depth=1
	s_or_b32 exec_lo, exec_lo, s13
	s_delay_alu instid0(SALU_CYCLE_1)
	s_mov_b32 s13, exec_lo
	v_cmpx_ne_u32_e32 0, v97
	s_cbranch_execz .LBB912_44
; %bb.42:                               ;   in Loop: Header=BB912_6 Depth=1
	s_waitcnt lgkmcnt(13)
	v_ashrrev_i32_e32 v18, 31, v17
	s_delay_alu instid0(VALU_DEP_1)
	v_cmp_gt_i64_e32 vcc_lo, s[30:31], v[17:18]
	s_and_b32 exec_lo, exec_lo, vcc_lo
	s_cbranch_execz .LBB912_44
; %bb.43:                               ;   in Loop: Header=BB912_6 Depth=1
	s_load_b32 s14, s[0:1], 0xc
	v_lshlrev_b64 v[17:18], 3, v[17:18]
	s_waitcnt lgkmcnt(0)
	s_and_b32 s14, s14, 0xffff
	s_delay_alu instid0(SALU_CYCLE_1) | instskip(NEXT) | instid1(SALU_CYCLE_1)
	s_lshl_b32 s14, s14, 1
	v_add_co_u32 v19, vcc_lo, v2, s14
	v_add_co_ci_u32_e32 v20, vcc_lo, 0, v3, vcc_lo
	v_add_co_u32 v17, vcc_lo, s37, v17
	v_add_co_ci_u32_e32 v18, vcc_lo, s38, v18, vcc_lo
	global_store_b64 v[17:18], v[19:20], off
.LBB912_44:                             ;   in Loop: Header=BB912_6 Depth=1
	s_or_b32 exec_lo, exec_lo, s13
	s_delay_alu instid0(SALU_CYCLE_1)
	s_mov_b32 s13, exec_lo
	v_cmpx_ne_u32_e32 0, v96
	s_cbranch_execz .LBB912_47
; %bb.45:                               ;   in Loop: Header=BB912_6 Depth=1
	s_waitcnt lgkmcnt(12)
	v_ashrrev_i32_e32 v17, 31, v16
	s_delay_alu instid0(VALU_DEP_1)
	v_cmp_gt_i64_e32 vcc_lo, s[30:31], v[16:17]
	s_and_b32 exec_lo, exec_lo, vcc_lo
	s_cbranch_execz .LBB912_47
; %bb.46:                               ;   in Loop: Header=BB912_6 Depth=1
	s_load_b32 s14, s[0:1], 0xc
	v_lshlrev_b64 v[16:17], 3, v[16:17]
	s_delay_alu instid0(VALU_DEP_1) | instskip(NEXT) | instid1(VALU_DEP_2)
	v_add_co_u32 v16, vcc_lo, s37, v16
	v_add_co_ci_u32_e32 v17, vcc_lo, s38, v17, vcc_lo
	s_waitcnt lgkmcnt(0)
	s_and_b32 s14, s14, 0xffff
	s_delay_alu instid0(SALU_CYCLE_1)
	v_mad_u64_u32 v[18:19], null, s14, 3, v[2:3]
	global_store_b64 v[16:17], v[18:19], off
.LBB912_47:                             ;   in Loop: Header=BB912_6 Depth=1
	s_or_b32 exec_lo, exec_lo, s13
	s_delay_alu instid0(SALU_CYCLE_1)
	s_mov_b32 s13, exec_lo
	v_cmpx_ne_u32_e32 0, v95
	s_cbranch_execz .LBB912_50
; %bb.48:                               ;   in Loop: Header=BB912_6 Depth=1
	s_waitcnt lgkmcnt(11)
	v_ashrrev_i32_e32 v16, 31, v15
	s_delay_alu instid0(VALU_DEP_1)
	v_cmp_gt_i64_e32 vcc_lo, s[30:31], v[15:16]
	s_and_b32 exec_lo, exec_lo, vcc_lo
	s_cbranch_execz .LBB912_50
; %bb.49:                               ;   in Loop: Header=BB912_6 Depth=1
	s_load_b32 s14, s[0:1], 0xc
	v_lshlrev_b64 v[15:16], 3, v[15:16]
	s_waitcnt lgkmcnt(0)
	s_and_b32 s14, s14, 0xffff
	s_delay_alu instid0(SALU_CYCLE_1) | instskip(NEXT) | instid1(SALU_CYCLE_1)
	s_lshl_b32 s14, s14, 2
	v_add_co_u32 v17, vcc_lo, v2, s14
	v_add_co_ci_u32_e32 v18, vcc_lo, 0, v3, vcc_lo
	v_add_co_u32 v15, vcc_lo, s37, v15
	v_add_co_ci_u32_e32 v16, vcc_lo, s38, v16, vcc_lo
	global_store_b64 v[15:16], v[17:18], off
.LBB912_50:                             ;   in Loop: Header=BB912_6 Depth=1
	s_or_b32 exec_lo, exec_lo, s13
	s_delay_alu instid0(SALU_CYCLE_1)
	s_mov_b32 s13, exec_lo
	v_cmpx_ne_u32_e32 0, v94
	s_cbranch_execz .LBB912_53
; %bb.51:                               ;   in Loop: Header=BB912_6 Depth=1
	s_waitcnt lgkmcnt(10)
	v_ashrrev_i32_e32 v15, 31, v14
	s_delay_alu instid0(VALU_DEP_1)
	v_cmp_gt_i64_e32 vcc_lo, s[30:31], v[14:15]
	s_and_b32 exec_lo, exec_lo, vcc_lo
	s_cbranch_execz .LBB912_53
; %bb.52:                               ;   in Loop: Header=BB912_6 Depth=1
	s_load_b32 s14, s[0:1], 0xc
	v_lshlrev_b64 v[14:15], 3, v[14:15]
	s_delay_alu instid0(VALU_DEP_1) | instskip(NEXT) | instid1(VALU_DEP_2)
	v_add_co_u32 v14, vcc_lo, s37, v14
	v_add_co_ci_u32_e32 v15, vcc_lo, s38, v15, vcc_lo
	s_waitcnt lgkmcnt(0)
	s_and_b32 s14, s14, 0xffff
	s_delay_alu instid0(SALU_CYCLE_1)
	v_mad_u64_u32 v[16:17], null, s14, 5, v[2:3]
	global_store_b64 v[14:15], v[16:17], off
.LBB912_53:                             ;   in Loop: Header=BB912_6 Depth=1
	s_or_b32 exec_lo, exec_lo, s13
	s_delay_alu instid0(SALU_CYCLE_1)
	s_mov_b32 s13, exec_lo
	v_cmpx_ne_u32_e32 0, v93
	s_cbranch_execz .LBB912_56
; %bb.54:                               ;   in Loop: Header=BB912_6 Depth=1
	s_waitcnt lgkmcnt(9)
	v_ashrrev_i32_e32 v14, 31, v13
	s_delay_alu instid0(VALU_DEP_1)
	v_cmp_gt_i64_e32 vcc_lo, s[30:31], v[13:14]
	s_and_b32 exec_lo, exec_lo, vcc_lo
	s_cbranch_execz .LBB912_56
; %bb.55:                               ;   in Loop: Header=BB912_6 Depth=1
	s_load_b32 s14, s[0:1], 0xc
	v_lshlrev_b64 v[13:14], 3, v[13:14]
	s_delay_alu instid0(VALU_DEP_1) | instskip(NEXT) | instid1(VALU_DEP_2)
	v_add_co_u32 v13, vcc_lo, s37, v13
	v_add_co_ci_u32_e32 v14, vcc_lo, s38, v14, vcc_lo
	s_waitcnt lgkmcnt(0)
	s_and_b32 s14, s14, 0xffff
	s_delay_alu instid0(SALU_CYCLE_1)
	v_mad_u64_u32 v[15:16], null, s14, 6, v[2:3]
	global_store_b64 v[13:14], v[15:16], off
.LBB912_56:                             ;   in Loop: Header=BB912_6 Depth=1
	;; [unrolled: 24-line block ×3, first 2 shown]
	s_or_b32 exec_lo, exec_lo, s13
	s_delay_alu instid0(SALU_CYCLE_1)
	s_mov_b32 s13, exec_lo
	v_cmpx_ne_u32_e32 0, v91
	s_cbranch_execz .LBB912_62
; %bb.60:                               ;   in Loop: Header=BB912_6 Depth=1
	s_waitcnt lgkmcnt(7)
	v_ashrrev_i32_e32 v12, 31, v11
	s_delay_alu instid0(VALU_DEP_1)
	v_cmp_gt_i64_e32 vcc_lo, s[30:31], v[11:12]
	s_and_b32 exec_lo, exec_lo, vcc_lo
	s_cbranch_execz .LBB912_62
; %bb.61:                               ;   in Loop: Header=BB912_6 Depth=1
	s_load_b32 s14, s[0:1], 0xc
	v_lshlrev_b64 v[11:12], 3, v[11:12]
	s_waitcnt lgkmcnt(0)
	s_and_b32 s14, s14, 0xffff
	s_delay_alu instid0(SALU_CYCLE_1) | instskip(NEXT) | instid1(SALU_CYCLE_1)
	s_lshl_b32 s14, s14, 3
	v_add_co_u32 v13, vcc_lo, v2, s14
	v_add_co_ci_u32_e32 v14, vcc_lo, 0, v3, vcc_lo
	v_add_co_u32 v11, vcc_lo, s37, v11
	v_add_co_ci_u32_e32 v12, vcc_lo, s38, v12, vcc_lo
	global_store_b64 v[11:12], v[13:14], off
.LBB912_62:                             ;   in Loop: Header=BB912_6 Depth=1
	s_or_b32 exec_lo, exec_lo, s13
	s_delay_alu instid0(SALU_CYCLE_1)
	s_mov_b32 s13, exec_lo
	v_cmpx_ne_u32_e32 0, v90
	s_cbranch_execz .LBB912_65
; %bb.63:                               ;   in Loop: Header=BB912_6 Depth=1
	s_waitcnt lgkmcnt(6)
	v_ashrrev_i32_e32 v11, 31, v10
	s_delay_alu instid0(VALU_DEP_1)
	v_cmp_gt_i64_e32 vcc_lo, s[30:31], v[10:11]
	s_and_b32 exec_lo, exec_lo, vcc_lo
	s_cbranch_execz .LBB912_65
; %bb.64:                               ;   in Loop: Header=BB912_6 Depth=1
	s_load_b32 s14, s[0:1], 0xc
	v_lshlrev_b64 v[10:11], 3, v[10:11]
	s_delay_alu instid0(VALU_DEP_1) | instskip(NEXT) | instid1(VALU_DEP_2)
	v_add_co_u32 v10, vcc_lo, s37, v10
	v_add_co_ci_u32_e32 v11, vcc_lo, s38, v11, vcc_lo
	s_waitcnt lgkmcnt(0)
	s_and_b32 s14, s14, 0xffff
	s_delay_alu instid0(SALU_CYCLE_1)
	v_mad_u64_u32 v[12:13], null, s14, 9, v[2:3]
	global_store_b64 v[10:11], v[12:13], off
.LBB912_65:                             ;   in Loop: Header=BB912_6 Depth=1
	s_or_b32 exec_lo, exec_lo, s13
	s_delay_alu instid0(SALU_CYCLE_1)
	s_mov_b32 s13, exec_lo
	v_cmpx_ne_u32_e32 0, v89
	s_cbranch_execz .LBB912_68
; %bb.66:                               ;   in Loop: Header=BB912_6 Depth=1
	s_waitcnt lgkmcnt(5)
	v_ashrrev_i32_e32 v10, 31, v9
	s_delay_alu instid0(VALU_DEP_1)
	v_cmp_gt_i64_e32 vcc_lo, s[30:31], v[9:10]
	s_and_b32 exec_lo, exec_lo, vcc_lo
	s_cbranch_execz .LBB912_68
; %bb.67:                               ;   in Loop: Header=BB912_6 Depth=1
	s_load_b32 s14, s[0:1], 0xc
	v_lshlrev_b64 v[9:10], 3, v[9:10]
	s_delay_alu instid0(VALU_DEP_1) | instskip(NEXT) | instid1(VALU_DEP_2)
	v_add_co_u32 v9, vcc_lo, s37, v9
	v_add_co_ci_u32_e32 v10, vcc_lo, s38, v10, vcc_lo
	s_waitcnt lgkmcnt(0)
	s_and_b32 s14, s14, 0xffff
	s_delay_alu instid0(SALU_CYCLE_1)
	v_mad_u64_u32 v[11:12], null, s14, 10, v[2:3]
	global_store_b64 v[9:10], v[11:12], off
.LBB912_68:                             ;   in Loop: Header=BB912_6 Depth=1
	;; [unrolled: 24-line block ×6, first 2 shown]
	s_or_b32 exec_lo, exec_lo, s13
	s_delay_alu instid0(SALU_CYCLE_1)
	s_mov_b32 s13, exec_lo
	v_cmpx_ne_u32_e32 0, v84
	s_cbranch_execz .LBB912_83
; %bb.81:                               ;   in Loop: Header=BB912_6 Depth=1
	s_waitcnt lgkmcnt(0)
	v_ashrrev_i32_e32 v5, 31, v4
	s_delay_alu instid0(VALU_DEP_1)
	v_cmp_gt_i64_e32 vcc_lo, s[30:31], v[4:5]
	s_and_b32 exec_lo, exec_lo, vcc_lo
	s_cbranch_execz .LBB912_83
; %bb.82:                               ;   in Loop: Header=BB912_6 Depth=1
	s_load_b32 s14, s[0:1], 0xc
	v_lshlrev_b64 v[4:5], 3, v[4:5]
	s_waitcnt lgkmcnt(0)
	s_and_b32 s14, s14, 0xffff
	s_delay_alu instid0(SALU_CYCLE_1) | instskip(NEXT) | instid1(VALU_DEP_2)
	v_mad_u64_u32 v[6:7], null, s14, 15, v[2:3]
	v_add_co_u32 v2, vcc_lo, s37, v4
	s_delay_alu instid0(VALU_DEP_3)
	v_add_co_ci_u32_e32 v3, vcc_lo, s38, v5, vcc_lo
	global_store_b64 v[2:3], v[6:7], off
.LBB912_83:                             ;   in Loop: Header=BB912_6 Depth=1
	s_or_b32 exec_lo, exec_lo, s13
	ds_load_b32 v2, v1 offset:33792
	v_cmp_gt_i64_e64 s13, 0x2001, s[34:35]
	s_waitcnt lgkmcnt(0)
	v_readfirstlane_b32 s14, v2
	s_delay_alu instid0(VALU_DEP_1) | instskip(SKIP_2) | instid1(SALU_CYCLE_1)
	s_ashr_i32 s15, s14, 31
	s_sub_u32 s30, s30, s14
	s_subb_u32 s31, s31, s15
	v_cmp_lt_i64_e64 s16, s[30:31], 1
	s_delay_alu instid0(VALU_DEP_1) | instskip(NEXT) | instid1(SALU_CYCLE_1)
	s_or_b32 s13, s13, s16
	s_and_b32 vcc_lo, exec_lo, s13
	s_cbranch_vccnz .LBB912_5
; %bb.84:                               ;   in Loop: Header=BB912_6 Depth=1
	s_add_u32 s28, s28, 0x2000
	s_addc_u32 s29, s29, 0
	s_add_u32 s33, s33, 0x8000
	s_addc_u32 s36, s36, 0
	s_lshl_b64 s[14:15], s[14:15], 3
	s_waitcnt_vscnt null, 0x0
	s_add_u32 s37, s37, s14
	s_addc_u32 s38, s38, s15
	s_barrier
	buffer_gl0_inv
	s_branch .LBB912_5
.LBB912_85:                             ;   in Loop: Header=BB912_6 Depth=1
	global_load_b32 v20, v[18:19], off
	v_mov_b32_e32 v15, v1
	v_mov_b32_e32 v2, v1
	;; [unrolled: 1-line block ×15, first 2 shown]
	s_delay_alu instid0(VALU_DEP_2)
	v_dual_mov_b32 v16, v14 :: v_dual_mov_b32 v15, v13
	v_mov_b32_e32 v14, v12
	v_mov_b32_e32 v13, v11
	;; [unrolled: 1-line block ×13, first 2 shown]
	s_waitcnt vmcnt(0)
	v_cmp_neq_f32_e32 vcc_lo, 0, v20
	v_cndmask_b32_e64 v2, 0, 1, vcc_lo
	s_or_b32 exec_lo, exec_lo, s13
	s_delay_alu instid0(SALU_CYCLE_1)
	s_mov_b32 s13, exec_lo
	v_cmpx_gt_u32_e64 s34, v43
	s_cbranch_execz .LBB912_9
.LBB912_86:                             ;   in Loop: Header=BB912_6 Depth=1
	global_load_b32 v3, v[18:19], off offset:128
	s_waitcnt vmcnt(0)
	v_cmp_neq_f32_e32 vcc_lo, 0, v3
	v_cndmask_b32_e64 v3, 0, 1, vcc_lo
	s_or_b32 exec_lo, exec_lo, s13
	s_delay_alu instid0(SALU_CYCLE_1)
	s_mov_b32 s13, exec_lo
	v_cmpx_gt_u32_e64 s34, v44
	s_cbranch_execz .LBB912_10
.LBB912_87:                             ;   in Loop: Header=BB912_6 Depth=1
	global_load_b32 v4, v[18:19], off offset:256
	s_waitcnt vmcnt(0)
	v_cmp_neq_f32_e32 vcc_lo, 0, v4
	v_cndmask_b32_e64 v4, 0, 1, vcc_lo
	s_or_b32 exec_lo, exec_lo, s13
	s_delay_alu instid0(SALU_CYCLE_1)
	s_mov_b32 s13, exec_lo
	v_cmpx_gt_u32_e64 s34, v45
	s_cbranch_execz .LBB912_11
.LBB912_88:                             ;   in Loop: Header=BB912_6 Depth=1
	global_load_b32 v5, v[18:19], off offset:384
	s_waitcnt vmcnt(0)
	v_cmp_neq_f32_e32 vcc_lo, 0, v5
	v_cndmask_b32_e64 v5, 0, 1, vcc_lo
	s_or_b32 exec_lo, exec_lo, s13
	s_delay_alu instid0(SALU_CYCLE_1)
	s_mov_b32 s13, exec_lo
	v_cmpx_gt_u32_e64 s34, v46
	s_cbranch_execz .LBB912_12
.LBB912_89:                             ;   in Loop: Header=BB912_6 Depth=1
	global_load_b32 v6, v[18:19], off offset:512
	s_waitcnt vmcnt(0)
	v_cmp_neq_f32_e32 vcc_lo, 0, v6
	v_cndmask_b32_e64 v6, 0, 1, vcc_lo
	s_or_b32 exec_lo, exec_lo, s13
	s_delay_alu instid0(SALU_CYCLE_1)
	s_mov_b32 s13, exec_lo
	v_cmpx_gt_u32_e64 s34, v47
	s_cbranch_execz .LBB912_13
.LBB912_90:                             ;   in Loop: Header=BB912_6 Depth=1
	global_load_b32 v7, v[18:19], off offset:640
	s_waitcnt vmcnt(0)
	v_cmp_neq_f32_e32 vcc_lo, 0, v7
	v_cndmask_b32_e64 v7, 0, 1, vcc_lo
	s_or_b32 exec_lo, exec_lo, s13
	s_delay_alu instid0(SALU_CYCLE_1)
	s_mov_b32 s13, exec_lo
	v_cmpx_gt_u32_e64 s34, v48
	s_cbranch_execz .LBB912_14
.LBB912_91:                             ;   in Loop: Header=BB912_6 Depth=1
	global_load_b32 v8, v[18:19], off offset:768
	s_waitcnt vmcnt(0)
	v_cmp_neq_f32_e32 vcc_lo, 0, v8
	v_cndmask_b32_e64 v8, 0, 1, vcc_lo
	s_or_b32 exec_lo, exec_lo, s13
	s_delay_alu instid0(SALU_CYCLE_1)
	s_mov_b32 s13, exec_lo
	v_cmpx_gt_u32_e64 s34, v49
	s_cbranch_execz .LBB912_15
.LBB912_92:                             ;   in Loop: Header=BB912_6 Depth=1
	global_load_b32 v9, v[18:19], off offset:896
	s_waitcnt vmcnt(0)
	v_cmp_neq_f32_e32 vcc_lo, 0, v9
	v_cndmask_b32_e64 v9, 0, 1, vcc_lo
	s_or_b32 exec_lo, exec_lo, s13
	s_delay_alu instid0(SALU_CYCLE_1)
	s_mov_b32 s13, exec_lo
	v_cmpx_gt_u32_e64 s34, v50
	s_cbranch_execz .LBB912_16
.LBB912_93:                             ;   in Loop: Header=BB912_6 Depth=1
	global_load_b32 v10, v[18:19], off offset:1024
	s_waitcnt vmcnt(0)
	v_cmp_neq_f32_e32 vcc_lo, 0, v10
	v_cndmask_b32_e64 v10, 0, 1, vcc_lo
	s_or_b32 exec_lo, exec_lo, s13
	s_delay_alu instid0(SALU_CYCLE_1)
	s_mov_b32 s13, exec_lo
	v_cmpx_gt_u32_e64 s34, v51
	s_cbranch_execz .LBB912_17
.LBB912_94:                             ;   in Loop: Header=BB912_6 Depth=1
	global_load_b32 v11, v[18:19], off offset:1152
	s_waitcnt vmcnt(0)
	v_cmp_neq_f32_e32 vcc_lo, 0, v11
	v_cndmask_b32_e64 v11, 0, 1, vcc_lo
	s_or_b32 exec_lo, exec_lo, s13
	s_delay_alu instid0(SALU_CYCLE_1)
	s_mov_b32 s13, exec_lo
	v_cmpx_gt_u32_e64 s34, v52
	s_cbranch_execz .LBB912_18
.LBB912_95:                             ;   in Loop: Header=BB912_6 Depth=1
	global_load_b32 v12, v[18:19], off offset:1280
	s_waitcnt vmcnt(0)
	v_cmp_neq_f32_e32 vcc_lo, 0, v12
	v_cndmask_b32_e64 v12, 0, 1, vcc_lo
	s_or_b32 exec_lo, exec_lo, s13
	s_delay_alu instid0(SALU_CYCLE_1)
	s_mov_b32 s13, exec_lo
	v_cmpx_gt_u32_e64 s34, v53
	s_cbranch_execz .LBB912_19
.LBB912_96:                             ;   in Loop: Header=BB912_6 Depth=1
	global_load_b32 v13, v[18:19], off offset:1408
	s_waitcnt vmcnt(0)
	v_cmp_neq_f32_e32 vcc_lo, 0, v13
	v_cndmask_b32_e64 v13, 0, 1, vcc_lo
	s_or_b32 exec_lo, exec_lo, s13
	s_delay_alu instid0(SALU_CYCLE_1)
	s_mov_b32 s13, exec_lo
	v_cmpx_gt_u32_e64 s34, v54
	s_cbranch_execz .LBB912_20
.LBB912_97:                             ;   in Loop: Header=BB912_6 Depth=1
	global_load_b32 v14, v[18:19], off offset:1536
	s_waitcnt vmcnt(0)
	v_cmp_neq_f32_e32 vcc_lo, 0, v14
	v_cndmask_b32_e64 v14, 0, 1, vcc_lo
	s_or_b32 exec_lo, exec_lo, s13
	s_delay_alu instid0(SALU_CYCLE_1)
	s_mov_b32 s13, exec_lo
	v_cmpx_gt_u32_e64 s34, v55
	s_cbranch_execz .LBB912_21
.LBB912_98:                             ;   in Loop: Header=BB912_6 Depth=1
	global_load_b32 v15, v[18:19], off offset:1664
	s_waitcnt vmcnt(0)
	v_cmp_neq_f32_e32 vcc_lo, 0, v15
	v_cndmask_b32_e64 v15, 0, 1, vcc_lo
	s_or_b32 exec_lo, exec_lo, s13
	s_delay_alu instid0(SALU_CYCLE_1)
	s_mov_b32 s13, exec_lo
	v_cmpx_gt_u32_e64 s34, v56
	s_cbranch_execz .LBB912_22
.LBB912_99:                             ;   in Loop: Header=BB912_6 Depth=1
	global_load_b32 v16, v[18:19], off offset:1792
	s_waitcnt vmcnt(0)
	v_cmp_neq_f32_e32 vcc_lo, 0, v16
	v_cndmask_b32_e64 v16, 0, 1, vcc_lo
	s_or_b32 exec_lo, exec_lo, s13
	s_delay_alu instid0(SALU_CYCLE_1)
	s_mov_b32 s13, exec_lo
	v_cmpx_gt_u32_e64 s34, v57
	s_cbranch_execnz .LBB912_23
	s_branch .LBB912_24
.LBB912_100:
	s_nop 0
	s_sendmsg sendmsg(MSG_DEALLOC_VGPRS)
	s_endpgm
	.section	.rodata,"a",@progbits
	.p2align	6, 0x0
	.amdhsa_kernel _ZN2at6native12_GLOBAL__N_111flag_kernelILi512ELi16EfEEvPKT1_PlPKllli
		.amdhsa_group_segment_fixed_size 33796
		.amdhsa_private_segment_fixed_size 0
		.amdhsa_kernarg_size 304
		.amdhsa_user_sgpr_count 15
		.amdhsa_user_sgpr_dispatch_ptr 0
		.amdhsa_user_sgpr_queue_ptr 0
		.amdhsa_user_sgpr_kernarg_segment_ptr 1
		.amdhsa_user_sgpr_dispatch_id 0
		.amdhsa_user_sgpr_private_segment_size 0
		.amdhsa_wavefront_size32 1
		.amdhsa_uses_dynamic_stack 0
		.amdhsa_enable_private_segment 0
		.amdhsa_system_sgpr_workgroup_id_x 1
		.amdhsa_system_sgpr_workgroup_id_y 0
		.amdhsa_system_sgpr_workgroup_id_z 0
		.amdhsa_system_sgpr_workgroup_info 0
		.amdhsa_system_vgpr_workitem_id 0
		.amdhsa_next_free_vgpr 109
		.amdhsa_next_free_sgpr 40
		.amdhsa_reserve_vcc 1
		.amdhsa_float_round_mode_32 0
		.amdhsa_float_round_mode_16_64 0
		.amdhsa_float_denorm_mode_32 3
		.amdhsa_float_denorm_mode_16_64 3
		.amdhsa_dx10_clamp 1
		.amdhsa_ieee_mode 1
		.amdhsa_fp16_overflow 0
		.amdhsa_workgroup_processor_mode 1
		.amdhsa_memory_ordered 1
		.amdhsa_forward_progress 0
		.amdhsa_shared_vgpr_count 0
		.amdhsa_exception_fp_ieee_invalid_op 0
		.amdhsa_exception_fp_denorm_src 0
		.amdhsa_exception_fp_ieee_div_zero 0
		.amdhsa_exception_fp_ieee_overflow 0
		.amdhsa_exception_fp_ieee_underflow 0
		.amdhsa_exception_fp_ieee_inexact 0
		.amdhsa_exception_int_div_zero 0
	.end_amdhsa_kernel
	.section	.text._ZN2at6native12_GLOBAL__N_111flag_kernelILi512ELi16EfEEvPKT1_PlPKllli,"axG",@progbits,_ZN2at6native12_GLOBAL__N_111flag_kernelILi512ELi16EfEEvPKT1_PlPKllli,comdat
.Lfunc_end912:
	.size	_ZN2at6native12_GLOBAL__N_111flag_kernelILi512ELi16EfEEvPKT1_PlPKllli, .Lfunc_end912-_ZN2at6native12_GLOBAL__N_111flag_kernelILi512ELi16EfEEvPKT1_PlPKllli
                                        ; -- End function
	.section	.AMDGPU.csdata,"",@progbits
; Kernel info:
; codeLenInByte = 6260
; NumSgprs: 42
; NumVgprs: 109
; ScratchSize: 0
; MemoryBound: 0
; FloatMode: 240
; IeeeMode: 1
; LDSByteSize: 33796 bytes/workgroup (compile time only)
; SGPRBlocks: 5
; VGPRBlocks: 13
; NumSGPRsForWavesPerEU: 42
; NumVGPRsForWavesPerEU: 109
; Occupancy: 12
; WaveLimiterHint : 1
; COMPUTE_PGM_RSRC2:SCRATCH_EN: 0
; COMPUTE_PGM_RSRC2:USER_SGPR: 15
; COMPUTE_PGM_RSRC2:TRAP_HANDLER: 0
; COMPUTE_PGM_RSRC2:TGID_X_EN: 1
; COMPUTE_PGM_RSRC2:TGID_Y_EN: 0
; COMPUTE_PGM_RSRC2:TGID_Z_EN: 0
; COMPUTE_PGM_RSRC2:TIDIG_COMP_CNT: 0
	.section	.text._ZN2at4cuda3cub15calc_block_sumsILi512ELi16ELb1EN3c107complexIdEEiEEvPKT2_PT3_li,"axG",@progbits,_ZN2at4cuda3cub15calc_block_sumsILi512ELi16ELb1EN3c107complexIdEEiEEvPKT2_PT3_li,comdat
	.protected	_ZN2at4cuda3cub15calc_block_sumsILi512ELi16ELb1EN3c107complexIdEEiEEvPKT2_PT3_li ; -- Begin function _ZN2at4cuda3cub15calc_block_sumsILi512ELi16ELb1EN3c107complexIdEEiEEvPKT2_PT3_li
	.globl	_ZN2at4cuda3cub15calc_block_sumsILi512ELi16ELb1EN3c107complexIdEEiEEvPKT2_PT3_li
	.p2align	8
	.type	_ZN2at4cuda3cub15calc_block_sumsILi512ELi16ELb1EN3c107complexIdEEiEEvPKT2_PT3_li,@function
_ZN2at4cuda3cub15calc_block_sumsILi512ELi16ELb1EN3c107complexIdEEiEEvPKT2_PT3_li: ; @_ZN2at4cuda3cub15calc_block_sumsILi512ELi16ELb1EN3c107complexIdEEiEEvPKT2_PT3_li
; %bb.0:
	s_clause 0x1
	s_load_b32 s33, s[0:1], 0x18
	s_load_b64 s[2:3], s[0:1], 0x10
	s_waitcnt lgkmcnt(0)
	s_lshl_b32 s4, s33, 13
	s_delay_alu instid0(SALU_CYCLE_1)
	s_ashr_i32 s5, s4, 31
	s_mul_hi_u32 s6, s4, s15
	s_mul_i32 s5, s5, s15
	s_mul_i32 s4, s4, s15
	s_add_i32 s5, s6, s5
	s_sub_u32 s56, s2, s4
	s_subb_u32 s57, s3, s5
	s_delay_alu instid0(SALU_CYCLE_1) | instskip(NEXT) | instid1(VALU_DEP_1)
	v_cmp_lt_i64_e64 s3, s[56:57], 1
	s_and_b32 vcc_lo, exec_lo, s3
	s_cbranch_vccnz .LBB913_58
; %bb.1:
	s_load_b128 s[52:55], s[0:1], 0x0
	s_mov_b32 s34, s15
	s_cmp_gt_i32 s33, 0
	s_mov_b32 s35, 0
	s_cbranch_scc1 .LBB913_3
; %bb.2:
	s_mov_b32 s0, 0
	s_mov_b32 s1, s35
	v_mov_b32_e32 v21, s0
	s_and_not1_b32 vcc_lo, exec_lo, s1
	s_mov_b32 s1, s35
	s_cbranch_vccz .LBB913_4
	s_branch .LBB913_56
.LBB913_3:
                                        ; implicit-def: $sgpr0
	v_mov_b32_e32 v21, s0
	s_mov_b32 s1, s35
.LBB913_4:
	v_lshrrev_b32_e32 v1, 3, v0
	s_mul_i32 s0, s34, s33
	v_dual_mov_b32 v21, 0 :: v_dual_add_nc_u32 v22, 0x200, v0
	s_lshl_b32 s1, s0, 13
	s_delay_alu instid0(VALU_DEP_2)
	v_dual_mov_b32 v2, 0 :: v_dual_and_b32 v37, 0x7c, v1
	v_lshlrev_b32_e32 v1, 4, v0
	s_sub_i32 s58, s2, s1
	s_lshl_b64 s[2:3], s[4:5], 4
	v_or_b32_e32 v23, 0x400, v0
	s_waitcnt lgkmcnt(0)
	s_add_u32 s1, s52, s2
	s_addc_u32 s2, s53, s3
	v_add_co_u32 v19, s1, s1, v1
	v_add_nc_u32_e32 v24, 0x600, v0
	v_or_b32_e32 v25, 0x800, v0
	v_add_nc_u32_e32 v26, 0xa00, v0
	v_or_b32_e32 v27, 0xc00, v0
	;; [unrolled: 2-line block ×6, first 2 shown]
	v_add_nc_u32_e32 v36, 0x1e00, v0
	v_cmp_gt_u32_e64 s0, 32, v0
	v_add_co_ci_u32_e64 v20, null, s2, 0, s1
	v_mbcnt_lo_u32_b32 v38, -1, 0
	s_mov_b32 s36, 0
	s_mov_b32 s52, -1
	s_mov_b32 s53, 0
	v_cmp_gt_i64_e64 s1, 0x2000, s[56:57]
                                        ; implicit-def: $vgpr1
	s_delay_alu instid0(VALU_DEP_1)
	s_and_b32 vcc_lo, exec_lo, s1
	s_mov_b32 s1, -1
	s_cbranch_vccnz .LBB913_8
.LBB913_5:
	s_and_b32 vcc_lo, exec_lo, s1
	s_cbranch_vccnz .LBB913_30
.LBB913_6:
	v_cmp_lt_i64_e64 s1, 0x2000, s[56:57]
	s_delay_alu instid0(VALU_DEP_2) | instskip(NEXT) | instid1(VALU_DEP_2)
	v_add_nc_u32_e32 v21, v1, v21
	s_and_b32 vcc_lo, exec_lo, s1
	s_cbranch_vccz .LBB913_35
.LBB913_7:
	s_add_u32 s56, s56, 0xffffe000
	s_addc_u32 s57, s57, -1
	s_add_i32 s53, s53, 1
	v_add_co_u32 v19, vcc_lo, 0x20000, v19
	s_cmp_lt_i32 s53, s33
	v_add_co_ci_u32_e32 v20, vcc_lo, 0, v20, vcc_lo
	s_cselect_b32 s1, -1, 0
	s_addk_i32 s58, 0xe000
	s_cmp_eq_u32 s33, s53
	s_mov_b32 s2, 0
	s_cselect_b32 s3, -1, 0
	s_barrier
	buffer_gl0_inv
	s_and_not1_b32 vcc_lo, exec_lo, s3
	s_cbranch_vccnz .LBB913_36
	s_branch .LBB913_52
.LBB913_8:
	s_mov_b32 s37, s36
	s_mov_b32 s38, s36
	;; [unrolled: 1-line block ×15, first 2 shown]
	v_dual_mov_b32 v3, s36 :: v_dual_mov_b32 v4, s37
	v_dual_mov_b32 v5, s38 :: v_dual_mov_b32 v6, s39
	v_dual_mov_b32 v7, s40 :: v_dual_mov_b32 v8, s41
	v_dual_mov_b32 v9, s42 :: v_dual_mov_b32 v10, s43
	v_dual_mov_b32 v11, s44 :: v_dual_mov_b32 v12, s45
	v_dual_mov_b32 v13, s46 :: v_dual_mov_b32 v14, s47
	v_dual_mov_b32 v15, s48 :: v_dual_mov_b32 v16, s49
	v_dual_mov_b32 v17, s50 :: v_dual_mov_b32 v18, s51
	s_mov_b32 s2, exec_lo
	v_cmpx_gt_u32_e64 s58, v0
	s_cbranch_execnz .LBB913_37
; %bb.9:
	s_or_b32 exec_lo, exec_lo, s2
	s_delay_alu instid0(SALU_CYCLE_1)
	s_mov_b32 s2, exec_lo
	v_cmpx_gt_u32_e64 s58, v22
	s_cbranch_execnz .LBB913_38
.LBB913_10:
	s_or_b32 exec_lo, exec_lo, s2
	s_delay_alu instid0(SALU_CYCLE_1)
	s_mov_b32 s2, exec_lo
	v_cmpx_gt_u32_e64 s58, v23
	s_cbranch_execnz .LBB913_39
.LBB913_11:
	s_or_b32 exec_lo, exec_lo, s2
	s_delay_alu instid0(SALU_CYCLE_1)
	s_mov_b32 s2, exec_lo
	v_cmpx_gt_u32_e64 s58, v24
	s_cbranch_execnz .LBB913_40
.LBB913_12:
	s_or_b32 exec_lo, exec_lo, s2
	s_delay_alu instid0(SALU_CYCLE_1)
	s_mov_b32 s2, exec_lo
	v_cmpx_gt_u32_e64 s58, v25
	s_cbranch_execnz .LBB913_41
.LBB913_13:
	s_or_b32 exec_lo, exec_lo, s2
	s_delay_alu instid0(SALU_CYCLE_1)
	s_mov_b32 s2, exec_lo
	v_cmpx_gt_u32_e64 s58, v26
	s_cbranch_execnz .LBB913_42
.LBB913_14:
	s_or_b32 exec_lo, exec_lo, s2
	s_delay_alu instid0(SALU_CYCLE_1)
	s_mov_b32 s2, exec_lo
	v_cmpx_gt_u32_e64 s58, v27
	s_cbranch_execnz .LBB913_43
.LBB913_15:
	s_or_b32 exec_lo, exec_lo, s2
	s_delay_alu instid0(SALU_CYCLE_1)
	s_mov_b32 s2, exec_lo
	v_cmpx_gt_u32_e64 s58, v28
	s_cbranch_execnz .LBB913_44
.LBB913_16:
	s_or_b32 exec_lo, exec_lo, s2
	s_delay_alu instid0(SALU_CYCLE_1)
	s_mov_b32 s2, exec_lo
	v_cmpx_gt_u32_e64 s58, v29
	s_cbranch_execnz .LBB913_45
.LBB913_17:
	s_or_b32 exec_lo, exec_lo, s2
	s_delay_alu instid0(SALU_CYCLE_1)
	s_mov_b32 s2, exec_lo
	v_cmpx_gt_u32_e64 s58, v30
	s_cbranch_execnz .LBB913_46
.LBB913_18:
	s_or_b32 exec_lo, exec_lo, s2
	s_delay_alu instid0(SALU_CYCLE_1)
	s_mov_b32 s2, exec_lo
	v_cmpx_gt_u32_e64 s58, v31
	s_cbranch_execnz .LBB913_47
.LBB913_19:
	s_or_b32 exec_lo, exec_lo, s2
	s_delay_alu instid0(SALU_CYCLE_1)
	s_mov_b32 s2, exec_lo
	v_cmpx_gt_u32_e64 s58, v32
	s_cbranch_execnz .LBB913_48
.LBB913_20:
	s_or_b32 exec_lo, exec_lo, s2
	s_delay_alu instid0(SALU_CYCLE_1)
	s_mov_b32 s2, exec_lo
	v_cmpx_gt_u32_e64 s58, v33
	s_cbranch_execnz .LBB913_49
.LBB913_21:
	s_or_b32 exec_lo, exec_lo, s2
	s_delay_alu instid0(SALU_CYCLE_1)
	s_mov_b32 s2, exec_lo
	v_cmpx_gt_u32_e64 s58, v34
	s_cbranch_execnz .LBB913_50
.LBB913_22:
	s_or_b32 exec_lo, exec_lo, s2
	s_delay_alu instid0(SALU_CYCLE_1)
	s_mov_b32 s2, exec_lo
	v_cmpx_gt_u32_e64 s58, v35
	s_cbranch_execnz .LBB913_51
.LBB913_23:
	s_or_b32 exec_lo, exec_lo, s2
	s_delay_alu instid0(SALU_CYCLE_1)
	s_mov_b32 s2, exec_lo
	v_cmpx_gt_u32_e64 s58, v36
	s_cbranch_execz .LBB913_25
.LBB913_24:
	v_add_co_u32 v39, vcc_lo, 0x1e000, v19
	v_add_co_ci_u32_e32 v40, vcc_lo, 0, v20, vcc_lo
	global_load_b128 v[39:42], v[39:40], off
	s_waitcnt vmcnt(0)
	v_cmp_neq_f64_e32 vcc_lo, 0, v[39:40]
	v_cmp_neq_f64_e64 s1, 0, v[41:42]
	s_delay_alu instid0(VALU_DEP_1) | instskip(NEXT) | instid1(SALU_CYCLE_1)
	s_or_b32 s1, vcc_lo, s1
	v_cndmask_b32_e64 v18, 0, 1, s1
.LBB913_25:
	s_or_b32 exec_lo, exec_lo, s2
	v_add_nc_u32_e32 v1, v4, v3
	s_mov_b32 s1, exec_lo
	s_barrier
	buffer_gl0_inv
	v_add3_u32 v1, v1, v5, v6
	s_delay_alu instid0(VALU_DEP_1) | instskip(NEXT) | instid1(VALU_DEP_1)
	v_add3_u32 v1, v1, v7, v8
	v_add3_u32 v1, v1, v9, v10
	s_delay_alu instid0(VALU_DEP_1) | instskip(NEXT) | instid1(VALU_DEP_1)
	v_add3_u32 v1, v1, v11, v12
	;; [unrolled: 3-line block ×3, first 2 shown]
	v_add3_u32 v1, v1, v17, v18
	s_delay_alu instid0(VALU_DEP_1) | instskip(NEXT) | instid1(VALU_DEP_1)
	v_mov_b32_dpp v3, v1 quad_perm:[1,0,3,2] row_mask:0xf bank_mask:0xf
	v_add_nc_u32_e32 v1, v1, v3
	s_delay_alu instid0(VALU_DEP_1) | instskip(NEXT) | instid1(VALU_DEP_1)
	v_mov_b32_dpp v3, v1 quad_perm:[2,3,0,1] row_mask:0xf bank_mask:0xf
	v_add_nc_u32_e32 v1, v1, v3
	s_delay_alu instid0(VALU_DEP_1) | instskip(NEXT) | instid1(VALU_DEP_1)
	v_mov_b32_dpp v3, v1 row_ror:4 row_mask:0xf bank_mask:0xf
	v_add_nc_u32_e32 v1, v1, v3
	s_delay_alu instid0(VALU_DEP_1) | instskip(NEXT) | instid1(VALU_DEP_1)
	v_mov_b32_dpp v3, v1 row_ror:8 row_mask:0xf bank_mask:0xf
	v_add_nc_u32_e32 v1, v1, v3
	ds_swizzle_b32 v3, v1 offset:swizzle(BROADCAST,32,15)
	s_waitcnt lgkmcnt(0)
	v_add_nc_u32_e32 v1, v1, v3
	ds_bpermute_b32 v1, v2, v1 offset:124
	v_cmpx_eq_u32_e32 0, v38
	s_cbranch_execz .LBB913_27
; %bb.26:
	s_waitcnt lgkmcnt(0)
	ds_store_b32 v37, v1
.LBB913_27:
	s_or_b32 exec_lo, exec_lo, s1
	s_waitcnt lgkmcnt(0)
	s_barrier
	buffer_gl0_inv
	s_and_saveexec_b32 s1, s0
	s_cbranch_execz .LBB913_29
; %bb.28:
	v_and_b32_e32 v1, 15, v38
	s_delay_alu instid0(VALU_DEP_1) | instskip(SKIP_4) | instid1(VALU_DEP_2)
	v_lshlrev_b32_e32 v3, 2, v1
	v_cmp_ne_u32_e32 vcc_lo, 15, v1
	ds_load_b32 v3, v3
	v_add_co_ci_u32_e32 v4, vcc_lo, 0, v38, vcc_lo
	v_cmp_gt_u32_e32 vcc_lo, 14, v1
	v_lshlrev_b32_e32 v4, 2, v4
	v_cndmask_b32_e64 v5, 0, 1, vcc_lo
	v_cmp_gt_u32_e32 vcc_lo, 12, v1
	s_delay_alu instid0(VALU_DEP_2) | instskip(NEXT) | instid1(VALU_DEP_1)
	v_lshlrev_b32_e32 v5, 1, v5
	v_add_lshl_u32 v5, v5, v38, 2
	s_waitcnt lgkmcnt(0)
	ds_bpermute_b32 v4, v4, v3
	s_waitcnt lgkmcnt(0)
	v_add_nc_u32_e32 v3, v4, v3
	ds_bpermute_b32 v4, v5, v3
	v_cndmask_b32_e64 v5, 0, 1, vcc_lo
	v_cmp_gt_u32_e32 vcc_lo, 8, v1
	s_delay_alu instid0(VALU_DEP_2) | instskip(SKIP_1) | instid1(VALU_DEP_2)
	v_lshlrev_b32_e32 v5, 2, v5
	v_cndmask_b32_e64 v1, 0, 1, vcc_lo
	v_add_lshl_u32 v5, v5, v38, 2
	s_delay_alu instid0(VALU_DEP_2) | instskip(NEXT) | instid1(VALU_DEP_1)
	v_lshlrev_b32_e32 v1, 3, v1
	v_add_lshl_u32 v1, v1, v38, 2
	s_waitcnt lgkmcnt(0)
	v_add_nc_u32_e32 v3, v4, v3
	ds_bpermute_b32 v4, v5, v3
	s_waitcnt lgkmcnt(0)
	v_add_nc_u32_e32 v3, v4, v3
	ds_bpermute_b32 v1, v1, v3
	s_waitcnt lgkmcnt(0)
	v_add_nc_u32_e32 v1, v1, v3
.LBB913_29:
	s_or_b32 exec_lo, exec_lo, s1
	s_branch .LBB913_6
.LBB913_30:
	v_add_co_u32 v7, vcc_lo, 0x2000, v19
	v_add_co_ci_u32_e32 v8, vcc_lo, 0, v20, vcc_lo
	v_add_co_u32 v11, vcc_lo, 0x4000, v19
	v_add_co_ci_u32_e32 v12, vcc_lo, 0, v20, vcc_lo
	;; [unrolled: 2-line block ×4, first 2 shown]
	global_load_b128 v[3:6], v[19:20], off
	v_add_co_u32 v43, vcc_lo, 0xa000, v19
	v_add_co_ci_u32_e32 v44, vcc_lo, 0, v20, vcc_lo
	v_add_co_u32 v47, vcc_lo, 0xc000, v19
	v_add_co_ci_u32_e32 v48, vcc_lo, 0, v20, vcc_lo
	;; [unrolled: 2-line block ×3, first 2 shown]
	s_clause 0x5
	global_load_b128 v[7:10], v[7:8], off
	global_load_b128 v[11:14], v[11:12], off
	;; [unrolled: 1-line block ×6, first 2 shown]
	v_add_co_u32 v55, vcc_lo, 0x10000, v19
	v_add_co_ci_u32_e32 v56, vcc_lo, 0, v20, vcc_lo
	v_add_co_u32 v59, vcc_lo, 0x12000, v19
	v_add_co_ci_u32_e32 v60, vcc_lo, 0, v20, vcc_lo
	;; [unrolled: 2-line block ×5, first 2 shown]
	s_clause 0x5
	global_load_b128 v[51:54], v[51:52], off
	global_load_b128 v[55:58], v[55:56], off
	;; [unrolled: 1-line block ×6, first 2 shown]
	v_add_co_u32 v75, vcc_lo, 0x1c000, v19
	v_add_co_ci_u32_e32 v76, vcc_lo, 0, v20, vcc_lo
	v_add_co_u32 v79, vcc_lo, 0x1a000, v19
	v_add_co_ci_u32_e32 v80, vcc_lo, 0, v20, vcc_lo
	;; [unrolled: 2-line block ×3, first 2 shown]
	s_clause 0x2
	global_load_b128 v[75:78], v[75:76], off
	global_load_b128 v[79:82], v[79:80], off
	;; [unrolled: 1-line block ×3, first 2 shown]
	s_waitcnt vmcnt(0)
	s_barrier
	buffer_gl0_inv
	v_cmp_neq_f64_e32 vcc_lo, 0, v[3:4]
	v_cmp_neq_f64_e64 s1, 0, v[5:6]
	v_cmp_neq_f64_e64 s4, 0, v[7:8]
	;; [unrolled: 1-line block ×25, first 2 shown]
	s_or_b32 s1, vcc_lo, s1
	s_delay_alu instid0(SALU_CYCLE_1)
	v_cndmask_b32_e64 v1, 0, 1, s1
	v_cmp_neq_f64_e64 s26, 0, v[75:76]
	v_cmp_neq_f64_e64 s27, 0, v[77:78]
	;; [unrolled: 1-line block ×6, first 2 shown]
	s_or_b32 s1, s2, s3
	s_or_b32 vcc_lo, s4, s5
	v_cndmask_b32_e64 v3, 0, 1, s1
	v_add_co_ci_u32_e32 v1, vcc_lo, 0, v1, vcc_lo
	s_or_b32 s1, s6, s7
	s_or_b32 vcc_lo, s8, s9
	v_cndmask_b32_e64 v4, 0, 1, s1
	s_delay_alu instid0(VALU_DEP_2) | instskip(SKIP_3) | instid1(VALU_DEP_2)
	v_add_co_ci_u32_e32 v1, vcc_lo, v1, v3, vcc_lo
	s_or_b32 s1, s10, s11
	s_or_b32 vcc_lo, s12, s13
	v_cndmask_b32_e64 v3, 0, 1, s1
	v_add_co_ci_u32_e32 v1, vcc_lo, v1, v4, vcc_lo
	s_or_b32 s1, s14, s15
	s_or_b32 vcc_lo, s16, s17
	v_cndmask_b32_e64 v4, 0, 1, s1
	s_delay_alu instid0(VALU_DEP_2) | instskip(SKIP_3) | instid1(VALU_DEP_2)
	v_add_co_ci_u32_e32 v1, vcc_lo, v1, v3, vcc_lo
	;; [unrolled: 9-line block ×3, first 2 shown]
	s_or_b32 s1, s26, s27
	s_or_b32 vcc_lo, s28, s29
	v_cndmask_b32_e64 v3, 0, 1, s1
	v_add_co_ci_u32_e32 v1, vcc_lo, v1, v4, vcc_lo
	s_or_b32 vcc_lo, s30, s31
	s_mov_b32 s1, exec_lo
	s_delay_alu instid0(VALU_DEP_1) | instskip(NEXT) | instid1(VALU_DEP_1)
	v_add_co_ci_u32_e32 v1, vcc_lo, v1, v3, vcc_lo
	v_mov_b32_dpp v3, v1 quad_perm:[1,0,3,2] row_mask:0xf bank_mask:0xf
	s_delay_alu instid0(VALU_DEP_1) | instskip(NEXT) | instid1(VALU_DEP_1)
	v_add_nc_u32_e32 v1, v3, v1
	v_mov_b32_dpp v3, v1 quad_perm:[2,3,0,1] row_mask:0xf bank_mask:0xf
	s_delay_alu instid0(VALU_DEP_1) | instskip(NEXT) | instid1(VALU_DEP_1)
	v_add_nc_u32_e32 v1, v1, v3
	v_mov_b32_dpp v3, v1 row_ror:4 row_mask:0xf bank_mask:0xf
	s_delay_alu instid0(VALU_DEP_1) | instskip(NEXT) | instid1(VALU_DEP_1)
	v_add_nc_u32_e32 v1, v1, v3
	v_mov_b32_dpp v3, v1 row_ror:8 row_mask:0xf bank_mask:0xf
	s_delay_alu instid0(VALU_DEP_1)
	v_add_nc_u32_e32 v1, v1, v3
	ds_swizzle_b32 v3, v1 offset:swizzle(BROADCAST,32,15)
	s_waitcnt lgkmcnt(0)
	v_add_nc_u32_e32 v1, v1, v3
	ds_bpermute_b32 v1, v2, v1 offset:124
	v_cmpx_eq_u32_e32 0, v38
	s_cbranch_execz .LBB913_32
; %bb.31:
	s_waitcnt lgkmcnt(0)
	ds_store_b32 v37, v1
.LBB913_32:
	s_or_b32 exec_lo, exec_lo, s1
	s_waitcnt lgkmcnt(0)
	s_barrier
	buffer_gl0_inv
	s_and_saveexec_b32 s1, s0
	s_cbranch_execz .LBB913_34
; %bb.33:
	v_and_b32_e32 v1, 15, v38
	s_delay_alu instid0(VALU_DEP_1) | instskip(SKIP_4) | instid1(VALU_DEP_2)
	v_lshlrev_b32_e32 v3, 2, v1
	v_cmp_ne_u32_e32 vcc_lo, 15, v1
	ds_load_b32 v3, v3
	v_add_co_ci_u32_e32 v4, vcc_lo, 0, v38, vcc_lo
	v_cmp_gt_u32_e32 vcc_lo, 14, v1
	v_lshlrev_b32_e32 v4, 2, v4
	v_cndmask_b32_e64 v5, 0, 1, vcc_lo
	v_cmp_gt_u32_e32 vcc_lo, 12, v1
	s_delay_alu instid0(VALU_DEP_2) | instskip(NEXT) | instid1(VALU_DEP_1)
	v_lshlrev_b32_e32 v5, 1, v5
	v_add_lshl_u32 v5, v5, v38, 2
	s_waitcnt lgkmcnt(0)
	ds_bpermute_b32 v4, v4, v3
	s_waitcnt lgkmcnt(0)
	v_add_nc_u32_e32 v3, v4, v3
	ds_bpermute_b32 v4, v5, v3
	v_cndmask_b32_e64 v5, 0, 1, vcc_lo
	v_cmp_gt_u32_e32 vcc_lo, 8, v1
	s_delay_alu instid0(VALU_DEP_2) | instskip(SKIP_1) | instid1(VALU_DEP_2)
	v_lshlrev_b32_e32 v5, 2, v5
	v_cndmask_b32_e64 v1, 0, 1, vcc_lo
	v_add_lshl_u32 v5, v5, v38, 2
	s_delay_alu instid0(VALU_DEP_2) | instskip(NEXT) | instid1(VALU_DEP_1)
	v_lshlrev_b32_e32 v1, 3, v1
	v_add_lshl_u32 v1, v1, v38, 2
	s_waitcnt lgkmcnt(0)
	v_add_nc_u32_e32 v3, v4, v3
	ds_bpermute_b32 v4, v5, v3
	s_waitcnt lgkmcnt(0)
	v_add_nc_u32_e32 v3, v4, v3
	ds_bpermute_b32 v1, v1, v3
	s_waitcnt lgkmcnt(0)
	v_add_nc_u32_e32 v1, v1, v3
.LBB913_34:
	s_or_b32 exec_lo, exec_lo, s1
	v_cmp_lt_i64_e64 s1, 0x2000, s[56:57]
	s_delay_alu instid0(VALU_DEP_2) | instskip(NEXT) | instid1(VALU_DEP_2)
	v_add_nc_u32_e32 v21, v1, v21
	s_and_b32 vcc_lo, exec_lo, s1
	s_cbranch_vccnz .LBB913_7
.LBB913_35:
	s_mov_b32 s2, -1
                                        ; implicit-def: $sgpr53
                                        ; implicit-def: $sgpr56_sgpr57
                                        ; implicit-def: $sgpr58
                                        ; implicit-def: $vgpr19_vgpr20
                                        ; implicit-def: $sgpr1
	s_branch .LBB913_52
.LBB913_36:
	s_mov_b32 s52, s1
	v_cmp_gt_i64_e64 s1, 0x2000, s[56:57]
                                        ; implicit-def: $vgpr1
	s_delay_alu instid0(VALU_DEP_1)
	s_and_b32 vcc_lo, exec_lo, s1
	s_mov_b32 s1, -1
	s_cbranch_vccnz .LBB913_8
	s_branch .LBB913_5
.LBB913_37:
	global_load_b128 v[3:6], v[19:20], off
	v_mov_b32_e32 v16, v2
	v_mov_b32_e32 v7, v2
	v_mov_b32_e32 v8, v2
	v_mov_b32_e32 v9, v2
	v_mov_b32_e32 v10, v2
	v_mov_b32_e32 v11, v2
	v_mov_b32_e32 v12, v2
	v_mov_b32_e32 v13, v2
	v_mov_b32_e32 v14, v2
	v_mov_b32_e32 v15, v2
	s_waitcnt vmcnt(0)
	v_cmp_neq_f64_e32 vcc_lo, 0, v[3:4]
	v_cmp_neq_f64_e64 s1, 0, v[5:6]
	v_mov_b32_e32 v3, v2
	v_mov_b32_e32 v5, v2
	;; [unrolled: 1-line block ×3, first 2 shown]
	s_delay_alu instid0(VALU_DEP_4) | instskip(NEXT) | instid1(SALU_CYCLE_1)
	s_or_b32 s1, vcc_lo, s1
	v_cndmask_b32_e64 v1, 0, 1, s1
	s_delay_alu instid0(VALU_DEP_1)
	v_dual_mov_b32 v4, v2 :: v_dual_and_b32 v1, 0xffff, v1
	v_mov_b32_e32 v18, v16
	v_dual_mov_b32 v17, v15 :: v_dual_mov_b32 v16, v14
	v_mov_b32_e32 v15, v13
	v_mov_b32_e32 v14, v12
	;; [unrolled: 1-line block ×13, first 2 shown]
	s_or_b32 exec_lo, exec_lo, s2
	s_delay_alu instid0(SALU_CYCLE_1)
	s_mov_b32 s2, exec_lo
	v_cmpx_gt_u32_e64 s58, v22
	s_cbranch_execz .LBB913_10
.LBB913_38:
	v_add_co_u32 v39, vcc_lo, 0x2000, v19
	v_add_co_ci_u32_e32 v40, vcc_lo, 0, v20, vcc_lo
	global_load_b128 v[39:42], v[39:40], off
	s_waitcnt vmcnt(0)
	v_cmp_neq_f64_e32 vcc_lo, 0, v[39:40]
	v_cmp_neq_f64_e64 s1, 0, v[41:42]
	s_delay_alu instid0(VALU_DEP_1) | instskip(NEXT) | instid1(SALU_CYCLE_1)
	s_or_b32 s1, vcc_lo, s1
	v_cndmask_b32_e64 v4, 0, 1, s1
	s_or_b32 exec_lo, exec_lo, s2
	s_delay_alu instid0(SALU_CYCLE_1)
	s_mov_b32 s2, exec_lo
	v_cmpx_gt_u32_e64 s58, v23
	s_cbranch_execz .LBB913_11
.LBB913_39:
	v_add_co_u32 v39, vcc_lo, 0x4000, v19
	v_add_co_ci_u32_e32 v40, vcc_lo, 0, v20, vcc_lo
	global_load_b128 v[39:42], v[39:40], off
	s_waitcnt vmcnt(0)
	v_cmp_neq_f64_e32 vcc_lo, 0, v[39:40]
	v_cmp_neq_f64_e64 s1, 0, v[41:42]
	s_delay_alu instid0(VALU_DEP_1) | instskip(NEXT) | instid1(SALU_CYCLE_1)
	s_or_b32 s1, vcc_lo, s1
	v_cndmask_b32_e64 v5, 0, 1, s1
	s_or_b32 exec_lo, exec_lo, s2
	s_delay_alu instid0(SALU_CYCLE_1)
	s_mov_b32 s2, exec_lo
	v_cmpx_gt_u32_e64 s58, v24
	s_cbranch_execz .LBB913_12
.LBB913_40:
	v_add_co_u32 v39, vcc_lo, 0x6000, v19
	v_add_co_ci_u32_e32 v40, vcc_lo, 0, v20, vcc_lo
	global_load_b128 v[39:42], v[39:40], off
	s_waitcnt vmcnt(0)
	v_cmp_neq_f64_e32 vcc_lo, 0, v[39:40]
	v_cmp_neq_f64_e64 s1, 0, v[41:42]
	s_delay_alu instid0(VALU_DEP_1) | instskip(NEXT) | instid1(SALU_CYCLE_1)
	s_or_b32 s1, vcc_lo, s1
	v_cndmask_b32_e64 v6, 0, 1, s1
	s_or_b32 exec_lo, exec_lo, s2
	s_delay_alu instid0(SALU_CYCLE_1)
	s_mov_b32 s2, exec_lo
	v_cmpx_gt_u32_e64 s58, v25
	s_cbranch_execz .LBB913_13
.LBB913_41:
	v_add_co_u32 v39, vcc_lo, 0x8000, v19
	v_add_co_ci_u32_e32 v40, vcc_lo, 0, v20, vcc_lo
	global_load_b128 v[39:42], v[39:40], off
	s_waitcnt vmcnt(0)
	v_cmp_neq_f64_e32 vcc_lo, 0, v[39:40]
	v_cmp_neq_f64_e64 s1, 0, v[41:42]
	s_delay_alu instid0(VALU_DEP_1) | instskip(NEXT) | instid1(SALU_CYCLE_1)
	s_or_b32 s1, vcc_lo, s1
	v_cndmask_b32_e64 v7, 0, 1, s1
	s_or_b32 exec_lo, exec_lo, s2
	s_delay_alu instid0(SALU_CYCLE_1)
	s_mov_b32 s2, exec_lo
	v_cmpx_gt_u32_e64 s58, v26
	s_cbranch_execz .LBB913_14
.LBB913_42:
	v_add_co_u32 v39, vcc_lo, 0xa000, v19
	v_add_co_ci_u32_e32 v40, vcc_lo, 0, v20, vcc_lo
	global_load_b128 v[39:42], v[39:40], off
	s_waitcnt vmcnt(0)
	v_cmp_neq_f64_e32 vcc_lo, 0, v[39:40]
	v_cmp_neq_f64_e64 s1, 0, v[41:42]
	s_delay_alu instid0(VALU_DEP_1) | instskip(NEXT) | instid1(SALU_CYCLE_1)
	s_or_b32 s1, vcc_lo, s1
	v_cndmask_b32_e64 v8, 0, 1, s1
	s_or_b32 exec_lo, exec_lo, s2
	s_delay_alu instid0(SALU_CYCLE_1)
	s_mov_b32 s2, exec_lo
	v_cmpx_gt_u32_e64 s58, v27
	s_cbranch_execz .LBB913_15
.LBB913_43:
	v_add_co_u32 v39, vcc_lo, 0xc000, v19
	v_add_co_ci_u32_e32 v40, vcc_lo, 0, v20, vcc_lo
	global_load_b128 v[39:42], v[39:40], off
	s_waitcnt vmcnt(0)
	v_cmp_neq_f64_e32 vcc_lo, 0, v[39:40]
	v_cmp_neq_f64_e64 s1, 0, v[41:42]
	s_delay_alu instid0(VALU_DEP_1) | instskip(NEXT) | instid1(SALU_CYCLE_1)
	s_or_b32 s1, vcc_lo, s1
	v_cndmask_b32_e64 v9, 0, 1, s1
	s_or_b32 exec_lo, exec_lo, s2
	s_delay_alu instid0(SALU_CYCLE_1)
	s_mov_b32 s2, exec_lo
	v_cmpx_gt_u32_e64 s58, v28
	s_cbranch_execz .LBB913_16
.LBB913_44:
	v_add_co_u32 v39, vcc_lo, 0xe000, v19
	v_add_co_ci_u32_e32 v40, vcc_lo, 0, v20, vcc_lo
	global_load_b128 v[39:42], v[39:40], off
	s_waitcnt vmcnt(0)
	v_cmp_neq_f64_e32 vcc_lo, 0, v[39:40]
	v_cmp_neq_f64_e64 s1, 0, v[41:42]
	s_delay_alu instid0(VALU_DEP_1) | instskip(NEXT) | instid1(SALU_CYCLE_1)
	s_or_b32 s1, vcc_lo, s1
	v_cndmask_b32_e64 v10, 0, 1, s1
	s_or_b32 exec_lo, exec_lo, s2
	s_delay_alu instid0(SALU_CYCLE_1)
	s_mov_b32 s2, exec_lo
	v_cmpx_gt_u32_e64 s58, v29
	s_cbranch_execz .LBB913_17
.LBB913_45:
	v_add_co_u32 v39, vcc_lo, 0x10000, v19
	v_add_co_ci_u32_e32 v40, vcc_lo, 0, v20, vcc_lo
	global_load_b128 v[39:42], v[39:40], off
	s_waitcnt vmcnt(0)
	v_cmp_neq_f64_e32 vcc_lo, 0, v[39:40]
	v_cmp_neq_f64_e64 s1, 0, v[41:42]
	s_delay_alu instid0(VALU_DEP_1) | instskip(NEXT) | instid1(SALU_CYCLE_1)
	s_or_b32 s1, vcc_lo, s1
	v_cndmask_b32_e64 v11, 0, 1, s1
	s_or_b32 exec_lo, exec_lo, s2
	s_delay_alu instid0(SALU_CYCLE_1)
	s_mov_b32 s2, exec_lo
	v_cmpx_gt_u32_e64 s58, v30
	s_cbranch_execz .LBB913_18
.LBB913_46:
	v_add_co_u32 v39, vcc_lo, 0x12000, v19
	v_add_co_ci_u32_e32 v40, vcc_lo, 0, v20, vcc_lo
	global_load_b128 v[39:42], v[39:40], off
	s_waitcnt vmcnt(0)
	v_cmp_neq_f64_e32 vcc_lo, 0, v[39:40]
	v_cmp_neq_f64_e64 s1, 0, v[41:42]
	s_delay_alu instid0(VALU_DEP_1) | instskip(NEXT) | instid1(SALU_CYCLE_1)
	s_or_b32 s1, vcc_lo, s1
	v_cndmask_b32_e64 v12, 0, 1, s1
	s_or_b32 exec_lo, exec_lo, s2
	s_delay_alu instid0(SALU_CYCLE_1)
	s_mov_b32 s2, exec_lo
	v_cmpx_gt_u32_e64 s58, v31
	s_cbranch_execz .LBB913_19
.LBB913_47:
	v_add_co_u32 v39, vcc_lo, 0x14000, v19
	v_add_co_ci_u32_e32 v40, vcc_lo, 0, v20, vcc_lo
	global_load_b128 v[39:42], v[39:40], off
	s_waitcnt vmcnt(0)
	v_cmp_neq_f64_e32 vcc_lo, 0, v[39:40]
	v_cmp_neq_f64_e64 s1, 0, v[41:42]
	s_delay_alu instid0(VALU_DEP_1) | instskip(NEXT) | instid1(SALU_CYCLE_1)
	s_or_b32 s1, vcc_lo, s1
	v_cndmask_b32_e64 v13, 0, 1, s1
	s_or_b32 exec_lo, exec_lo, s2
	s_delay_alu instid0(SALU_CYCLE_1)
	s_mov_b32 s2, exec_lo
	v_cmpx_gt_u32_e64 s58, v32
	s_cbranch_execz .LBB913_20
.LBB913_48:
	v_add_co_u32 v39, vcc_lo, 0x16000, v19
	v_add_co_ci_u32_e32 v40, vcc_lo, 0, v20, vcc_lo
	global_load_b128 v[39:42], v[39:40], off
	s_waitcnt vmcnt(0)
	v_cmp_neq_f64_e32 vcc_lo, 0, v[39:40]
	v_cmp_neq_f64_e64 s1, 0, v[41:42]
	s_delay_alu instid0(VALU_DEP_1) | instskip(NEXT) | instid1(SALU_CYCLE_1)
	s_or_b32 s1, vcc_lo, s1
	v_cndmask_b32_e64 v14, 0, 1, s1
	s_or_b32 exec_lo, exec_lo, s2
	s_delay_alu instid0(SALU_CYCLE_1)
	s_mov_b32 s2, exec_lo
	v_cmpx_gt_u32_e64 s58, v33
	s_cbranch_execz .LBB913_21
.LBB913_49:
	v_add_co_u32 v39, vcc_lo, 0x18000, v19
	v_add_co_ci_u32_e32 v40, vcc_lo, 0, v20, vcc_lo
	global_load_b128 v[39:42], v[39:40], off
	s_waitcnt vmcnt(0)
	v_cmp_neq_f64_e32 vcc_lo, 0, v[39:40]
	v_cmp_neq_f64_e64 s1, 0, v[41:42]
	s_delay_alu instid0(VALU_DEP_1) | instskip(NEXT) | instid1(SALU_CYCLE_1)
	s_or_b32 s1, vcc_lo, s1
	v_cndmask_b32_e64 v15, 0, 1, s1
	s_or_b32 exec_lo, exec_lo, s2
	s_delay_alu instid0(SALU_CYCLE_1)
	s_mov_b32 s2, exec_lo
	v_cmpx_gt_u32_e64 s58, v34
	s_cbranch_execz .LBB913_22
.LBB913_50:
	v_add_co_u32 v39, vcc_lo, 0x1a000, v19
	v_add_co_ci_u32_e32 v40, vcc_lo, 0, v20, vcc_lo
	global_load_b128 v[39:42], v[39:40], off
	s_waitcnt vmcnt(0)
	v_cmp_neq_f64_e32 vcc_lo, 0, v[39:40]
	v_cmp_neq_f64_e64 s1, 0, v[41:42]
	s_delay_alu instid0(VALU_DEP_1) | instskip(NEXT) | instid1(SALU_CYCLE_1)
	s_or_b32 s1, vcc_lo, s1
	v_cndmask_b32_e64 v16, 0, 1, s1
	s_or_b32 exec_lo, exec_lo, s2
	s_delay_alu instid0(SALU_CYCLE_1)
	s_mov_b32 s2, exec_lo
	v_cmpx_gt_u32_e64 s58, v35
	s_cbranch_execz .LBB913_23
.LBB913_51:
	v_add_co_u32 v39, vcc_lo, 0x1c000, v19
	v_add_co_ci_u32_e32 v40, vcc_lo, 0, v20, vcc_lo
	global_load_b128 v[39:42], v[39:40], off
	s_waitcnt vmcnt(0)
	v_cmp_neq_f64_e32 vcc_lo, 0, v[39:40]
	v_cmp_neq_f64_e64 s1, 0, v[41:42]
	s_delay_alu instid0(VALU_DEP_1) | instskip(NEXT) | instid1(SALU_CYCLE_1)
	s_or_b32 s1, vcc_lo, s1
	v_cndmask_b32_e64 v17, 0, 1, s1
	s_or_b32 exec_lo, exec_lo, s2
	s_delay_alu instid0(SALU_CYCLE_1)
	s_mov_b32 s2, exec_lo
	v_cmpx_gt_u32_e64 s58, v36
	s_cbranch_execnz .LBB913_24
	s_branch .LBB913_25
.LBB913_52:
	s_and_b32 vcc_lo, exec_lo, s2
	s_cbranch_vccz .LBB913_56
; %bb.53:
	s_mov_b32 s0, exec_lo
	v_cmpx_eq_u32_e32 0, v0
	s_cbranch_execz .LBB913_55
; %bb.54:
	s_lshl_b64 s[2:3], s[34:35], 2
	v_mov_b32_e32 v0, 0
	s_add_u32 s2, s54, s2
	s_addc_u32 s3, s55, s3
	global_store_b32 v0, v21, s[2:3]
.LBB913_55:
	s_or_b32 exec_lo, exec_lo, s0
	s_mov_b32 s1, s52
.LBB913_56:
	v_cmp_eq_u32_e32 vcc_lo, 0, v0
	s_xor_b32 s0, s1, -1
	s_delay_alu instid0(SALU_CYCLE_1) | instskip(NEXT) | instid1(SALU_CYCLE_1)
	s_and_b32 s0, vcc_lo, s0
	s_and_saveexec_b32 s1, s0
	s_cbranch_execz .LBB913_58
; %bb.57:
	s_lshl_b64 s[0:1], s[34:35], 2
	v_mov_b32_e32 v0, 0
	s_waitcnt lgkmcnt(0)
	s_add_u32 s0, s54, s0
	s_addc_u32 s1, s55, s1
	global_store_b32 v0, v21, s[0:1]
.LBB913_58:
	s_nop 0
	s_sendmsg sendmsg(MSG_DEALLOC_VGPRS)
	s_endpgm
	.section	.rodata,"a",@progbits
	.p2align	6, 0x0
	.amdhsa_kernel _ZN2at4cuda3cub15calc_block_sumsILi512ELi16ELb1EN3c107complexIdEEiEEvPKT2_PT3_li
		.amdhsa_group_segment_fixed_size 64
		.amdhsa_private_segment_fixed_size 0
		.amdhsa_kernarg_size 28
		.amdhsa_user_sgpr_count 15
		.amdhsa_user_sgpr_dispatch_ptr 0
		.amdhsa_user_sgpr_queue_ptr 0
		.amdhsa_user_sgpr_kernarg_segment_ptr 1
		.amdhsa_user_sgpr_dispatch_id 0
		.amdhsa_user_sgpr_private_segment_size 0
		.amdhsa_wavefront_size32 1
		.amdhsa_uses_dynamic_stack 0
		.amdhsa_enable_private_segment 0
		.amdhsa_system_sgpr_workgroup_id_x 1
		.amdhsa_system_sgpr_workgroup_id_y 0
		.amdhsa_system_sgpr_workgroup_id_z 0
		.amdhsa_system_sgpr_workgroup_info 0
		.amdhsa_system_vgpr_workitem_id 0
		.amdhsa_next_free_vgpr 87
		.amdhsa_next_free_sgpr 59
		.amdhsa_reserve_vcc 1
		.amdhsa_float_round_mode_32 0
		.amdhsa_float_round_mode_16_64 0
		.amdhsa_float_denorm_mode_32 3
		.amdhsa_float_denorm_mode_16_64 3
		.amdhsa_dx10_clamp 1
		.amdhsa_ieee_mode 1
		.amdhsa_fp16_overflow 0
		.amdhsa_workgroup_processor_mode 1
		.amdhsa_memory_ordered 1
		.amdhsa_forward_progress 0
		.amdhsa_shared_vgpr_count 0
		.amdhsa_exception_fp_ieee_invalid_op 0
		.amdhsa_exception_fp_denorm_src 0
		.amdhsa_exception_fp_ieee_div_zero 0
		.amdhsa_exception_fp_ieee_overflow 0
		.amdhsa_exception_fp_ieee_underflow 0
		.amdhsa_exception_fp_ieee_inexact 0
		.amdhsa_exception_int_div_zero 0
	.end_amdhsa_kernel
	.section	.text._ZN2at4cuda3cub15calc_block_sumsILi512ELi16ELb1EN3c107complexIdEEiEEvPKT2_PT3_li,"axG",@progbits,_ZN2at4cuda3cub15calc_block_sumsILi512ELi16ELb1EN3c107complexIdEEiEEvPKT2_PT3_li,comdat
.Lfunc_end913:
	.size	_ZN2at4cuda3cub15calc_block_sumsILi512ELi16ELb1EN3c107complexIdEEiEEvPKT2_PT3_li, .Lfunc_end913-_ZN2at4cuda3cub15calc_block_sumsILi512ELi16ELb1EN3c107complexIdEEiEEvPKT2_PT3_li
                                        ; -- End function
	.section	.AMDGPU.csdata,"",@progbits
; Kernel info:
; codeLenInByte = 4144
; NumSgprs: 61
; NumVgprs: 87
; ScratchSize: 0
; MemoryBound: 0
; FloatMode: 240
; IeeeMode: 1
; LDSByteSize: 64 bytes/workgroup (compile time only)
; SGPRBlocks: 7
; VGPRBlocks: 10
; NumSGPRsForWavesPerEU: 61
; NumVGPRsForWavesPerEU: 87
; Occupancy: 16
; WaveLimiterHint : 1
; COMPUTE_PGM_RSRC2:SCRATCH_EN: 0
; COMPUTE_PGM_RSRC2:USER_SGPR: 15
; COMPUTE_PGM_RSRC2:TRAP_HANDLER: 0
; COMPUTE_PGM_RSRC2:TGID_X_EN: 1
; COMPUTE_PGM_RSRC2:TGID_Y_EN: 0
; COMPUTE_PGM_RSRC2:TGID_Z_EN: 0
; COMPUTE_PGM_RSRC2:TIDIG_COMP_CNT: 0
	.section	.text._ZN2at6native12_GLOBAL__N_111flag_kernelILi512ELi16EN3c107complexIdEEEEvPKT1_PlPKllli,"axG",@progbits,_ZN2at6native12_GLOBAL__N_111flag_kernelILi512ELi16EN3c107complexIdEEEEvPKT1_PlPKllli,comdat
	.globl	_ZN2at6native12_GLOBAL__N_111flag_kernelILi512ELi16EN3c107complexIdEEEEvPKT1_PlPKllli ; -- Begin function _ZN2at6native12_GLOBAL__N_111flag_kernelILi512ELi16EN3c107complexIdEEEEvPKT1_PlPKllli
	.p2align	8
	.type	_ZN2at6native12_GLOBAL__N_111flag_kernelILi512ELi16EN3c107complexIdEEEEvPKT1_PlPKllli,@function
_ZN2at6native12_GLOBAL__N_111flag_kernelILi512ELi16EN3c107complexIdEEEEvPKT1_PlPKllli: ; @_ZN2at6native12_GLOBAL__N_111flag_kernelILi512ELi16EN3c107complexIdEEEEvPKT1_PlPKllli
; %bb.0:
	s_clause 0x1
	s_load_b32 s14, s[0:1], 0x28
	s_load_b256 s[4:11], s[0:1], 0x0
	s_waitcnt lgkmcnt(0)
	s_lshl_b32 s2, s14, 13
	s_delay_alu instid0(SALU_CYCLE_1) | instskip(SKIP_4) | instid1(SALU_CYCLE_1)
	s_ashr_i32 s3, s2, 31
	s_mul_hi_u32 s12, s2, s15
	s_mul_i32 s3, s3, s15
	s_mul_i32 s42, s2, s15
	s_add_i32 s43, s12, s3
	v_cmp_le_i64_e64 s2, s[10:11], s[42:43]
	s_delay_alu instid0(VALU_DEP_1)
	s_and_b32 vcc_lo, exec_lo, s2
	s_cbranch_vccnz .LBB914_100
; %bb.1:
	s_load_b64 s[2:3], s[0:1], 0x20
	s_cmp_eq_u32 s15, 0
	s_mov_b32 s13, 0
	s_cbranch_scc1 .LBB914_3
; %bb.2:
	s_add_i32 s12, s15, -1
	s_delay_alu instid0(SALU_CYCLE_1) | instskip(NEXT) | instid1(SALU_CYCLE_1)
	s_lshl_b64 s[12:13], s[12:13], 3
	s_add_u32 s8, s8, s12
	s_addc_u32 s9, s9, s13
	s_load_b64 s[8:9], s[8:9], 0x0
	s_cmp_lt_i32 s14, 1
	s_cbranch_scc0 .LBB914_4
	s_branch .LBB914_100
.LBB914_3:
	s_mov_b64 s[8:9], 0
	s_cmp_lt_i32 s14, 1
	s_cbranch_scc1 .LBB914_100
.LBB914_4:
	s_lshl_b64 s[12:13], s[42:43], 4
	v_mbcnt_lo_u32_b32 v2, -1, 0
	s_add_u32 s66, s4, s12
	s_addc_u32 s67, s5, s13
	s_waitcnt lgkmcnt(0)
	s_sub_u32 s60, s2, s8
	s_subb_u32 s61, s3, s9
	v_dual_mov_b32 v1, 0 :: v_dual_and_b32 v4, 0x3e0, v0
	v_and_b32_e32 v5, 15, v2
	s_sub_u32 s62, s10, s42
	s_subb_u32 s63, s11, s43
	s_lshl_b64 s[2:3], s[8:9], 3
	v_min_u32_e32 v7, 0x1e0, v4
	s_add_u32 s68, s6, s2
	s_addc_u32 s69, s7, s3
	v_cmp_eq_u32_e64 s2, 0, v5
	v_cmp_lt_u32_e64 s3, 1, v5
	v_cmp_lt_u32_e64 s4, 3, v5
	;; [unrolled: 1-line block ×3, first 2 shown]
	v_add_nc_u32_e32 v5, -1, v2
	v_lshlrev_b32_e32 v3, 4, v0
	v_or_b32_e32 v7, 31, v7
	v_and_b32_e32 v8, 16, v2
	v_lshrrev_b32_e32 v9, 3, v0
	v_cmp_gt_i32_e32 vcc_lo, 0, v5
	v_and_b32_e32 v6, 0x3e00, v3
	v_cmp_eq_u32_e64 s7, v7, v0
	v_lshrrev_b32_e32 v7, 1, v0
	v_cmp_eq_u32_e64 s6, 0, v8
	v_cndmask_b32_e32 v5, v5, v2, vcc_lo
	v_or_b32_e32 v8, 0x800, v0
	v_and_b32_e32 v21, 0x7c, v9
	v_add_lshl_u32 v25, v7, v3, 2
	v_or_b32_e32 v3, 0x400, v0
	v_lshlrev_b32_e32 v24, 2, v5
	v_add_nc_u32_e32 v5, 0x200, v0
	v_add_nc_u32_e32 v7, 0x600, v0
	v_lshlrev_b32_e32 v22, 2, v0
	v_lshrrev_b32_e32 v3, 3, v3
	v_add_nc_u32_e32 v9, 0xa00, v0
	v_lshrrev_b32_e32 v5, 3, v5
	v_lshrrev_b32_e32 v7, 3, v7
	;; [unrolled: 1-line block ×3, first 2 shown]
	v_and_b32_e32 v3, 0xfc, v3
	v_lshrrev_b32_e32 v9, 3, v9
	v_and_b32_e32 v5, 0xfc, v5
	v_or_b32_e32 v39, v2, v6
	v_or_b32_e32 v4, v2, v4
	v_add_nc_u32_e32 v28, v22, v3
	v_or_b32_e32 v3, 0xc00, v0
	v_add_nc_u32_e32 v27, v22, v5
	v_and_b32_e32 v5, 0x1fc, v7
	v_and_b32_e32 v7, 0x17c, v8
	v_and_b32_e32 v8, 0x1fc, v9
	v_lshrrev_b32_e32 v3, 3, v3
	v_or_b32_e32 v9, 0x1400, v0
	v_add_nc_u32_e32 v29, v22, v5
	v_add_nc_u32_e32 v30, v22, v7
	;; [unrolled: 1-line block ×3, first 2 shown]
	v_or_b32_e32 v7, 0x1000, v0
	v_add_nc_u32_e32 v31, v22, v8
	v_add_nc_u32_e32 v8, 0x1200, v0
	v_and_b32_e32 v3, 0x1fc, v3
	v_lshrrev_b32_e32 v5, 3, v5
	v_lshrrev_b32_e32 v7, 3, v7
	;; [unrolled: 1-line block ×4, first 2 shown]
	v_add_nc_u32_e32 v32, v22, v3
	v_and_b32_e32 v5, 0x3fc, v5
	v_and_b32_e32 v3, 0x27c, v7
	v_or_b32_e32 v43, 32, v39
	v_and_b32_e32 v7, 0x2fc, v8
	v_and_b32_e32 v8, 0x2fc, v9
	v_add_nc_u32_e32 v33, v22, v5
	v_add_nc_u32_e32 v5, 0x1600, v0
	;; [unrolled: 1-line block ×3, first 2 shown]
	v_or_b32_e32 v3, 0x1800, v0
	v_add_nc_u32_e32 v35, v22, v7
	v_add_nc_u32_e32 v36, v22, v8
	v_lshrrev_b32_e32 v5, 3, v5
	v_add_nc_u32_e32 v7, 0x1a00, v0
	v_or_b32_e32 v8, 0x1c00, v0
	v_lshrrev_b32_e32 v3, 3, v3
	v_add_nc_u32_e32 v9, 0x1e00, v0
	v_and_b32_e32 v5, 0x3fc, v5
	v_lshrrev_b32_e32 v7, 3, v7
	v_lshrrev_b32_e32 v8, 3, v8
	v_and_b32_e32 v3, 0x37c, v3
	v_lshrrev_b32_e32 v9, 3, v9
	v_add_nc_u32_e32 v37, v22, v5
	v_and_b32_e32 v5, 0x3fc, v7
	v_and_b32_e32 v7, 0x3fc, v8
	v_add_nc_u32_e32 v38, v22, v3
	v_or_b32_e32 v44, 64, v39
	v_or_b32_e32 v45, 0x60, v39
	v_lshrrev_b32_e32 v3, 5, v6
	v_and_b32_e32 v8, 0x7fc, v9
	v_add_nc_u32_e32 v40, v22, v5
	v_add_nc_u32_e32 v41, v22, v7
	v_or_b32_e32 v46, 0x80, v39
	v_or_b32_e32 v47, 0xa0, v39
	v_or_b32_e32 v48, 0xc0, v39
	v_or_b32_e32 v50, 0x100, v39
	v_lshrrev_b32_e32 v5, 5, v43
	v_lshrrev_b32_e32 v7, 5, v44
	v_add_lshl_u32 v58, v3, v39, 2
	v_lshrrev_b32_e32 v3, 5, v45
	v_add_nc_u32_e32 v42, v22, v8
	v_or_b32_e32 v49, 0xe0, v39
	v_or_b32_e32 v51, 0x120, v39
	;; [unrolled: 1-line block ×4, first 2 shown]
	v_add_lshl_u32 v59, v5, v43, 2
	v_add_lshl_u32 v60, v7, v44, 2
	v_lshrrev_b32_e32 v5, 5, v46
	v_lshrrev_b32_e32 v7, 5, v47
	;; [unrolled: 1-line block ×3, first 2 shown]
	v_add_lshl_u32 v61, v3, v45, 2
	v_lshrrev_b32_e32 v3, 5, v50
	v_or_b32_e32 v54, 0x180, v39
	v_or_b32_e32 v55, 0x1a0, v39
	;; [unrolled: 1-line block ×4, first 2 shown]
	v_lshrrev_b32_e32 v9, 5, v49
	v_add_lshl_u32 v62, v5, v46, 2
	v_add_lshl_u32 v63, v7, v47, 2
	;; [unrolled: 1-line block ×3, first 2 shown]
	v_lshrrev_b32_e32 v5, 5, v51
	v_lshrrev_b32_e32 v7, 5, v52
	;; [unrolled: 1-line block ×3, first 2 shown]
	v_add_lshl_u32 v66, v3, v50, 2
	v_lshlrev_b32_e32 v3, 4, v4
	v_bfe_u32 v4, v4, 1, 27
	v_add_lshl_u32 v65, v9, v49, 2
	v_add_lshl_u32 v67, v5, v51, 2
	;; [unrolled: 1-line block ×4, first 2 shown]
	v_lshrrev_b32_e32 v5, 5, v54
	v_lshrrev_b32_e32 v7, 5, v55
	;; [unrolled: 1-line block ×4, first 2 shown]
	v_add_lshl_u32 v70, v4, v3, 2
	v_cmp_gt_u32_e64 s8, 16, v0
	v_cmp_lt_u32_e64 s9, 31, v0
	v_add_nc_u32_e32 v23, -4, v21
	v_cmp_eq_u32_e64 s10, 0, v2
	v_cmp_eq_u32_e64 s11, 0, v0
	v_add_nc_u32_e32 v26, v22, v21
	v_add_lshl_u32 v71, v5, v54, 2
	v_add_lshl_u32 v72, v7, v55, 2
	;; [unrolled: 1-line block ×4, first 2 shown]
	v_add_nc_u32_e32 v75, 56, v70
	v_add_nc_u32_e32 v76, 48, v70
	;; [unrolled: 1-line block ×7, first 2 shown]
	v_lshlrev_b32_e32 v82, 4, v2
	v_lshlrev_b32_e32 v83, 4, v6
	s_add_u32 s64, s0, 48
	s_addc_u32 s65, s1, 0
	s_add_i32 s70, s14, -1
	s_mov_b32 s44, 0
	s_branch .LBB914_6
.LBB914_5:                              ;   in Loop: Header=BB914_6 Depth=1
	s_cmp_eq_u32 s70, 0
	s_cselect_b32 s0, -1, 0
	s_delay_alu instid0(SALU_CYCLE_1)
	s_or_b32 s0, s12, s0
	s_add_u32 s62, s62, 0xffffe000
	s_addc_u32 s63, s63, -1
	s_and_not1_b32 vcc_lo, exec_lo, s0
	s_add_i32 s70, s70, -1
	s_cbranch_vccz .LBB914_100
.LBB914_6:                              ; =>This Inner Loop Header: Depth=1
	v_cmp_gt_i64_e64 s0, 0x2000, s[62:63]
	s_delay_alu instid0(VALU_DEP_1)
	s_and_b32 vcc_lo, exec_lo, s0
	s_mov_b32 s0, -1
	s_cbranch_vccz .LBB914_25
; %bb.7:                                ;   in Loop: Header=BB914_6 Depth=1
	v_add_co_u32 v2, s0, s66, v82
	s_delay_alu instid0(VALU_DEP_1) | instskip(SKIP_1) | instid1(VALU_DEP_2)
	v_add_co_ci_u32_e64 v3, null, s67, 0, s0
	s_mov_b32 s45, s44
	v_add_co_u32 v18, vcc_lo, v2, v83
	s_mov_b32 s46, s44
	s_mov_b32 s47, s44
	;; [unrolled: 1-line block ×14, first 2 shown]
	v_add_co_ci_u32_e32 v19, vcc_lo, 0, v3, vcc_lo
	v_dual_mov_b32 v2, s44 :: v_dual_mov_b32 v3, s45
	v_dual_mov_b32 v4, s46 :: v_dual_mov_b32 v5, s47
	;; [unrolled: 1-line block ×8, first 2 shown]
	v_mov_b32_e32 v2, 0
	s_mov_b32 s1, exec_lo
	v_cmpx_gt_u32_e64 s62, v39
	s_cbranch_execnz .LBB914_85
; %bb.8:                                ;   in Loop: Header=BB914_6 Depth=1
	s_or_b32 exec_lo, exec_lo, s1
	s_delay_alu instid0(SALU_CYCLE_1)
	s_mov_b32 s1, exec_lo
	v_cmpx_gt_u32_e64 s62, v43
	s_cbranch_execnz .LBB914_86
.LBB914_9:                              ;   in Loop: Header=BB914_6 Depth=1
	s_or_b32 exec_lo, exec_lo, s1
	s_delay_alu instid0(SALU_CYCLE_1)
	s_mov_b32 s1, exec_lo
	v_cmpx_gt_u32_e64 s62, v44
	s_cbranch_execnz .LBB914_87
.LBB914_10:                             ;   in Loop: Header=BB914_6 Depth=1
	s_or_b32 exec_lo, exec_lo, s1
	s_delay_alu instid0(SALU_CYCLE_1)
	s_mov_b32 s1, exec_lo
	v_cmpx_gt_u32_e64 s62, v45
	s_cbranch_execnz .LBB914_88
.LBB914_11:                             ;   in Loop: Header=BB914_6 Depth=1
	s_or_b32 exec_lo, exec_lo, s1
	s_delay_alu instid0(SALU_CYCLE_1)
	s_mov_b32 s1, exec_lo
	v_cmpx_gt_u32_e64 s62, v46
	s_cbranch_execnz .LBB914_89
.LBB914_12:                             ;   in Loop: Header=BB914_6 Depth=1
	s_or_b32 exec_lo, exec_lo, s1
	s_delay_alu instid0(SALU_CYCLE_1)
	s_mov_b32 s1, exec_lo
	v_cmpx_gt_u32_e64 s62, v47
	s_cbranch_execnz .LBB914_90
.LBB914_13:                             ;   in Loop: Header=BB914_6 Depth=1
	s_or_b32 exec_lo, exec_lo, s1
	s_delay_alu instid0(SALU_CYCLE_1)
	s_mov_b32 s1, exec_lo
	v_cmpx_gt_u32_e64 s62, v48
	s_cbranch_execnz .LBB914_91
.LBB914_14:                             ;   in Loop: Header=BB914_6 Depth=1
	s_or_b32 exec_lo, exec_lo, s1
	s_delay_alu instid0(SALU_CYCLE_1)
	s_mov_b32 s1, exec_lo
	v_cmpx_gt_u32_e64 s62, v49
	s_cbranch_execnz .LBB914_92
.LBB914_15:                             ;   in Loop: Header=BB914_6 Depth=1
	s_or_b32 exec_lo, exec_lo, s1
	s_delay_alu instid0(SALU_CYCLE_1)
	s_mov_b32 s1, exec_lo
	v_cmpx_gt_u32_e64 s62, v50
	s_cbranch_execnz .LBB914_93
.LBB914_16:                             ;   in Loop: Header=BB914_6 Depth=1
	s_or_b32 exec_lo, exec_lo, s1
	s_delay_alu instid0(SALU_CYCLE_1)
	s_mov_b32 s1, exec_lo
	v_cmpx_gt_u32_e64 s62, v51
	s_cbranch_execnz .LBB914_94
.LBB914_17:                             ;   in Loop: Header=BB914_6 Depth=1
	s_or_b32 exec_lo, exec_lo, s1
	s_delay_alu instid0(SALU_CYCLE_1)
	s_mov_b32 s1, exec_lo
	v_cmpx_gt_u32_e64 s62, v52
	s_cbranch_execnz .LBB914_95
.LBB914_18:                             ;   in Loop: Header=BB914_6 Depth=1
	s_or_b32 exec_lo, exec_lo, s1
	s_delay_alu instid0(SALU_CYCLE_1)
	s_mov_b32 s1, exec_lo
	v_cmpx_gt_u32_e64 s62, v53
	s_cbranch_execnz .LBB914_96
.LBB914_19:                             ;   in Loop: Header=BB914_6 Depth=1
	s_or_b32 exec_lo, exec_lo, s1
	s_delay_alu instid0(SALU_CYCLE_1)
	s_mov_b32 s1, exec_lo
	v_cmpx_gt_u32_e64 s62, v54
	s_cbranch_execnz .LBB914_97
.LBB914_20:                             ;   in Loop: Header=BB914_6 Depth=1
	s_or_b32 exec_lo, exec_lo, s1
	s_delay_alu instid0(SALU_CYCLE_1)
	s_mov_b32 s1, exec_lo
	v_cmpx_gt_u32_e64 s62, v55
	s_cbranch_execnz .LBB914_98
.LBB914_21:                             ;   in Loop: Header=BB914_6 Depth=1
	s_or_b32 exec_lo, exec_lo, s1
	s_delay_alu instid0(SALU_CYCLE_1)
	s_mov_b32 s1, exec_lo
	v_cmpx_gt_u32_e64 s62, v56
	s_cbranch_execnz .LBB914_99
.LBB914_22:                             ;   in Loop: Header=BB914_6 Depth=1
	s_or_b32 exec_lo, exec_lo, s1
	s_delay_alu instid0(SALU_CYCLE_1)
	s_mov_b32 s1, exec_lo
	v_cmpx_gt_u32_e64 s62, v57
	s_cbranch_execz .LBB914_24
.LBB914_23:                             ;   in Loop: Header=BB914_6 Depth=1
	v_add_co_u32 v17, vcc_lo, 0x1000, v18
	v_add_co_ci_u32_e32 v18, vcc_lo, 0, v19, vcc_lo
	global_load_b128 v[17:20], v[17:18], off offset:3584
	s_waitcnt vmcnt(0)
	v_cmp_neq_f64_e32 vcc_lo, 0, v[17:18]
	v_cmp_neq_f64_e64 s0, 0, v[19:20]
	s_delay_alu instid0(VALU_DEP_1) | instskip(NEXT) | instid1(SALU_CYCLE_1)
	s_or_b32 s0, vcc_lo, s0
	v_cndmask_b32_e64 v17, 0, 1, s0
.LBB914_24:                             ;   in Loop: Header=BB914_6 Depth=1
	s_or_b32 exec_lo, exec_lo, s1
	s_mov_b32 s0, 0
	ds_store_b32 v58, v2
	ds_store_b32 v59, v3
	;; [unrolled: 1-line block ×16, first 2 shown]
	; wave barrier
.LBB914_25:                             ;   in Loop: Header=BB914_6 Depth=1
	s_and_b32 vcc_lo, exec_lo, s0
	s_cbranch_vccz .LBB914_27
; %bb.26:                               ;   in Loop: Header=BB914_6 Depth=1
	v_add_co_u32 v2, s0, s66, v82
	s_delay_alu instid0(VALU_DEP_1) | instskip(NEXT) | instid1(VALU_DEP_2)
	v_add_co_ci_u32_e64 v3, null, s67, 0, s0
	v_add_co_u32 v18, vcc_lo, v2, v83
	s_delay_alu instid0(VALU_DEP_2)
	v_add_co_ci_u32_e32 v19, vcc_lo, 0, v3, vcc_lo
	s_clause 0x5
	global_load_b128 v[2:5], v[18:19], off
	global_load_b128 v[6:9], v[18:19], off offset:512
	global_load_b128 v[10:13], v[18:19], off offset:1024
	global_load_b128 v[14:17], v[18:19], off offset:1536
	global_load_b128 v[84:87], v[18:19], off offset:2048
	global_load_b128 v[88:91], v[18:19], off offset:2560
	v_add_co_u32 v128, vcc_lo, 0x1000, v18
	v_add_co_ci_u32_e32 v129, vcc_lo, 0, v19, vcc_lo
	s_clause 0x9
	global_load_b128 v[92:95], v[18:19], off offset:3072
	global_load_b128 v[96:99], v[18:19], off offset:3584
	global_load_b128 v[100:103], v[128:129], off
	global_load_b128 v[104:107], v[128:129], off offset:512
	global_load_b128 v[108:111], v[128:129], off offset:1024
	;; [unrolled: 1-line block ×7, first 2 shown]
	s_waitcnt vmcnt(15)
	v_cmp_neq_f64_e32 vcc_lo, 0, v[2:3]
	v_cmp_neq_f64_e64 s0, 0, v[4:5]
	s_waitcnt vmcnt(14)
	v_cmp_neq_f64_e64 s1, 0, v[6:7]
	v_cmp_neq_f64_e64 s12, 0, v[8:9]
	s_waitcnt vmcnt(13)
	v_cmp_neq_f64_e64 s13, 0, v[10:11]
	;; [unrolled: 3-line block ×15, first 2 shown]
	v_cmp_neq_f64_e64 s41, 0, v[130:131]
	s_or_b32 s0, vcc_lo, s0
	s_delay_alu instid0(SALU_CYCLE_1) | instskip(SKIP_1) | instid1(SALU_CYCLE_1)
	v_cndmask_b32_e64 v2, 0, 1, s0
	s_or_b32 s0, s1, s12
	v_cndmask_b32_e64 v3, 0, 1, s0
	s_or_b32 s0, s13, s14
	s_delay_alu instid0(SALU_CYCLE_1) | instskip(SKIP_1) | instid1(SALU_CYCLE_1)
	v_cndmask_b32_e64 v4, 0, 1, s0
	s_or_b32 s0, s15, s16
	v_cndmask_b32_e64 v5, 0, 1, s0
	s_or_b32 s0, s17, s18
	;; [unrolled: 5-line block ×7, first 2 shown]
	s_delay_alu instid0(SALU_CYCLE_1) | instskip(SKIP_1) | instid1(SALU_CYCLE_1)
	v_cndmask_b32_e64 v16, 0, 1, s0
	s_or_b32 s0, s40, s41
	v_cndmask_b32_e64 v17, 0, 1, s0
	ds_store_b32 v58, v2
	ds_store_b32 v59, v3
	;; [unrolled: 1-line block ×16, first 2 shown]
	; wave barrier
.LBB914_27:                             ;   in Loop: Header=BB914_6 Depth=1
	ds_load_2addr_b32 v[16:17], v70 offset1:1
	ds_load_2addr_b32 v[12:13], v81 offset1:1
	;; [unrolled: 1-line block ×6, first 2 shown]
	s_waitcnt lgkmcnt(5)
	v_add_nc_u32_e32 v2, v17, v16
	s_waitcnt lgkmcnt(4)
	s_delay_alu instid0(VALU_DEP_1) | instskip(SKIP_1) | instid1(VALU_DEP_1)
	v_add3_u32 v2, v2, v12, v13
	s_waitcnt lgkmcnt(3)
	v_add3_u32 v18, v2, v8, v9
	ds_load_2addr_b32 v[4:5], v76 offset1:1
	ds_load_2addr_b32 v[2:3], v75 offset1:1
	s_waitcnt lgkmcnt(0)
	s_waitcnt_vscnt null, 0x0
	s_barrier
	buffer_gl0_inv
	v_add3_u32 v18, v18, v6, v7
	s_delay_alu instid0(VALU_DEP_1) | instskip(NEXT) | instid1(VALU_DEP_1)
	v_add3_u32 v18, v18, v14, v15
	v_add3_u32 v18, v18, v10, v11
	s_delay_alu instid0(VALU_DEP_1) | instskip(NEXT) | instid1(VALU_DEP_1)
	v_add3_u32 v18, v18, v4, v5
	v_add3_u32 v18, v18, v2, v3
	s_delay_alu instid0(VALU_DEP_1) | instskip(NEXT) | instid1(VALU_DEP_1)
	v_mov_b32_dpp v19, v18 row_shr:1 row_mask:0xf bank_mask:0xf
	v_cndmask_b32_e64 v19, v19, 0, s2
	s_delay_alu instid0(VALU_DEP_1) | instskip(NEXT) | instid1(VALU_DEP_1)
	v_add_nc_u32_e32 v18, v18, v19
	v_mov_b32_dpp v19, v18 row_shr:2 row_mask:0xf bank_mask:0xf
	s_delay_alu instid0(VALU_DEP_1) | instskip(NEXT) | instid1(VALU_DEP_1)
	v_cndmask_b32_e64 v19, 0, v19, s3
	v_add_nc_u32_e32 v18, v18, v19
	s_delay_alu instid0(VALU_DEP_1) | instskip(NEXT) | instid1(VALU_DEP_1)
	v_mov_b32_dpp v19, v18 row_shr:4 row_mask:0xf bank_mask:0xf
	v_cndmask_b32_e64 v19, 0, v19, s4
	s_delay_alu instid0(VALU_DEP_1) | instskip(NEXT) | instid1(VALU_DEP_1)
	v_add_nc_u32_e32 v18, v18, v19
	v_mov_b32_dpp v19, v18 row_shr:8 row_mask:0xf bank_mask:0xf
	s_delay_alu instid0(VALU_DEP_1) | instskip(NEXT) | instid1(VALU_DEP_1)
	v_cndmask_b32_e64 v19, 0, v19, s5
	v_add_nc_u32_e32 v18, v18, v19
	ds_swizzle_b32 v19, v18 offset:swizzle(BROADCAST,32,15)
	s_waitcnt lgkmcnt(0)
	v_cndmask_b32_e64 v19, v19, 0, s6
	s_delay_alu instid0(VALU_DEP_1)
	v_add_nc_u32_e32 v18, v18, v19
	s_and_saveexec_b32 s0, s7
	s_cbranch_execz .LBB914_29
; %bb.28:                               ;   in Loop: Header=BB914_6 Depth=1
	ds_store_b32 v21, v18
.LBB914_29:                             ;   in Loop: Header=BB914_6 Depth=1
	s_or_b32 exec_lo, exec_lo, s0
	s_waitcnt lgkmcnt(0)
	s_barrier
	buffer_gl0_inv
	s_and_saveexec_b32 s0, s8
	s_cbranch_execz .LBB914_31
; %bb.30:                               ;   in Loop: Header=BB914_6 Depth=1
	ds_load_b32 v19, v22
	s_waitcnt lgkmcnt(0)
	v_mov_b32_dpp v20, v19 row_shr:1 row_mask:0xf bank_mask:0xf
	s_delay_alu instid0(VALU_DEP_1) | instskip(NEXT) | instid1(VALU_DEP_1)
	v_cndmask_b32_e64 v20, v20, 0, s2
	v_add_nc_u32_e32 v19, v20, v19
	s_delay_alu instid0(VALU_DEP_1) | instskip(NEXT) | instid1(VALU_DEP_1)
	v_mov_b32_dpp v20, v19 row_shr:2 row_mask:0xf bank_mask:0xf
	v_cndmask_b32_e64 v20, 0, v20, s3
	s_delay_alu instid0(VALU_DEP_1) | instskip(NEXT) | instid1(VALU_DEP_1)
	v_add_nc_u32_e32 v19, v19, v20
	v_mov_b32_dpp v20, v19 row_shr:4 row_mask:0xf bank_mask:0xf
	s_delay_alu instid0(VALU_DEP_1) | instskip(NEXT) | instid1(VALU_DEP_1)
	v_cndmask_b32_e64 v20, 0, v20, s4
	v_add_nc_u32_e32 v19, v19, v20
	s_delay_alu instid0(VALU_DEP_1) | instskip(NEXT) | instid1(VALU_DEP_1)
	v_mov_b32_dpp v20, v19 row_shr:8 row_mask:0xf bank_mask:0xf
	v_cndmask_b32_e64 v20, 0, v20, s5
	s_delay_alu instid0(VALU_DEP_1)
	v_add_nc_u32_e32 v19, v19, v20
	ds_store_b32 v22, v19
.LBB914_31:                             ;   in Loop: Header=BB914_6 Depth=1
	s_or_b32 exec_lo, exec_lo, s0
	v_mov_b32_e32 v19, 0
	s_waitcnt lgkmcnt(0)
	s_barrier
	buffer_gl0_inv
	s_and_saveexec_b32 s0, s9
	s_cbranch_execz .LBB914_33
; %bb.32:                               ;   in Loop: Header=BB914_6 Depth=1
	ds_load_b32 v19, v23
.LBB914_33:                             ;   in Loop: Header=BB914_6 Depth=1
	s_or_b32 exec_lo, exec_lo, s0
	s_waitcnt lgkmcnt(0)
	v_add_nc_u32_e32 v18, v19, v18
	ds_bpermute_b32 v18, v24, v18
	s_and_saveexec_b32 s0, s11
	s_cbranch_execz .LBB914_35
; %bb.34:                               ;   in Loop: Header=BB914_6 Depth=1
	ds_load_b32 v20, v1 offset:60
	s_waitcnt lgkmcnt(0)
	ds_store_b32 v1, v20 offset:33792
.LBB914_35:                             ;   in Loop: Header=BB914_6 Depth=1
	s_or_b32 exec_lo, exec_lo, s0
	s_waitcnt lgkmcnt(0)
	v_cndmask_b32_e64 v18, v18, v19, s10
	s_barrier
	buffer_gl0_inv
	ds_store_2addr_b32 v25, v16, v17 offset1:1
	ds_store_2addr_b32 v25, v12, v13 offset0:2 offset1:3
	ds_store_2addr_b32 v25, v8, v9 offset0:4 offset1:5
	;; [unrolled: 1-line block ×3, first 2 shown]
	v_cndmask_b32_e64 v18, v18, 0, s11
	ds_store_2addr_b32 v25, v14, v15 offset0:8 offset1:9
	ds_store_2addr_b32 v25, v10, v11 offset0:10 offset1:11
	;; [unrolled: 1-line block ×4, first 2 shown]
	s_waitcnt lgkmcnt(0)
	s_barrier
	buffer_gl0_inv
	v_add_nc_u32_e32 v19, v18, v16
	ds_load_b32 v108, v26
	ds_load_b32 v98, v27 offset:2048
	ds_load_b32 v97, v28 offset:4096
	;; [unrolled: 1-line block ×15, first 2 shown]
	s_waitcnt lgkmcnt(0)
	s_barrier
	v_add_nc_u32_e32 v20, v19, v17
	buffer_gl0_inv
	v_add_nc_u32_e32 v99, v20, v12
	s_delay_alu instid0(VALU_DEP_1) | instskip(NEXT) | instid1(VALU_DEP_1)
	v_add_nc_u32_e32 v100, v99, v13
	v_add_nc_u32_e32 v101, v100, v8
	s_delay_alu instid0(VALU_DEP_1) | instskip(NEXT) | instid1(VALU_DEP_1)
	v_add_nc_u32_e32 v102, v101, v9
	;; [unrolled: 3-line block ×6, first 2 shown]
	v_add_nc_u32_e32 v2, v4, v2
	ds_store_2addr_b32 v25, v18, v19 offset1:1
	ds_store_2addr_b32 v25, v20, v99 offset0:2 offset1:3
	ds_store_2addr_b32 v25, v100, v101 offset0:4 offset1:5
	;; [unrolled: 1-line block ×7, first 2 shown]
	s_waitcnt lgkmcnt(0)
	s_barrier
	buffer_gl0_inv
	ds_load_b32 v18, v27 offset:2048
	ds_load_b32 v17, v28 offset:4096
	;; [unrolled: 1-line block ×15, first 2 shown]
	v_add_co_u32 v2, s0, s42, v0
	s_delay_alu instid0(VALU_DEP_1)
	v_add_co_ci_u32_e64 v3, null, s43, 0, s0
	s_mov_b32 s0, exec_lo
	v_cmpx_ne_u32_e32 0, v108
	s_cbranch_execz .LBB914_38
; %bb.36:                               ;   in Loop: Header=BB914_6 Depth=1
	ds_load_b32 v19, v26
	s_waitcnt lgkmcnt(0)
	v_ashrrev_i32_e32 v20, 31, v19
	s_delay_alu instid0(VALU_DEP_1)
	v_cmp_gt_i64_e32 vcc_lo, s[60:61], v[19:20]
	s_and_b32 exec_lo, exec_lo, vcc_lo
	s_cbranch_execz .LBB914_38
; %bb.37:                               ;   in Loop: Header=BB914_6 Depth=1
	v_lshlrev_b64 v[19:20], 3, v[19:20]
	s_delay_alu instid0(VALU_DEP_1) | instskip(NEXT) | instid1(VALU_DEP_2)
	v_add_co_u32 v19, vcc_lo, s68, v19
	v_add_co_ci_u32_e32 v20, vcc_lo, s69, v20, vcc_lo
	global_store_b64 v[19:20], v[2:3], off
.LBB914_38:                             ;   in Loop: Header=BB914_6 Depth=1
	s_or_b32 exec_lo, exec_lo, s0
	s_delay_alu instid0(SALU_CYCLE_1)
	s_mov_b32 s0, exec_lo
	v_cmpx_ne_u32_e32 0, v98
	s_cbranch_execz .LBB914_41
; %bb.39:                               ;   in Loop: Header=BB914_6 Depth=1
	s_waitcnt lgkmcnt(14)
	v_ashrrev_i32_e32 v19, 31, v18
	s_delay_alu instid0(VALU_DEP_1)
	v_cmp_gt_i64_e32 vcc_lo, s[60:61], v[18:19]
	s_and_b32 exec_lo, exec_lo, vcc_lo
	s_cbranch_execz .LBB914_41
; %bb.40:                               ;   in Loop: Header=BB914_6 Depth=1
	s_load_b32 s1, s[64:65], 0xc
	v_lshlrev_b64 v[18:19], 3, v[18:19]
	s_waitcnt lgkmcnt(0)
	s_and_b32 s1, s1, 0xffff
	s_delay_alu instid0(SALU_CYCLE_1) | instskip(SKIP_1) | instid1(VALU_DEP_3)
	v_add_co_u32 v98, vcc_lo, v2, s1
	v_add_co_ci_u32_e32 v99, vcc_lo, 0, v3, vcc_lo
	v_add_co_u32 v18, vcc_lo, s68, v18
	v_add_co_ci_u32_e32 v19, vcc_lo, s69, v19, vcc_lo
	global_store_b64 v[18:19], v[98:99], off
.LBB914_41:                             ;   in Loop: Header=BB914_6 Depth=1
	s_or_b32 exec_lo, exec_lo, s0
	s_delay_alu instid0(SALU_CYCLE_1)
	s_mov_b32 s0, exec_lo
	v_cmpx_ne_u32_e32 0, v97
	s_cbranch_execz .LBB914_44
; %bb.42:                               ;   in Loop: Header=BB914_6 Depth=1
	s_waitcnt lgkmcnt(13)
	v_ashrrev_i32_e32 v18, 31, v17
	s_delay_alu instid0(VALU_DEP_1)
	v_cmp_gt_i64_e32 vcc_lo, s[60:61], v[17:18]
	s_and_b32 exec_lo, exec_lo, vcc_lo
	s_cbranch_execz .LBB914_44
; %bb.43:                               ;   in Loop: Header=BB914_6 Depth=1
	s_load_b32 s1, s[64:65], 0xc
	v_lshlrev_b64 v[17:18], 3, v[17:18]
	s_waitcnt lgkmcnt(0)
	s_and_b32 s1, s1, 0xffff
	s_delay_alu instid0(SALU_CYCLE_1) | instskip(NEXT) | instid1(SALU_CYCLE_1)
	s_lshl_b32 s1, s1, 1
	v_add_co_u32 v19, vcc_lo, v2, s1
	v_add_co_ci_u32_e32 v20, vcc_lo, 0, v3, vcc_lo
	v_add_co_u32 v17, vcc_lo, s68, v17
	v_add_co_ci_u32_e32 v18, vcc_lo, s69, v18, vcc_lo
	global_store_b64 v[17:18], v[19:20], off
.LBB914_44:                             ;   in Loop: Header=BB914_6 Depth=1
	s_or_b32 exec_lo, exec_lo, s0
	s_delay_alu instid0(SALU_CYCLE_1)
	s_mov_b32 s0, exec_lo
	v_cmpx_ne_u32_e32 0, v96
	s_cbranch_execz .LBB914_47
; %bb.45:                               ;   in Loop: Header=BB914_6 Depth=1
	s_waitcnt lgkmcnt(12)
	v_ashrrev_i32_e32 v17, 31, v16
	s_delay_alu instid0(VALU_DEP_1)
	v_cmp_gt_i64_e32 vcc_lo, s[60:61], v[16:17]
	s_and_b32 exec_lo, exec_lo, vcc_lo
	s_cbranch_execz .LBB914_47
; %bb.46:                               ;   in Loop: Header=BB914_6 Depth=1
	s_load_b32 s1, s[64:65], 0xc
	v_lshlrev_b64 v[16:17], 3, v[16:17]
	s_delay_alu instid0(VALU_DEP_1) | instskip(NEXT) | instid1(VALU_DEP_2)
	v_add_co_u32 v16, vcc_lo, s68, v16
	v_add_co_ci_u32_e32 v17, vcc_lo, s69, v17, vcc_lo
	s_waitcnt lgkmcnt(0)
	s_and_b32 s1, s1, 0xffff
	s_delay_alu instid0(SALU_CYCLE_1)
	v_mad_u64_u32 v[18:19], null, s1, 3, v[2:3]
	global_store_b64 v[16:17], v[18:19], off
.LBB914_47:                             ;   in Loop: Header=BB914_6 Depth=1
	s_or_b32 exec_lo, exec_lo, s0
	s_delay_alu instid0(SALU_CYCLE_1)
	s_mov_b32 s0, exec_lo
	v_cmpx_ne_u32_e32 0, v95
	s_cbranch_execz .LBB914_50
; %bb.48:                               ;   in Loop: Header=BB914_6 Depth=1
	s_waitcnt lgkmcnt(11)
	v_ashrrev_i32_e32 v16, 31, v15
	s_delay_alu instid0(VALU_DEP_1)
	v_cmp_gt_i64_e32 vcc_lo, s[60:61], v[15:16]
	s_and_b32 exec_lo, exec_lo, vcc_lo
	s_cbranch_execz .LBB914_50
; %bb.49:                               ;   in Loop: Header=BB914_6 Depth=1
	s_load_b32 s1, s[64:65], 0xc
	v_lshlrev_b64 v[15:16], 3, v[15:16]
	s_waitcnt lgkmcnt(0)
	s_and_b32 s1, s1, 0xffff
	s_delay_alu instid0(SALU_CYCLE_1) | instskip(NEXT) | instid1(SALU_CYCLE_1)
	s_lshl_b32 s1, s1, 2
	v_add_co_u32 v17, vcc_lo, v2, s1
	v_add_co_ci_u32_e32 v18, vcc_lo, 0, v3, vcc_lo
	v_add_co_u32 v15, vcc_lo, s68, v15
	v_add_co_ci_u32_e32 v16, vcc_lo, s69, v16, vcc_lo
	global_store_b64 v[15:16], v[17:18], off
.LBB914_50:                             ;   in Loop: Header=BB914_6 Depth=1
	s_or_b32 exec_lo, exec_lo, s0
	s_delay_alu instid0(SALU_CYCLE_1)
	s_mov_b32 s0, exec_lo
	v_cmpx_ne_u32_e32 0, v94
	s_cbranch_execz .LBB914_53
; %bb.51:                               ;   in Loop: Header=BB914_6 Depth=1
	s_waitcnt lgkmcnt(10)
	v_ashrrev_i32_e32 v15, 31, v14
	s_delay_alu instid0(VALU_DEP_1)
	v_cmp_gt_i64_e32 vcc_lo, s[60:61], v[14:15]
	s_and_b32 exec_lo, exec_lo, vcc_lo
	s_cbranch_execz .LBB914_53
; %bb.52:                               ;   in Loop: Header=BB914_6 Depth=1
	s_load_b32 s1, s[64:65], 0xc
	v_lshlrev_b64 v[14:15], 3, v[14:15]
	s_delay_alu instid0(VALU_DEP_1) | instskip(NEXT) | instid1(VALU_DEP_2)
	v_add_co_u32 v14, vcc_lo, s68, v14
	v_add_co_ci_u32_e32 v15, vcc_lo, s69, v15, vcc_lo
	s_waitcnt lgkmcnt(0)
	s_and_b32 s1, s1, 0xffff
	s_delay_alu instid0(SALU_CYCLE_1)
	v_mad_u64_u32 v[16:17], null, s1, 5, v[2:3]
	global_store_b64 v[14:15], v[16:17], off
.LBB914_53:                             ;   in Loop: Header=BB914_6 Depth=1
	s_or_b32 exec_lo, exec_lo, s0
	s_delay_alu instid0(SALU_CYCLE_1)
	s_mov_b32 s0, exec_lo
	v_cmpx_ne_u32_e32 0, v93
	s_cbranch_execz .LBB914_56
; %bb.54:                               ;   in Loop: Header=BB914_6 Depth=1
	s_waitcnt lgkmcnt(9)
	v_ashrrev_i32_e32 v14, 31, v13
	s_delay_alu instid0(VALU_DEP_1)
	v_cmp_gt_i64_e32 vcc_lo, s[60:61], v[13:14]
	s_and_b32 exec_lo, exec_lo, vcc_lo
	s_cbranch_execz .LBB914_56
; %bb.55:                               ;   in Loop: Header=BB914_6 Depth=1
	s_load_b32 s1, s[64:65], 0xc
	v_lshlrev_b64 v[13:14], 3, v[13:14]
	s_delay_alu instid0(VALU_DEP_1) | instskip(NEXT) | instid1(VALU_DEP_2)
	v_add_co_u32 v13, vcc_lo, s68, v13
	v_add_co_ci_u32_e32 v14, vcc_lo, s69, v14, vcc_lo
	s_waitcnt lgkmcnt(0)
	s_and_b32 s1, s1, 0xffff
	s_delay_alu instid0(SALU_CYCLE_1)
	v_mad_u64_u32 v[15:16], null, s1, 6, v[2:3]
	global_store_b64 v[13:14], v[15:16], off
.LBB914_56:                             ;   in Loop: Header=BB914_6 Depth=1
	;; [unrolled: 24-line block ×3, first 2 shown]
	s_or_b32 exec_lo, exec_lo, s0
	s_delay_alu instid0(SALU_CYCLE_1)
	s_mov_b32 s0, exec_lo
	v_cmpx_ne_u32_e32 0, v91
	s_cbranch_execz .LBB914_62
; %bb.60:                               ;   in Loop: Header=BB914_6 Depth=1
	s_waitcnt lgkmcnt(7)
	v_ashrrev_i32_e32 v12, 31, v11
	s_delay_alu instid0(VALU_DEP_1)
	v_cmp_gt_i64_e32 vcc_lo, s[60:61], v[11:12]
	s_and_b32 exec_lo, exec_lo, vcc_lo
	s_cbranch_execz .LBB914_62
; %bb.61:                               ;   in Loop: Header=BB914_6 Depth=1
	s_load_b32 s1, s[64:65], 0xc
	v_lshlrev_b64 v[11:12], 3, v[11:12]
	s_waitcnt lgkmcnt(0)
	s_and_b32 s1, s1, 0xffff
	s_delay_alu instid0(SALU_CYCLE_1) | instskip(NEXT) | instid1(SALU_CYCLE_1)
	s_lshl_b32 s1, s1, 3
	v_add_co_u32 v13, vcc_lo, v2, s1
	v_add_co_ci_u32_e32 v14, vcc_lo, 0, v3, vcc_lo
	v_add_co_u32 v11, vcc_lo, s68, v11
	v_add_co_ci_u32_e32 v12, vcc_lo, s69, v12, vcc_lo
	global_store_b64 v[11:12], v[13:14], off
.LBB914_62:                             ;   in Loop: Header=BB914_6 Depth=1
	s_or_b32 exec_lo, exec_lo, s0
	s_delay_alu instid0(SALU_CYCLE_1)
	s_mov_b32 s0, exec_lo
	v_cmpx_ne_u32_e32 0, v90
	s_cbranch_execz .LBB914_65
; %bb.63:                               ;   in Loop: Header=BB914_6 Depth=1
	s_waitcnt lgkmcnt(6)
	v_ashrrev_i32_e32 v11, 31, v10
	s_delay_alu instid0(VALU_DEP_1)
	v_cmp_gt_i64_e32 vcc_lo, s[60:61], v[10:11]
	s_and_b32 exec_lo, exec_lo, vcc_lo
	s_cbranch_execz .LBB914_65
; %bb.64:                               ;   in Loop: Header=BB914_6 Depth=1
	s_load_b32 s1, s[64:65], 0xc
	v_lshlrev_b64 v[10:11], 3, v[10:11]
	s_delay_alu instid0(VALU_DEP_1) | instskip(NEXT) | instid1(VALU_DEP_2)
	v_add_co_u32 v10, vcc_lo, s68, v10
	v_add_co_ci_u32_e32 v11, vcc_lo, s69, v11, vcc_lo
	s_waitcnt lgkmcnt(0)
	s_and_b32 s1, s1, 0xffff
	s_delay_alu instid0(SALU_CYCLE_1)
	v_mad_u64_u32 v[12:13], null, s1, 9, v[2:3]
	global_store_b64 v[10:11], v[12:13], off
.LBB914_65:                             ;   in Loop: Header=BB914_6 Depth=1
	s_or_b32 exec_lo, exec_lo, s0
	s_delay_alu instid0(SALU_CYCLE_1)
	s_mov_b32 s0, exec_lo
	v_cmpx_ne_u32_e32 0, v89
	s_cbranch_execz .LBB914_68
; %bb.66:                               ;   in Loop: Header=BB914_6 Depth=1
	s_waitcnt lgkmcnt(5)
	v_ashrrev_i32_e32 v10, 31, v9
	s_delay_alu instid0(VALU_DEP_1)
	v_cmp_gt_i64_e32 vcc_lo, s[60:61], v[9:10]
	s_and_b32 exec_lo, exec_lo, vcc_lo
	s_cbranch_execz .LBB914_68
; %bb.67:                               ;   in Loop: Header=BB914_6 Depth=1
	s_load_b32 s1, s[64:65], 0xc
	v_lshlrev_b64 v[9:10], 3, v[9:10]
	s_delay_alu instid0(VALU_DEP_1) | instskip(NEXT) | instid1(VALU_DEP_2)
	v_add_co_u32 v9, vcc_lo, s68, v9
	v_add_co_ci_u32_e32 v10, vcc_lo, s69, v10, vcc_lo
	s_waitcnt lgkmcnt(0)
	s_and_b32 s1, s1, 0xffff
	s_delay_alu instid0(SALU_CYCLE_1)
	v_mad_u64_u32 v[11:12], null, s1, 10, v[2:3]
	global_store_b64 v[9:10], v[11:12], off
.LBB914_68:                             ;   in Loop: Header=BB914_6 Depth=1
	;; [unrolled: 24-line block ×6, first 2 shown]
	s_or_b32 exec_lo, exec_lo, s0
	s_delay_alu instid0(SALU_CYCLE_1)
	s_mov_b32 s0, exec_lo
	v_cmpx_ne_u32_e32 0, v84
	s_cbranch_execz .LBB914_83
; %bb.81:                               ;   in Loop: Header=BB914_6 Depth=1
	s_waitcnt lgkmcnt(0)
	v_ashrrev_i32_e32 v5, 31, v4
	s_delay_alu instid0(VALU_DEP_1)
	v_cmp_gt_i64_e32 vcc_lo, s[60:61], v[4:5]
	s_and_b32 exec_lo, exec_lo, vcc_lo
	s_cbranch_execz .LBB914_83
; %bb.82:                               ;   in Loop: Header=BB914_6 Depth=1
	s_load_b32 s1, s[64:65], 0xc
	v_lshlrev_b64 v[4:5], 3, v[4:5]
	s_waitcnt lgkmcnt(0)
	s_and_b32 s1, s1, 0xffff
	s_delay_alu instid0(SALU_CYCLE_1) | instskip(NEXT) | instid1(VALU_DEP_2)
	v_mad_u64_u32 v[6:7], null, s1, 15, v[2:3]
	v_add_co_u32 v2, vcc_lo, s68, v4
	s_delay_alu instid0(VALU_DEP_3)
	v_add_co_ci_u32_e32 v3, vcc_lo, s69, v5, vcc_lo
	global_store_b64 v[2:3], v[6:7], off
.LBB914_83:                             ;   in Loop: Header=BB914_6 Depth=1
	s_or_b32 exec_lo, exec_lo, s0
	ds_load_b32 v2, v1 offset:33792
	v_cmp_gt_i64_e64 s12, 0x2001, s[62:63]
	s_waitcnt lgkmcnt(0)
	v_readfirstlane_b32 s0, v2
	s_delay_alu instid0(VALU_DEP_1) | instskip(SKIP_2) | instid1(SALU_CYCLE_1)
	s_ashr_i32 s1, s0, 31
	s_sub_u32 s60, s60, s0
	s_subb_u32 s61, s61, s1
	v_cmp_lt_i64_e64 s13, s[60:61], 1
	s_delay_alu instid0(VALU_DEP_1) | instskip(NEXT) | instid1(SALU_CYCLE_1)
	s_or_b32 s12, s12, s13
	s_and_b32 vcc_lo, exec_lo, s12
	s_cbranch_vccnz .LBB914_5
; %bb.84:                               ;   in Loop: Header=BB914_6 Depth=1
	s_add_u32 s42, s42, 0x2000
	s_addc_u32 s43, s43, 0
	s_add_u32 s66, s66, 0x20000
	s_addc_u32 s67, s67, 0
	s_lshl_b64 s[0:1], s[0:1], 3
	s_waitcnt_vscnt null, 0x0
	s_add_u32 s68, s68, s0
	s_addc_u32 s69, s69, s1
	s_barrier
	buffer_gl0_inv
	s_branch .LBB914_5
.LBB914_85:                             ;   in Loop: Header=BB914_6 Depth=1
	global_load_b128 v[2:5], v[18:19], off
	v_mov_b32_e32 v15, v1
	v_mov_b32_e32 v6, v1
	;; [unrolled: 1-line block ×10, first 2 shown]
	s_waitcnt vmcnt(0)
	v_cmp_neq_f64_e32 vcc_lo, 0, v[2:3]
	v_cmp_neq_f64_e64 s0, 0, v[4:5]
	v_mov_b32_e32 v2, v1
	v_mov_b32_e32 v3, v1
	;; [unrolled: 1-line block ×5, first 2 shown]
	v_dual_mov_b32 v16, v14 :: v_dual_mov_b32 v15, v13
	v_mov_b32_e32 v14, v12
	v_mov_b32_e32 v13, v11
	;; [unrolled: 1-line block ×13, first 2 shown]
	s_or_b32 s0, vcc_lo, s0
	s_delay_alu instid0(SALU_CYCLE_1) | instskip(SKIP_1) | instid1(SALU_CYCLE_1)
	v_cndmask_b32_e64 v2, 0, 1, s0
	s_or_b32 exec_lo, exec_lo, s1
	s_mov_b32 s1, exec_lo
	v_cmpx_gt_u32_e64 s62, v43
	s_cbranch_execz .LBB914_9
.LBB914_86:                             ;   in Loop: Header=BB914_6 Depth=1
	global_load_b128 v[84:87], v[18:19], off offset:512
	s_waitcnt vmcnt(0)
	v_cmp_neq_f64_e32 vcc_lo, 0, v[84:85]
	v_cmp_neq_f64_e64 s0, 0, v[86:87]
	s_delay_alu instid0(VALU_DEP_1) | instskip(NEXT) | instid1(SALU_CYCLE_1)
	s_or_b32 s0, vcc_lo, s0
	v_cndmask_b32_e64 v3, 0, 1, s0
	s_or_b32 exec_lo, exec_lo, s1
	s_delay_alu instid0(SALU_CYCLE_1)
	s_mov_b32 s1, exec_lo
	v_cmpx_gt_u32_e64 s62, v44
	s_cbranch_execz .LBB914_10
.LBB914_87:                             ;   in Loop: Header=BB914_6 Depth=1
	global_load_b128 v[84:87], v[18:19], off offset:1024
	s_waitcnt vmcnt(0)
	v_cmp_neq_f64_e32 vcc_lo, 0, v[84:85]
	v_cmp_neq_f64_e64 s0, 0, v[86:87]
	s_delay_alu instid0(VALU_DEP_1) | instskip(NEXT) | instid1(SALU_CYCLE_1)
	s_or_b32 s0, vcc_lo, s0
	v_cndmask_b32_e64 v4, 0, 1, s0
	s_or_b32 exec_lo, exec_lo, s1
	s_delay_alu instid0(SALU_CYCLE_1)
	s_mov_b32 s1, exec_lo
	v_cmpx_gt_u32_e64 s62, v45
	s_cbranch_execz .LBB914_11
.LBB914_88:                             ;   in Loop: Header=BB914_6 Depth=1
	global_load_b128 v[84:87], v[18:19], off offset:1536
	s_waitcnt vmcnt(0)
	v_cmp_neq_f64_e32 vcc_lo, 0, v[84:85]
	v_cmp_neq_f64_e64 s0, 0, v[86:87]
	s_delay_alu instid0(VALU_DEP_1) | instskip(NEXT) | instid1(SALU_CYCLE_1)
	s_or_b32 s0, vcc_lo, s0
	v_cndmask_b32_e64 v5, 0, 1, s0
	s_or_b32 exec_lo, exec_lo, s1
	s_delay_alu instid0(SALU_CYCLE_1)
	s_mov_b32 s1, exec_lo
	v_cmpx_gt_u32_e64 s62, v46
	s_cbranch_execz .LBB914_12
.LBB914_89:                             ;   in Loop: Header=BB914_6 Depth=1
	global_load_b128 v[84:87], v[18:19], off offset:2048
	s_waitcnt vmcnt(0)
	v_cmp_neq_f64_e32 vcc_lo, 0, v[84:85]
	v_cmp_neq_f64_e64 s0, 0, v[86:87]
	s_delay_alu instid0(VALU_DEP_1) | instskip(NEXT) | instid1(SALU_CYCLE_1)
	s_or_b32 s0, vcc_lo, s0
	v_cndmask_b32_e64 v6, 0, 1, s0
	s_or_b32 exec_lo, exec_lo, s1
	s_delay_alu instid0(SALU_CYCLE_1)
	s_mov_b32 s1, exec_lo
	v_cmpx_gt_u32_e64 s62, v47
	s_cbranch_execz .LBB914_13
.LBB914_90:                             ;   in Loop: Header=BB914_6 Depth=1
	global_load_b128 v[84:87], v[18:19], off offset:2560
	s_waitcnt vmcnt(0)
	v_cmp_neq_f64_e32 vcc_lo, 0, v[84:85]
	v_cmp_neq_f64_e64 s0, 0, v[86:87]
	s_delay_alu instid0(VALU_DEP_1) | instskip(NEXT) | instid1(SALU_CYCLE_1)
	s_or_b32 s0, vcc_lo, s0
	v_cndmask_b32_e64 v7, 0, 1, s0
	s_or_b32 exec_lo, exec_lo, s1
	s_delay_alu instid0(SALU_CYCLE_1)
	s_mov_b32 s1, exec_lo
	v_cmpx_gt_u32_e64 s62, v48
	s_cbranch_execz .LBB914_14
.LBB914_91:                             ;   in Loop: Header=BB914_6 Depth=1
	global_load_b128 v[84:87], v[18:19], off offset:3072
	s_waitcnt vmcnt(0)
	v_cmp_neq_f64_e32 vcc_lo, 0, v[84:85]
	v_cmp_neq_f64_e64 s0, 0, v[86:87]
	s_delay_alu instid0(VALU_DEP_1) | instskip(NEXT) | instid1(SALU_CYCLE_1)
	s_or_b32 s0, vcc_lo, s0
	v_cndmask_b32_e64 v8, 0, 1, s0
	s_or_b32 exec_lo, exec_lo, s1
	s_delay_alu instid0(SALU_CYCLE_1)
	s_mov_b32 s1, exec_lo
	v_cmpx_gt_u32_e64 s62, v49
	s_cbranch_execz .LBB914_15
.LBB914_92:                             ;   in Loop: Header=BB914_6 Depth=1
	global_load_b128 v[84:87], v[18:19], off offset:3584
	s_waitcnt vmcnt(0)
	v_cmp_neq_f64_e32 vcc_lo, 0, v[84:85]
	v_cmp_neq_f64_e64 s0, 0, v[86:87]
	s_delay_alu instid0(VALU_DEP_1) | instskip(NEXT) | instid1(SALU_CYCLE_1)
	s_or_b32 s0, vcc_lo, s0
	v_cndmask_b32_e64 v9, 0, 1, s0
	s_or_b32 exec_lo, exec_lo, s1
	s_delay_alu instid0(SALU_CYCLE_1)
	s_mov_b32 s1, exec_lo
	v_cmpx_gt_u32_e64 s62, v50
	s_cbranch_execz .LBB914_16
.LBB914_93:                             ;   in Loop: Header=BB914_6 Depth=1
	v_add_co_u32 v84, vcc_lo, 0x1000, v18
	v_add_co_ci_u32_e32 v85, vcc_lo, 0, v19, vcc_lo
	global_load_b128 v[84:87], v[84:85], off
	s_waitcnt vmcnt(0)
	v_cmp_neq_f64_e32 vcc_lo, 0, v[84:85]
	v_cmp_neq_f64_e64 s0, 0, v[86:87]
	s_delay_alu instid0(VALU_DEP_1) | instskip(NEXT) | instid1(SALU_CYCLE_1)
	s_or_b32 s0, vcc_lo, s0
	v_cndmask_b32_e64 v10, 0, 1, s0
	s_or_b32 exec_lo, exec_lo, s1
	s_delay_alu instid0(SALU_CYCLE_1)
	s_mov_b32 s1, exec_lo
	v_cmpx_gt_u32_e64 s62, v51
	s_cbranch_execz .LBB914_17
.LBB914_94:                             ;   in Loop: Header=BB914_6 Depth=1
	v_add_co_u32 v84, vcc_lo, 0x1000, v18
	v_add_co_ci_u32_e32 v85, vcc_lo, 0, v19, vcc_lo
	global_load_b128 v[84:87], v[84:85], off offset:512
	s_waitcnt vmcnt(0)
	v_cmp_neq_f64_e32 vcc_lo, 0, v[84:85]
	v_cmp_neq_f64_e64 s0, 0, v[86:87]
	s_delay_alu instid0(VALU_DEP_1) | instskip(NEXT) | instid1(SALU_CYCLE_1)
	s_or_b32 s0, vcc_lo, s0
	v_cndmask_b32_e64 v11, 0, 1, s0
	s_or_b32 exec_lo, exec_lo, s1
	s_delay_alu instid0(SALU_CYCLE_1)
	s_mov_b32 s1, exec_lo
	v_cmpx_gt_u32_e64 s62, v52
	s_cbranch_execz .LBB914_18
.LBB914_95:                             ;   in Loop: Header=BB914_6 Depth=1
	v_add_co_u32 v84, vcc_lo, 0x1000, v18
	v_add_co_ci_u32_e32 v85, vcc_lo, 0, v19, vcc_lo
	global_load_b128 v[84:87], v[84:85], off offset:1024
	s_waitcnt vmcnt(0)
	v_cmp_neq_f64_e32 vcc_lo, 0, v[84:85]
	v_cmp_neq_f64_e64 s0, 0, v[86:87]
	s_delay_alu instid0(VALU_DEP_1) | instskip(NEXT) | instid1(SALU_CYCLE_1)
	s_or_b32 s0, vcc_lo, s0
	v_cndmask_b32_e64 v12, 0, 1, s0
	s_or_b32 exec_lo, exec_lo, s1
	s_delay_alu instid0(SALU_CYCLE_1)
	s_mov_b32 s1, exec_lo
	v_cmpx_gt_u32_e64 s62, v53
	s_cbranch_execz .LBB914_19
.LBB914_96:                             ;   in Loop: Header=BB914_6 Depth=1
	v_add_co_u32 v84, vcc_lo, 0x1000, v18
	v_add_co_ci_u32_e32 v85, vcc_lo, 0, v19, vcc_lo
	global_load_b128 v[84:87], v[84:85], off offset:1536
	s_waitcnt vmcnt(0)
	v_cmp_neq_f64_e32 vcc_lo, 0, v[84:85]
	v_cmp_neq_f64_e64 s0, 0, v[86:87]
	s_delay_alu instid0(VALU_DEP_1) | instskip(NEXT) | instid1(SALU_CYCLE_1)
	s_or_b32 s0, vcc_lo, s0
	v_cndmask_b32_e64 v13, 0, 1, s0
	s_or_b32 exec_lo, exec_lo, s1
	s_delay_alu instid0(SALU_CYCLE_1)
	s_mov_b32 s1, exec_lo
	v_cmpx_gt_u32_e64 s62, v54
	s_cbranch_execz .LBB914_20
.LBB914_97:                             ;   in Loop: Header=BB914_6 Depth=1
	v_add_co_u32 v84, vcc_lo, 0x1000, v18
	v_add_co_ci_u32_e32 v85, vcc_lo, 0, v19, vcc_lo
	global_load_b128 v[84:87], v[84:85], off offset:2048
	s_waitcnt vmcnt(0)
	v_cmp_neq_f64_e32 vcc_lo, 0, v[84:85]
	v_cmp_neq_f64_e64 s0, 0, v[86:87]
	s_delay_alu instid0(VALU_DEP_1) | instskip(NEXT) | instid1(SALU_CYCLE_1)
	s_or_b32 s0, vcc_lo, s0
	v_cndmask_b32_e64 v14, 0, 1, s0
	s_or_b32 exec_lo, exec_lo, s1
	s_delay_alu instid0(SALU_CYCLE_1)
	s_mov_b32 s1, exec_lo
	v_cmpx_gt_u32_e64 s62, v55
	s_cbranch_execz .LBB914_21
.LBB914_98:                             ;   in Loop: Header=BB914_6 Depth=1
	v_add_co_u32 v84, vcc_lo, 0x1000, v18
	v_add_co_ci_u32_e32 v85, vcc_lo, 0, v19, vcc_lo
	global_load_b128 v[84:87], v[84:85], off offset:2560
	s_waitcnt vmcnt(0)
	v_cmp_neq_f64_e32 vcc_lo, 0, v[84:85]
	v_cmp_neq_f64_e64 s0, 0, v[86:87]
	s_delay_alu instid0(VALU_DEP_1) | instskip(NEXT) | instid1(SALU_CYCLE_1)
	s_or_b32 s0, vcc_lo, s0
	v_cndmask_b32_e64 v15, 0, 1, s0
	s_or_b32 exec_lo, exec_lo, s1
	s_delay_alu instid0(SALU_CYCLE_1)
	s_mov_b32 s1, exec_lo
	v_cmpx_gt_u32_e64 s62, v56
	s_cbranch_execz .LBB914_22
.LBB914_99:                             ;   in Loop: Header=BB914_6 Depth=1
	v_add_co_u32 v84, vcc_lo, 0x1000, v18
	v_add_co_ci_u32_e32 v85, vcc_lo, 0, v19, vcc_lo
	global_load_b128 v[84:87], v[84:85], off offset:3072
	s_waitcnt vmcnt(0)
	v_cmp_neq_f64_e32 vcc_lo, 0, v[84:85]
	v_cmp_neq_f64_e64 s0, 0, v[86:87]
	s_delay_alu instid0(VALU_DEP_1) | instskip(NEXT) | instid1(SALU_CYCLE_1)
	s_or_b32 s0, vcc_lo, s0
	v_cndmask_b32_e64 v16, 0, 1, s0
	s_or_b32 exec_lo, exec_lo, s1
	s_delay_alu instid0(SALU_CYCLE_1)
	s_mov_b32 s1, exec_lo
	v_cmpx_gt_u32_e64 s62, v57
	s_cbranch_execnz .LBB914_23
	s_branch .LBB914_24
.LBB914_100:
	s_nop 0
	s_sendmsg sendmsg(MSG_DEALLOC_VGPRS)
	s_endpgm
	.section	.rodata,"a",@progbits
	.p2align	6, 0x0
	.amdhsa_kernel _ZN2at6native12_GLOBAL__N_111flag_kernelILi512ELi16EN3c107complexIdEEEEvPKT1_PlPKllli
		.amdhsa_group_segment_fixed_size 33796
		.amdhsa_private_segment_fixed_size 0
		.amdhsa_kernarg_size 304
		.amdhsa_user_sgpr_count 15
		.amdhsa_user_sgpr_dispatch_ptr 0
		.amdhsa_user_sgpr_queue_ptr 0
		.amdhsa_user_sgpr_kernarg_segment_ptr 1
		.amdhsa_user_sgpr_dispatch_id 0
		.amdhsa_user_sgpr_private_segment_size 0
		.amdhsa_wavefront_size32 1
		.amdhsa_uses_dynamic_stack 0
		.amdhsa_enable_private_segment 0
		.amdhsa_system_sgpr_workgroup_id_x 1
		.amdhsa_system_sgpr_workgroup_id_y 0
		.amdhsa_system_sgpr_workgroup_id_z 0
		.amdhsa_system_sgpr_workgroup_info 0
		.amdhsa_system_vgpr_workitem_id 0
		.amdhsa_next_free_vgpr 132
		.amdhsa_next_free_sgpr 71
		.amdhsa_reserve_vcc 1
		.amdhsa_float_round_mode_32 0
		.amdhsa_float_round_mode_16_64 0
		.amdhsa_float_denorm_mode_32 3
		.amdhsa_float_denorm_mode_16_64 3
		.amdhsa_dx10_clamp 1
		.amdhsa_ieee_mode 1
		.amdhsa_fp16_overflow 0
		.amdhsa_workgroup_processor_mode 1
		.amdhsa_memory_ordered 1
		.amdhsa_forward_progress 0
		.amdhsa_shared_vgpr_count 0
		.amdhsa_exception_fp_ieee_invalid_op 0
		.amdhsa_exception_fp_denorm_src 0
		.amdhsa_exception_fp_ieee_div_zero 0
		.amdhsa_exception_fp_ieee_overflow 0
		.amdhsa_exception_fp_ieee_underflow 0
		.amdhsa_exception_fp_ieee_inexact 0
		.amdhsa_exception_int_div_zero 0
	.end_amdhsa_kernel
	.section	.text._ZN2at6native12_GLOBAL__N_111flag_kernelILi512ELi16EN3c107complexIdEEEEvPKT1_PlPKllli,"axG",@progbits,_ZN2at6native12_GLOBAL__N_111flag_kernelILi512ELi16EN3c107complexIdEEEEvPKT1_PlPKllli,comdat
.Lfunc_end914:
	.size	_ZN2at6native12_GLOBAL__N_111flag_kernelILi512ELi16EN3c107complexIdEEEEvPKT1_PlPKllli, .Lfunc_end914-_ZN2at6native12_GLOBAL__N_111flag_kernelILi512ELi16EN3c107complexIdEEEEvPKT1_PlPKllli
                                        ; -- End function
	.section	.AMDGPU.csdata,"",@progbits
; Kernel info:
; codeLenInByte = 6940
; NumSgprs: 73
; NumVgprs: 132
; ScratchSize: 0
; MemoryBound: 0
; FloatMode: 240
; IeeeMode: 1
; LDSByteSize: 33796 bytes/workgroup (compile time only)
; SGPRBlocks: 9
; VGPRBlocks: 16
; NumSGPRsForWavesPerEU: 73
; NumVGPRsForWavesPerEU: 132
; Occupancy: 10
; WaveLimiterHint : 1
; COMPUTE_PGM_RSRC2:SCRATCH_EN: 0
; COMPUTE_PGM_RSRC2:USER_SGPR: 15
; COMPUTE_PGM_RSRC2:TRAP_HANDLER: 0
; COMPUTE_PGM_RSRC2:TGID_X_EN: 1
; COMPUTE_PGM_RSRC2:TGID_Y_EN: 0
; COMPUTE_PGM_RSRC2:TGID_Z_EN: 0
; COMPUTE_PGM_RSRC2:TIDIG_COMP_CNT: 0
	.section	.text._ZN2at4cuda3cub15calc_block_sumsILi512ELi16ELb1EN3c107complexIfEEiEEvPKT2_PT3_li,"axG",@progbits,_ZN2at4cuda3cub15calc_block_sumsILi512ELi16ELb1EN3c107complexIfEEiEEvPKT2_PT3_li,comdat
	.protected	_ZN2at4cuda3cub15calc_block_sumsILi512ELi16ELb1EN3c107complexIfEEiEEvPKT2_PT3_li ; -- Begin function _ZN2at4cuda3cub15calc_block_sumsILi512ELi16ELb1EN3c107complexIfEEiEEvPKT2_PT3_li
	.globl	_ZN2at4cuda3cub15calc_block_sumsILi512ELi16ELb1EN3c107complexIfEEiEEvPKT2_PT3_li
	.p2align	8
	.type	_ZN2at4cuda3cub15calc_block_sumsILi512ELi16ELb1EN3c107complexIfEEiEEvPKT2_PT3_li,@function
_ZN2at4cuda3cub15calc_block_sumsILi512ELi16ELb1EN3c107complexIfEEiEEvPKT2_PT3_li: ; @_ZN2at4cuda3cub15calc_block_sumsILi512ELi16ELb1EN3c107complexIfEEiEEvPKT2_PT3_li
; %bb.0:
	s_clause 0x1
	s_load_b32 s26, s[0:1], 0x18
	s_load_b64 s[4:5], s[0:1], 0x10
	s_waitcnt lgkmcnt(0)
	s_lshl_b32 s3, s26, 13
	s_delay_alu instid0(SALU_CYCLE_1)
	s_ashr_i32 s6, s3, 31
	s_mul_hi_u32 s8, s3, s15
	s_mul_i32 s7, s6, s15
	s_mul_i32 s6, s3, s15
	s_add_i32 s7, s8, s7
	s_sub_u32 s24, s4, s6
	s_subb_u32 s25, s5, s7
	s_delay_alu instid0(SALU_CYCLE_1) | instskip(NEXT) | instid1(VALU_DEP_1)
	v_cmp_lt_i64_e64 s3, s[24:25], 1
	s_and_b32 vcc_lo, exec_lo, s3
	s_cbranch_vccnz .LBB915_58
; %bb.1:
	s_load_b128 s[20:23], s[0:1], 0x0
	s_mov_b32 s2, s15
	s_cmp_gt_i32 s26, 0
	s_mov_b32 s3, 0
	s_cbranch_scc1 .LBB915_3
; %bb.2:
	s_mov_b32 s0, 0
	s_mov_b32 s1, s3
	v_mov_b32_e32 v21, s0
	s_and_not1_b32 vcc_lo, exec_lo, s1
	s_mov_b32 s5, s3
	s_cbranch_vccz .LBB915_4
	s_branch .LBB915_56
.LBB915_3:
                                        ; implicit-def: $sgpr0
	v_mov_b32_e32 v21, s0
	s_mov_b32 s5, s3
.LBB915_4:
	v_lshrrev_b32_e32 v1, 3, v0
	s_mul_i32 s0, s2, s26
	v_dual_mov_b32 v21, 0 :: v_dual_add_nc_u32 v22, 0x200, v0
	s_lshl_b32 s1, s0, 13
	s_delay_alu instid0(VALU_DEP_2)
	v_dual_mov_b32 v2, 0 :: v_dual_and_b32 v37, 0x7c, v1
	v_lshlrev_b32_e32 v1, 3, v0
	s_sub_i32 s27, s4, s1
	s_lshl_b64 s[4:5], s[6:7], 3
	v_or_b32_e32 v23, 0x400, v0
	s_waitcnt lgkmcnt(0)
	s_add_u32 s1, s20, s4
	s_addc_u32 s4, s21, s5
	v_add_co_u32 v19, s1, s1, v1
	v_add_nc_u32_e32 v24, 0x600, v0
	v_or_b32_e32 v25, 0x800, v0
	v_add_nc_u32_e32 v26, 0xa00, v0
	v_or_b32_e32 v27, 0xc00, v0
	;; [unrolled: 2-line block ×6, first 2 shown]
	v_add_nc_u32_e32 v36, 0x1e00, v0
	v_cmp_gt_u32_e64 s0, 32, v0
	v_add_co_ci_u32_e64 v20, null, s4, 0, s1
	v_mbcnt_lo_u32_b32 v38, -1, 0
	s_mov_b32 s4, 0
	s_mov_b32 s1, -1
	s_mov_b32 s20, 0
	v_cmp_gt_i64_e64 s5, 0x2000, s[24:25]
                                        ; implicit-def: $vgpr1
	s_delay_alu instid0(VALU_DEP_1)
	s_and_b32 vcc_lo, exec_lo, s5
	s_mov_b32 s5, -1
	s_cbranch_vccnz .LBB915_8
.LBB915_5:
	s_and_b32 vcc_lo, exec_lo, s5
	s_cbranch_vccnz .LBB915_30
.LBB915_6:
	v_cmp_lt_i64_e64 s5, 0x2000, s[24:25]
	s_delay_alu instid0(VALU_DEP_2) | instskip(NEXT) | instid1(VALU_DEP_2)
	v_add_nc_u32_e32 v21, v1, v21
	s_and_b32 vcc_lo, exec_lo, s5
	s_cbranch_vccz .LBB915_35
.LBB915_7:
	s_add_u32 s24, s24, 0xffffe000
	s_addc_u32 s25, s25, -1
	s_add_i32 s20, s20, 1
	v_add_co_u32 v19, vcc_lo, 0x10000, v19
	s_cmp_lt_i32 s20, s26
	v_add_co_ci_u32_e32 v20, vcc_lo, 0, v20, vcc_lo
	s_cselect_b32 s5, -1, 0
	s_addk_i32 s27, 0xe000
	s_cmp_eq_u32 s26, s20
	s_mov_b32 s6, 0
	s_cselect_b32 s7, -1, 0
	s_barrier
	buffer_gl0_inv
	s_and_not1_b32 vcc_lo, exec_lo, s7
	s_cbranch_vccnz .LBB915_36
	s_branch .LBB915_52
.LBB915_8:
	s_mov_b32 s5, s4
	s_mov_b32 s6, s4
	;; [unrolled: 1-line block ×15, first 2 shown]
	v_dual_mov_b32 v3, s4 :: v_dual_mov_b32 v4, s5
	v_dual_mov_b32 v5, s6 :: v_dual_mov_b32 v6, s7
	v_dual_mov_b32 v7, s8 :: v_dual_mov_b32 v8, s9
	v_dual_mov_b32 v9, s10 :: v_dual_mov_b32 v10, s11
	v_dual_mov_b32 v11, s12 :: v_dual_mov_b32 v12, s13
	v_dual_mov_b32 v13, s14 :: v_dual_mov_b32 v14, s15
	v_dual_mov_b32 v15, s16 :: v_dual_mov_b32 v16, s17
	v_dual_mov_b32 v17, s18 :: v_dual_mov_b32 v18, s19
	s_mov_b32 s5, exec_lo
	v_cmpx_gt_u32_e64 s27, v0
	s_cbranch_execnz .LBB915_37
; %bb.9:
	s_or_b32 exec_lo, exec_lo, s5
	s_delay_alu instid0(SALU_CYCLE_1)
	s_mov_b32 s5, exec_lo
	v_cmpx_gt_u32_e64 s27, v22
	s_cbranch_execnz .LBB915_38
.LBB915_10:
	s_or_b32 exec_lo, exec_lo, s5
	s_delay_alu instid0(SALU_CYCLE_1)
	s_mov_b32 s5, exec_lo
	v_cmpx_gt_u32_e64 s27, v23
	s_cbranch_execnz .LBB915_39
.LBB915_11:
	s_or_b32 exec_lo, exec_lo, s5
	s_delay_alu instid0(SALU_CYCLE_1)
	s_mov_b32 s5, exec_lo
	v_cmpx_gt_u32_e64 s27, v24
	s_cbranch_execnz .LBB915_40
.LBB915_12:
	s_or_b32 exec_lo, exec_lo, s5
	s_delay_alu instid0(SALU_CYCLE_1)
	s_mov_b32 s5, exec_lo
	v_cmpx_gt_u32_e64 s27, v25
	s_cbranch_execnz .LBB915_41
.LBB915_13:
	s_or_b32 exec_lo, exec_lo, s5
	s_delay_alu instid0(SALU_CYCLE_1)
	s_mov_b32 s5, exec_lo
	v_cmpx_gt_u32_e64 s27, v26
	s_cbranch_execnz .LBB915_42
.LBB915_14:
	s_or_b32 exec_lo, exec_lo, s5
	s_delay_alu instid0(SALU_CYCLE_1)
	s_mov_b32 s5, exec_lo
	v_cmpx_gt_u32_e64 s27, v27
	s_cbranch_execnz .LBB915_43
.LBB915_15:
	s_or_b32 exec_lo, exec_lo, s5
	s_delay_alu instid0(SALU_CYCLE_1)
	s_mov_b32 s5, exec_lo
	v_cmpx_gt_u32_e64 s27, v28
	s_cbranch_execnz .LBB915_44
.LBB915_16:
	s_or_b32 exec_lo, exec_lo, s5
	s_delay_alu instid0(SALU_CYCLE_1)
	s_mov_b32 s5, exec_lo
	v_cmpx_gt_u32_e64 s27, v29
	s_cbranch_execnz .LBB915_45
.LBB915_17:
	s_or_b32 exec_lo, exec_lo, s5
	s_delay_alu instid0(SALU_CYCLE_1)
	s_mov_b32 s5, exec_lo
	v_cmpx_gt_u32_e64 s27, v30
	s_cbranch_execnz .LBB915_46
.LBB915_18:
	s_or_b32 exec_lo, exec_lo, s5
	s_delay_alu instid0(SALU_CYCLE_1)
	s_mov_b32 s5, exec_lo
	v_cmpx_gt_u32_e64 s27, v31
	s_cbranch_execnz .LBB915_47
.LBB915_19:
	s_or_b32 exec_lo, exec_lo, s5
	s_delay_alu instid0(SALU_CYCLE_1)
	s_mov_b32 s5, exec_lo
	v_cmpx_gt_u32_e64 s27, v32
	s_cbranch_execnz .LBB915_48
.LBB915_20:
	s_or_b32 exec_lo, exec_lo, s5
	s_delay_alu instid0(SALU_CYCLE_1)
	s_mov_b32 s5, exec_lo
	v_cmpx_gt_u32_e64 s27, v33
	s_cbranch_execnz .LBB915_49
.LBB915_21:
	s_or_b32 exec_lo, exec_lo, s5
	s_delay_alu instid0(SALU_CYCLE_1)
	s_mov_b32 s5, exec_lo
	v_cmpx_gt_u32_e64 s27, v34
	s_cbranch_execnz .LBB915_50
.LBB915_22:
	s_or_b32 exec_lo, exec_lo, s5
	s_delay_alu instid0(SALU_CYCLE_1)
	s_mov_b32 s5, exec_lo
	v_cmpx_gt_u32_e64 s27, v35
	s_cbranch_execnz .LBB915_51
.LBB915_23:
	s_or_b32 exec_lo, exec_lo, s5
	s_delay_alu instid0(SALU_CYCLE_1)
	s_mov_b32 s5, exec_lo
	v_cmpx_gt_u32_e64 s27, v36
	s_cbranch_execz .LBB915_25
.LBB915_24:
	v_add_co_u32 v39, vcc_lo, 0xf000, v19
	v_add_co_ci_u32_e32 v40, vcc_lo, 0, v20, vcc_lo
	global_load_b64 v[39:40], v[39:40], off
	s_waitcnt vmcnt(0)
	v_or_b32_e32 v1, v39, v40
	s_delay_alu instid0(VALU_DEP_1) | instskip(NEXT) | instid1(VALU_DEP_1)
	v_and_b32_e32 v1, 0x7fffffff, v1
	v_cmp_ne_u32_e32 vcc_lo, 0, v1
	v_cndmask_b32_e64 v18, 0, 1, vcc_lo
.LBB915_25:
	s_or_b32 exec_lo, exec_lo, s5
	v_add_nc_u32_e32 v1, v4, v3
	s_mov_b32 s5, exec_lo
	s_barrier
	buffer_gl0_inv
	v_add3_u32 v1, v1, v5, v6
	s_delay_alu instid0(VALU_DEP_1) | instskip(NEXT) | instid1(VALU_DEP_1)
	v_add3_u32 v1, v1, v7, v8
	v_add3_u32 v1, v1, v9, v10
	s_delay_alu instid0(VALU_DEP_1) | instskip(NEXT) | instid1(VALU_DEP_1)
	v_add3_u32 v1, v1, v11, v12
	;; [unrolled: 3-line block ×3, first 2 shown]
	v_add3_u32 v1, v1, v17, v18
	s_delay_alu instid0(VALU_DEP_1) | instskip(NEXT) | instid1(VALU_DEP_1)
	v_mov_b32_dpp v3, v1 quad_perm:[1,0,3,2] row_mask:0xf bank_mask:0xf
	v_add_nc_u32_e32 v1, v1, v3
	s_delay_alu instid0(VALU_DEP_1) | instskip(NEXT) | instid1(VALU_DEP_1)
	v_mov_b32_dpp v3, v1 quad_perm:[2,3,0,1] row_mask:0xf bank_mask:0xf
	v_add_nc_u32_e32 v1, v1, v3
	s_delay_alu instid0(VALU_DEP_1) | instskip(NEXT) | instid1(VALU_DEP_1)
	v_mov_b32_dpp v3, v1 row_ror:4 row_mask:0xf bank_mask:0xf
	v_add_nc_u32_e32 v1, v1, v3
	s_delay_alu instid0(VALU_DEP_1) | instskip(NEXT) | instid1(VALU_DEP_1)
	v_mov_b32_dpp v3, v1 row_ror:8 row_mask:0xf bank_mask:0xf
	v_add_nc_u32_e32 v1, v1, v3
	ds_swizzle_b32 v3, v1 offset:swizzle(BROADCAST,32,15)
	s_waitcnt lgkmcnt(0)
	v_add_nc_u32_e32 v1, v1, v3
	ds_bpermute_b32 v1, v2, v1 offset:124
	v_cmpx_eq_u32_e32 0, v38
	s_cbranch_execz .LBB915_27
; %bb.26:
	s_waitcnt lgkmcnt(0)
	ds_store_b32 v37, v1
.LBB915_27:
	s_or_b32 exec_lo, exec_lo, s5
	s_waitcnt lgkmcnt(0)
	s_barrier
	buffer_gl0_inv
	s_and_saveexec_b32 s5, s0
	s_cbranch_execz .LBB915_29
; %bb.28:
	v_and_b32_e32 v1, 15, v38
	s_delay_alu instid0(VALU_DEP_1) | instskip(SKIP_4) | instid1(VALU_DEP_2)
	v_lshlrev_b32_e32 v3, 2, v1
	v_cmp_ne_u32_e32 vcc_lo, 15, v1
	ds_load_b32 v3, v3
	v_add_co_ci_u32_e32 v4, vcc_lo, 0, v38, vcc_lo
	v_cmp_gt_u32_e32 vcc_lo, 14, v1
	v_lshlrev_b32_e32 v4, 2, v4
	v_cndmask_b32_e64 v5, 0, 1, vcc_lo
	v_cmp_gt_u32_e32 vcc_lo, 12, v1
	s_delay_alu instid0(VALU_DEP_2) | instskip(NEXT) | instid1(VALU_DEP_1)
	v_lshlrev_b32_e32 v5, 1, v5
	v_add_lshl_u32 v5, v5, v38, 2
	s_waitcnt lgkmcnt(0)
	ds_bpermute_b32 v4, v4, v3
	s_waitcnt lgkmcnt(0)
	v_add_nc_u32_e32 v3, v4, v3
	ds_bpermute_b32 v4, v5, v3
	v_cndmask_b32_e64 v5, 0, 1, vcc_lo
	v_cmp_gt_u32_e32 vcc_lo, 8, v1
	s_delay_alu instid0(VALU_DEP_2) | instskip(SKIP_1) | instid1(VALU_DEP_2)
	v_lshlrev_b32_e32 v5, 2, v5
	v_cndmask_b32_e64 v1, 0, 1, vcc_lo
	v_add_lshl_u32 v5, v5, v38, 2
	s_delay_alu instid0(VALU_DEP_2) | instskip(NEXT) | instid1(VALU_DEP_1)
	v_lshlrev_b32_e32 v1, 3, v1
	v_add_lshl_u32 v1, v1, v38, 2
	s_waitcnt lgkmcnt(0)
	v_add_nc_u32_e32 v3, v4, v3
	ds_bpermute_b32 v4, v5, v3
	s_waitcnt lgkmcnt(0)
	v_add_nc_u32_e32 v3, v4, v3
	ds_bpermute_b32 v1, v1, v3
	s_waitcnt lgkmcnt(0)
	v_add_nc_u32_e32 v1, v1, v3
.LBB915_29:
	s_or_b32 exec_lo, exec_lo, s5
	s_branch .LBB915_6
.LBB915_30:
	v_add_co_u32 v5, vcc_lo, v19, 0x2000
	global_load_b64 v[3:4], v[19:20], off
	v_add_co_ci_u32_e32 v6, vcc_lo, 0, v20, vcc_lo
	v_add_co_u32 v7, vcc_lo, v19, 0x4000
	v_add_co_ci_u32_e32 v8, vcc_lo, 0, v20, vcc_lo
	v_add_co_u32 v9, vcc_lo, v19, 0x6000
	;; [unrolled: 2-line block ×3, first 2 shown]
	v_add_co_ci_u32_e32 v12, vcc_lo, 0, v20, vcc_lo
	s_clause 0x6
	global_load_b64 v[13:14], v[5:6], off offset:-4096
	global_load_b64 v[5:6], v[5:6], off
	global_load_b64 v[15:16], v[7:8], off offset:-4096
	global_load_b64 v[7:8], v[7:8], off
	;; [unrolled: 2-line block ×3, first 2 shown]
	global_load_b64 v[39:40], v[11:12], off offset:-4096
	v_add_co_u32 v41, vcc_lo, v19, 0xa000
	v_add_co_ci_u32_e32 v42, vcc_lo, 0, v20, vcc_lo
	v_add_co_u32 v43, vcc_lo, v19, 0xc000
	v_add_co_ci_u32_e32 v44, vcc_lo, 0, v20, vcc_lo
	;; [unrolled: 2-line block ×4, first 2 shown]
	s_clause 0x7
	global_load_b64 v[11:12], v[11:12], off
	global_load_b64 v[49:50], v[41:42], off offset:-4096
	global_load_b64 v[41:42], v[41:42], off
	global_load_b64 v[51:52], v[43:44], off offset:-4096
	;; [unrolled: 2-line block ×3, first 2 shown]
	global_load_b64 v[45:46], v[45:46], off
	global_load_b64 v[47:48], v[47:48], off
	s_mov_b32 s5, exec_lo
	s_waitcnt vmcnt(0)
	s_barrier
	buffer_gl0_inv
	v_or_b32_e32 v1, v3, v4
	s_delay_alu instid0(VALU_DEP_1) | instskip(SKIP_2) | instid1(VALU_DEP_3)
	v_and_b32_e32 v1, 0x7fffffff, v1
	v_or_b32_e32 v3, v13, v14
	v_or_b32_e32 v4, v5, v6
	v_cmp_ne_u32_e32 vcc_lo, 0, v1
	v_or_b32_e32 v6, v7, v8
	v_or_b32_e32 v5, v15, v16
	v_and_b32_e32 v3, 0x7fffffff, v3
	v_and_b32_e32 v4, 0x7fffffff, v4
	v_cndmask_b32_e64 v1, 0, 1, vcc_lo
	v_and_b32_e32 v6, 0x7fffffff, v6
	v_and_b32_e32 v5, 0x7fffffff, v5
	v_or_b32_e32 v8, v9, v10
	v_cmp_ne_u32_e32 vcc_lo, 0, v4
	v_or_b32_e32 v7, v17, v18
	v_or_b32_e32 v9, v39, v40
	s_delay_alu instid0(VALU_DEP_4)
	v_and_b32_e32 v8, 0x7fffffff, v8
	v_cndmask_b32_e64 v4, 0, 1, vcc_lo
	v_cmp_ne_u32_e32 vcc_lo, 0, v3
	v_and_b32_e32 v7, 0x7fffffff, v7
	v_or_b32_e32 v10, v11, v12
	v_and_b32_e32 v9, 0x7fffffff, v9
	v_or_b32_e32 v12, v41, v42
	v_add_co_ci_u32_e32 v1, vcc_lo, 0, v1, vcc_lo
	v_cmp_ne_u32_e32 vcc_lo, 0, v6
	v_and_b32_e32 v10, 0x7fffffff, v10
	v_or_b32_e32 v11, v49, v50
	v_and_b32_e32 v12, 0x7fffffff, v12
	v_or_b32_e32 v14, v43, v44
	v_cndmask_b32_e64 v3, 0, 1, vcc_lo
	v_cmp_ne_u32_e32 vcc_lo, 0, v5
	v_and_b32_e32 v11, 0x7fffffff, v11
	v_or_b32_e32 v13, v51, v52
	v_and_b32_e32 v14, 0x7fffffff, v14
	v_or_b32_e32 v16, v45, v46
	v_add_co_ci_u32_e32 v1, vcc_lo, v1, v4, vcc_lo
	v_cmp_ne_u32_e32 vcc_lo, 0, v8
	v_and_b32_e32 v13, 0x7fffffff, v13
	v_or_b32_e32 v15, v53, v54
	v_and_b32_e32 v16, 0x7fffffff, v16
	v_or_b32_e32 v17, v47, v48
	v_cndmask_b32_e64 v4, 0, 1, vcc_lo
	v_cmp_ne_u32_e32 vcc_lo, 0, v7
	v_and_b32_e32 v15, 0x7fffffff, v15
	s_delay_alu instid0(VALU_DEP_4) | instskip(SKIP_4) | instid1(VALU_DEP_4)
	v_and_b32_e32 v5, 0x7fffffff, v17
	v_add_co_ci_u32_e32 v1, vcc_lo, v1, v3, vcc_lo
	v_cmp_ne_u32_e32 vcc_lo, 0, v10
	v_cndmask_b32_e64 v3, 0, 1, vcc_lo
	v_cmp_ne_u32_e32 vcc_lo, 0, v9
	v_add_co_ci_u32_e32 v1, vcc_lo, v1, v4, vcc_lo
	v_cmp_ne_u32_e32 vcc_lo, 0, v12
	v_cndmask_b32_e64 v4, 0, 1, vcc_lo
	v_cmp_ne_u32_e32 vcc_lo, 0, v11
	s_delay_alu instid0(VALU_DEP_4) | instskip(SKIP_3) | instid1(VALU_DEP_4)
	v_add_co_ci_u32_e32 v1, vcc_lo, v1, v3, vcc_lo
	v_cmp_ne_u32_e32 vcc_lo, 0, v14
	v_cndmask_b32_e64 v3, 0, 1, vcc_lo
	v_cmp_ne_u32_e32 vcc_lo, 0, v13
	v_add_co_ci_u32_e32 v1, vcc_lo, v1, v4, vcc_lo
	v_cmp_ne_u32_e32 vcc_lo, 0, v16
	v_cndmask_b32_e64 v4, 0, 1, vcc_lo
	v_cmp_ne_u32_e32 vcc_lo, 0, v15
	s_delay_alu instid0(VALU_DEP_4) | instskip(SKIP_1) | instid1(VALU_DEP_2)
	v_add_co_ci_u32_e32 v1, vcc_lo, v1, v3, vcc_lo
	v_cmp_ne_u32_e32 vcc_lo, 0, v5
	v_add_co_ci_u32_e32 v1, vcc_lo, v1, v4, vcc_lo
	s_delay_alu instid0(VALU_DEP_1) | instskip(NEXT) | instid1(VALU_DEP_1)
	v_mov_b32_dpp v3, v1 quad_perm:[1,0,3,2] row_mask:0xf bank_mask:0xf
	v_add_nc_u32_e32 v1, v3, v1
	s_delay_alu instid0(VALU_DEP_1) | instskip(NEXT) | instid1(VALU_DEP_1)
	v_mov_b32_dpp v3, v1 quad_perm:[2,3,0,1] row_mask:0xf bank_mask:0xf
	v_add_nc_u32_e32 v1, v1, v3
	s_delay_alu instid0(VALU_DEP_1) | instskip(NEXT) | instid1(VALU_DEP_1)
	v_mov_b32_dpp v3, v1 row_ror:4 row_mask:0xf bank_mask:0xf
	v_add_nc_u32_e32 v1, v1, v3
	s_delay_alu instid0(VALU_DEP_1) | instskip(NEXT) | instid1(VALU_DEP_1)
	v_mov_b32_dpp v3, v1 row_ror:8 row_mask:0xf bank_mask:0xf
	v_add_nc_u32_e32 v1, v1, v3
	ds_swizzle_b32 v3, v1 offset:swizzle(BROADCAST,32,15)
	s_waitcnt lgkmcnt(0)
	v_add_nc_u32_e32 v1, v1, v3
	ds_bpermute_b32 v1, v2, v1 offset:124
	v_cmpx_eq_u32_e32 0, v38
	s_cbranch_execz .LBB915_32
; %bb.31:
	s_waitcnt lgkmcnt(0)
	ds_store_b32 v37, v1
.LBB915_32:
	s_or_b32 exec_lo, exec_lo, s5
	s_waitcnt lgkmcnt(0)
	s_barrier
	buffer_gl0_inv
	s_and_saveexec_b32 s5, s0
	s_cbranch_execz .LBB915_34
; %bb.33:
	v_and_b32_e32 v1, 15, v38
	s_delay_alu instid0(VALU_DEP_1) | instskip(SKIP_4) | instid1(VALU_DEP_2)
	v_lshlrev_b32_e32 v3, 2, v1
	v_cmp_ne_u32_e32 vcc_lo, 15, v1
	ds_load_b32 v3, v3
	v_add_co_ci_u32_e32 v4, vcc_lo, 0, v38, vcc_lo
	v_cmp_gt_u32_e32 vcc_lo, 14, v1
	v_lshlrev_b32_e32 v4, 2, v4
	v_cndmask_b32_e64 v5, 0, 1, vcc_lo
	v_cmp_gt_u32_e32 vcc_lo, 12, v1
	s_delay_alu instid0(VALU_DEP_2) | instskip(NEXT) | instid1(VALU_DEP_1)
	v_lshlrev_b32_e32 v5, 1, v5
	v_add_lshl_u32 v5, v5, v38, 2
	s_waitcnt lgkmcnt(0)
	ds_bpermute_b32 v4, v4, v3
	s_waitcnt lgkmcnt(0)
	v_add_nc_u32_e32 v3, v4, v3
	ds_bpermute_b32 v4, v5, v3
	v_cndmask_b32_e64 v5, 0, 1, vcc_lo
	v_cmp_gt_u32_e32 vcc_lo, 8, v1
	s_delay_alu instid0(VALU_DEP_2) | instskip(SKIP_1) | instid1(VALU_DEP_2)
	v_lshlrev_b32_e32 v5, 2, v5
	v_cndmask_b32_e64 v1, 0, 1, vcc_lo
	v_add_lshl_u32 v5, v5, v38, 2
	s_delay_alu instid0(VALU_DEP_2) | instskip(NEXT) | instid1(VALU_DEP_1)
	v_lshlrev_b32_e32 v1, 3, v1
	v_add_lshl_u32 v1, v1, v38, 2
	s_waitcnt lgkmcnt(0)
	v_add_nc_u32_e32 v3, v4, v3
	ds_bpermute_b32 v4, v5, v3
	s_waitcnt lgkmcnt(0)
	v_add_nc_u32_e32 v3, v4, v3
	ds_bpermute_b32 v1, v1, v3
	s_waitcnt lgkmcnt(0)
	v_add_nc_u32_e32 v1, v1, v3
.LBB915_34:
	s_or_b32 exec_lo, exec_lo, s5
	v_cmp_lt_i64_e64 s5, 0x2000, s[24:25]
	s_delay_alu instid0(VALU_DEP_2) | instskip(NEXT) | instid1(VALU_DEP_2)
	v_add_nc_u32_e32 v21, v1, v21
	s_and_b32 vcc_lo, exec_lo, s5
	s_cbranch_vccnz .LBB915_7
.LBB915_35:
	s_mov_b32 s6, -1
                                        ; implicit-def: $sgpr20
                                        ; implicit-def: $sgpr24_sgpr25
                                        ; implicit-def: $sgpr27
                                        ; implicit-def: $vgpr19_vgpr20
                                        ; implicit-def: $sgpr5
	s_branch .LBB915_52
.LBB915_36:
	s_mov_b32 s1, s5
	v_cmp_gt_i64_e64 s5, 0x2000, s[24:25]
                                        ; implicit-def: $vgpr1
	s_delay_alu instid0(VALU_DEP_1)
	s_and_b32 vcc_lo, exec_lo, s5
	s_mov_b32 s5, -1
	s_cbranch_vccnz .LBB915_8
	s_branch .LBB915_5
.LBB915_37:
	global_load_b64 v[4:5], v[19:20], off
	v_mov_b32_e32 v16, v2
	v_mov_b32_e32 v3, v2
	;; [unrolled: 1-line block ×11, first 2 shown]
	s_waitcnt vmcnt(0)
	v_or_b32_e32 v1, v4, v5
	v_mov_b32_e32 v4, v2
	v_mov_b32_e32 v5, v2
	s_delay_alu instid0(VALU_DEP_3) | instskip(NEXT) | instid1(VALU_DEP_1)
	v_and_b32_e32 v1, 0x7fffffff, v1
	v_cmp_ne_u32_e32 vcc_lo, 0, v1
	v_cndmask_b32_e64 v1, 0, 1, vcc_lo
	s_delay_alu instid0(VALU_DEP_1)
	v_dual_mov_b32 v6, v2 :: v_dual_and_b32 v1, 0xffff, v1
	v_mov_b32_e32 v18, v16
	v_dual_mov_b32 v17, v15 :: v_dual_mov_b32 v16, v14
	v_mov_b32_e32 v15, v13
	v_mov_b32_e32 v14, v12
	;; [unrolled: 1-line block ×13, first 2 shown]
	s_or_b32 exec_lo, exec_lo, s5
	s_delay_alu instid0(SALU_CYCLE_1)
	s_mov_b32 s5, exec_lo
	v_cmpx_gt_u32_e64 s27, v22
	s_cbranch_execz .LBB915_10
.LBB915_38:
	v_add_co_u32 v39, vcc_lo, 0x1000, v19
	v_add_co_ci_u32_e32 v40, vcc_lo, 0, v20, vcc_lo
	global_load_b64 v[39:40], v[39:40], off
	s_waitcnt vmcnt(0)
	v_or_b32_e32 v1, v39, v40
	s_delay_alu instid0(VALU_DEP_1) | instskip(NEXT) | instid1(VALU_DEP_1)
	v_and_b32_e32 v1, 0x7fffffff, v1
	v_cmp_ne_u32_e32 vcc_lo, 0, v1
	v_cndmask_b32_e64 v4, 0, 1, vcc_lo
	s_or_b32 exec_lo, exec_lo, s5
	s_delay_alu instid0(SALU_CYCLE_1)
	s_mov_b32 s5, exec_lo
	v_cmpx_gt_u32_e64 s27, v23
	s_cbranch_execz .LBB915_11
.LBB915_39:
	v_add_co_u32 v39, vcc_lo, 0x2000, v19
	v_add_co_ci_u32_e32 v40, vcc_lo, 0, v20, vcc_lo
	global_load_b64 v[39:40], v[39:40], off
	s_waitcnt vmcnt(0)
	v_or_b32_e32 v1, v39, v40
	s_delay_alu instid0(VALU_DEP_1) | instskip(NEXT) | instid1(VALU_DEP_1)
	v_and_b32_e32 v1, 0x7fffffff, v1
	v_cmp_ne_u32_e32 vcc_lo, 0, v1
	v_cndmask_b32_e64 v5, 0, 1, vcc_lo
	s_or_b32 exec_lo, exec_lo, s5
	s_delay_alu instid0(SALU_CYCLE_1)
	s_mov_b32 s5, exec_lo
	v_cmpx_gt_u32_e64 s27, v24
	s_cbranch_execz .LBB915_12
.LBB915_40:
	v_add_co_u32 v39, vcc_lo, 0x3000, v19
	v_add_co_ci_u32_e32 v40, vcc_lo, 0, v20, vcc_lo
	global_load_b64 v[39:40], v[39:40], off
	s_waitcnt vmcnt(0)
	v_or_b32_e32 v1, v39, v40
	s_delay_alu instid0(VALU_DEP_1) | instskip(NEXT) | instid1(VALU_DEP_1)
	v_and_b32_e32 v1, 0x7fffffff, v1
	v_cmp_ne_u32_e32 vcc_lo, 0, v1
	v_cndmask_b32_e64 v6, 0, 1, vcc_lo
	s_or_b32 exec_lo, exec_lo, s5
	s_delay_alu instid0(SALU_CYCLE_1)
	s_mov_b32 s5, exec_lo
	v_cmpx_gt_u32_e64 s27, v25
	s_cbranch_execz .LBB915_13
.LBB915_41:
	v_add_co_u32 v39, vcc_lo, 0x4000, v19
	v_add_co_ci_u32_e32 v40, vcc_lo, 0, v20, vcc_lo
	global_load_b64 v[39:40], v[39:40], off
	s_waitcnt vmcnt(0)
	v_or_b32_e32 v1, v39, v40
	s_delay_alu instid0(VALU_DEP_1) | instskip(NEXT) | instid1(VALU_DEP_1)
	v_and_b32_e32 v1, 0x7fffffff, v1
	v_cmp_ne_u32_e32 vcc_lo, 0, v1
	v_cndmask_b32_e64 v7, 0, 1, vcc_lo
	s_or_b32 exec_lo, exec_lo, s5
	s_delay_alu instid0(SALU_CYCLE_1)
	s_mov_b32 s5, exec_lo
	v_cmpx_gt_u32_e64 s27, v26
	s_cbranch_execz .LBB915_14
.LBB915_42:
	v_add_co_u32 v39, vcc_lo, 0x5000, v19
	v_add_co_ci_u32_e32 v40, vcc_lo, 0, v20, vcc_lo
	global_load_b64 v[39:40], v[39:40], off
	s_waitcnt vmcnt(0)
	v_or_b32_e32 v1, v39, v40
	s_delay_alu instid0(VALU_DEP_1) | instskip(NEXT) | instid1(VALU_DEP_1)
	v_and_b32_e32 v1, 0x7fffffff, v1
	v_cmp_ne_u32_e32 vcc_lo, 0, v1
	v_cndmask_b32_e64 v8, 0, 1, vcc_lo
	s_or_b32 exec_lo, exec_lo, s5
	s_delay_alu instid0(SALU_CYCLE_1)
	s_mov_b32 s5, exec_lo
	v_cmpx_gt_u32_e64 s27, v27
	s_cbranch_execz .LBB915_15
.LBB915_43:
	v_add_co_u32 v39, vcc_lo, 0x6000, v19
	v_add_co_ci_u32_e32 v40, vcc_lo, 0, v20, vcc_lo
	global_load_b64 v[39:40], v[39:40], off
	s_waitcnt vmcnt(0)
	v_or_b32_e32 v1, v39, v40
	s_delay_alu instid0(VALU_DEP_1) | instskip(NEXT) | instid1(VALU_DEP_1)
	v_and_b32_e32 v1, 0x7fffffff, v1
	v_cmp_ne_u32_e32 vcc_lo, 0, v1
	v_cndmask_b32_e64 v9, 0, 1, vcc_lo
	s_or_b32 exec_lo, exec_lo, s5
	s_delay_alu instid0(SALU_CYCLE_1)
	s_mov_b32 s5, exec_lo
	v_cmpx_gt_u32_e64 s27, v28
	s_cbranch_execz .LBB915_16
.LBB915_44:
	v_add_co_u32 v39, vcc_lo, 0x7000, v19
	v_add_co_ci_u32_e32 v40, vcc_lo, 0, v20, vcc_lo
	global_load_b64 v[39:40], v[39:40], off
	s_waitcnt vmcnt(0)
	v_or_b32_e32 v1, v39, v40
	s_delay_alu instid0(VALU_DEP_1) | instskip(NEXT) | instid1(VALU_DEP_1)
	v_and_b32_e32 v1, 0x7fffffff, v1
	v_cmp_ne_u32_e32 vcc_lo, 0, v1
	v_cndmask_b32_e64 v10, 0, 1, vcc_lo
	s_or_b32 exec_lo, exec_lo, s5
	s_delay_alu instid0(SALU_CYCLE_1)
	s_mov_b32 s5, exec_lo
	v_cmpx_gt_u32_e64 s27, v29
	s_cbranch_execz .LBB915_17
.LBB915_45:
	v_add_co_u32 v39, vcc_lo, 0x8000, v19
	v_add_co_ci_u32_e32 v40, vcc_lo, 0, v20, vcc_lo
	global_load_b64 v[39:40], v[39:40], off
	s_waitcnt vmcnt(0)
	v_or_b32_e32 v1, v39, v40
	s_delay_alu instid0(VALU_DEP_1) | instskip(NEXT) | instid1(VALU_DEP_1)
	v_and_b32_e32 v1, 0x7fffffff, v1
	v_cmp_ne_u32_e32 vcc_lo, 0, v1
	v_cndmask_b32_e64 v11, 0, 1, vcc_lo
	s_or_b32 exec_lo, exec_lo, s5
	s_delay_alu instid0(SALU_CYCLE_1)
	s_mov_b32 s5, exec_lo
	v_cmpx_gt_u32_e64 s27, v30
	s_cbranch_execz .LBB915_18
.LBB915_46:
	v_add_co_u32 v39, vcc_lo, 0x9000, v19
	v_add_co_ci_u32_e32 v40, vcc_lo, 0, v20, vcc_lo
	global_load_b64 v[39:40], v[39:40], off
	s_waitcnt vmcnt(0)
	v_or_b32_e32 v1, v39, v40
	s_delay_alu instid0(VALU_DEP_1) | instskip(NEXT) | instid1(VALU_DEP_1)
	v_and_b32_e32 v1, 0x7fffffff, v1
	v_cmp_ne_u32_e32 vcc_lo, 0, v1
	v_cndmask_b32_e64 v12, 0, 1, vcc_lo
	s_or_b32 exec_lo, exec_lo, s5
	s_delay_alu instid0(SALU_CYCLE_1)
	s_mov_b32 s5, exec_lo
	v_cmpx_gt_u32_e64 s27, v31
	s_cbranch_execz .LBB915_19
.LBB915_47:
	v_add_co_u32 v39, vcc_lo, 0xa000, v19
	v_add_co_ci_u32_e32 v40, vcc_lo, 0, v20, vcc_lo
	global_load_b64 v[39:40], v[39:40], off
	s_waitcnt vmcnt(0)
	v_or_b32_e32 v1, v39, v40
	s_delay_alu instid0(VALU_DEP_1) | instskip(NEXT) | instid1(VALU_DEP_1)
	v_and_b32_e32 v1, 0x7fffffff, v1
	v_cmp_ne_u32_e32 vcc_lo, 0, v1
	v_cndmask_b32_e64 v13, 0, 1, vcc_lo
	s_or_b32 exec_lo, exec_lo, s5
	s_delay_alu instid0(SALU_CYCLE_1)
	s_mov_b32 s5, exec_lo
	v_cmpx_gt_u32_e64 s27, v32
	s_cbranch_execz .LBB915_20
.LBB915_48:
	v_add_co_u32 v39, vcc_lo, 0xb000, v19
	v_add_co_ci_u32_e32 v40, vcc_lo, 0, v20, vcc_lo
	global_load_b64 v[39:40], v[39:40], off
	s_waitcnt vmcnt(0)
	v_or_b32_e32 v1, v39, v40
	s_delay_alu instid0(VALU_DEP_1) | instskip(NEXT) | instid1(VALU_DEP_1)
	v_and_b32_e32 v1, 0x7fffffff, v1
	v_cmp_ne_u32_e32 vcc_lo, 0, v1
	v_cndmask_b32_e64 v14, 0, 1, vcc_lo
	s_or_b32 exec_lo, exec_lo, s5
	s_delay_alu instid0(SALU_CYCLE_1)
	s_mov_b32 s5, exec_lo
	v_cmpx_gt_u32_e64 s27, v33
	s_cbranch_execz .LBB915_21
.LBB915_49:
	v_add_co_u32 v39, vcc_lo, 0xc000, v19
	v_add_co_ci_u32_e32 v40, vcc_lo, 0, v20, vcc_lo
	global_load_b64 v[39:40], v[39:40], off
	s_waitcnt vmcnt(0)
	v_or_b32_e32 v1, v39, v40
	s_delay_alu instid0(VALU_DEP_1) | instskip(NEXT) | instid1(VALU_DEP_1)
	v_and_b32_e32 v1, 0x7fffffff, v1
	v_cmp_ne_u32_e32 vcc_lo, 0, v1
	v_cndmask_b32_e64 v15, 0, 1, vcc_lo
	s_or_b32 exec_lo, exec_lo, s5
	s_delay_alu instid0(SALU_CYCLE_1)
	s_mov_b32 s5, exec_lo
	v_cmpx_gt_u32_e64 s27, v34
	s_cbranch_execz .LBB915_22
.LBB915_50:
	v_add_co_u32 v39, vcc_lo, 0xd000, v19
	v_add_co_ci_u32_e32 v40, vcc_lo, 0, v20, vcc_lo
	global_load_b64 v[39:40], v[39:40], off
	s_waitcnt vmcnt(0)
	v_or_b32_e32 v1, v39, v40
	s_delay_alu instid0(VALU_DEP_1) | instskip(NEXT) | instid1(VALU_DEP_1)
	v_and_b32_e32 v1, 0x7fffffff, v1
	v_cmp_ne_u32_e32 vcc_lo, 0, v1
	v_cndmask_b32_e64 v16, 0, 1, vcc_lo
	s_or_b32 exec_lo, exec_lo, s5
	s_delay_alu instid0(SALU_CYCLE_1)
	s_mov_b32 s5, exec_lo
	v_cmpx_gt_u32_e64 s27, v35
	s_cbranch_execz .LBB915_23
.LBB915_51:
	v_add_co_u32 v39, vcc_lo, 0xe000, v19
	v_add_co_ci_u32_e32 v40, vcc_lo, 0, v20, vcc_lo
	global_load_b64 v[39:40], v[39:40], off
	s_waitcnt vmcnt(0)
	v_or_b32_e32 v1, v39, v40
	s_delay_alu instid0(VALU_DEP_1) | instskip(NEXT) | instid1(VALU_DEP_1)
	v_and_b32_e32 v1, 0x7fffffff, v1
	v_cmp_ne_u32_e32 vcc_lo, 0, v1
	v_cndmask_b32_e64 v17, 0, 1, vcc_lo
	s_or_b32 exec_lo, exec_lo, s5
	s_delay_alu instid0(SALU_CYCLE_1)
	s_mov_b32 s5, exec_lo
	v_cmpx_gt_u32_e64 s27, v36
	s_cbranch_execnz .LBB915_24
	s_branch .LBB915_25
.LBB915_52:
	s_and_b32 vcc_lo, exec_lo, s6
	s_cbranch_vccz .LBB915_56
; %bb.53:
	s_mov_b32 s0, exec_lo
	v_cmpx_eq_u32_e32 0, v0
	s_cbranch_execz .LBB915_55
; %bb.54:
	s_lshl_b64 s[4:5], s[2:3], 2
	v_mov_b32_e32 v0, 0
	s_add_u32 s4, s22, s4
	s_addc_u32 s5, s23, s5
	global_store_b32 v0, v21, s[4:5]
.LBB915_55:
	s_or_b32 exec_lo, exec_lo, s0
	s_mov_b32 s5, s1
.LBB915_56:
	v_cmp_eq_u32_e32 vcc_lo, 0, v0
	s_xor_b32 s0, s5, -1
	s_delay_alu instid0(SALU_CYCLE_1) | instskip(NEXT) | instid1(SALU_CYCLE_1)
	s_and_b32 s0, vcc_lo, s0
	s_and_saveexec_b32 s1, s0
	s_cbranch_execz .LBB915_58
; %bb.57:
	s_lshl_b64 s[0:1], s[2:3], 2
	v_mov_b32_e32 v0, 0
	s_waitcnt lgkmcnt(0)
	s_add_u32 s0, s22, s0
	s_addc_u32 s1, s23, s1
	global_store_b32 v0, v21, s[0:1]
.LBB915_58:
	s_nop 0
	s_sendmsg sendmsg(MSG_DEALLOC_VGPRS)
	s_endpgm
	.section	.rodata,"a",@progbits
	.p2align	6, 0x0
	.amdhsa_kernel _ZN2at4cuda3cub15calc_block_sumsILi512ELi16ELb1EN3c107complexIfEEiEEvPKT2_PT3_li
		.amdhsa_group_segment_fixed_size 64
		.amdhsa_private_segment_fixed_size 0
		.amdhsa_kernarg_size 28
		.amdhsa_user_sgpr_count 15
		.amdhsa_user_sgpr_dispatch_ptr 0
		.amdhsa_user_sgpr_queue_ptr 0
		.amdhsa_user_sgpr_kernarg_segment_ptr 1
		.amdhsa_user_sgpr_dispatch_id 0
		.amdhsa_user_sgpr_private_segment_size 0
		.amdhsa_wavefront_size32 1
		.amdhsa_uses_dynamic_stack 0
		.amdhsa_enable_private_segment 0
		.amdhsa_system_sgpr_workgroup_id_x 1
		.amdhsa_system_sgpr_workgroup_id_y 0
		.amdhsa_system_sgpr_workgroup_id_z 0
		.amdhsa_system_sgpr_workgroup_info 0
		.amdhsa_system_vgpr_workitem_id 0
		.amdhsa_next_free_vgpr 55
		.amdhsa_next_free_sgpr 28
		.amdhsa_reserve_vcc 1
		.amdhsa_float_round_mode_32 0
		.amdhsa_float_round_mode_16_64 0
		.amdhsa_float_denorm_mode_32 3
		.amdhsa_float_denorm_mode_16_64 3
		.amdhsa_dx10_clamp 1
		.amdhsa_ieee_mode 1
		.amdhsa_fp16_overflow 0
		.amdhsa_workgroup_processor_mode 1
		.amdhsa_memory_ordered 1
		.amdhsa_forward_progress 0
		.amdhsa_shared_vgpr_count 0
		.amdhsa_exception_fp_ieee_invalid_op 0
		.amdhsa_exception_fp_denorm_src 0
		.amdhsa_exception_fp_ieee_div_zero 0
		.amdhsa_exception_fp_ieee_overflow 0
		.amdhsa_exception_fp_ieee_underflow 0
		.amdhsa_exception_fp_ieee_inexact 0
		.amdhsa_exception_int_div_zero 0
	.end_amdhsa_kernel
	.section	.text._ZN2at4cuda3cub15calc_block_sumsILi512ELi16ELb1EN3c107complexIfEEiEEvPKT2_PT3_li,"axG",@progbits,_ZN2at4cuda3cub15calc_block_sumsILi512ELi16ELb1EN3c107complexIfEEiEEvPKT2_PT3_li,comdat
.Lfunc_end915:
	.size	_ZN2at4cuda3cub15calc_block_sumsILi512ELi16ELb1EN3c107complexIfEEiEEvPKT2_PT3_li, .Lfunc_end915-_ZN2at4cuda3cub15calc_block_sumsILi512ELi16ELb1EN3c107complexIfEEiEEvPKT2_PT3_li
                                        ; -- End function
	.section	.AMDGPU.csdata,"",@progbits
; Kernel info:
; codeLenInByte = 3968
; NumSgprs: 30
; NumVgprs: 55
; ScratchSize: 0
; MemoryBound: 0
; FloatMode: 240
; IeeeMode: 1
; LDSByteSize: 64 bytes/workgroup (compile time only)
; SGPRBlocks: 3
; VGPRBlocks: 6
; NumSGPRsForWavesPerEU: 30
; NumVGPRsForWavesPerEU: 55
; Occupancy: 16
; WaveLimiterHint : 1
; COMPUTE_PGM_RSRC2:SCRATCH_EN: 0
; COMPUTE_PGM_RSRC2:USER_SGPR: 15
; COMPUTE_PGM_RSRC2:TRAP_HANDLER: 0
; COMPUTE_PGM_RSRC2:TGID_X_EN: 1
; COMPUTE_PGM_RSRC2:TGID_Y_EN: 0
; COMPUTE_PGM_RSRC2:TGID_Z_EN: 0
; COMPUTE_PGM_RSRC2:TIDIG_COMP_CNT: 0
	.section	.text._ZN2at6native12_GLOBAL__N_111flag_kernelILi512ELi16EN3c107complexIfEEEEvPKT1_PlPKllli,"axG",@progbits,_ZN2at6native12_GLOBAL__N_111flag_kernelILi512ELi16EN3c107complexIfEEEEvPKT1_PlPKllli,comdat
	.globl	_ZN2at6native12_GLOBAL__N_111flag_kernelILi512ELi16EN3c107complexIfEEEEvPKT1_PlPKllli ; -- Begin function _ZN2at6native12_GLOBAL__N_111flag_kernelILi512ELi16EN3c107complexIfEEEEvPKT1_PlPKllli
	.p2align	8
	.type	_ZN2at6native12_GLOBAL__N_111flag_kernelILi512ELi16EN3c107complexIfEEEEvPKT1_PlPKllli,@function
_ZN2at6native12_GLOBAL__N_111flag_kernelILi512ELi16EN3c107complexIfEEEEvPKT1_PlPKllli: ; @_ZN2at6native12_GLOBAL__N_111flag_kernelILi512ELi16EN3c107complexIfEEEEvPKT1_PlPKllli
; %bb.0:
	s_clause 0x1
	s_load_b32 s14, s[0:1], 0x28
	s_load_b256 s[4:11], s[0:1], 0x0
	s_waitcnt lgkmcnt(0)
	s_lshl_b32 s2, s14, 13
	s_delay_alu instid0(SALU_CYCLE_1) | instskip(SKIP_4) | instid1(SALU_CYCLE_1)
	s_ashr_i32 s3, s2, 31
	s_mul_hi_u32 s12, s2, s15
	s_mul_i32 s3, s3, s15
	s_mul_i32 s42, s2, s15
	s_add_i32 s43, s12, s3
	v_cmp_le_i64_e64 s2, s[10:11], s[42:43]
	s_delay_alu instid0(VALU_DEP_1)
	s_and_b32 vcc_lo, exec_lo, s2
	s_cbranch_vccnz .LBB916_100
; %bb.1:
	s_load_b64 s[2:3], s[0:1], 0x20
	s_cmp_eq_u32 s15, 0
	s_mov_b32 s13, 0
	s_cbranch_scc1 .LBB916_3
; %bb.2:
	s_add_i32 s12, s15, -1
	s_delay_alu instid0(SALU_CYCLE_1) | instskip(NEXT) | instid1(SALU_CYCLE_1)
	s_lshl_b64 s[12:13], s[12:13], 3
	s_add_u32 s8, s8, s12
	s_addc_u32 s9, s9, s13
	s_load_b64 s[8:9], s[8:9], 0x0
	s_cmp_lt_i32 s14, 1
	s_cbranch_scc0 .LBB916_4
	s_branch .LBB916_100
.LBB916_3:
	s_mov_b64 s[8:9], 0
	s_cmp_lt_i32 s14, 1
	s_cbranch_scc1 .LBB916_100
.LBB916_4:
	s_lshl_b64 s[12:13], s[42:43], 3
	v_mbcnt_lo_u32_b32 v2, -1, 0
	s_add_u32 s66, s4, s12
	s_addc_u32 s67, s5, s13
	s_waitcnt lgkmcnt(0)
	s_sub_u32 s60, s2, s8
	s_subb_u32 s61, s3, s9
	v_dual_mov_b32 v1, 0 :: v_dual_and_b32 v4, 0x3e0, v0
	v_and_b32_e32 v5, 15, v2
	s_sub_u32 s62, s10, s42
	s_subb_u32 s63, s11, s43
	s_lshl_b64 s[2:3], s[8:9], 3
	v_min_u32_e32 v7, 0x1e0, v4
	s_add_u32 s68, s6, s2
	s_addc_u32 s69, s7, s3
	v_cmp_eq_u32_e64 s2, 0, v5
	v_cmp_lt_u32_e64 s3, 1, v5
	v_cmp_lt_u32_e64 s4, 3, v5
	;; [unrolled: 1-line block ×3, first 2 shown]
	v_add_nc_u32_e32 v5, -1, v2
	v_lshlrev_b32_e32 v3, 4, v0
	v_or_b32_e32 v7, 31, v7
	v_and_b32_e32 v8, 16, v2
	v_lshrrev_b32_e32 v9, 3, v0
	v_cmp_gt_i32_e32 vcc_lo, 0, v5
	v_and_b32_e32 v6, 0x3e00, v3
	v_cmp_eq_u32_e64 s7, v7, v0
	v_lshrrev_b32_e32 v7, 1, v0
	v_cmp_eq_u32_e64 s6, 0, v8
	v_cndmask_b32_e32 v5, v5, v2, vcc_lo
	v_or_b32_e32 v8, 0x800, v0
	v_and_b32_e32 v21, 0x7c, v9
	v_add_lshl_u32 v25, v7, v3, 2
	v_or_b32_e32 v3, 0x400, v0
	v_lshlrev_b32_e32 v24, 2, v5
	v_add_nc_u32_e32 v5, 0x200, v0
	v_add_nc_u32_e32 v7, 0x600, v0
	v_lshlrev_b32_e32 v22, 2, v0
	v_lshrrev_b32_e32 v3, 3, v3
	v_add_nc_u32_e32 v9, 0xa00, v0
	v_lshrrev_b32_e32 v5, 3, v5
	v_lshrrev_b32_e32 v7, 3, v7
	;; [unrolled: 1-line block ×3, first 2 shown]
	v_and_b32_e32 v3, 0xfc, v3
	v_lshrrev_b32_e32 v9, 3, v9
	v_and_b32_e32 v5, 0xfc, v5
	v_or_b32_e32 v39, v2, v6
	v_or_b32_e32 v4, v2, v4
	v_add_nc_u32_e32 v28, v22, v3
	v_or_b32_e32 v3, 0xc00, v0
	v_add_nc_u32_e32 v27, v22, v5
	v_and_b32_e32 v5, 0x1fc, v7
	v_and_b32_e32 v7, 0x17c, v8
	;; [unrolled: 1-line block ×3, first 2 shown]
	v_lshrrev_b32_e32 v3, 3, v3
	v_or_b32_e32 v9, 0x1400, v0
	v_add_nc_u32_e32 v29, v22, v5
	v_add_nc_u32_e32 v30, v22, v7
	;; [unrolled: 1-line block ×3, first 2 shown]
	v_or_b32_e32 v7, 0x1000, v0
	v_add_nc_u32_e32 v31, v22, v8
	v_add_nc_u32_e32 v8, 0x1200, v0
	v_and_b32_e32 v3, 0x1fc, v3
	v_lshrrev_b32_e32 v5, 3, v5
	v_lshrrev_b32_e32 v7, 3, v7
	;; [unrolled: 1-line block ×4, first 2 shown]
	v_add_nc_u32_e32 v32, v22, v3
	v_and_b32_e32 v5, 0x3fc, v5
	v_and_b32_e32 v3, 0x27c, v7
	v_or_b32_e32 v43, 32, v39
	v_and_b32_e32 v7, 0x2fc, v8
	v_and_b32_e32 v8, 0x2fc, v9
	v_add_nc_u32_e32 v33, v22, v5
	v_add_nc_u32_e32 v5, 0x1600, v0
	;; [unrolled: 1-line block ×3, first 2 shown]
	v_or_b32_e32 v3, 0x1800, v0
	v_add_nc_u32_e32 v35, v22, v7
	v_add_nc_u32_e32 v36, v22, v8
	v_lshrrev_b32_e32 v5, 3, v5
	v_add_nc_u32_e32 v7, 0x1a00, v0
	v_or_b32_e32 v8, 0x1c00, v0
	v_lshrrev_b32_e32 v3, 3, v3
	v_add_nc_u32_e32 v9, 0x1e00, v0
	v_and_b32_e32 v5, 0x3fc, v5
	v_lshrrev_b32_e32 v7, 3, v7
	v_lshrrev_b32_e32 v8, 3, v8
	v_and_b32_e32 v3, 0x37c, v3
	v_lshrrev_b32_e32 v9, 3, v9
	v_add_nc_u32_e32 v37, v22, v5
	v_and_b32_e32 v5, 0x3fc, v7
	v_and_b32_e32 v7, 0x3fc, v8
	v_add_nc_u32_e32 v38, v22, v3
	v_or_b32_e32 v44, 64, v39
	v_or_b32_e32 v45, 0x60, v39
	v_lshrrev_b32_e32 v3, 5, v6
	v_and_b32_e32 v8, 0x7fc, v9
	v_add_nc_u32_e32 v40, v22, v5
	v_add_nc_u32_e32 v41, v22, v7
	v_or_b32_e32 v46, 0x80, v39
	v_or_b32_e32 v47, 0xa0, v39
	;; [unrolled: 1-line block ×4, first 2 shown]
	v_lshrrev_b32_e32 v5, 5, v43
	v_lshrrev_b32_e32 v7, 5, v44
	v_add_lshl_u32 v58, v3, v39, 2
	v_lshrrev_b32_e32 v3, 5, v45
	v_add_nc_u32_e32 v42, v22, v8
	v_or_b32_e32 v49, 0xe0, v39
	v_or_b32_e32 v51, 0x120, v39
	;; [unrolled: 1-line block ×4, first 2 shown]
	v_add_lshl_u32 v59, v5, v43, 2
	v_add_lshl_u32 v60, v7, v44, 2
	v_lshrrev_b32_e32 v5, 5, v46
	v_lshrrev_b32_e32 v7, 5, v47
	;; [unrolled: 1-line block ×3, first 2 shown]
	v_add_lshl_u32 v61, v3, v45, 2
	v_lshrrev_b32_e32 v3, 5, v50
	v_or_b32_e32 v54, 0x180, v39
	v_or_b32_e32 v55, 0x1a0, v39
	;; [unrolled: 1-line block ×4, first 2 shown]
	v_lshrrev_b32_e32 v9, 5, v49
	v_add_lshl_u32 v62, v5, v46, 2
	v_add_lshl_u32 v63, v7, v47, 2
	v_add_lshl_u32 v64, v8, v48, 2
	v_lshrrev_b32_e32 v5, 5, v51
	v_lshrrev_b32_e32 v7, 5, v52
	;; [unrolled: 1-line block ×3, first 2 shown]
	v_add_lshl_u32 v66, v3, v50, 2
	v_lshlrev_b32_e32 v3, 4, v4
	v_bfe_u32 v4, v4, 1, 27
	v_add_lshl_u32 v65, v9, v49, 2
	v_add_lshl_u32 v67, v5, v51, 2
	;; [unrolled: 1-line block ×4, first 2 shown]
	v_lshrrev_b32_e32 v5, 5, v54
	v_lshrrev_b32_e32 v7, 5, v55
	;; [unrolled: 1-line block ×4, first 2 shown]
	v_add_lshl_u32 v70, v4, v3, 2
	v_cmp_gt_u32_e64 s8, 16, v0
	v_cmp_lt_u32_e64 s9, 31, v0
	v_add_nc_u32_e32 v23, -4, v21
	v_cmp_eq_u32_e64 s10, 0, v2
	v_cmp_eq_u32_e64 s11, 0, v0
	v_add_nc_u32_e32 v26, v22, v21
	v_add_lshl_u32 v71, v5, v54, 2
	v_add_lshl_u32 v72, v7, v55, 2
	;; [unrolled: 1-line block ×4, first 2 shown]
	v_add_nc_u32_e32 v75, 56, v70
	v_add_nc_u32_e32 v76, 48, v70
	;; [unrolled: 1-line block ×7, first 2 shown]
	v_lshlrev_b32_e32 v82, 3, v2
	v_lshlrev_b32_e32 v83, 3, v6
	s_add_u32 s64, s0, 48
	s_addc_u32 s65, s1, 0
	s_add_i32 s70, s14, -1
	s_mov_b32 s44, 0
	s_branch .LBB916_6
.LBB916_5:                              ;   in Loop: Header=BB916_6 Depth=1
	s_cmp_eq_u32 s70, 0
	s_cselect_b32 s0, -1, 0
	s_delay_alu instid0(SALU_CYCLE_1)
	s_or_b32 s0, s12, s0
	s_add_u32 s62, s62, 0xffffe000
	s_addc_u32 s63, s63, -1
	s_and_not1_b32 vcc_lo, exec_lo, s0
	s_add_i32 s70, s70, -1
	s_cbranch_vccz .LBB916_100
.LBB916_6:                              ; =>This Inner Loop Header: Depth=1
	v_cmp_gt_i64_e64 s0, 0x2000, s[62:63]
	s_delay_alu instid0(VALU_DEP_1)
	s_and_b32 vcc_lo, exec_lo, s0
	s_mov_b32 s0, -1
	s_cbranch_vccz .LBB916_25
; %bb.7:                                ;   in Loop: Header=BB916_6 Depth=1
	v_add_co_u32 v2, s0, s66, v82
	s_delay_alu instid0(VALU_DEP_1) | instskip(SKIP_1) | instid1(VALU_DEP_2)
	v_add_co_ci_u32_e64 v3, null, s67, 0, s0
	s_mov_b32 s45, s44
	v_add_co_u32 v18, vcc_lo, v2, v83
	s_mov_b32 s46, s44
	s_mov_b32 s47, s44
	;; [unrolled: 1-line block ×14, first 2 shown]
	v_add_co_ci_u32_e32 v19, vcc_lo, 0, v3, vcc_lo
	v_dual_mov_b32 v2, s44 :: v_dual_mov_b32 v3, s45
	v_dual_mov_b32 v4, s46 :: v_dual_mov_b32 v5, s47
	;; [unrolled: 1-line block ×8, first 2 shown]
	v_mov_b32_e32 v2, 0
	s_mov_b32 s1, exec_lo
	v_cmpx_gt_u32_e64 s62, v39
	s_cbranch_execnz .LBB916_85
; %bb.8:                                ;   in Loop: Header=BB916_6 Depth=1
	s_or_b32 exec_lo, exec_lo, s1
	s_delay_alu instid0(SALU_CYCLE_1)
	s_mov_b32 s1, exec_lo
	v_cmpx_gt_u32_e64 s62, v43
	s_cbranch_execnz .LBB916_86
.LBB916_9:                              ;   in Loop: Header=BB916_6 Depth=1
	s_or_b32 exec_lo, exec_lo, s1
	s_delay_alu instid0(SALU_CYCLE_1)
	s_mov_b32 s1, exec_lo
	v_cmpx_gt_u32_e64 s62, v44
	s_cbranch_execnz .LBB916_87
.LBB916_10:                             ;   in Loop: Header=BB916_6 Depth=1
	s_or_b32 exec_lo, exec_lo, s1
	s_delay_alu instid0(SALU_CYCLE_1)
	s_mov_b32 s1, exec_lo
	v_cmpx_gt_u32_e64 s62, v45
	s_cbranch_execnz .LBB916_88
.LBB916_11:                             ;   in Loop: Header=BB916_6 Depth=1
	s_or_b32 exec_lo, exec_lo, s1
	s_delay_alu instid0(SALU_CYCLE_1)
	s_mov_b32 s1, exec_lo
	v_cmpx_gt_u32_e64 s62, v46
	s_cbranch_execnz .LBB916_89
.LBB916_12:                             ;   in Loop: Header=BB916_6 Depth=1
	s_or_b32 exec_lo, exec_lo, s1
	s_delay_alu instid0(SALU_CYCLE_1)
	s_mov_b32 s1, exec_lo
	v_cmpx_gt_u32_e64 s62, v47
	s_cbranch_execnz .LBB916_90
.LBB916_13:                             ;   in Loop: Header=BB916_6 Depth=1
	s_or_b32 exec_lo, exec_lo, s1
	s_delay_alu instid0(SALU_CYCLE_1)
	s_mov_b32 s1, exec_lo
	v_cmpx_gt_u32_e64 s62, v48
	s_cbranch_execnz .LBB916_91
.LBB916_14:                             ;   in Loop: Header=BB916_6 Depth=1
	s_or_b32 exec_lo, exec_lo, s1
	s_delay_alu instid0(SALU_CYCLE_1)
	s_mov_b32 s1, exec_lo
	v_cmpx_gt_u32_e64 s62, v49
	s_cbranch_execnz .LBB916_92
.LBB916_15:                             ;   in Loop: Header=BB916_6 Depth=1
	s_or_b32 exec_lo, exec_lo, s1
	s_delay_alu instid0(SALU_CYCLE_1)
	s_mov_b32 s1, exec_lo
	v_cmpx_gt_u32_e64 s62, v50
	s_cbranch_execnz .LBB916_93
.LBB916_16:                             ;   in Loop: Header=BB916_6 Depth=1
	s_or_b32 exec_lo, exec_lo, s1
	s_delay_alu instid0(SALU_CYCLE_1)
	s_mov_b32 s1, exec_lo
	v_cmpx_gt_u32_e64 s62, v51
	s_cbranch_execnz .LBB916_94
.LBB916_17:                             ;   in Loop: Header=BB916_6 Depth=1
	s_or_b32 exec_lo, exec_lo, s1
	s_delay_alu instid0(SALU_CYCLE_1)
	s_mov_b32 s1, exec_lo
	v_cmpx_gt_u32_e64 s62, v52
	s_cbranch_execnz .LBB916_95
.LBB916_18:                             ;   in Loop: Header=BB916_6 Depth=1
	s_or_b32 exec_lo, exec_lo, s1
	s_delay_alu instid0(SALU_CYCLE_1)
	s_mov_b32 s1, exec_lo
	v_cmpx_gt_u32_e64 s62, v53
	s_cbranch_execnz .LBB916_96
.LBB916_19:                             ;   in Loop: Header=BB916_6 Depth=1
	s_or_b32 exec_lo, exec_lo, s1
	s_delay_alu instid0(SALU_CYCLE_1)
	s_mov_b32 s1, exec_lo
	v_cmpx_gt_u32_e64 s62, v54
	s_cbranch_execnz .LBB916_97
.LBB916_20:                             ;   in Loop: Header=BB916_6 Depth=1
	s_or_b32 exec_lo, exec_lo, s1
	s_delay_alu instid0(SALU_CYCLE_1)
	s_mov_b32 s1, exec_lo
	v_cmpx_gt_u32_e64 s62, v55
	s_cbranch_execnz .LBB916_98
.LBB916_21:                             ;   in Loop: Header=BB916_6 Depth=1
	s_or_b32 exec_lo, exec_lo, s1
	s_delay_alu instid0(SALU_CYCLE_1)
	s_mov_b32 s1, exec_lo
	v_cmpx_gt_u32_e64 s62, v56
	s_cbranch_execnz .LBB916_99
.LBB916_22:                             ;   in Loop: Header=BB916_6 Depth=1
	s_or_b32 exec_lo, exec_lo, s1
	s_delay_alu instid0(SALU_CYCLE_1)
	s_mov_b32 s1, exec_lo
	v_cmpx_gt_u32_e64 s62, v57
	s_cbranch_execz .LBB916_24
.LBB916_23:                             ;   in Loop: Header=BB916_6 Depth=1
	global_load_b64 v[17:18], v[18:19], off offset:3840
	s_waitcnt vmcnt(0)
	v_cmp_neq_f32_e32 vcc_lo, 0, v17
	v_cmp_neq_f32_e64 s0, 0, v18
	s_delay_alu instid0(VALU_DEP_1) | instskip(NEXT) | instid1(SALU_CYCLE_1)
	s_or_b32 s0, vcc_lo, s0
	v_cndmask_b32_e64 v17, 0, 1, s0
.LBB916_24:                             ;   in Loop: Header=BB916_6 Depth=1
	s_or_b32 exec_lo, exec_lo, s1
	s_mov_b32 s0, 0
	ds_store_b32 v58, v2
	ds_store_b32 v59, v3
	;; [unrolled: 1-line block ×16, first 2 shown]
	; wave barrier
.LBB916_25:                             ;   in Loop: Header=BB916_6 Depth=1
	s_and_b32 vcc_lo, exec_lo, s0
	s_cbranch_vccz .LBB916_27
; %bb.26:                               ;   in Loop: Header=BB916_6 Depth=1
	v_add_co_u32 v2, s0, s66, v82
	s_delay_alu instid0(VALU_DEP_1) | instskip(NEXT) | instid1(VALU_DEP_2)
	v_add_co_ci_u32_e64 v3, null, s67, 0, s0
	v_add_co_u32 v2, vcc_lo, v2, v83
	s_delay_alu instid0(VALU_DEP_2)
	v_add_co_ci_u32_e32 v3, vcc_lo, 0, v3, vcc_lo
	s_clause 0xf
	global_load_b64 v[4:5], v[2:3], off
	global_load_b64 v[6:7], v[2:3], off offset:256
	global_load_b64 v[8:9], v[2:3], off offset:512
	;; [unrolled: 1-line block ×15, first 2 shown]
	s_waitcnt vmcnt(15)
	v_cmp_neq_f32_e32 vcc_lo, 0, v4
	v_cmp_neq_f32_e64 s0, 0, v5
	s_waitcnt vmcnt(14)
	v_cmp_neq_f32_e64 s1, 0, v6
	v_cmp_neq_f32_e64 s12, 0, v7
	s_waitcnt vmcnt(13)
	v_cmp_neq_f32_e64 s13, 0, v8
	v_cmp_neq_f32_e64 s14, 0, v9
	s_or_b32 s0, vcc_lo, s0
	s_waitcnt vmcnt(12)
	v_cmp_neq_f32_e64 s15, 0, v10
	v_cmp_neq_f32_e64 s16, 0, v11
	s_waitcnt vmcnt(11)
	v_cmp_neq_f32_e64 s17, 0, v12
	v_cmp_neq_f32_e64 s18, 0, v13
	;; [unrolled: 3-line block ×4, first 2 shown]
	s_waitcnt vmcnt(0)
	v_cmp_neq_f32_e64 s40, 0, v2
	v_cndmask_b32_e64 v2, 0, 1, s0
	s_or_b32 s0, s1, s12
	v_cmp_neq_f32_e64 s41, 0, v3
	v_cndmask_b32_e64 v3, 0, 1, s0
	s_or_b32 s0, s13, s14
	;; [unrolled: 3-line block ×6, first 2 shown]
	v_cmp_neq_f32_e64 s27, 0, v86
	v_cmp_neq_f32_e64 s28, 0, v87
	v_cndmask_b32_e64 v8, 0, 1, s0
	s_or_b32 s0, s23, s24
	v_cmp_neq_f32_e64 s29, 0, v88
	v_cmp_neq_f32_e64 s30, 0, v89
	v_cndmask_b32_e64 v9, 0, 1, s0
	s_or_b32 s0, s25, s26
	;; [unrolled: 4-line block ×6, first 2 shown]
	s_delay_alu instid0(SALU_CYCLE_1) | instskip(SKIP_1) | instid1(SALU_CYCLE_1)
	v_cndmask_b32_e64 v14, 0, 1, s0
	s_or_b32 s0, s36, s37
	v_cndmask_b32_e64 v15, 0, 1, s0
	s_or_b32 s0, s38, s39
	s_delay_alu instid0(SALU_CYCLE_1) | instskip(SKIP_1) | instid1(SALU_CYCLE_1)
	v_cndmask_b32_e64 v16, 0, 1, s0
	s_or_b32 s0, s40, s41
	v_cndmask_b32_e64 v17, 0, 1, s0
	ds_store_b32 v58, v2
	ds_store_b32 v59, v3
	;; [unrolled: 1-line block ×16, first 2 shown]
	; wave barrier
.LBB916_27:                             ;   in Loop: Header=BB916_6 Depth=1
	ds_load_2addr_b32 v[16:17], v70 offset1:1
	ds_load_2addr_b32 v[12:13], v81 offset1:1
	;; [unrolled: 1-line block ×6, first 2 shown]
	s_waitcnt lgkmcnt(5)
	v_add_nc_u32_e32 v2, v17, v16
	s_waitcnt lgkmcnt(4)
	s_delay_alu instid0(VALU_DEP_1) | instskip(SKIP_1) | instid1(VALU_DEP_1)
	v_add3_u32 v2, v2, v12, v13
	s_waitcnt lgkmcnt(3)
	v_add3_u32 v18, v2, v8, v9
	ds_load_2addr_b32 v[4:5], v76 offset1:1
	ds_load_2addr_b32 v[2:3], v75 offset1:1
	s_waitcnt lgkmcnt(0)
	s_waitcnt_vscnt null, 0x0
	s_barrier
	buffer_gl0_inv
	v_add3_u32 v18, v18, v6, v7
	s_delay_alu instid0(VALU_DEP_1) | instskip(NEXT) | instid1(VALU_DEP_1)
	v_add3_u32 v18, v18, v14, v15
	v_add3_u32 v18, v18, v10, v11
	s_delay_alu instid0(VALU_DEP_1) | instskip(NEXT) | instid1(VALU_DEP_1)
	v_add3_u32 v18, v18, v4, v5
	v_add3_u32 v18, v18, v2, v3
	s_delay_alu instid0(VALU_DEP_1) | instskip(NEXT) | instid1(VALU_DEP_1)
	v_mov_b32_dpp v19, v18 row_shr:1 row_mask:0xf bank_mask:0xf
	v_cndmask_b32_e64 v19, v19, 0, s2
	s_delay_alu instid0(VALU_DEP_1) | instskip(NEXT) | instid1(VALU_DEP_1)
	v_add_nc_u32_e32 v18, v18, v19
	v_mov_b32_dpp v19, v18 row_shr:2 row_mask:0xf bank_mask:0xf
	s_delay_alu instid0(VALU_DEP_1) | instskip(NEXT) | instid1(VALU_DEP_1)
	v_cndmask_b32_e64 v19, 0, v19, s3
	v_add_nc_u32_e32 v18, v18, v19
	s_delay_alu instid0(VALU_DEP_1) | instskip(NEXT) | instid1(VALU_DEP_1)
	v_mov_b32_dpp v19, v18 row_shr:4 row_mask:0xf bank_mask:0xf
	v_cndmask_b32_e64 v19, 0, v19, s4
	s_delay_alu instid0(VALU_DEP_1) | instskip(NEXT) | instid1(VALU_DEP_1)
	v_add_nc_u32_e32 v18, v18, v19
	v_mov_b32_dpp v19, v18 row_shr:8 row_mask:0xf bank_mask:0xf
	s_delay_alu instid0(VALU_DEP_1) | instskip(NEXT) | instid1(VALU_DEP_1)
	v_cndmask_b32_e64 v19, 0, v19, s5
	v_add_nc_u32_e32 v18, v18, v19
	ds_swizzle_b32 v19, v18 offset:swizzle(BROADCAST,32,15)
	s_waitcnt lgkmcnt(0)
	v_cndmask_b32_e64 v19, v19, 0, s6
	s_delay_alu instid0(VALU_DEP_1)
	v_add_nc_u32_e32 v18, v18, v19
	s_and_saveexec_b32 s0, s7
	s_cbranch_execz .LBB916_29
; %bb.28:                               ;   in Loop: Header=BB916_6 Depth=1
	ds_store_b32 v21, v18
.LBB916_29:                             ;   in Loop: Header=BB916_6 Depth=1
	s_or_b32 exec_lo, exec_lo, s0
	s_waitcnt lgkmcnt(0)
	s_barrier
	buffer_gl0_inv
	s_and_saveexec_b32 s0, s8
	s_cbranch_execz .LBB916_31
; %bb.30:                               ;   in Loop: Header=BB916_6 Depth=1
	ds_load_b32 v19, v22
	s_waitcnt lgkmcnt(0)
	v_mov_b32_dpp v20, v19 row_shr:1 row_mask:0xf bank_mask:0xf
	s_delay_alu instid0(VALU_DEP_1) | instskip(NEXT) | instid1(VALU_DEP_1)
	v_cndmask_b32_e64 v20, v20, 0, s2
	v_add_nc_u32_e32 v19, v20, v19
	s_delay_alu instid0(VALU_DEP_1) | instskip(NEXT) | instid1(VALU_DEP_1)
	v_mov_b32_dpp v20, v19 row_shr:2 row_mask:0xf bank_mask:0xf
	v_cndmask_b32_e64 v20, 0, v20, s3
	s_delay_alu instid0(VALU_DEP_1) | instskip(NEXT) | instid1(VALU_DEP_1)
	v_add_nc_u32_e32 v19, v19, v20
	v_mov_b32_dpp v20, v19 row_shr:4 row_mask:0xf bank_mask:0xf
	s_delay_alu instid0(VALU_DEP_1) | instskip(NEXT) | instid1(VALU_DEP_1)
	v_cndmask_b32_e64 v20, 0, v20, s4
	v_add_nc_u32_e32 v19, v19, v20
	s_delay_alu instid0(VALU_DEP_1) | instskip(NEXT) | instid1(VALU_DEP_1)
	v_mov_b32_dpp v20, v19 row_shr:8 row_mask:0xf bank_mask:0xf
	v_cndmask_b32_e64 v20, 0, v20, s5
	s_delay_alu instid0(VALU_DEP_1)
	v_add_nc_u32_e32 v19, v19, v20
	ds_store_b32 v22, v19
.LBB916_31:                             ;   in Loop: Header=BB916_6 Depth=1
	s_or_b32 exec_lo, exec_lo, s0
	v_mov_b32_e32 v19, 0
	s_waitcnt lgkmcnt(0)
	s_barrier
	buffer_gl0_inv
	s_and_saveexec_b32 s0, s9
	s_cbranch_execz .LBB916_33
; %bb.32:                               ;   in Loop: Header=BB916_6 Depth=1
	ds_load_b32 v19, v23
.LBB916_33:                             ;   in Loop: Header=BB916_6 Depth=1
	s_or_b32 exec_lo, exec_lo, s0
	s_waitcnt lgkmcnt(0)
	v_add_nc_u32_e32 v18, v19, v18
	ds_bpermute_b32 v18, v24, v18
	s_and_saveexec_b32 s0, s11
	s_cbranch_execz .LBB916_35
; %bb.34:                               ;   in Loop: Header=BB916_6 Depth=1
	ds_load_b32 v20, v1 offset:60
	s_waitcnt lgkmcnt(0)
	ds_store_b32 v1, v20 offset:33792
.LBB916_35:                             ;   in Loop: Header=BB916_6 Depth=1
	s_or_b32 exec_lo, exec_lo, s0
	s_waitcnt lgkmcnt(0)
	v_cndmask_b32_e64 v18, v18, v19, s10
	s_barrier
	buffer_gl0_inv
	ds_store_2addr_b32 v25, v16, v17 offset1:1
	ds_store_2addr_b32 v25, v12, v13 offset0:2 offset1:3
	ds_store_2addr_b32 v25, v8, v9 offset0:4 offset1:5
	;; [unrolled: 1-line block ×3, first 2 shown]
	v_cndmask_b32_e64 v18, v18, 0, s11
	ds_store_2addr_b32 v25, v14, v15 offset0:8 offset1:9
	ds_store_2addr_b32 v25, v10, v11 offset0:10 offset1:11
	ds_store_2addr_b32 v25, v4, v5 offset0:12 offset1:13
	ds_store_2addr_b32 v25, v2, v3 offset0:14 offset1:15
	s_waitcnt lgkmcnt(0)
	s_barrier
	buffer_gl0_inv
	v_add_nc_u32_e32 v19, v18, v16
	ds_load_b32 v108, v26
	ds_load_b32 v98, v27 offset:2048
	ds_load_b32 v97, v28 offset:4096
	;; [unrolled: 1-line block ×15, first 2 shown]
	s_waitcnt lgkmcnt(0)
	s_barrier
	v_add_nc_u32_e32 v20, v19, v17
	buffer_gl0_inv
	v_add_nc_u32_e32 v99, v20, v12
	s_delay_alu instid0(VALU_DEP_1) | instskip(NEXT) | instid1(VALU_DEP_1)
	v_add_nc_u32_e32 v100, v99, v13
	v_add_nc_u32_e32 v101, v100, v8
	s_delay_alu instid0(VALU_DEP_1) | instskip(NEXT) | instid1(VALU_DEP_1)
	v_add_nc_u32_e32 v102, v101, v9
	;; [unrolled: 3-line block ×6, first 2 shown]
	v_add_nc_u32_e32 v2, v4, v2
	ds_store_2addr_b32 v25, v18, v19 offset1:1
	ds_store_2addr_b32 v25, v20, v99 offset0:2 offset1:3
	ds_store_2addr_b32 v25, v100, v101 offset0:4 offset1:5
	;; [unrolled: 1-line block ×7, first 2 shown]
	s_waitcnt lgkmcnt(0)
	s_barrier
	buffer_gl0_inv
	ds_load_b32 v18, v27 offset:2048
	ds_load_b32 v17, v28 offset:4096
	;; [unrolled: 1-line block ×15, first 2 shown]
	v_add_co_u32 v2, s0, s42, v0
	s_delay_alu instid0(VALU_DEP_1)
	v_add_co_ci_u32_e64 v3, null, s43, 0, s0
	s_mov_b32 s0, exec_lo
	v_cmpx_ne_u32_e32 0, v108
	s_cbranch_execz .LBB916_38
; %bb.36:                               ;   in Loop: Header=BB916_6 Depth=1
	ds_load_b32 v19, v26
	s_waitcnt lgkmcnt(0)
	v_ashrrev_i32_e32 v20, 31, v19
	s_delay_alu instid0(VALU_DEP_1)
	v_cmp_gt_i64_e32 vcc_lo, s[60:61], v[19:20]
	s_and_b32 exec_lo, exec_lo, vcc_lo
	s_cbranch_execz .LBB916_38
; %bb.37:                               ;   in Loop: Header=BB916_6 Depth=1
	v_lshlrev_b64 v[19:20], 3, v[19:20]
	s_delay_alu instid0(VALU_DEP_1) | instskip(NEXT) | instid1(VALU_DEP_2)
	v_add_co_u32 v19, vcc_lo, s68, v19
	v_add_co_ci_u32_e32 v20, vcc_lo, s69, v20, vcc_lo
	global_store_b64 v[19:20], v[2:3], off
.LBB916_38:                             ;   in Loop: Header=BB916_6 Depth=1
	s_or_b32 exec_lo, exec_lo, s0
	s_delay_alu instid0(SALU_CYCLE_1)
	s_mov_b32 s0, exec_lo
	v_cmpx_ne_u32_e32 0, v98
	s_cbranch_execz .LBB916_41
; %bb.39:                               ;   in Loop: Header=BB916_6 Depth=1
	s_waitcnt lgkmcnt(14)
	v_ashrrev_i32_e32 v19, 31, v18
	s_delay_alu instid0(VALU_DEP_1)
	v_cmp_gt_i64_e32 vcc_lo, s[60:61], v[18:19]
	s_and_b32 exec_lo, exec_lo, vcc_lo
	s_cbranch_execz .LBB916_41
; %bb.40:                               ;   in Loop: Header=BB916_6 Depth=1
	s_load_b32 s1, s[64:65], 0xc
	v_lshlrev_b64 v[18:19], 3, v[18:19]
	s_waitcnt lgkmcnt(0)
	s_and_b32 s1, s1, 0xffff
	s_delay_alu instid0(SALU_CYCLE_1) | instskip(SKIP_1) | instid1(VALU_DEP_3)
	v_add_co_u32 v98, vcc_lo, v2, s1
	v_add_co_ci_u32_e32 v99, vcc_lo, 0, v3, vcc_lo
	v_add_co_u32 v18, vcc_lo, s68, v18
	v_add_co_ci_u32_e32 v19, vcc_lo, s69, v19, vcc_lo
	global_store_b64 v[18:19], v[98:99], off
.LBB916_41:                             ;   in Loop: Header=BB916_6 Depth=1
	s_or_b32 exec_lo, exec_lo, s0
	s_delay_alu instid0(SALU_CYCLE_1)
	s_mov_b32 s0, exec_lo
	v_cmpx_ne_u32_e32 0, v97
	s_cbranch_execz .LBB916_44
; %bb.42:                               ;   in Loop: Header=BB916_6 Depth=1
	s_waitcnt lgkmcnt(13)
	v_ashrrev_i32_e32 v18, 31, v17
	s_delay_alu instid0(VALU_DEP_1)
	v_cmp_gt_i64_e32 vcc_lo, s[60:61], v[17:18]
	s_and_b32 exec_lo, exec_lo, vcc_lo
	s_cbranch_execz .LBB916_44
; %bb.43:                               ;   in Loop: Header=BB916_6 Depth=1
	s_load_b32 s1, s[64:65], 0xc
	v_lshlrev_b64 v[17:18], 3, v[17:18]
	s_waitcnt lgkmcnt(0)
	s_and_b32 s1, s1, 0xffff
	s_delay_alu instid0(SALU_CYCLE_1) | instskip(NEXT) | instid1(SALU_CYCLE_1)
	s_lshl_b32 s1, s1, 1
	v_add_co_u32 v19, vcc_lo, v2, s1
	v_add_co_ci_u32_e32 v20, vcc_lo, 0, v3, vcc_lo
	v_add_co_u32 v17, vcc_lo, s68, v17
	v_add_co_ci_u32_e32 v18, vcc_lo, s69, v18, vcc_lo
	global_store_b64 v[17:18], v[19:20], off
.LBB916_44:                             ;   in Loop: Header=BB916_6 Depth=1
	s_or_b32 exec_lo, exec_lo, s0
	s_delay_alu instid0(SALU_CYCLE_1)
	s_mov_b32 s0, exec_lo
	v_cmpx_ne_u32_e32 0, v96
	s_cbranch_execz .LBB916_47
; %bb.45:                               ;   in Loop: Header=BB916_6 Depth=1
	s_waitcnt lgkmcnt(12)
	v_ashrrev_i32_e32 v17, 31, v16
	s_delay_alu instid0(VALU_DEP_1)
	v_cmp_gt_i64_e32 vcc_lo, s[60:61], v[16:17]
	s_and_b32 exec_lo, exec_lo, vcc_lo
	s_cbranch_execz .LBB916_47
; %bb.46:                               ;   in Loop: Header=BB916_6 Depth=1
	s_load_b32 s1, s[64:65], 0xc
	v_lshlrev_b64 v[16:17], 3, v[16:17]
	s_delay_alu instid0(VALU_DEP_1) | instskip(NEXT) | instid1(VALU_DEP_2)
	v_add_co_u32 v16, vcc_lo, s68, v16
	v_add_co_ci_u32_e32 v17, vcc_lo, s69, v17, vcc_lo
	s_waitcnt lgkmcnt(0)
	s_and_b32 s1, s1, 0xffff
	s_delay_alu instid0(SALU_CYCLE_1)
	v_mad_u64_u32 v[18:19], null, s1, 3, v[2:3]
	global_store_b64 v[16:17], v[18:19], off
.LBB916_47:                             ;   in Loop: Header=BB916_6 Depth=1
	s_or_b32 exec_lo, exec_lo, s0
	s_delay_alu instid0(SALU_CYCLE_1)
	s_mov_b32 s0, exec_lo
	v_cmpx_ne_u32_e32 0, v95
	s_cbranch_execz .LBB916_50
; %bb.48:                               ;   in Loop: Header=BB916_6 Depth=1
	s_waitcnt lgkmcnt(11)
	v_ashrrev_i32_e32 v16, 31, v15
	s_delay_alu instid0(VALU_DEP_1)
	v_cmp_gt_i64_e32 vcc_lo, s[60:61], v[15:16]
	s_and_b32 exec_lo, exec_lo, vcc_lo
	s_cbranch_execz .LBB916_50
; %bb.49:                               ;   in Loop: Header=BB916_6 Depth=1
	s_load_b32 s1, s[64:65], 0xc
	v_lshlrev_b64 v[15:16], 3, v[15:16]
	s_waitcnt lgkmcnt(0)
	s_and_b32 s1, s1, 0xffff
	s_delay_alu instid0(SALU_CYCLE_1) | instskip(NEXT) | instid1(SALU_CYCLE_1)
	s_lshl_b32 s1, s1, 2
	v_add_co_u32 v17, vcc_lo, v2, s1
	v_add_co_ci_u32_e32 v18, vcc_lo, 0, v3, vcc_lo
	v_add_co_u32 v15, vcc_lo, s68, v15
	v_add_co_ci_u32_e32 v16, vcc_lo, s69, v16, vcc_lo
	global_store_b64 v[15:16], v[17:18], off
.LBB916_50:                             ;   in Loop: Header=BB916_6 Depth=1
	s_or_b32 exec_lo, exec_lo, s0
	s_delay_alu instid0(SALU_CYCLE_1)
	s_mov_b32 s0, exec_lo
	v_cmpx_ne_u32_e32 0, v94
	s_cbranch_execz .LBB916_53
; %bb.51:                               ;   in Loop: Header=BB916_6 Depth=1
	s_waitcnt lgkmcnt(10)
	v_ashrrev_i32_e32 v15, 31, v14
	s_delay_alu instid0(VALU_DEP_1)
	v_cmp_gt_i64_e32 vcc_lo, s[60:61], v[14:15]
	s_and_b32 exec_lo, exec_lo, vcc_lo
	s_cbranch_execz .LBB916_53
; %bb.52:                               ;   in Loop: Header=BB916_6 Depth=1
	s_load_b32 s1, s[64:65], 0xc
	v_lshlrev_b64 v[14:15], 3, v[14:15]
	s_delay_alu instid0(VALU_DEP_1) | instskip(NEXT) | instid1(VALU_DEP_2)
	v_add_co_u32 v14, vcc_lo, s68, v14
	v_add_co_ci_u32_e32 v15, vcc_lo, s69, v15, vcc_lo
	s_waitcnt lgkmcnt(0)
	s_and_b32 s1, s1, 0xffff
	s_delay_alu instid0(SALU_CYCLE_1)
	v_mad_u64_u32 v[16:17], null, s1, 5, v[2:3]
	global_store_b64 v[14:15], v[16:17], off
.LBB916_53:                             ;   in Loop: Header=BB916_6 Depth=1
	s_or_b32 exec_lo, exec_lo, s0
	s_delay_alu instid0(SALU_CYCLE_1)
	s_mov_b32 s0, exec_lo
	v_cmpx_ne_u32_e32 0, v93
	s_cbranch_execz .LBB916_56
; %bb.54:                               ;   in Loop: Header=BB916_6 Depth=1
	s_waitcnt lgkmcnt(9)
	v_ashrrev_i32_e32 v14, 31, v13
	s_delay_alu instid0(VALU_DEP_1)
	v_cmp_gt_i64_e32 vcc_lo, s[60:61], v[13:14]
	s_and_b32 exec_lo, exec_lo, vcc_lo
	s_cbranch_execz .LBB916_56
; %bb.55:                               ;   in Loop: Header=BB916_6 Depth=1
	s_load_b32 s1, s[64:65], 0xc
	v_lshlrev_b64 v[13:14], 3, v[13:14]
	s_delay_alu instid0(VALU_DEP_1) | instskip(NEXT) | instid1(VALU_DEP_2)
	v_add_co_u32 v13, vcc_lo, s68, v13
	v_add_co_ci_u32_e32 v14, vcc_lo, s69, v14, vcc_lo
	s_waitcnt lgkmcnt(0)
	s_and_b32 s1, s1, 0xffff
	s_delay_alu instid0(SALU_CYCLE_1)
	v_mad_u64_u32 v[15:16], null, s1, 6, v[2:3]
	global_store_b64 v[13:14], v[15:16], off
.LBB916_56:                             ;   in Loop: Header=BB916_6 Depth=1
	s_or_b32 exec_lo, exec_lo, s0
	s_delay_alu instid0(SALU_CYCLE_1)
	s_mov_b32 s0, exec_lo
	v_cmpx_ne_u32_e32 0, v92
	s_cbranch_execz .LBB916_59
; %bb.57:                               ;   in Loop: Header=BB916_6 Depth=1
	s_waitcnt lgkmcnt(8)
	v_ashrrev_i32_e32 v13, 31, v12
	s_delay_alu instid0(VALU_DEP_1)
	v_cmp_gt_i64_e32 vcc_lo, s[60:61], v[12:13]
	s_and_b32 exec_lo, exec_lo, vcc_lo
	s_cbranch_execz .LBB916_59
; %bb.58:                               ;   in Loop: Header=BB916_6 Depth=1
	s_load_b32 s1, s[64:65], 0xc
	v_lshlrev_b64 v[12:13], 3, v[12:13]
	s_delay_alu instid0(VALU_DEP_1) | instskip(NEXT) | instid1(VALU_DEP_2)
	v_add_co_u32 v12, vcc_lo, s68, v12
	v_add_co_ci_u32_e32 v13, vcc_lo, s69, v13, vcc_lo
	s_waitcnt lgkmcnt(0)
	s_and_b32 s1, s1, 0xffff
	s_delay_alu instid0(SALU_CYCLE_1)
	v_mad_u64_u32 v[14:15], null, s1, 7, v[2:3]
	global_store_b64 v[12:13], v[14:15], off
.LBB916_59:                             ;   in Loop: Header=BB916_6 Depth=1
	s_or_b32 exec_lo, exec_lo, s0
	s_delay_alu instid0(SALU_CYCLE_1)
	s_mov_b32 s0, exec_lo
	v_cmpx_ne_u32_e32 0, v91
	s_cbranch_execz .LBB916_62
; %bb.60:                               ;   in Loop: Header=BB916_6 Depth=1
	s_waitcnt lgkmcnt(7)
	v_ashrrev_i32_e32 v12, 31, v11
	s_delay_alu instid0(VALU_DEP_1)
	v_cmp_gt_i64_e32 vcc_lo, s[60:61], v[11:12]
	s_and_b32 exec_lo, exec_lo, vcc_lo
	s_cbranch_execz .LBB916_62
; %bb.61:                               ;   in Loop: Header=BB916_6 Depth=1
	s_load_b32 s1, s[64:65], 0xc
	v_lshlrev_b64 v[11:12], 3, v[11:12]
	s_waitcnt lgkmcnt(0)
	s_and_b32 s1, s1, 0xffff
	s_delay_alu instid0(SALU_CYCLE_1) | instskip(NEXT) | instid1(SALU_CYCLE_1)
	s_lshl_b32 s1, s1, 3
	v_add_co_u32 v13, vcc_lo, v2, s1
	v_add_co_ci_u32_e32 v14, vcc_lo, 0, v3, vcc_lo
	v_add_co_u32 v11, vcc_lo, s68, v11
	v_add_co_ci_u32_e32 v12, vcc_lo, s69, v12, vcc_lo
	global_store_b64 v[11:12], v[13:14], off
.LBB916_62:                             ;   in Loop: Header=BB916_6 Depth=1
	s_or_b32 exec_lo, exec_lo, s0
	s_delay_alu instid0(SALU_CYCLE_1)
	s_mov_b32 s0, exec_lo
	v_cmpx_ne_u32_e32 0, v90
	s_cbranch_execz .LBB916_65
; %bb.63:                               ;   in Loop: Header=BB916_6 Depth=1
	s_waitcnt lgkmcnt(6)
	v_ashrrev_i32_e32 v11, 31, v10
	s_delay_alu instid0(VALU_DEP_1)
	v_cmp_gt_i64_e32 vcc_lo, s[60:61], v[10:11]
	s_and_b32 exec_lo, exec_lo, vcc_lo
	s_cbranch_execz .LBB916_65
; %bb.64:                               ;   in Loop: Header=BB916_6 Depth=1
	s_load_b32 s1, s[64:65], 0xc
	v_lshlrev_b64 v[10:11], 3, v[10:11]
	s_delay_alu instid0(VALU_DEP_1) | instskip(NEXT) | instid1(VALU_DEP_2)
	v_add_co_u32 v10, vcc_lo, s68, v10
	v_add_co_ci_u32_e32 v11, vcc_lo, s69, v11, vcc_lo
	s_waitcnt lgkmcnt(0)
	s_and_b32 s1, s1, 0xffff
	s_delay_alu instid0(SALU_CYCLE_1)
	v_mad_u64_u32 v[12:13], null, s1, 9, v[2:3]
	global_store_b64 v[10:11], v[12:13], off
.LBB916_65:                             ;   in Loop: Header=BB916_6 Depth=1
	s_or_b32 exec_lo, exec_lo, s0
	s_delay_alu instid0(SALU_CYCLE_1)
	s_mov_b32 s0, exec_lo
	v_cmpx_ne_u32_e32 0, v89
	s_cbranch_execz .LBB916_68
; %bb.66:                               ;   in Loop: Header=BB916_6 Depth=1
	s_waitcnt lgkmcnt(5)
	v_ashrrev_i32_e32 v10, 31, v9
	s_delay_alu instid0(VALU_DEP_1)
	v_cmp_gt_i64_e32 vcc_lo, s[60:61], v[9:10]
	s_and_b32 exec_lo, exec_lo, vcc_lo
	s_cbranch_execz .LBB916_68
; %bb.67:                               ;   in Loop: Header=BB916_6 Depth=1
	s_load_b32 s1, s[64:65], 0xc
	v_lshlrev_b64 v[9:10], 3, v[9:10]
	s_delay_alu instid0(VALU_DEP_1) | instskip(NEXT) | instid1(VALU_DEP_2)
	v_add_co_u32 v9, vcc_lo, s68, v9
	v_add_co_ci_u32_e32 v10, vcc_lo, s69, v10, vcc_lo
	s_waitcnt lgkmcnt(0)
	s_and_b32 s1, s1, 0xffff
	s_delay_alu instid0(SALU_CYCLE_1)
	v_mad_u64_u32 v[11:12], null, s1, 10, v[2:3]
	global_store_b64 v[9:10], v[11:12], off
.LBB916_68:                             ;   in Loop: Header=BB916_6 Depth=1
	;; [unrolled: 24-line block ×6, first 2 shown]
	s_or_b32 exec_lo, exec_lo, s0
	s_delay_alu instid0(SALU_CYCLE_1)
	s_mov_b32 s0, exec_lo
	v_cmpx_ne_u32_e32 0, v84
	s_cbranch_execz .LBB916_83
; %bb.81:                               ;   in Loop: Header=BB916_6 Depth=1
	s_waitcnt lgkmcnt(0)
	v_ashrrev_i32_e32 v5, 31, v4
	s_delay_alu instid0(VALU_DEP_1)
	v_cmp_gt_i64_e32 vcc_lo, s[60:61], v[4:5]
	s_and_b32 exec_lo, exec_lo, vcc_lo
	s_cbranch_execz .LBB916_83
; %bb.82:                               ;   in Loop: Header=BB916_6 Depth=1
	s_load_b32 s1, s[64:65], 0xc
	v_lshlrev_b64 v[4:5], 3, v[4:5]
	s_waitcnt lgkmcnt(0)
	s_and_b32 s1, s1, 0xffff
	s_delay_alu instid0(SALU_CYCLE_1) | instskip(NEXT) | instid1(VALU_DEP_2)
	v_mad_u64_u32 v[6:7], null, s1, 15, v[2:3]
	v_add_co_u32 v2, vcc_lo, s68, v4
	s_delay_alu instid0(VALU_DEP_3)
	v_add_co_ci_u32_e32 v3, vcc_lo, s69, v5, vcc_lo
	global_store_b64 v[2:3], v[6:7], off
.LBB916_83:                             ;   in Loop: Header=BB916_6 Depth=1
	s_or_b32 exec_lo, exec_lo, s0
	ds_load_b32 v2, v1 offset:33792
	v_cmp_gt_i64_e64 s12, 0x2001, s[62:63]
	s_waitcnt lgkmcnt(0)
	v_readfirstlane_b32 s0, v2
	s_delay_alu instid0(VALU_DEP_1) | instskip(SKIP_2) | instid1(SALU_CYCLE_1)
	s_ashr_i32 s1, s0, 31
	s_sub_u32 s60, s60, s0
	s_subb_u32 s61, s61, s1
	v_cmp_lt_i64_e64 s13, s[60:61], 1
	s_delay_alu instid0(VALU_DEP_1) | instskip(NEXT) | instid1(SALU_CYCLE_1)
	s_or_b32 s12, s12, s13
	s_and_b32 vcc_lo, exec_lo, s12
	s_cbranch_vccnz .LBB916_5
; %bb.84:                               ;   in Loop: Header=BB916_6 Depth=1
	s_add_u32 s42, s42, 0x2000
	s_addc_u32 s43, s43, 0
	s_add_u32 s66, s66, 0x10000
	s_addc_u32 s67, s67, 0
	s_lshl_b64 s[0:1], s[0:1], 3
	s_waitcnt_vscnt null, 0x0
	s_add_u32 s68, s68, s0
	s_addc_u32 s69, s69, s1
	s_barrier
	buffer_gl0_inv
	s_branch .LBB916_5
.LBB916_85:                             ;   in Loop: Header=BB916_6 Depth=1
	global_load_b64 v[16:17], v[18:19], off
	v_mov_b32_e32 v15, v1
	v_mov_b32_e32 v2, v1
	;; [unrolled: 1-line block ×14, first 2 shown]
	s_waitcnt vmcnt(0)
	v_cmp_neq_f32_e32 vcc_lo, 0, v16
	v_cmp_neq_f32_e64 s0, 0, v17
	v_mov_b32_e32 v17, v15
	v_dual_mov_b32 v16, v14 :: v_dual_mov_b32 v15, v13
	v_mov_b32_e32 v14, v12
	s_delay_alu instid0(VALU_DEP_4)
	s_or_b32 s0, vcc_lo, s0
	v_mov_b32_e32 v13, v11
	v_mov_b32_e32 v12, v10
	;; [unrolled: 1-line block ×12, first 2 shown]
	v_cndmask_b32_e64 v2, 0, 1, s0
	s_or_b32 exec_lo, exec_lo, s1
	s_delay_alu instid0(SALU_CYCLE_1)
	s_mov_b32 s1, exec_lo
	v_cmpx_gt_u32_e64 s62, v43
	s_cbranch_execz .LBB916_9
.LBB916_86:                             ;   in Loop: Header=BB916_6 Depth=1
	global_load_b64 v[84:85], v[18:19], off offset:256
	s_waitcnt vmcnt(0)
	v_cmp_neq_f32_e32 vcc_lo, 0, v84
	v_cmp_neq_f32_e64 s0, 0, v85
	s_delay_alu instid0(VALU_DEP_1) | instskip(NEXT) | instid1(SALU_CYCLE_1)
	s_or_b32 s0, vcc_lo, s0
	v_cndmask_b32_e64 v3, 0, 1, s0
	s_or_b32 exec_lo, exec_lo, s1
	s_delay_alu instid0(SALU_CYCLE_1)
	s_mov_b32 s1, exec_lo
	v_cmpx_gt_u32_e64 s62, v44
	s_cbranch_execz .LBB916_10
.LBB916_87:                             ;   in Loop: Header=BB916_6 Depth=1
	global_load_b64 v[84:85], v[18:19], off offset:512
	s_waitcnt vmcnt(0)
	v_cmp_neq_f32_e32 vcc_lo, 0, v84
	v_cmp_neq_f32_e64 s0, 0, v85
	s_delay_alu instid0(VALU_DEP_1) | instskip(NEXT) | instid1(SALU_CYCLE_1)
	s_or_b32 s0, vcc_lo, s0
	v_cndmask_b32_e64 v4, 0, 1, s0
	s_or_b32 exec_lo, exec_lo, s1
	s_delay_alu instid0(SALU_CYCLE_1)
	s_mov_b32 s1, exec_lo
	v_cmpx_gt_u32_e64 s62, v45
	s_cbranch_execz .LBB916_11
.LBB916_88:                             ;   in Loop: Header=BB916_6 Depth=1
	global_load_b64 v[84:85], v[18:19], off offset:768
	s_waitcnt vmcnt(0)
	v_cmp_neq_f32_e32 vcc_lo, 0, v84
	v_cmp_neq_f32_e64 s0, 0, v85
	s_delay_alu instid0(VALU_DEP_1) | instskip(NEXT) | instid1(SALU_CYCLE_1)
	s_or_b32 s0, vcc_lo, s0
	v_cndmask_b32_e64 v5, 0, 1, s0
	s_or_b32 exec_lo, exec_lo, s1
	s_delay_alu instid0(SALU_CYCLE_1)
	s_mov_b32 s1, exec_lo
	v_cmpx_gt_u32_e64 s62, v46
	s_cbranch_execz .LBB916_12
.LBB916_89:                             ;   in Loop: Header=BB916_6 Depth=1
	global_load_b64 v[84:85], v[18:19], off offset:1024
	s_waitcnt vmcnt(0)
	v_cmp_neq_f32_e32 vcc_lo, 0, v84
	v_cmp_neq_f32_e64 s0, 0, v85
	s_delay_alu instid0(VALU_DEP_1) | instskip(NEXT) | instid1(SALU_CYCLE_1)
	s_or_b32 s0, vcc_lo, s0
	v_cndmask_b32_e64 v6, 0, 1, s0
	s_or_b32 exec_lo, exec_lo, s1
	s_delay_alu instid0(SALU_CYCLE_1)
	s_mov_b32 s1, exec_lo
	v_cmpx_gt_u32_e64 s62, v47
	s_cbranch_execz .LBB916_13
.LBB916_90:                             ;   in Loop: Header=BB916_6 Depth=1
	global_load_b64 v[84:85], v[18:19], off offset:1280
	s_waitcnt vmcnt(0)
	v_cmp_neq_f32_e32 vcc_lo, 0, v84
	v_cmp_neq_f32_e64 s0, 0, v85
	s_delay_alu instid0(VALU_DEP_1) | instskip(NEXT) | instid1(SALU_CYCLE_1)
	s_or_b32 s0, vcc_lo, s0
	v_cndmask_b32_e64 v7, 0, 1, s0
	s_or_b32 exec_lo, exec_lo, s1
	s_delay_alu instid0(SALU_CYCLE_1)
	s_mov_b32 s1, exec_lo
	v_cmpx_gt_u32_e64 s62, v48
	s_cbranch_execz .LBB916_14
.LBB916_91:                             ;   in Loop: Header=BB916_6 Depth=1
	global_load_b64 v[84:85], v[18:19], off offset:1536
	s_waitcnt vmcnt(0)
	v_cmp_neq_f32_e32 vcc_lo, 0, v84
	v_cmp_neq_f32_e64 s0, 0, v85
	s_delay_alu instid0(VALU_DEP_1) | instskip(NEXT) | instid1(SALU_CYCLE_1)
	s_or_b32 s0, vcc_lo, s0
	v_cndmask_b32_e64 v8, 0, 1, s0
	s_or_b32 exec_lo, exec_lo, s1
	s_delay_alu instid0(SALU_CYCLE_1)
	s_mov_b32 s1, exec_lo
	v_cmpx_gt_u32_e64 s62, v49
	s_cbranch_execz .LBB916_15
.LBB916_92:                             ;   in Loop: Header=BB916_6 Depth=1
	global_load_b64 v[84:85], v[18:19], off offset:1792
	s_waitcnt vmcnt(0)
	v_cmp_neq_f32_e32 vcc_lo, 0, v84
	v_cmp_neq_f32_e64 s0, 0, v85
	s_delay_alu instid0(VALU_DEP_1) | instskip(NEXT) | instid1(SALU_CYCLE_1)
	s_or_b32 s0, vcc_lo, s0
	v_cndmask_b32_e64 v9, 0, 1, s0
	s_or_b32 exec_lo, exec_lo, s1
	s_delay_alu instid0(SALU_CYCLE_1)
	s_mov_b32 s1, exec_lo
	v_cmpx_gt_u32_e64 s62, v50
	s_cbranch_execz .LBB916_16
.LBB916_93:                             ;   in Loop: Header=BB916_6 Depth=1
	global_load_b64 v[84:85], v[18:19], off offset:2048
	s_waitcnt vmcnt(0)
	v_cmp_neq_f32_e32 vcc_lo, 0, v84
	v_cmp_neq_f32_e64 s0, 0, v85
	s_delay_alu instid0(VALU_DEP_1) | instskip(NEXT) | instid1(SALU_CYCLE_1)
	s_or_b32 s0, vcc_lo, s0
	v_cndmask_b32_e64 v10, 0, 1, s0
	s_or_b32 exec_lo, exec_lo, s1
	s_delay_alu instid0(SALU_CYCLE_1)
	s_mov_b32 s1, exec_lo
	v_cmpx_gt_u32_e64 s62, v51
	s_cbranch_execz .LBB916_17
.LBB916_94:                             ;   in Loop: Header=BB916_6 Depth=1
	global_load_b64 v[84:85], v[18:19], off offset:2304
	s_waitcnt vmcnt(0)
	v_cmp_neq_f32_e32 vcc_lo, 0, v84
	v_cmp_neq_f32_e64 s0, 0, v85
	s_delay_alu instid0(VALU_DEP_1) | instskip(NEXT) | instid1(SALU_CYCLE_1)
	s_or_b32 s0, vcc_lo, s0
	v_cndmask_b32_e64 v11, 0, 1, s0
	s_or_b32 exec_lo, exec_lo, s1
	s_delay_alu instid0(SALU_CYCLE_1)
	s_mov_b32 s1, exec_lo
	v_cmpx_gt_u32_e64 s62, v52
	s_cbranch_execz .LBB916_18
.LBB916_95:                             ;   in Loop: Header=BB916_6 Depth=1
	global_load_b64 v[84:85], v[18:19], off offset:2560
	s_waitcnt vmcnt(0)
	v_cmp_neq_f32_e32 vcc_lo, 0, v84
	v_cmp_neq_f32_e64 s0, 0, v85
	s_delay_alu instid0(VALU_DEP_1) | instskip(NEXT) | instid1(SALU_CYCLE_1)
	s_or_b32 s0, vcc_lo, s0
	v_cndmask_b32_e64 v12, 0, 1, s0
	s_or_b32 exec_lo, exec_lo, s1
	s_delay_alu instid0(SALU_CYCLE_1)
	s_mov_b32 s1, exec_lo
	v_cmpx_gt_u32_e64 s62, v53
	s_cbranch_execz .LBB916_19
.LBB916_96:                             ;   in Loop: Header=BB916_6 Depth=1
	global_load_b64 v[84:85], v[18:19], off offset:2816
	s_waitcnt vmcnt(0)
	v_cmp_neq_f32_e32 vcc_lo, 0, v84
	v_cmp_neq_f32_e64 s0, 0, v85
	s_delay_alu instid0(VALU_DEP_1) | instskip(NEXT) | instid1(SALU_CYCLE_1)
	s_or_b32 s0, vcc_lo, s0
	v_cndmask_b32_e64 v13, 0, 1, s0
	s_or_b32 exec_lo, exec_lo, s1
	s_delay_alu instid0(SALU_CYCLE_1)
	s_mov_b32 s1, exec_lo
	v_cmpx_gt_u32_e64 s62, v54
	s_cbranch_execz .LBB916_20
.LBB916_97:                             ;   in Loop: Header=BB916_6 Depth=1
	global_load_b64 v[84:85], v[18:19], off offset:3072
	s_waitcnt vmcnt(0)
	v_cmp_neq_f32_e32 vcc_lo, 0, v84
	v_cmp_neq_f32_e64 s0, 0, v85
	s_delay_alu instid0(VALU_DEP_1) | instskip(NEXT) | instid1(SALU_CYCLE_1)
	s_or_b32 s0, vcc_lo, s0
	v_cndmask_b32_e64 v14, 0, 1, s0
	s_or_b32 exec_lo, exec_lo, s1
	s_delay_alu instid0(SALU_CYCLE_1)
	s_mov_b32 s1, exec_lo
	v_cmpx_gt_u32_e64 s62, v55
	s_cbranch_execz .LBB916_21
.LBB916_98:                             ;   in Loop: Header=BB916_6 Depth=1
	global_load_b64 v[84:85], v[18:19], off offset:3328
	s_waitcnt vmcnt(0)
	v_cmp_neq_f32_e32 vcc_lo, 0, v84
	v_cmp_neq_f32_e64 s0, 0, v85
	s_delay_alu instid0(VALU_DEP_1) | instskip(NEXT) | instid1(SALU_CYCLE_1)
	s_or_b32 s0, vcc_lo, s0
	v_cndmask_b32_e64 v15, 0, 1, s0
	s_or_b32 exec_lo, exec_lo, s1
	s_delay_alu instid0(SALU_CYCLE_1)
	s_mov_b32 s1, exec_lo
	v_cmpx_gt_u32_e64 s62, v56
	s_cbranch_execz .LBB916_22
.LBB916_99:                             ;   in Loop: Header=BB916_6 Depth=1
	global_load_b64 v[84:85], v[18:19], off offset:3584
	s_waitcnt vmcnt(0)
	v_cmp_neq_f32_e32 vcc_lo, 0, v84
	v_cmp_neq_f32_e64 s0, 0, v85
	s_delay_alu instid0(VALU_DEP_1) | instskip(NEXT) | instid1(SALU_CYCLE_1)
	s_or_b32 s0, vcc_lo, s0
	v_cndmask_b32_e64 v16, 0, 1, s0
	s_or_b32 exec_lo, exec_lo, s1
	s_delay_alu instid0(SALU_CYCLE_1)
	s_mov_b32 s1, exec_lo
	v_cmpx_gt_u32_e64 s62, v57
	s_cbranch_execnz .LBB916_23
	s_branch .LBB916_24
.LBB916_100:
	s_nop 0
	s_sendmsg sendmsg(MSG_DEALLOC_VGPRS)
	s_endpgm
	.section	.rodata,"a",@progbits
	.p2align	6, 0x0
	.amdhsa_kernel _ZN2at6native12_GLOBAL__N_111flag_kernelILi512ELi16EN3c107complexIfEEEEvPKT1_PlPKllli
		.amdhsa_group_segment_fixed_size 33796
		.amdhsa_private_segment_fixed_size 0
		.amdhsa_kernarg_size 304
		.amdhsa_user_sgpr_count 15
		.amdhsa_user_sgpr_dispatch_ptr 0
		.amdhsa_user_sgpr_queue_ptr 0
		.amdhsa_user_sgpr_kernarg_segment_ptr 1
		.amdhsa_user_sgpr_dispatch_id 0
		.amdhsa_user_sgpr_private_segment_size 0
		.amdhsa_wavefront_size32 1
		.amdhsa_uses_dynamic_stack 0
		.amdhsa_enable_private_segment 0
		.amdhsa_system_sgpr_workgroup_id_x 1
		.amdhsa_system_sgpr_workgroup_id_y 0
		.amdhsa_system_sgpr_workgroup_id_z 0
		.amdhsa_system_sgpr_workgroup_info 0
		.amdhsa_system_vgpr_workitem_id 0
		.amdhsa_next_free_vgpr 109
		.amdhsa_next_free_sgpr 71
		.amdhsa_reserve_vcc 1
		.amdhsa_float_round_mode_32 0
		.amdhsa_float_round_mode_16_64 0
		.amdhsa_float_denorm_mode_32 3
		.amdhsa_float_denorm_mode_16_64 3
		.amdhsa_dx10_clamp 1
		.amdhsa_ieee_mode 1
		.amdhsa_fp16_overflow 0
		.amdhsa_workgroup_processor_mode 1
		.amdhsa_memory_ordered 1
		.amdhsa_forward_progress 0
		.amdhsa_shared_vgpr_count 0
		.amdhsa_exception_fp_ieee_invalid_op 0
		.amdhsa_exception_fp_denorm_src 0
		.amdhsa_exception_fp_ieee_div_zero 0
		.amdhsa_exception_fp_ieee_overflow 0
		.amdhsa_exception_fp_ieee_underflow 0
		.amdhsa_exception_fp_ieee_inexact 0
		.amdhsa_exception_int_div_zero 0
	.end_amdhsa_kernel
	.section	.text._ZN2at6native12_GLOBAL__N_111flag_kernelILi512ELi16EN3c107complexIfEEEEvPKT1_PlPKllli,"axG",@progbits,_ZN2at6native12_GLOBAL__N_111flag_kernelILi512ELi16EN3c107complexIfEEEEvPKT1_PlPKllli,comdat
.Lfunc_end916:
	.size	_ZN2at6native12_GLOBAL__N_111flag_kernelILi512ELi16EN3c107complexIfEEEEvPKT1_PlPKllli, .Lfunc_end916-_ZN2at6native12_GLOBAL__N_111flag_kernelILi512ELi16EN3c107complexIfEEEEvPKT1_PlPKllli
                                        ; -- End function
	.section	.AMDGPU.csdata,"",@progbits
; Kernel info:
; codeLenInByte = 6740
; NumSgprs: 73
; NumVgprs: 109
; ScratchSize: 0
; MemoryBound: 0
; FloatMode: 240
; IeeeMode: 1
; LDSByteSize: 33796 bytes/workgroup (compile time only)
; SGPRBlocks: 9
; VGPRBlocks: 13
; NumSGPRsForWavesPerEU: 73
; NumVGPRsForWavesPerEU: 109
; Occupancy: 12
; WaveLimiterHint : 1
; COMPUTE_PGM_RSRC2:SCRATCH_EN: 0
; COMPUTE_PGM_RSRC2:USER_SGPR: 15
; COMPUTE_PGM_RSRC2:TRAP_HANDLER: 0
; COMPUTE_PGM_RSRC2:TGID_X_EN: 1
; COMPUTE_PGM_RSRC2:TGID_Y_EN: 0
; COMPUTE_PGM_RSRC2:TGID_Z_EN: 0
; COMPUTE_PGM_RSRC2:TIDIG_COMP_CNT: 0
	.section	.text._ZN2at4cuda3cub15calc_block_sumsILi512ELi16ELb1EN3c107complexINS3_4HalfEEEiEEvPKT2_PT3_li,"axG",@progbits,_ZN2at4cuda3cub15calc_block_sumsILi512ELi16ELb1EN3c107complexINS3_4HalfEEEiEEvPKT2_PT3_li,comdat
	.protected	_ZN2at4cuda3cub15calc_block_sumsILi512ELi16ELb1EN3c107complexINS3_4HalfEEEiEEvPKT2_PT3_li ; -- Begin function _ZN2at4cuda3cub15calc_block_sumsILi512ELi16ELb1EN3c107complexINS3_4HalfEEEiEEvPKT2_PT3_li
	.globl	_ZN2at4cuda3cub15calc_block_sumsILi512ELi16ELb1EN3c107complexINS3_4HalfEEEiEEvPKT2_PT3_li
	.p2align	8
	.type	_ZN2at4cuda3cub15calc_block_sumsILi512ELi16ELb1EN3c107complexINS3_4HalfEEEiEEvPKT2_PT3_li,@function
_ZN2at4cuda3cub15calc_block_sumsILi512ELi16ELb1EN3c107complexINS3_4HalfEEEiEEvPKT2_PT3_li: ; @_ZN2at4cuda3cub15calc_block_sumsILi512ELi16ELb1EN3c107complexINS3_4HalfEEEiEEvPKT2_PT3_li
; %bb.0:
	s_clause 0x1
	s_load_b32 s26, s[0:1], 0x18
	s_load_b64 s[4:5], s[0:1], 0x10
	s_waitcnt lgkmcnt(0)
	s_lshl_b32 s3, s26, 13
	s_delay_alu instid0(SALU_CYCLE_1)
	s_ashr_i32 s6, s3, 31
	s_mul_hi_u32 s8, s3, s15
	s_mul_i32 s7, s6, s15
	s_mul_i32 s6, s3, s15
	s_add_i32 s7, s8, s7
	s_sub_u32 s24, s4, s6
	s_subb_u32 s25, s5, s7
	s_delay_alu instid0(SALU_CYCLE_1) | instskip(NEXT) | instid1(VALU_DEP_1)
	v_cmp_lt_i64_e64 s3, s[24:25], 1
	s_and_b32 vcc_lo, exec_lo, s3
	s_cbranch_vccnz .LBB917_58
; %bb.1:
	s_load_b128 s[20:23], s[0:1], 0x0
	s_mov_b32 s2, s15
	s_cmp_gt_i32 s26, 0
	s_mov_b32 s3, 0
	s_cbranch_scc1 .LBB917_3
; %bb.2:
	s_mov_b32 s0, 0
	s_mov_b32 s1, s3
	v_mov_b32_e32 v21, s0
	s_and_not1_b32 vcc_lo, exec_lo, s1
	s_mov_b32 s5, s3
	s_cbranch_vccz .LBB917_4
	s_branch .LBB917_56
.LBB917_3:
                                        ; implicit-def: $sgpr0
	v_mov_b32_e32 v21, s0
	s_mov_b32 s5, s3
.LBB917_4:
	v_lshrrev_b32_e32 v1, 3, v0
	s_mul_i32 s0, s2, s26
	v_dual_mov_b32 v21, 0 :: v_dual_add_nc_u32 v22, 0x200, v0
	s_lshl_b32 s1, s0, 13
	s_delay_alu instid0(VALU_DEP_2)
	v_dual_mov_b32 v2, 0 :: v_dual_and_b32 v37, 0x7c, v1
	v_lshlrev_b32_e32 v1, 2, v0
	s_sub_i32 s27, s4, s1
	s_lshl_b64 s[4:5], s[6:7], 2
	v_or_b32_e32 v23, 0x400, v0
	s_waitcnt lgkmcnt(0)
	s_add_u32 s1, s20, s4
	s_addc_u32 s4, s21, s5
	v_add_co_u32 v19, s1, s1, v1
	v_add_nc_u32_e32 v24, 0x600, v0
	v_or_b32_e32 v25, 0x800, v0
	v_add_nc_u32_e32 v26, 0xa00, v0
	v_or_b32_e32 v27, 0xc00, v0
	;; [unrolled: 2-line block ×6, first 2 shown]
	v_add_nc_u32_e32 v36, 0x1e00, v0
	v_cmp_gt_u32_e64 s0, 32, v0
	v_add_co_ci_u32_e64 v20, null, s4, 0, s1
	v_mbcnt_lo_u32_b32 v38, -1, 0
	s_mov_b32 s4, 0
	s_mov_b32 s1, -1
	s_mov_b32 s20, 0
	v_cmp_gt_i64_e64 s5, 0x2000, s[24:25]
                                        ; implicit-def: $vgpr1
	s_delay_alu instid0(VALU_DEP_1)
	s_and_b32 vcc_lo, exec_lo, s5
	s_mov_b32 s5, -1
	s_cbranch_vccnz .LBB917_8
.LBB917_5:
	s_and_b32 vcc_lo, exec_lo, s5
	s_cbranch_vccnz .LBB917_30
.LBB917_6:
	v_cmp_lt_i64_e64 s5, 0x2000, s[24:25]
	s_delay_alu instid0(VALU_DEP_2) | instskip(NEXT) | instid1(VALU_DEP_2)
	v_add_nc_u32_e32 v21, v1, v21
	s_and_b32 vcc_lo, exec_lo, s5
	s_cbranch_vccz .LBB917_35
.LBB917_7:
	s_add_u32 s24, s24, 0xffffe000
	s_addc_u32 s25, s25, -1
	s_add_i32 s20, s20, 1
	v_add_co_u32 v19, vcc_lo, 0x8000, v19
	s_cmp_lt_i32 s20, s26
	v_add_co_ci_u32_e32 v20, vcc_lo, 0, v20, vcc_lo
	s_cselect_b32 s5, -1, 0
	s_addk_i32 s27, 0xe000
	s_cmp_eq_u32 s26, s20
	s_mov_b32 s6, 0
	s_cselect_b32 s7, -1, 0
	s_barrier
	buffer_gl0_inv
	s_and_not1_b32 vcc_lo, exec_lo, s7
	s_cbranch_vccnz .LBB917_36
	s_branch .LBB917_52
.LBB917_8:
	s_mov_b32 s5, s4
	s_mov_b32 s6, s4
	;; [unrolled: 1-line block ×15, first 2 shown]
	v_dual_mov_b32 v3, s4 :: v_dual_mov_b32 v4, s5
	v_dual_mov_b32 v5, s6 :: v_dual_mov_b32 v6, s7
	;; [unrolled: 1-line block ×8, first 2 shown]
	s_mov_b32 s5, exec_lo
	v_cmpx_gt_u32_e64 s27, v0
	s_cbranch_execnz .LBB917_37
; %bb.9:
	s_or_b32 exec_lo, exec_lo, s5
	s_delay_alu instid0(SALU_CYCLE_1)
	s_mov_b32 s5, exec_lo
	v_cmpx_gt_u32_e64 s27, v22
	s_cbranch_execnz .LBB917_38
.LBB917_10:
	s_or_b32 exec_lo, exec_lo, s5
	s_delay_alu instid0(SALU_CYCLE_1)
	s_mov_b32 s5, exec_lo
	v_cmpx_gt_u32_e64 s27, v23
	s_cbranch_execnz .LBB917_39
.LBB917_11:
	s_or_b32 exec_lo, exec_lo, s5
	s_delay_alu instid0(SALU_CYCLE_1)
	s_mov_b32 s5, exec_lo
	v_cmpx_gt_u32_e64 s27, v24
	s_cbranch_execnz .LBB917_40
.LBB917_12:
	s_or_b32 exec_lo, exec_lo, s5
	s_delay_alu instid0(SALU_CYCLE_1)
	s_mov_b32 s5, exec_lo
	v_cmpx_gt_u32_e64 s27, v25
	s_cbranch_execnz .LBB917_41
.LBB917_13:
	s_or_b32 exec_lo, exec_lo, s5
	s_delay_alu instid0(SALU_CYCLE_1)
	s_mov_b32 s5, exec_lo
	v_cmpx_gt_u32_e64 s27, v26
	s_cbranch_execnz .LBB917_42
.LBB917_14:
	s_or_b32 exec_lo, exec_lo, s5
	s_delay_alu instid0(SALU_CYCLE_1)
	s_mov_b32 s5, exec_lo
	v_cmpx_gt_u32_e64 s27, v27
	s_cbranch_execnz .LBB917_43
.LBB917_15:
	s_or_b32 exec_lo, exec_lo, s5
	s_delay_alu instid0(SALU_CYCLE_1)
	s_mov_b32 s5, exec_lo
	v_cmpx_gt_u32_e64 s27, v28
	s_cbranch_execnz .LBB917_44
.LBB917_16:
	s_or_b32 exec_lo, exec_lo, s5
	s_delay_alu instid0(SALU_CYCLE_1)
	s_mov_b32 s5, exec_lo
	v_cmpx_gt_u32_e64 s27, v29
	s_cbranch_execnz .LBB917_45
.LBB917_17:
	s_or_b32 exec_lo, exec_lo, s5
	s_delay_alu instid0(SALU_CYCLE_1)
	s_mov_b32 s5, exec_lo
	v_cmpx_gt_u32_e64 s27, v30
	s_cbranch_execnz .LBB917_46
.LBB917_18:
	s_or_b32 exec_lo, exec_lo, s5
	s_delay_alu instid0(SALU_CYCLE_1)
	s_mov_b32 s5, exec_lo
	v_cmpx_gt_u32_e64 s27, v31
	s_cbranch_execnz .LBB917_47
.LBB917_19:
	s_or_b32 exec_lo, exec_lo, s5
	s_delay_alu instid0(SALU_CYCLE_1)
	s_mov_b32 s5, exec_lo
	v_cmpx_gt_u32_e64 s27, v32
	s_cbranch_execnz .LBB917_48
.LBB917_20:
	s_or_b32 exec_lo, exec_lo, s5
	s_delay_alu instid0(SALU_CYCLE_1)
	s_mov_b32 s5, exec_lo
	v_cmpx_gt_u32_e64 s27, v33
	s_cbranch_execnz .LBB917_49
.LBB917_21:
	s_or_b32 exec_lo, exec_lo, s5
	s_delay_alu instid0(SALU_CYCLE_1)
	s_mov_b32 s5, exec_lo
	v_cmpx_gt_u32_e64 s27, v34
	s_cbranch_execnz .LBB917_50
.LBB917_22:
	s_or_b32 exec_lo, exec_lo, s5
	s_delay_alu instid0(SALU_CYCLE_1)
	s_mov_b32 s5, exec_lo
	v_cmpx_gt_u32_e64 s27, v35
	s_cbranch_execnz .LBB917_51
.LBB917_23:
	s_or_b32 exec_lo, exec_lo, s5
	s_delay_alu instid0(SALU_CYCLE_1)
	s_mov_b32 s5, exec_lo
	v_cmpx_gt_u32_e64 s27, v36
	s_cbranch_execz .LBB917_25
.LBB917_24:
	v_add_co_u32 v39, vcc_lo, 0x7000, v19
	v_add_co_ci_u32_e32 v40, vcc_lo, 0, v20, vcc_lo
	global_load_b32 v1, v[39:40], off offset:2048
	s_waitcnt vmcnt(0)
	v_and_b32_e32 v1, 0x7fff7fff, v1
	s_delay_alu instid0(VALU_DEP_1)
	v_cmp_ne_u32_e32 vcc_lo, 0, v1
	v_cndmask_b32_e64 v18, 0, 1, vcc_lo
.LBB917_25:
	s_or_b32 exec_lo, exec_lo, s5
	v_add_nc_u32_e32 v1, v4, v3
	s_mov_b32 s5, exec_lo
	s_barrier
	buffer_gl0_inv
	v_add3_u32 v1, v1, v5, v6
	s_delay_alu instid0(VALU_DEP_1) | instskip(NEXT) | instid1(VALU_DEP_1)
	v_add3_u32 v1, v1, v7, v8
	v_add3_u32 v1, v1, v9, v10
	s_delay_alu instid0(VALU_DEP_1) | instskip(NEXT) | instid1(VALU_DEP_1)
	v_add3_u32 v1, v1, v11, v12
	;; [unrolled: 3-line block ×3, first 2 shown]
	v_add3_u32 v1, v1, v17, v18
	s_delay_alu instid0(VALU_DEP_1) | instskip(NEXT) | instid1(VALU_DEP_1)
	v_mov_b32_dpp v3, v1 quad_perm:[1,0,3,2] row_mask:0xf bank_mask:0xf
	v_add_nc_u32_e32 v1, v1, v3
	s_delay_alu instid0(VALU_DEP_1) | instskip(NEXT) | instid1(VALU_DEP_1)
	v_mov_b32_dpp v3, v1 quad_perm:[2,3,0,1] row_mask:0xf bank_mask:0xf
	v_add_nc_u32_e32 v1, v1, v3
	s_delay_alu instid0(VALU_DEP_1) | instskip(NEXT) | instid1(VALU_DEP_1)
	v_mov_b32_dpp v3, v1 row_ror:4 row_mask:0xf bank_mask:0xf
	v_add_nc_u32_e32 v1, v1, v3
	s_delay_alu instid0(VALU_DEP_1) | instskip(NEXT) | instid1(VALU_DEP_1)
	v_mov_b32_dpp v3, v1 row_ror:8 row_mask:0xf bank_mask:0xf
	v_add_nc_u32_e32 v1, v1, v3
	ds_swizzle_b32 v3, v1 offset:swizzle(BROADCAST,32,15)
	s_waitcnt lgkmcnt(0)
	v_add_nc_u32_e32 v1, v1, v3
	ds_bpermute_b32 v1, v2, v1 offset:124
	v_cmpx_eq_u32_e32 0, v38
	s_cbranch_execz .LBB917_27
; %bb.26:
	s_waitcnt lgkmcnt(0)
	ds_store_b32 v37, v1
.LBB917_27:
	s_or_b32 exec_lo, exec_lo, s5
	s_waitcnt lgkmcnt(0)
	s_barrier
	buffer_gl0_inv
	s_and_saveexec_b32 s5, s0
	s_cbranch_execz .LBB917_29
; %bb.28:
	v_and_b32_e32 v1, 15, v38
	s_delay_alu instid0(VALU_DEP_1) | instskip(SKIP_4) | instid1(VALU_DEP_2)
	v_lshlrev_b32_e32 v3, 2, v1
	v_cmp_ne_u32_e32 vcc_lo, 15, v1
	ds_load_b32 v3, v3
	v_add_co_ci_u32_e32 v4, vcc_lo, 0, v38, vcc_lo
	v_cmp_gt_u32_e32 vcc_lo, 14, v1
	v_lshlrev_b32_e32 v4, 2, v4
	v_cndmask_b32_e64 v5, 0, 1, vcc_lo
	v_cmp_gt_u32_e32 vcc_lo, 12, v1
	s_delay_alu instid0(VALU_DEP_2) | instskip(NEXT) | instid1(VALU_DEP_1)
	v_lshlrev_b32_e32 v5, 1, v5
	v_add_lshl_u32 v5, v5, v38, 2
	s_waitcnt lgkmcnt(0)
	ds_bpermute_b32 v4, v4, v3
	s_waitcnt lgkmcnt(0)
	v_add_nc_u32_e32 v3, v4, v3
	ds_bpermute_b32 v4, v5, v3
	v_cndmask_b32_e64 v5, 0, 1, vcc_lo
	v_cmp_gt_u32_e32 vcc_lo, 8, v1
	s_delay_alu instid0(VALU_DEP_2) | instskip(SKIP_1) | instid1(VALU_DEP_2)
	v_lshlrev_b32_e32 v5, 2, v5
	v_cndmask_b32_e64 v1, 0, 1, vcc_lo
	v_add_lshl_u32 v5, v5, v38, 2
	s_delay_alu instid0(VALU_DEP_2) | instskip(NEXT) | instid1(VALU_DEP_1)
	v_lshlrev_b32_e32 v1, 3, v1
	v_add_lshl_u32 v1, v1, v38, 2
	s_waitcnt lgkmcnt(0)
	v_add_nc_u32_e32 v3, v4, v3
	ds_bpermute_b32 v4, v5, v3
	s_waitcnt lgkmcnt(0)
	v_add_nc_u32_e32 v3, v4, v3
	ds_bpermute_b32 v1, v1, v3
	s_waitcnt lgkmcnt(0)
	v_add_nc_u32_e32 v1, v1, v3
.LBB917_29:
	s_or_b32 exec_lo, exec_lo, s5
	s_branch .LBB917_6
.LBB917_30:
	v_add_co_u32 v3, vcc_lo, 0x1000, v19
	v_add_co_ci_u32_e32 v4, vcc_lo, 0, v20, vcc_lo
	v_add_co_u32 v5, vcc_lo, v19, 0x2000
	v_add_co_ci_u32_e32 v6, vcc_lo, 0, v20, vcc_lo
	s_clause 0x1
	global_load_b32 v1, v[19:20], off
	global_load_b32 v15, v[19:20], off offset:2048
	v_add_co_u32 v7, vcc_lo, 0x2000, v19
	v_add_co_ci_u32_e32 v8, vcc_lo, 0, v20, vcc_lo
	v_add_co_u32 v9, vcc_lo, 0x3000, v19
	v_add_co_ci_u32_e32 v10, vcc_lo, 0, v20, vcc_lo
	;; [unrolled: 2-line block ×4, first 2 shown]
	s_clause 0x7
	global_load_b32 v16, v[5:6], off offset:-4096
	global_load_b32 v17, v[5:6], off
	global_load_b32 v18, v[11:12], off offset:-4096
	global_load_b32 v11, v[11:12], off
	global_load_b32 v12, v[3:4], off offset:2048
	global_load_b32 v39, v[7:8], off offset:2048
	;; [unrolled: 1-line block ×4, first 2 shown]
	v_add_co_u32 v3, vcc_lo, 0x5000, v19
	v_add_co_ci_u32_e32 v4, vcc_lo, 0, v20, vcc_lo
	v_add_co_u32 v5, vcc_lo, v19, 0x6000
	v_add_co_ci_u32_e32 v6, vcc_lo, 0, v20, vcc_lo
	;; [unrolled: 2-line block ×4, first 2 shown]
	s_clause 0x5
	global_load_b32 v14, v[5:6], off offset:-4096
	global_load_b32 v3, v[3:4], off offset:2048
	global_load_b32 v4, v[5:6], off
	global_load_b32 v5, v[7:8], off offset:2048
	global_load_b32 v6, v[9:10], off
	global_load_b32 v7, v[9:10], off offset:2048
	s_mov_b32 s5, exec_lo
	s_waitcnt vmcnt(0)
	s_barrier
	buffer_gl0_inv
	v_and_b32_e32 v1, 0x7fff7fff, v1
	v_and_b32_e32 v8, 0x7fff7fff, v15
	s_delay_alu instid0(VALU_DEP_2)
	v_cmp_ne_u32_e32 vcc_lo, 0, v1
	v_cndmask_b32_e64 v1, 0, 1, vcc_lo
	v_and_b32_e32 v9, 0x7fff7fff, v16
	v_and_b32_e32 v16, 0x7fff7fff, v18
	;; [unrolled: 1-line block ×4, first 2 shown]
	s_delay_alu instid0(VALU_DEP_4)
	v_cmp_ne_u32_e32 vcc_lo, 0, v9
	v_and_b32_e32 v12, 0x7fff7fff, v17
	v_and_b32_e32 v15, 0x7fff7fff, v39
	;; [unrolled: 1-line block ×4, first 2 shown]
	v_cndmask_b32_e64 v9, 0, 1, vcc_lo
	v_cmp_ne_u32_e32 vcc_lo, 0, v8
	v_add_co_ci_u32_e32 v1, vcc_lo, 0, v1, vcc_lo
	v_cmp_ne_u32_e32 vcc_lo, 0, v12
	v_and_b32_e32 v14, 0x7fff7fff, v14
	v_and_b32_e32 v3, 0x7fff7fff, v3
	;; [unrolled: 1-line block ×4, first 2 shown]
	v_cndmask_b32_e64 v8, 0, 1, vcc_lo
	v_cmp_ne_u32_e32 vcc_lo, 0, v10
	v_and_b32_e32 v6, 0x7fff7fff, v6
	v_add_co_ci_u32_e32 v1, vcc_lo, v1, v9, vcc_lo
	v_cmp_ne_u32_e32 vcc_lo, 0, v16
	v_cndmask_b32_e64 v9, 0, 1, vcc_lo
	v_cmp_ne_u32_e32 vcc_lo, 0, v15
	s_delay_alu instid0(VALU_DEP_4) | instskip(SKIP_3) | instid1(VALU_DEP_4)
	v_add_co_ci_u32_e32 v1, vcc_lo, v1, v8, vcc_lo
	v_cmp_ne_u32_e32 vcc_lo, 0, v11
	v_cndmask_b32_e64 v8, 0, 1, vcc_lo
	v_cmp_ne_u32_e32 vcc_lo, 0, v17
	v_add_co_ci_u32_e32 v1, vcc_lo, v1, v9, vcc_lo
	v_cmp_ne_u32_e32 vcc_lo, 0, v14
	v_cndmask_b32_e64 v9, 0, 1, vcc_lo
	v_cmp_ne_u32_e32 vcc_lo, 0, v13
	s_delay_alu instid0(VALU_DEP_4) | instskip(SKIP_3) | instid1(VALU_DEP_4)
	v_add_co_ci_u32_e32 v1, vcc_lo, v1, v8, vcc_lo
	v_cmp_ne_u32_e32 vcc_lo, 0, v4
	v_cndmask_b32_e64 v4, 0, 1, vcc_lo
	v_cmp_ne_u32_e32 vcc_lo, 0, v3
	v_add_co_ci_u32_e32 v1, vcc_lo, v1, v9, vcc_lo
	v_cmp_ne_u32_e32 vcc_lo, 0, v6
	v_and_b32_e32 v6, 0x7fff7fff, v7
	v_cndmask_b32_e64 v3, 0, 1, vcc_lo
	v_cmp_ne_u32_e32 vcc_lo, 0, v5
	v_add_co_ci_u32_e32 v1, vcc_lo, v1, v4, vcc_lo
	s_delay_alu instid0(VALU_DEP_4) | instskip(NEXT) | instid1(VALU_DEP_2)
	v_cmp_ne_u32_e32 vcc_lo, 0, v6
	v_add_co_ci_u32_e32 v1, vcc_lo, v1, v3, vcc_lo
	s_delay_alu instid0(VALU_DEP_1) | instskip(NEXT) | instid1(VALU_DEP_1)
	v_mov_b32_dpp v3, v1 quad_perm:[1,0,3,2] row_mask:0xf bank_mask:0xf
	v_add_nc_u32_e32 v1, v3, v1
	s_delay_alu instid0(VALU_DEP_1) | instskip(NEXT) | instid1(VALU_DEP_1)
	v_mov_b32_dpp v3, v1 quad_perm:[2,3,0,1] row_mask:0xf bank_mask:0xf
	v_add_nc_u32_e32 v1, v1, v3
	s_delay_alu instid0(VALU_DEP_1) | instskip(NEXT) | instid1(VALU_DEP_1)
	v_mov_b32_dpp v3, v1 row_ror:4 row_mask:0xf bank_mask:0xf
	v_add_nc_u32_e32 v1, v1, v3
	s_delay_alu instid0(VALU_DEP_1) | instskip(NEXT) | instid1(VALU_DEP_1)
	v_mov_b32_dpp v3, v1 row_ror:8 row_mask:0xf bank_mask:0xf
	v_add_nc_u32_e32 v1, v1, v3
	ds_swizzle_b32 v3, v1 offset:swizzle(BROADCAST,32,15)
	s_waitcnt lgkmcnt(0)
	v_add_nc_u32_e32 v1, v1, v3
	ds_bpermute_b32 v1, v2, v1 offset:124
	v_cmpx_eq_u32_e32 0, v38
	s_cbranch_execz .LBB917_32
; %bb.31:
	s_waitcnt lgkmcnt(0)
	ds_store_b32 v37, v1
.LBB917_32:
	s_or_b32 exec_lo, exec_lo, s5
	s_waitcnt lgkmcnt(0)
	s_barrier
	buffer_gl0_inv
	s_and_saveexec_b32 s5, s0
	s_cbranch_execz .LBB917_34
; %bb.33:
	v_and_b32_e32 v1, 15, v38
	s_delay_alu instid0(VALU_DEP_1) | instskip(SKIP_4) | instid1(VALU_DEP_2)
	v_lshlrev_b32_e32 v3, 2, v1
	v_cmp_ne_u32_e32 vcc_lo, 15, v1
	ds_load_b32 v3, v3
	v_add_co_ci_u32_e32 v4, vcc_lo, 0, v38, vcc_lo
	v_cmp_gt_u32_e32 vcc_lo, 14, v1
	v_lshlrev_b32_e32 v4, 2, v4
	v_cndmask_b32_e64 v5, 0, 1, vcc_lo
	v_cmp_gt_u32_e32 vcc_lo, 12, v1
	s_delay_alu instid0(VALU_DEP_2) | instskip(NEXT) | instid1(VALU_DEP_1)
	v_lshlrev_b32_e32 v5, 1, v5
	v_add_lshl_u32 v5, v5, v38, 2
	s_waitcnt lgkmcnt(0)
	ds_bpermute_b32 v4, v4, v3
	s_waitcnt lgkmcnt(0)
	v_add_nc_u32_e32 v3, v4, v3
	ds_bpermute_b32 v4, v5, v3
	v_cndmask_b32_e64 v5, 0, 1, vcc_lo
	v_cmp_gt_u32_e32 vcc_lo, 8, v1
	s_delay_alu instid0(VALU_DEP_2) | instskip(SKIP_1) | instid1(VALU_DEP_2)
	v_lshlrev_b32_e32 v5, 2, v5
	v_cndmask_b32_e64 v1, 0, 1, vcc_lo
	v_add_lshl_u32 v5, v5, v38, 2
	s_delay_alu instid0(VALU_DEP_2) | instskip(NEXT) | instid1(VALU_DEP_1)
	v_lshlrev_b32_e32 v1, 3, v1
	v_add_lshl_u32 v1, v1, v38, 2
	s_waitcnt lgkmcnt(0)
	v_add_nc_u32_e32 v3, v4, v3
	ds_bpermute_b32 v4, v5, v3
	s_waitcnt lgkmcnt(0)
	v_add_nc_u32_e32 v3, v4, v3
	ds_bpermute_b32 v1, v1, v3
	s_waitcnt lgkmcnt(0)
	v_add_nc_u32_e32 v1, v1, v3
.LBB917_34:
	s_or_b32 exec_lo, exec_lo, s5
	v_cmp_lt_i64_e64 s5, 0x2000, s[24:25]
	s_delay_alu instid0(VALU_DEP_2) | instskip(NEXT) | instid1(VALU_DEP_2)
	v_add_nc_u32_e32 v21, v1, v21
	s_and_b32 vcc_lo, exec_lo, s5
	s_cbranch_vccnz .LBB917_7
.LBB917_35:
	s_mov_b32 s6, -1
                                        ; implicit-def: $sgpr20
                                        ; implicit-def: $sgpr24_sgpr25
                                        ; implicit-def: $sgpr27
                                        ; implicit-def: $vgpr19_vgpr20
                                        ; implicit-def: $sgpr5
	s_branch .LBB917_52
.LBB917_36:
	s_mov_b32 s1, s5
	v_cmp_gt_i64_e64 s5, 0x2000, s[24:25]
                                        ; implicit-def: $vgpr1
	s_delay_alu instid0(VALU_DEP_1)
	s_and_b32 vcc_lo, exec_lo, s5
	s_mov_b32 s5, -1
	s_cbranch_vccnz .LBB917_8
	s_branch .LBB917_5
.LBB917_37:
	global_load_b32 v1, v[19:20], off
	v_mov_b32_e32 v4, v2
	v_mov_b32_e32 v16, v2
	;; [unrolled: 1-line block ×13, first 2 shown]
	s_waitcnt vmcnt(0)
	v_and_b32_e32 v1, 0x7fff7fff, v1
	s_delay_alu instid0(VALU_DEP_1) | instskip(SKIP_1) | instid1(VALU_DEP_1)
	v_cmp_ne_u32_e32 vcc_lo, 0, v1
	v_cndmask_b32_e64 v1, 0, 1, vcc_lo
	v_dual_mov_b32 v6, v2 :: v_dual_and_b32 v1, 0xffff, v1
	v_mov_b32_e32 v18, v16
	v_dual_mov_b32 v17, v15 :: v_dual_mov_b32 v16, v14
	v_mov_b32_e32 v15, v13
	v_mov_b32_e32 v14, v12
	;; [unrolled: 1-line block ×13, first 2 shown]
	s_or_b32 exec_lo, exec_lo, s5
	s_delay_alu instid0(SALU_CYCLE_1)
	s_mov_b32 s5, exec_lo
	v_cmpx_gt_u32_e64 s27, v22
	s_cbranch_execz .LBB917_10
.LBB917_38:
	global_load_b32 v1, v[19:20], off offset:2048
	s_waitcnt vmcnt(0)
	v_and_b32_e32 v1, 0x7fff7fff, v1
	s_delay_alu instid0(VALU_DEP_1) | instskip(SKIP_2) | instid1(SALU_CYCLE_1)
	v_cmp_ne_u32_e32 vcc_lo, 0, v1
	v_cndmask_b32_e64 v4, 0, 1, vcc_lo
	s_or_b32 exec_lo, exec_lo, s5
	s_mov_b32 s5, exec_lo
	v_cmpx_gt_u32_e64 s27, v23
	s_cbranch_execz .LBB917_11
.LBB917_39:
	v_add_co_u32 v39, vcc_lo, 0x1000, v19
	v_add_co_ci_u32_e32 v40, vcc_lo, 0, v20, vcc_lo
	global_load_b32 v1, v[39:40], off
	s_waitcnt vmcnt(0)
	v_and_b32_e32 v1, 0x7fff7fff, v1
	s_delay_alu instid0(VALU_DEP_1) | instskip(SKIP_2) | instid1(SALU_CYCLE_1)
	v_cmp_ne_u32_e32 vcc_lo, 0, v1
	v_cndmask_b32_e64 v5, 0, 1, vcc_lo
	s_or_b32 exec_lo, exec_lo, s5
	s_mov_b32 s5, exec_lo
	v_cmpx_gt_u32_e64 s27, v24
	s_cbranch_execz .LBB917_12
.LBB917_40:
	v_add_co_u32 v39, vcc_lo, 0x1000, v19
	v_add_co_ci_u32_e32 v40, vcc_lo, 0, v20, vcc_lo
	global_load_b32 v1, v[39:40], off offset:2048
	s_waitcnt vmcnt(0)
	v_and_b32_e32 v1, 0x7fff7fff, v1
	s_delay_alu instid0(VALU_DEP_1) | instskip(SKIP_2) | instid1(SALU_CYCLE_1)
	v_cmp_ne_u32_e32 vcc_lo, 0, v1
	v_cndmask_b32_e64 v6, 0, 1, vcc_lo
	s_or_b32 exec_lo, exec_lo, s5
	s_mov_b32 s5, exec_lo
	v_cmpx_gt_u32_e64 s27, v25
	s_cbranch_execz .LBB917_13
.LBB917_41:
	v_add_co_u32 v39, vcc_lo, 0x2000, v19
	v_add_co_ci_u32_e32 v40, vcc_lo, 0, v20, vcc_lo
	global_load_b32 v1, v[39:40], off
	s_waitcnt vmcnt(0)
	v_and_b32_e32 v1, 0x7fff7fff, v1
	s_delay_alu instid0(VALU_DEP_1) | instskip(SKIP_2) | instid1(SALU_CYCLE_1)
	v_cmp_ne_u32_e32 vcc_lo, 0, v1
	v_cndmask_b32_e64 v7, 0, 1, vcc_lo
	s_or_b32 exec_lo, exec_lo, s5
	s_mov_b32 s5, exec_lo
	v_cmpx_gt_u32_e64 s27, v26
	s_cbranch_execz .LBB917_14
.LBB917_42:
	v_add_co_u32 v39, vcc_lo, 0x2000, v19
	v_add_co_ci_u32_e32 v40, vcc_lo, 0, v20, vcc_lo
	global_load_b32 v1, v[39:40], off offset:2048
	s_waitcnt vmcnt(0)
	v_and_b32_e32 v1, 0x7fff7fff, v1
	s_delay_alu instid0(VALU_DEP_1) | instskip(SKIP_2) | instid1(SALU_CYCLE_1)
	v_cmp_ne_u32_e32 vcc_lo, 0, v1
	v_cndmask_b32_e64 v8, 0, 1, vcc_lo
	s_or_b32 exec_lo, exec_lo, s5
	s_mov_b32 s5, exec_lo
	v_cmpx_gt_u32_e64 s27, v27
	s_cbranch_execz .LBB917_15
.LBB917_43:
	v_add_co_u32 v39, vcc_lo, 0x3000, v19
	v_add_co_ci_u32_e32 v40, vcc_lo, 0, v20, vcc_lo
	global_load_b32 v1, v[39:40], off
	s_waitcnt vmcnt(0)
	v_and_b32_e32 v1, 0x7fff7fff, v1
	s_delay_alu instid0(VALU_DEP_1) | instskip(SKIP_2) | instid1(SALU_CYCLE_1)
	v_cmp_ne_u32_e32 vcc_lo, 0, v1
	v_cndmask_b32_e64 v9, 0, 1, vcc_lo
	s_or_b32 exec_lo, exec_lo, s5
	s_mov_b32 s5, exec_lo
	v_cmpx_gt_u32_e64 s27, v28
	s_cbranch_execz .LBB917_16
.LBB917_44:
	v_add_co_u32 v39, vcc_lo, 0x3000, v19
	v_add_co_ci_u32_e32 v40, vcc_lo, 0, v20, vcc_lo
	global_load_b32 v1, v[39:40], off offset:2048
	s_waitcnt vmcnt(0)
	v_and_b32_e32 v1, 0x7fff7fff, v1
	s_delay_alu instid0(VALU_DEP_1) | instskip(SKIP_2) | instid1(SALU_CYCLE_1)
	v_cmp_ne_u32_e32 vcc_lo, 0, v1
	v_cndmask_b32_e64 v10, 0, 1, vcc_lo
	s_or_b32 exec_lo, exec_lo, s5
	s_mov_b32 s5, exec_lo
	v_cmpx_gt_u32_e64 s27, v29
	s_cbranch_execz .LBB917_17
.LBB917_45:
	v_add_co_u32 v39, vcc_lo, 0x4000, v19
	v_add_co_ci_u32_e32 v40, vcc_lo, 0, v20, vcc_lo
	global_load_b32 v1, v[39:40], off
	s_waitcnt vmcnt(0)
	v_and_b32_e32 v1, 0x7fff7fff, v1
	s_delay_alu instid0(VALU_DEP_1) | instskip(SKIP_2) | instid1(SALU_CYCLE_1)
	v_cmp_ne_u32_e32 vcc_lo, 0, v1
	v_cndmask_b32_e64 v11, 0, 1, vcc_lo
	s_or_b32 exec_lo, exec_lo, s5
	s_mov_b32 s5, exec_lo
	v_cmpx_gt_u32_e64 s27, v30
	s_cbranch_execz .LBB917_18
.LBB917_46:
	v_add_co_u32 v39, vcc_lo, 0x4000, v19
	v_add_co_ci_u32_e32 v40, vcc_lo, 0, v20, vcc_lo
	global_load_b32 v1, v[39:40], off offset:2048
	s_waitcnt vmcnt(0)
	v_and_b32_e32 v1, 0x7fff7fff, v1
	s_delay_alu instid0(VALU_DEP_1) | instskip(SKIP_2) | instid1(SALU_CYCLE_1)
	v_cmp_ne_u32_e32 vcc_lo, 0, v1
	v_cndmask_b32_e64 v12, 0, 1, vcc_lo
	s_or_b32 exec_lo, exec_lo, s5
	s_mov_b32 s5, exec_lo
	v_cmpx_gt_u32_e64 s27, v31
	s_cbranch_execz .LBB917_19
.LBB917_47:
	v_add_co_u32 v39, vcc_lo, 0x5000, v19
	v_add_co_ci_u32_e32 v40, vcc_lo, 0, v20, vcc_lo
	global_load_b32 v1, v[39:40], off
	s_waitcnt vmcnt(0)
	v_and_b32_e32 v1, 0x7fff7fff, v1
	s_delay_alu instid0(VALU_DEP_1) | instskip(SKIP_2) | instid1(SALU_CYCLE_1)
	v_cmp_ne_u32_e32 vcc_lo, 0, v1
	v_cndmask_b32_e64 v13, 0, 1, vcc_lo
	s_or_b32 exec_lo, exec_lo, s5
	s_mov_b32 s5, exec_lo
	v_cmpx_gt_u32_e64 s27, v32
	s_cbranch_execz .LBB917_20
.LBB917_48:
	v_add_co_u32 v39, vcc_lo, 0x5000, v19
	v_add_co_ci_u32_e32 v40, vcc_lo, 0, v20, vcc_lo
	global_load_b32 v1, v[39:40], off offset:2048
	s_waitcnt vmcnt(0)
	v_and_b32_e32 v1, 0x7fff7fff, v1
	s_delay_alu instid0(VALU_DEP_1) | instskip(SKIP_2) | instid1(SALU_CYCLE_1)
	v_cmp_ne_u32_e32 vcc_lo, 0, v1
	v_cndmask_b32_e64 v14, 0, 1, vcc_lo
	s_or_b32 exec_lo, exec_lo, s5
	s_mov_b32 s5, exec_lo
	v_cmpx_gt_u32_e64 s27, v33
	s_cbranch_execz .LBB917_21
.LBB917_49:
	v_add_co_u32 v39, vcc_lo, 0x6000, v19
	v_add_co_ci_u32_e32 v40, vcc_lo, 0, v20, vcc_lo
	global_load_b32 v1, v[39:40], off
	s_waitcnt vmcnt(0)
	v_and_b32_e32 v1, 0x7fff7fff, v1
	s_delay_alu instid0(VALU_DEP_1) | instskip(SKIP_2) | instid1(SALU_CYCLE_1)
	v_cmp_ne_u32_e32 vcc_lo, 0, v1
	v_cndmask_b32_e64 v15, 0, 1, vcc_lo
	s_or_b32 exec_lo, exec_lo, s5
	s_mov_b32 s5, exec_lo
	v_cmpx_gt_u32_e64 s27, v34
	s_cbranch_execz .LBB917_22
.LBB917_50:
	v_add_co_u32 v39, vcc_lo, 0x6000, v19
	v_add_co_ci_u32_e32 v40, vcc_lo, 0, v20, vcc_lo
	global_load_b32 v1, v[39:40], off offset:2048
	s_waitcnt vmcnt(0)
	v_and_b32_e32 v1, 0x7fff7fff, v1
	s_delay_alu instid0(VALU_DEP_1) | instskip(SKIP_2) | instid1(SALU_CYCLE_1)
	v_cmp_ne_u32_e32 vcc_lo, 0, v1
	v_cndmask_b32_e64 v16, 0, 1, vcc_lo
	s_or_b32 exec_lo, exec_lo, s5
	s_mov_b32 s5, exec_lo
	v_cmpx_gt_u32_e64 s27, v35
	s_cbranch_execz .LBB917_23
.LBB917_51:
	v_add_co_u32 v39, vcc_lo, 0x7000, v19
	v_add_co_ci_u32_e32 v40, vcc_lo, 0, v20, vcc_lo
	global_load_b32 v1, v[39:40], off
	s_waitcnt vmcnt(0)
	v_and_b32_e32 v1, 0x7fff7fff, v1
	s_delay_alu instid0(VALU_DEP_1) | instskip(SKIP_2) | instid1(SALU_CYCLE_1)
	v_cmp_ne_u32_e32 vcc_lo, 0, v1
	v_cndmask_b32_e64 v17, 0, 1, vcc_lo
	s_or_b32 exec_lo, exec_lo, s5
	s_mov_b32 s5, exec_lo
	v_cmpx_gt_u32_e64 s27, v36
	s_cbranch_execnz .LBB917_24
	s_branch .LBB917_25
.LBB917_52:
	s_and_b32 vcc_lo, exec_lo, s6
	s_cbranch_vccz .LBB917_56
; %bb.53:
	s_mov_b32 s0, exec_lo
	v_cmpx_eq_u32_e32 0, v0
	s_cbranch_execz .LBB917_55
; %bb.54:
	s_lshl_b64 s[4:5], s[2:3], 2
	v_mov_b32_e32 v0, 0
	s_add_u32 s4, s22, s4
	s_addc_u32 s5, s23, s5
	global_store_b32 v0, v21, s[4:5]
.LBB917_55:
	s_or_b32 exec_lo, exec_lo, s0
	s_mov_b32 s5, s1
.LBB917_56:
	v_cmp_eq_u32_e32 vcc_lo, 0, v0
	s_xor_b32 s0, s5, -1
	s_delay_alu instid0(SALU_CYCLE_1) | instskip(NEXT) | instid1(SALU_CYCLE_1)
	s_and_b32 s0, vcc_lo, s0
	s_and_saveexec_b32 s1, s0
	s_cbranch_execz .LBB917_58
; %bb.57:
	s_lshl_b64 s[0:1], s[2:3], 2
	v_mov_b32_e32 v0, 0
	s_waitcnt lgkmcnt(0)
	s_add_u32 s0, s22, s0
	s_addc_u32 s1, s23, s1
	global_store_b32 v0, v21, s[0:1]
.LBB917_58:
	s_nop 0
	s_sendmsg sendmsg(MSG_DEALLOC_VGPRS)
	s_endpgm
	.section	.rodata,"a",@progbits
	.p2align	6, 0x0
	.amdhsa_kernel _ZN2at4cuda3cub15calc_block_sumsILi512ELi16ELb1EN3c107complexINS3_4HalfEEEiEEvPKT2_PT3_li
		.amdhsa_group_segment_fixed_size 64
		.amdhsa_private_segment_fixed_size 0
		.amdhsa_kernarg_size 28
		.amdhsa_user_sgpr_count 15
		.amdhsa_user_sgpr_dispatch_ptr 0
		.amdhsa_user_sgpr_queue_ptr 0
		.amdhsa_user_sgpr_kernarg_segment_ptr 1
		.amdhsa_user_sgpr_dispatch_id 0
		.amdhsa_user_sgpr_private_segment_size 0
		.amdhsa_wavefront_size32 1
		.amdhsa_uses_dynamic_stack 0
		.amdhsa_enable_private_segment 0
		.amdhsa_system_sgpr_workgroup_id_x 1
		.amdhsa_system_sgpr_workgroup_id_y 0
		.amdhsa_system_sgpr_workgroup_id_z 0
		.amdhsa_system_sgpr_workgroup_info 0
		.amdhsa_system_vgpr_workitem_id 0
		.amdhsa_next_free_vgpr 41
		.amdhsa_next_free_sgpr 28
		.amdhsa_reserve_vcc 1
		.amdhsa_float_round_mode_32 0
		.amdhsa_float_round_mode_16_64 0
		.amdhsa_float_denorm_mode_32 3
		.amdhsa_float_denorm_mode_16_64 3
		.amdhsa_dx10_clamp 1
		.amdhsa_ieee_mode 1
		.amdhsa_fp16_overflow 0
		.amdhsa_workgroup_processor_mode 1
		.amdhsa_memory_ordered 1
		.amdhsa_forward_progress 0
		.amdhsa_shared_vgpr_count 0
		.amdhsa_exception_fp_ieee_invalid_op 0
		.amdhsa_exception_fp_denorm_src 0
		.amdhsa_exception_fp_ieee_div_zero 0
		.amdhsa_exception_fp_ieee_overflow 0
		.amdhsa_exception_fp_ieee_underflow 0
		.amdhsa_exception_fp_ieee_inexact 0
		.amdhsa_exception_int_div_zero 0
	.end_amdhsa_kernel
	.section	.text._ZN2at4cuda3cub15calc_block_sumsILi512ELi16ELb1EN3c107complexINS3_4HalfEEEiEEvPKT2_PT3_li,"axG",@progbits,_ZN2at4cuda3cub15calc_block_sumsILi512ELi16ELb1EN3c107complexINS3_4HalfEEEiEEvPKT2_PT3_li,comdat
.Lfunc_end917:
	.size	_ZN2at4cuda3cub15calc_block_sumsILi512ELi16ELb1EN3c107complexINS3_4HalfEEEiEEvPKT2_PT3_li, .Lfunc_end917-_ZN2at4cuda3cub15calc_block_sumsILi512ELi16ELb1EN3c107complexINS3_4HalfEEEiEEvPKT2_PT3_li
                                        ; -- End function
	.section	.AMDGPU.csdata,"",@progbits
; Kernel info:
; codeLenInByte = 3800
; NumSgprs: 30
; NumVgprs: 41
; ScratchSize: 0
; MemoryBound: 0
; FloatMode: 240
; IeeeMode: 1
; LDSByteSize: 64 bytes/workgroup (compile time only)
; SGPRBlocks: 3
; VGPRBlocks: 5
; NumSGPRsForWavesPerEU: 30
; NumVGPRsForWavesPerEU: 41
; Occupancy: 16
; WaveLimiterHint : 1
; COMPUTE_PGM_RSRC2:SCRATCH_EN: 0
; COMPUTE_PGM_RSRC2:USER_SGPR: 15
; COMPUTE_PGM_RSRC2:TRAP_HANDLER: 0
; COMPUTE_PGM_RSRC2:TGID_X_EN: 1
; COMPUTE_PGM_RSRC2:TGID_Y_EN: 0
; COMPUTE_PGM_RSRC2:TGID_Z_EN: 0
; COMPUTE_PGM_RSRC2:TIDIG_COMP_CNT: 0
	.section	.text._ZN2at6native12_GLOBAL__N_111flag_kernelILi512ELi16EN3c107complexINS3_4HalfEEEEEvPKT1_PlPKllli,"axG",@progbits,_ZN2at6native12_GLOBAL__N_111flag_kernelILi512ELi16EN3c107complexINS3_4HalfEEEEEvPKT1_PlPKllli,comdat
	.globl	_ZN2at6native12_GLOBAL__N_111flag_kernelILi512ELi16EN3c107complexINS3_4HalfEEEEEvPKT1_PlPKllli ; -- Begin function _ZN2at6native12_GLOBAL__N_111flag_kernelILi512ELi16EN3c107complexINS3_4HalfEEEEEvPKT1_PlPKllli
	.p2align	8
	.type	_ZN2at6native12_GLOBAL__N_111flag_kernelILi512ELi16EN3c107complexINS3_4HalfEEEEEvPKT1_PlPKllli,@function
_ZN2at6native12_GLOBAL__N_111flag_kernelILi512ELi16EN3c107complexINS3_4HalfEEEEEvPKT1_PlPKllli: ; @_ZN2at6native12_GLOBAL__N_111flag_kernelILi512ELi16EN3c107complexINS3_4HalfEEEEEvPKT1_PlPKllli
; %bb.0:
	s_clause 0x1
	s_load_b32 s14, s[0:1], 0x28
	s_load_b256 s[4:11], s[0:1], 0x0
	s_waitcnt lgkmcnt(0)
	s_lshl_b32 s2, s14, 13
	s_delay_alu instid0(SALU_CYCLE_1) | instskip(SKIP_4) | instid1(SALU_CYCLE_1)
	s_ashr_i32 s3, s2, 31
	s_mul_hi_u32 s12, s2, s15
	s_mul_i32 s3, s3, s15
	s_mul_i32 s28, s2, s15
	s_add_i32 s29, s12, s3
	v_cmp_le_i64_e64 s2, s[10:11], s[28:29]
	s_delay_alu instid0(VALU_DEP_1)
	s_and_b32 vcc_lo, exec_lo, s2
	s_cbranch_vccnz .LBB918_100
; %bb.1:
	s_load_b64 s[2:3], s[0:1], 0x20
	s_cmp_eq_u32 s15, 0
	s_mov_b32 s13, 0
	s_cbranch_scc1 .LBB918_3
; %bb.2:
	s_add_i32 s12, s15, -1
	s_delay_alu instid0(SALU_CYCLE_1) | instskip(NEXT) | instid1(SALU_CYCLE_1)
	s_lshl_b64 s[12:13], s[12:13], 3
	s_add_u32 s8, s8, s12
	s_addc_u32 s9, s9, s13
	s_load_b64 s[8:9], s[8:9], 0x0
	s_cmp_lt_i32 s14, 1
	s_cbranch_scc0 .LBB918_4
	s_branch .LBB918_100
.LBB918_3:
	s_mov_b64 s[8:9], 0
	s_cmp_lt_i32 s14, 1
	s_cbranch_scc1 .LBB918_100
.LBB918_4:
	s_lshl_b64 s[12:13], s[28:29], 2
	v_mbcnt_lo_u32_b32 v2, -1, 0
	s_add_u32 s33, s4, s12
	s_addc_u32 s36, s5, s13
	s_waitcnt lgkmcnt(0)
	s_sub_u32 s30, s2, s8
	s_subb_u32 s31, s3, s9
	v_dual_mov_b32 v1, 0 :: v_dual_and_b32 v4, 0x3e0, v0
	v_and_b32_e32 v5, 15, v2
	s_sub_u32 s34, s10, s28
	s_subb_u32 s35, s11, s29
	s_lshl_b64 s[2:3], s[8:9], 3
	v_min_u32_e32 v7, 0x1e0, v4
	s_add_u32 s37, s6, s2
	s_addc_u32 s38, s7, s3
	v_cmp_eq_u32_e64 s2, 0, v5
	v_cmp_lt_u32_e64 s3, 1, v5
	v_cmp_lt_u32_e64 s4, 3, v5
	v_cmp_lt_u32_e64 s5, 7, v5
	v_add_nc_u32_e32 v5, -1, v2
	v_lshlrev_b32_e32 v3, 4, v0
	v_or_b32_e32 v7, 31, v7
	v_and_b32_e32 v8, 16, v2
	v_lshrrev_b32_e32 v9, 3, v0
	v_cmp_gt_i32_e32 vcc_lo, 0, v5
	v_and_b32_e32 v6, 0x3e00, v3
	v_cmp_eq_u32_e64 s7, v7, v0
	v_lshrrev_b32_e32 v7, 1, v0
	v_cmp_eq_u32_e64 s6, 0, v8
	v_cndmask_b32_e32 v5, v5, v2, vcc_lo
	v_or_b32_e32 v8, 0x800, v0
	v_and_b32_e32 v21, 0x7c, v9
	v_add_lshl_u32 v25, v7, v3, 2
	v_or_b32_e32 v3, 0x400, v0
	v_lshlrev_b32_e32 v24, 2, v5
	v_add_nc_u32_e32 v5, 0x200, v0
	v_add_nc_u32_e32 v7, 0x600, v0
	v_lshlrev_b32_e32 v22, 2, v0
	v_lshrrev_b32_e32 v3, 3, v3
	v_add_nc_u32_e32 v9, 0xa00, v0
	v_lshrrev_b32_e32 v5, 3, v5
	v_lshrrev_b32_e32 v7, 3, v7
	;; [unrolled: 1-line block ×3, first 2 shown]
	v_and_b32_e32 v3, 0xfc, v3
	v_lshrrev_b32_e32 v9, 3, v9
	v_and_b32_e32 v5, 0xfc, v5
	v_or_b32_e32 v39, v2, v6
	v_or_b32_e32 v4, v2, v4
	v_add_nc_u32_e32 v28, v22, v3
	v_or_b32_e32 v3, 0xc00, v0
	v_add_nc_u32_e32 v27, v22, v5
	v_and_b32_e32 v5, 0x1fc, v7
	v_and_b32_e32 v7, 0x17c, v8
	;; [unrolled: 1-line block ×3, first 2 shown]
	v_lshrrev_b32_e32 v3, 3, v3
	v_or_b32_e32 v9, 0x1400, v0
	v_add_nc_u32_e32 v29, v22, v5
	v_add_nc_u32_e32 v30, v22, v7
	;; [unrolled: 1-line block ×3, first 2 shown]
	v_or_b32_e32 v7, 0x1000, v0
	v_add_nc_u32_e32 v31, v22, v8
	v_add_nc_u32_e32 v8, 0x1200, v0
	v_and_b32_e32 v3, 0x1fc, v3
	v_lshrrev_b32_e32 v5, 3, v5
	v_lshrrev_b32_e32 v7, 3, v7
	;; [unrolled: 1-line block ×4, first 2 shown]
	v_add_nc_u32_e32 v32, v22, v3
	v_and_b32_e32 v5, 0x3fc, v5
	v_and_b32_e32 v3, 0x27c, v7
	v_or_b32_e32 v43, 32, v39
	v_and_b32_e32 v7, 0x2fc, v8
	v_and_b32_e32 v8, 0x2fc, v9
	v_add_nc_u32_e32 v33, v22, v5
	v_add_nc_u32_e32 v5, 0x1600, v0
	;; [unrolled: 1-line block ×3, first 2 shown]
	v_or_b32_e32 v3, 0x1800, v0
	v_add_nc_u32_e32 v35, v22, v7
	v_add_nc_u32_e32 v36, v22, v8
	v_lshrrev_b32_e32 v5, 3, v5
	v_add_nc_u32_e32 v7, 0x1a00, v0
	v_or_b32_e32 v8, 0x1c00, v0
	v_lshrrev_b32_e32 v3, 3, v3
	v_add_nc_u32_e32 v9, 0x1e00, v0
	v_and_b32_e32 v5, 0x3fc, v5
	v_lshrrev_b32_e32 v7, 3, v7
	v_lshrrev_b32_e32 v8, 3, v8
	v_and_b32_e32 v3, 0x37c, v3
	v_lshrrev_b32_e32 v9, 3, v9
	v_add_nc_u32_e32 v37, v22, v5
	v_and_b32_e32 v5, 0x3fc, v7
	v_and_b32_e32 v7, 0x3fc, v8
	v_add_nc_u32_e32 v38, v22, v3
	v_or_b32_e32 v44, 64, v39
	v_or_b32_e32 v45, 0x60, v39
	v_lshrrev_b32_e32 v3, 5, v6
	v_and_b32_e32 v8, 0x7fc, v9
	v_add_nc_u32_e32 v40, v22, v5
	v_add_nc_u32_e32 v41, v22, v7
	v_or_b32_e32 v46, 0x80, v39
	v_or_b32_e32 v47, 0xa0, v39
	;; [unrolled: 1-line block ×4, first 2 shown]
	v_lshrrev_b32_e32 v5, 5, v43
	v_lshrrev_b32_e32 v7, 5, v44
	v_add_lshl_u32 v58, v3, v39, 2
	v_lshrrev_b32_e32 v3, 5, v45
	v_add_nc_u32_e32 v42, v22, v8
	v_or_b32_e32 v49, 0xe0, v39
	v_or_b32_e32 v51, 0x120, v39
	v_or_b32_e32 v52, 0x140, v39
	v_or_b32_e32 v53, 0x160, v39
	v_add_lshl_u32 v59, v5, v43, 2
	v_add_lshl_u32 v60, v7, v44, 2
	v_lshrrev_b32_e32 v5, 5, v46
	v_lshrrev_b32_e32 v7, 5, v47
	;; [unrolled: 1-line block ×3, first 2 shown]
	v_add_lshl_u32 v61, v3, v45, 2
	v_lshrrev_b32_e32 v3, 5, v50
	v_or_b32_e32 v54, 0x180, v39
	v_or_b32_e32 v55, 0x1a0, v39
	;; [unrolled: 1-line block ×4, first 2 shown]
	v_lshrrev_b32_e32 v9, 5, v49
	v_add_lshl_u32 v62, v5, v46, 2
	v_add_lshl_u32 v63, v7, v47, 2
	v_add_lshl_u32 v64, v8, v48, 2
	v_lshrrev_b32_e32 v5, 5, v51
	v_lshrrev_b32_e32 v7, 5, v52
	;; [unrolled: 1-line block ×3, first 2 shown]
	v_add_lshl_u32 v66, v3, v50, 2
	v_lshlrev_b32_e32 v3, 4, v4
	v_bfe_u32 v4, v4, 1, 27
	v_add_lshl_u32 v65, v9, v49, 2
	v_add_lshl_u32 v67, v5, v51, 2
	;; [unrolled: 1-line block ×4, first 2 shown]
	v_lshrrev_b32_e32 v5, 5, v54
	v_lshrrev_b32_e32 v7, 5, v55
	;; [unrolled: 1-line block ×4, first 2 shown]
	v_add_lshl_u32 v70, v4, v3, 2
	v_cmp_gt_u32_e64 s8, 16, v0
	v_cmp_lt_u32_e64 s9, 31, v0
	v_add_nc_u32_e32 v23, -4, v21
	v_cmp_eq_u32_e64 s10, 0, v2
	v_cmp_eq_u32_e64 s11, 0, v0
	v_add_nc_u32_e32 v26, v22, v21
	v_add_lshl_u32 v71, v5, v54, 2
	v_add_lshl_u32 v72, v7, v55, 2
	;; [unrolled: 1-line block ×4, first 2 shown]
	v_add_nc_u32_e32 v75, 56, v70
	v_add_nc_u32_e32 v76, 48, v70
	v_add_nc_u32_e32 v77, 40, v70
	v_add_nc_u32_e32 v78, 32, v70
	v_add_nc_u32_e32 v79, 24, v70
	v_add_nc_u32_e32 v80, 16, v70
	v_add_nc_u32_e32 v81, 8, v70
	v_lshlrev_b32_e32 v82, 2, v2
	v_lshlrev_b32_e32 v83, 2, v6
	s_add_u32 s0, s0, 48
	s_addc_u32 s1, s1, 0
	s_add_i32 s39, s14, -1
	s_mov_b32 s12, 0
	s_branch .LBB918_6
.LBB918_5:                              ;   in Loop: Header=BB918_6 Depth=1
	s_cmp_eq_u32 s39, 0
	s_cselect_b32 s14, -1, 0
	s_delay_alu instid0(SALU_CYCLE_1)
	s_or_b32 s13, s13, s14
	s_add_u32 s34, s34, 0xffffe000
	s_addc_u32 s35, s35, -1
	s_and_not1_b32 vcc_lo, exec_lo, s13
	s_add_i32 s39, s39, -1
	s_cbranch_vccz .LBB918_100
.LBB918_6:                              ; =>This Inner Loop Header: Depth=1
	v_cmp_gt_i64_e64 s13, 0x2000, s[34:35]
	s_delay_alu instid0(VALU_DEP_1)
	s_and_b32 vcc_lo, exec_lo, s13
	s_mov_b32 s13, -1
	s_cbranch_vccz .LBB918_25
; %bb.7:                                ;   in Loop: Header=BB918_6 Depth=1
	v_add_co_u32 v2, s13, s33, v82
	s_delay_alu instid0(VALU_DEP_1) | instskip(SKIP_1) | instid1(VALU_DEP_2)
	v_add_co_ci_u32_e64 v3, null, s36, 0, s13
	s_mov_b32 s13, s12
	v_add_co_u32 v18, vcc_lo, v2, v83
	s_mov_b32 s14, s12
	s_mov_b32 s15, s12
	;; [unrolled: 1-line block ×14, first 2 shown]
	v_add_co_ci_u32_e32 v19, vcc_lo, 0, v3, vcc_lo
	v_dual_mov_b32 v2, s12 :: v_dual_mov_b32 v3, s13
	v_dual_mov_b32 v4, s14 :: v_dual_mov_b32 v5, s15
	;; [unrolled: 1-line block ×8, first 2 shown]
	v_mov_b32_e32 v2, 0
	s_mov_b32 s13, exec_lo
	v_cmpx_gt_u32_e64 s34, v39
	s_cbranch_execnz .LBB918_85
; %bb.8:                                ;   in Loop: Header=BB918_6 Depth=1
	s_or_b32 exec_lo, exec_lo, s13
	s_delay_alu instid0(SALU_CYCLE_1)
	s_mov_b32 s13, exec_lo
	v_cmpx_gt_u32_e64 s34, v43
	s_cbranch_execnz .LBB918_86
.LBB918_9:                              ;   in Loop: Header=BB918_6 Depth=1
	s_or_b32 exec_lo, exec_lo, s13
	s_delay_alu instid0(SALU_CYCLE_1)
	s_mov_b32 s13, exec_lo
	v_cmpx_gt_u32_e64 s34, v44
	s_cbranch_execnz .LBB918_87
.LBB918_10:                             ;   in Loop: Header=BB918_6 Depth=1
	s_or_b32 exec_lo, exec_lo, s13
	s_delay_alu instid0(SALU_CYCLE_1)
	s_mov_b32 s13, exec_lo
	v_cmpx_gt_u32_e64 s34, v45
	s_cbranch_execnz .LBB918_88
.LBB918_11:                             ;   in Loop: Header=BB918_6 Depth=1
	s_or_b32 exec_lo, exec_lo, s13
	s_delay_alu instid0(SALU_CYCLE_1)
	s_mov_b32 s13, exec_lo
	v_cmpx_gt_u32_e64 s34, v46
	s_cbranch_execnz .LBB918_89
.LBB918_12:                             ;   in Loop: Header=BB918_6 Depth=1
	s_or_b32 exec_lo, exec_lo, s13
	s_delay_alu instid0(SALU_CYCLE_1)
	s_mov_b32 s13, exec_lo
	v_cmpx_gt_u32_e64 s34, v47
	s_cbranch_execnz .LBB918_90
.LBB918_13:                             ;   in Loop: Header=BB918_6 Depth=1
	s_or_b32 exec_lo, exec_lo, s13
	s_delay_alu instid0(SALU_CYCLE_1)
	s_mov_b32 s13, exec_lo
	v_cmpx_gt_u32_e64 s34, v48
	s_cbranch_execnz .LBB918_91
.LBB918_14:                             ;   in Loop: Header=BB918_6 Depth=1
	s_or_b32 exec_lo, exec_lo, s13
	s_delay_alu instid0(SALU_CYCLE_1)
	s_mov_b32 s13, exec_lo
	v_cmpx_gt_u32_e64 s34, v49
	s_cbranch_execnz .LBB918_92
.LBB918_15:                             ;   in Loop: Header=BB918_6 Depth=1
	s_or_b32 exec_lo, exec_lo, s13
	s_delay_alu instid0(SALU_CYCLE_1)
	s_mov_b32 s13, exec_lo
	v_cmpx_gt_u32_e64 s34, v50
	s_cbranch_execnz .LBB918_93
.LBB918_16:                             ;   in Loop: Header=BB918_6 Depth=1
	s_or_b32 exec_lo, exec_lo, s13
	s_delay_alu instid0(SALU_CYCLE_1)
	s_mov_b32 s13, exec_lo
	v_cmpx_gt_u32_e64 s34, v51
	s_cbranch_execnz .LBB918_94
.LBB918_17:                             ;   in Loop: Header=BB918_6 Depth=1
	s_or_b32 exec_lo, exec_lo, s13
	s_delay_alu instid0(SALU_CYCLE_1)
	s_mov_b32 s13, exec_lo
	v_cmpx_gt_u32_e64 s34, v52
	s_cbranch_execnz .LBB918_95
.LBB918_18:                             ;   in Loop: Header=BB918_6 Depth=1
	s_or_b32 exec_lo, exec_lo, s13
	s_delay_alu instid0(SALU_CYCLE_1)
	s_mov_b32 s13, exec_lo
	v_cmpx_gt_u32_e64 s34, v53
	s_cbranch_execnz .LBB918_96
.LBB918_19:                             ;   in Loop: Header=BB918_6 Depth=1
	s_or_b32 exec_lo, exec_lo, s13
	s_delay_alu instid0(SALU_CYCLE_1)
	s_mov_b32 s13, exec_lo
	v_cmpx_gt_u32_e64 s34, v54
	s_cbranch_execnz .LBB918_97
.LBB918_20:                             ;   in Loop: Header=BB918_6 Depth=1
	s_or_b32 exec_lo, exec_lo, s13
	s_delay_alu instid0(SALU_CYCLE_1)
	s_mov_b32 s13, exec_lo
	v_cmpx_gt_u32_e64 s34, v55
	s_cbranch_execnz .LBB918_98
.LBB918_21:                             ;   in Loop: Header=BB918_6 Depth=1
	s_or_b32 exec_lo, exec_lo, s13
	s_delay_alu instid0(SALU_CYCLE_1)
	s_mov_b32 s13, exec_lo
	v_cmpx_gt_u32_e64 s34, v56
	s_cbranch_execnz .LBB918_99
.LBB918_22:                             ;   in Loop: Header=BB918_6 Depth=1
	s_or_b32 exec_lo, exec_lo, s13
	s_delay_alu instid0(SALU_CYCLE_1)
	s_mov_b32 s13, exec_lo
	v_cmpx_gt_u32_e64 s34, v57
	s_cbranch_execz .LBB918_24
.LBB918_23:                             ;   in Loop: Header=BB918_6 Depth=1
	global_load_b32 v17, v[18:19], off offset:1920
	s_waitcnt vmcnt(0)
	v_lshrrev_b32_e32 v18, 16, v17
	s_delay_alu instid0(VALU_DEP_1) | instskip(NEXT) | instid1(VALU_DEP_1)
	v_or_b32_e32 v17, v17, v18
	v_and_b32_e32 v17, 0x7fff, v17
	s_delay_alu instid0(VALU_DEP_1)
	v_cmp_ne_u16_e32 vcc_lo, 0, v17
	v_cndmask_b32_e64 v17, 0, 1, vcc_lo
.LBB918_24:                             ;   in Loop: Header=BB918_6 Depth=1
	s_or_b32 exec_lo, exec_lo, s13
	s_mov_b32 s13, 0
	ds_store_b32 v58, v2
	ds_store_b32 v59, v3
	;; [unrolled: 1-line block ×16, first 2 shown]
	; wave barrier
.LBB918_25:                             ;   in Loop: Header=BB918_6 Depth=1
	s_and_b32 vcc_lo, exec_lo, s13
	s_cbranch_vccz .LBB918_27
; %bb.26:                               ;   in Loop: Header=BB918_6 Depth=1
	v_add_co_u32 v2, s13, s33, v82
	s_delay_alu instid0(VALU_DEP_1) | instskip(NEXT) | instid1(VALU_DEP_2)
	v_add_co_ci_u32_e64 v3, null, s36, 0, s13
	v_add_co_u32 v2, vcc_lo, v2, v83
	s_delay_alu instid0(VALU_DEP_2)
	v_add_co_ci_u32_e32 v3, vcc_lo, 0, v3, vcc_lo
	s_clause 0xf
	global_load_b32 v4, v[2:3], off
	global_load_b32 v5, v[2:3], off offset:128
	global_load_b32 v6, v[2:3], off offset:256
	;; [unrolled: 1-line block ×15, first 2 shown]
	s_waitcnt vmcnt(15)
	v_lshrrev_b32_e32 v3, 16, v4
	s_waitcnt vmcnt(14)
	v_lshrrev_b32_e32 v19, 16, v5
	;; [unrolled: 2-line block ×5, first 2 shown]
	v_or_b32_e32 v3, v4, v3
	v_or_b32_e32 v4, v5, v19
	;; [unrolled: 1-line block ×4, first 2 shown]
	s_waitcnt vmcnt(10)
	v_lshrrev_b32_e32 v86, 16, v9
	v_and_b32_e32 v3, 0x7fff, v3
	v_and_b32_e32 v4, 0x7fff, v4
	;; [unrolled: 1-line block ×3, first 2 shown]
	v_or_b32_e32 v7, v8, v85
	v_and_b32_e32 v6, 0x7fff, v6
	v_cmp_ne_u16_e32 vcc_lo, 0, v3
	s_waitcnt vmcnt(9)
	v_lshrrev_b32_e32 v87, 16, v10
	v_or_b32_e32 v8, v9, v86
	v_and_b32_e32 v7, 0x7fff, v7
	s_waitcnt vmcnt(8)
	v_lshrrev_b32_e32 v88, 16, v11
	v_cndmask_b32_e64 v3, 0, 1, vcc_lo
	v_cmp_ne_u16_e32 vcc_lo, 0, v4
	v_or_b32_e32 v9, v10, v87
	v_and_b32_e32 v8, 0x7fff, v8
	s_waitcnt vmcnt(7)
	v_lshrrev_b32_e32 v89, 16, v12
	v_or_b32_e32 v10, v11, v88
	v_cndmask_b32_e64 v4, 0, 1, vcc_lo
	v_cmp_ne_u16_e32 vcc_lo, 0, v5
	v_and_b32_e32 v9, 0x7fff, v9
	s_waitcnt vmcnt(6)
	v_lshrrev_b32_e32 v90, 16, v13
	v_or_b32_e32 v11, v12, v89
	v_and_b32_e32 v10, 0x7fff, v10
	v_cndmask_b32_e64 v5, 0, 1, vcc_lo
	v_cmp_ne_u16_e32 vcc_lo, 0, v6
	s_waitcnt vmcnt(5)
	v_lshrrev_b32_e32 v91, 16, v14
	v_or_b32_e32 v12, v13, v90
	v_and_b32_e32 v11, 0x7fff, v11
	s_waitcnt vmcnt(4)
	v_lshrrev_b32_e32 v92, 16, v15
	v_cndmask_b32_e64 v6, 0, 1, vcc_lo
	v_cmp_ne_u16_e32 vcc_lo, 0, v7
	v_or_b32_e32 v13, v14, v91
	v_and_b32_e32 v12, 0x7fff, v12
	s_waitcnt vmcnt(3)
	v_lshrrev_b32_e32 v93, 16, v16
	v_or_b32_e32 v14, v15, v92
	v_cndmask_b32_e64 v7, 0, 1, vcc_lo
	v_cmp_ne_u16_e32 vcc_lo, 0, v8
	v_and_b32_e32 v13, 0x7fff, v13
	s_waitcnt vmcnt(2)
	v_lshrrev_b32_e32 v94, 16, v17
	v_or_b32_e32 v15, v16, v93
	v_and_b32_e32 v14, 0x7fff, v14
	v_cndmask_b32_e64 v8, 0, 1, vcc_lo
	v_cmp_ne_u16_e32 vcc_lo, 0, v9
	s_waitcnt vmcnt(1)
	v_lshrrev_b32_e32 v95, 16, v18
	v_or_b32_e32 v16, v17, v94
	v_and_b32_e32 v15, 0x7fff, v15
	s_waitcnt vmcnt(0)
	v_lshrrev_b32_e32 v96, 16, v2
	v_cndmask_b32_e64 v9, 0, 1, vcc_lo
	v_cmp_ne_u16_e32 vcc_lo, 0, v10
	v_or_b32_e32 v17, v18, v95
	v_and_b32_e32 v16, 0x7fff, v16
	v_or_b32_e32 v2, v2, v96
	v_cndmask_b32_e64 v10, 0, 1, vcc_lo
	v_cmp_ne_u16_e32 vcc_lo, 0, v11
	v_and_b32_e32 v17, 0x7fff, v17
	s_delay_alu instid0(VALU_DEP_4)
	v_and_b32_e32 v2, 0x7fff, v2
	v_cndmask_b32_e64 v11, 0, 1, vcc_lo
	v_cmp_ne_u16_e32 vcc_lo, 0, v12
	v_cndmask_b32_e64 v12, 0, 1, vcc_lo
	v_cmp_ne_u16_e32 vcc_lo, 0, v13
	;; [unrolled: 2-line block ×7, first 2 shown]
	v_cndmask_b32_e64 v2, 0, 1, vcc_lo
	ds_store_b32 v58, v3
	ds_store_b32 v59, v4
	;; [unrolled: 1-line block ×16, first 2 shown]
	; wave barrier
.LBB918_27:                             ;   in Loop: Header=BB918_6 Depth=1
	ds_load_2addr_b32 v[16:17], v70 offset1:1
	ds_load_2addr_b32 v[12:13], v81 offset1:1
	;; [unrolled: 1-line block ×6, first 2 shown]
	s_waitcnt lgkmcnt(5)
	v_add_nc_u32_e32 v2, v17, v16
	s_waitcnt lgkmcnt(4)
	s_delay_alu instid0(VALU_DEP_1) | instskip(SKIP_1) | instid1(VALU_DEP_1)
	v_add3_u32 v2, v2, v12, v13
	s_waitcnt lgkmcnt(3)
	v_add3_u32 v18, v2, v8, v9
	ds_load_2addr_b32 v[4:5], v76 offset1:1
	ds_load_2addr_b32 v[2:3], v75 offset1:1
	s_waitcnt lgkmcnt(0)
	s_waitcnt_vscnt null, 0x0
	s_barrier
	buffer_gl0_inv
	v_add3_u32 v18, v18, v6, v7
	s_delay_alu instid0(VALU_DEP_1) | instskip(NEXT) | instid1(VALU_DEP_1)
	v_add3_u32 v18, v18, v14, v15
	v_add3_u32 v18, v18, v10, v11
	s_delay_alu instid0(VALU_DEP_1) | instskip(NEXT) | instid1(VALU_DEP_1)
	v_add3_u32 v18, v18, v4, v5
	v_add3_u32 v18, v18, v2, v3
	s_delay_alu instid0(VALU_DEP_1) | instskip(NEXT) | instid1(VALU_DEP_1)
	v_mov_b32_dpp v19, v18 row_shr:1 row_mask:0xf bank_mask:0xf
	v_cndmask_b32_e64 v19, v19, 0, s2
	s_delay_alu instid0(VALU_DEP_1) | instskip(NEXT) | instid1(VALU_DEP_1)
	v_add_nc_u32_e32 v18, v18, v19
	v_mov_b32_dpp v19, v18 row_shr:2 row_mask:0xf bank_mask:0xf
	s_delay_alu instid0(VALU_DEP_1) | instskip(NEXT) | instid1(VALU_DEP_1)
	v_cndmask_b32_e64 v19, 0, v19, s3
	v_add_nc_u32_e32 v18, v18, v19
	s_delay_alu instid0(VALU_DEP_1) | instskip(NEXT) | instid1(VALU_DEP_1)
	v_mov_b32_dpp v19, v18 row_shr:4 row_mask:0xf bank_mask:0xf
	v_cndmask_b32_e64 v19, 0, v19, s4
	s_delay_alu instid0(VALU_DEP_1) | instskip(NEXT) | instid1(VALU_DEP_1)
	v_add_nc_u32_e32 v18, v18, v19
	v_mov_b32_dpp v19, v18 row_shr:8 row_mask:0xf bank_mask:0xf
	s_delay_alu instid0(VALU_DEP_1) | instskip(NEXT) | instid1(VALU_DEP_1)
	v_cndmask_b32_e64 v19, 0, v19, s5
	v_add_nc_u32_e32 v18, v18, v19
	ds_swizzle_b32 v19, v18 offset:swizzle(BROADCAST,32,15)
	s_waitcnt lgkmcnt(0)
	v_cndmask_b32_e64 v19, v19, 0, s6
	s_delay_alu instid0(VALU_DEP_1)
	v_add_nc_u32_e32 v18, v18, v19
	s_and_saveexec_b32 s13, s7
	s_cbranch_execz .LBB918_29
; %bb.28:                               ;   in Loop: Header=BB918_6 Depth=1
	ds_store_b32 v21, v18
.LBB918_29:                             ;   in Loop: Header=BB918_6 Depth=1
	s_or_b32 exec_lo, exec_lo, s13
	s_waitcnt lgkmcnt(0)
	s_barrier
	buffer_gl0_inv
	s_and_saveexec_b32 s13, s8
	s_cbranch_execz .LBB918_31
; %bb.30:                               ;   in Loop: Header=BB918_6 Depth=1
	ds_load_b32 v19, v22
	s_waitcnt lgkmcnt(0)
	v_mov_b32_dpp v20, v19 row_shr:1 row_mask:0xf bank_mask:0xf
	s_delay_alu instid0(VALU_DEP_1) | instskip(NEXT) | instid1(VALU_DEP_1)
	v_cndmask_b32_e64 v20, v20, 0, s2
	v_add_nc_u32_e32 v19, v20, v19
	s_delay_alu instid0(VALU_DEP_1) | instskip(NEXT) | instid1(VALU_DEP_1)
	v_mov_b32_dpp v20, v19 row_shr:2 row_mask:0xf bank_mask:0xf
	v_cndmask_b32_e64 v20, 0, v20, s3
	s_delay_alu instid0(VALU_DEP_1) | instskip(NEXT) | instid1(VALU_DEP_1)
	v_add_nc_u32_e32 v19, v19, v20
	v_mov_b32_dpp v20, v19 row_shr:4 row_mask:0xf bank_mask:0xf
	s_delay_alu instid0(VALU_DEP_1) | instskip(NEXT) | instid1(VALU_DEP_1)
	v_cndmask_b32_e64 v20, 0, v20, s4
	v_add_nc_u32_e32 v19, v19, v20
	s_delay_alu instid0(VALU_DEP_1) | instskip(NEXT) | instid1(VALU_DEP_1)
	v_mov_b32_dpp v20, v19 row_shr:8 row_mask:0xf bank_mask:0xf
	v_cndmask_b32_e64 v20, 0, v20, s5
	s_delay_alu instid0(VALU_DEP_1)
	v_add_nc_u32_e32 v19, v19, v20
	ds_store_b32 v22, v19
.LBB918_31:                             ;   in Loop: Header=BB918_6 Depth=1
	s_or_b32 exec_lo, exec_lo, s13
	v_mov_b32_e32 v19, 0
	s_waitcnt lgkmcnt(0)
	s_barrier
	buffer_gl0_inv
	s_and_saveexec_b32 s13, s9
	s_cbranch_execz .LBB918_33
; %bb.32:                               ;   in Loop: Header=BB918_6 Depth=1
	ds_load_b32 v19, v23
.LBB918_33:                             ;   in Loop: Header=BB918_6 Depth=1
	s_or_b32 exec_lo, exec_lo, s13
	s_waitcnt lgkmcnt(0)
	v_add_nc_u32_e32 v18, v19, v18
	ds_bpermute_b32 v18, v24, v18
	s_and_saveexec_b32 s13, s11
	s_cbranch_execz .LBB918_35
; %bb.34:                               ;   in Loop: Header=BB918_6 Depth=1
	ds_load_b32 v20, v1 offset:60
	s_waitcnt lgkmcnt(0)
	ds_store_b32 v1, v20 offset:33792
.LBB918_35:                             ;   in Loop: Header=BB918_6 Depth=1
	s_or_b32 exec_lo, exec_lo, s13
	s_waitcnt lgkmcnt(0)
	v_cndmask_b32_e64 v18, v18, v19, s10
	s_barrier
	buffer_gl0_inv
	ds_store_2addr_b32 v25, v16, v17 offset1:1
	ds_store_2addr_b32 v25, v12, v13 offset0:2 offset1:3
	ds_store_2addr_b32 v25, v8, v9 offset0:4 offset1:5
	;; [unrolled: 1-line block ×3, first 2 shown]
	v_cndmask_b32_e64 v18, v18, 0, s11
	ds_store_2addr_b32 v25, v14, v15 offset0:8 offset1:9
	ds_store_2addr_b32 v25, v10, v11 offset0:10 offset1:11
	;; [unrolled: 1-line block ×4, first 2 shown]
	s_waitcnt lgkmcnt(0)
	s_barrier
	buffer_gl0_inv
	v_add_nc_u32_e32 v19, v18, v16
	ds_load_b32 v108, v26
	ds_load_b32 v98, v27 offset:2048
	ds_load_b32 v97, v28 offset:4096
	;; [unrolled: 1-line block ×15, first 2 shown]
	s_waitcnt lgkmcnt(0)
	s_barrier
	v_add_nc_u32_e32 v20, v19, v17
	buffer_gl0_inv
	v_add_nc_u32_e32 v99, v20, v12
	s_delay_alu instid0(VALU_DEP_1) | instskip(NEXT) | instid1(VALU_DEP_1)
	v_add_nc_u32_e32 v100, v99, v13
	v_add_nc_u32_e32 v101, v100, v8
	s_delay_alu instid0(VALU_DEP_1) | instskip(NEXT) | instid1(VALU_DEP_1)
	v_add_nc_u32_e32 v102, v101, v9
	;; [unrolled: 3-line block ×6, first 2 shown]
	v_add_nc_u32_e32 v2, v4, v2
	ds_store_2addr_b32 v25, v18, v19 offset1:1
	ds_store_2addr_b32 v25, v20, v99 offset0:2 offset1:3
	ds_store_2addr_b32 v25, v100, v101 offset0:4 offset1:5
	;; [unrolled: 1-line block ×7, first 2 shown]
	s_waitcnt lgkmcnt(0)
	s_barrier
	buffer_gl0_inv
	ds_load_b32 v18, v27 offset:2048
	ds_load_b32 v17, v28 offset:4096
	;; [unrolled: 1-line block ×15, first 2 shown]
	v_add_co_u32 v2, s13, s28, v0
	s_delay_alu instid0(VALU_DEP_1)
	v_add_co_ci_u32_e64 v3, null, s29, 0, s13
	s_mov_b32 s13, exec_lo
	v_cmpx_ne_u32_e32 0, v108
	s_cbranch_execz .LBB918_38
; %bb.36:                               ;   in Loop: Header=BB918_6 Depth=1
	ds_load_b32 v19, v26
	s_waitcnt lgkmcnt(0)
	v_ashrrev_i32_e32 v20, 31, v19
	s_delay_alu instid0(VALU_DEP_1)
	v_cmp_gt_i64_e32 vcc_lo, s[30:31], v[19:20]
	s_and_b32 exec_lo, exec_lo, vcc_lo
	s_cbranch_execz .LBB918_38
; %bb.37:                               ;   in Loop: Header=BB918_6 Depth=1
	v_lshlrev_b64 v[19:20], 3, v[19:20]
	s_delay_alu instid0(VALU_DEP_1) | instskip(NEXT) | instid1(VALU_DEP_2)
	v_add_co_u32 v19, vcc_lo, s37, v19
	v_add_co_ci_u32_e32 v20, vcc_lo, s38, v20, vcc_lo
	global_store_b64 v[19:20], v[2:3], off
.LBB918_38:                             ;   in Loop: Header=BB918_6 Depth=1
	s_or_b32 exec_lo, exec_lo, s13
	s_delay_alu instid0(SALU_CYCLE_1)
	s_mov_b32 s13, exec_lo
	v_cmpx_ne_u32_e32 0, v98
	s_cbranch_execz .LBB918_41
; %bb.39:                               ;   in Loop: Header=BB918_6 Depth=1
	s_waitcnt lgkmcnt(14)
	v_ashrrev_i32_e32 v19, 31, v18
	s_delay_alu instid0(VALU_DEP_1)
	v_cmp_gt_i64_e32 vcc_lo, s[30:31], v[18:19]
	s_and_b32 exec_lo, exec_lo, vcc_lo
	s_cbranch_execz .LBB918_41
; %bb.40:                               ;   in Loop: Header=BB918_6 Depth=1
	s_load_b32 s14, s[0:1], 0xc
	v_lshlrev_b64 v[18:19], 3, v[18:19]
	s_waitcnt lgkmcnt(0)
	s_and_b32 s14, s14, 0xffff
	s_delay_alu instid0(SALU_CYCLE_1) | instskip(SKIP_1) | instid1(VALU_DEP_3)
	v_add_co_u32 v98, vcc_lo, v2, s14
	v_add_co_ci_u32_e32 v99, vcc_lo, 0, v3, vcc_lo
	v_add_co_u32 v18, vcc_lo, s37, v18
	v_add_co_ci_u32_e32 v19, vcc_lo, s38, v19, vcc_lo
	global_store_b64 v[18:19], v[98:99], off
.LBB918_41:                             ;   in Loop: Header=BB918_6 Depth=1
	s_or_b32 exec_lo, exec_lo, s13
	s_delay_alu instid0(SALU_CYCLE_1)
	s_mov_b32 s13, exec_lo
	v_cmpx_ne_u32_e32 0, v97
	s_cbranch_execz .LBB918_44
; %bb.42:                               ;   in Loop: Header=BB918_6 Depth=1
	s_waitcnt lgkmcnt(13)
	v_ashrrev_i32_e32 v18, 31, v17
	s_delay_alu instid0(VALU_DEP_1)
	v_cmp_gt_i64_e32 vcc_lo, s[30:31], v[17:18]
	s_and_b32 exec_lo, exec_lo, vcc_lo
	s_cbranch_execz .LBB918_44
; %bb.43:                               ;   in Loop: Header=BB918_6 Depth=1
	s_load_b32 s14, s[0:1], 0xc
	v_lshlrev_b64 v[17:18], 3, v[17:18]
	s_waitcnt lgkmcnt(0)
	s_and_b32 s14, s14, 0xffff
	s_delay_alu instid0(SALU_CYCLE_1) | instskip(NEXT) | instid1(SALU_CYCLE_1)
	s_lshl_b32 s14, s14, 1
	v_add_co_u32 v19, vcc_lo, v2, s14
	v_add_co_ci_u32_e32 v20, vcc_lo, 0, v3, vcc_lo
	v_add_co_u32 v17, vcc_lo, s37, v17
	v_add_co_ci_u32_e32 v18, vcc_lo, s38, v18, vcc_lo
	global_store_b64 v[17:18], v[19:20], off
.LBB918_44:                             ;   in Loop: Header=BB918_6 Depth=1
	s_or_b32 exec_lo, exec_lo, s13
	s_delay_alu instid0(SALU_CYCLE_1)
	s_mov_b32 s13, exec_lo
	v_cmpx_ne_u32_e32 0, v96
	s_cbranch_execz .LBB918_47
; %bb.45:                               ;   in Loop: Header=BB918_6 Depth=1
	s_waitcnt lgkmcnt(12)
	v_ashrrev_i32_e32 v17, 31, v16
	s_delay_alu instid0(VALU_DEP_1)
	v_cmp_gt_i64_e32 vcc_lo, s[30:31], v[16:17]
	s_and_b32 exec_lo, exec_lo, vcc_lo
	s_cbranch_execz .LBB918_47
; %bb.46:                               ;   in Loop: Header=BB918_6 Depth=1
	s_load_b32 s14, s[0:1], 0xc
	v_lshlrev_b64 v[16:17], 3, v[16:17]
	s_delay_alu instid0(VALU_DEP_1) | instskip(NEXT) | instid1(VALU_DEP_2)
	v_add_co_u32 v16, vcc_lo, s37, v16
	v_add_co_ci_u32_e32 v17, vcc_lo, s38, v17, vcc_lo
	s_waitcnt lgkmcnt(0)
	s_and_b32 s14, s14, 0xffff
	s_delay_alu instid0(SALU_CYCLE_1)
	v_mad_u64_u32 v[18:19], null, s14, 3, v[2:3]
	global_store_b64 v[16:17], v[18:19], off
.LBB918_47:                             ;   in Loop: Header=BB918_6 Depth=1
	s_or_b32 exec_lo, exec_lo, s13
	s_delay_alu instid0(SALU_CYCLE_1)
	s_mov_b32 s13, exec_lo
	v_cmpx_ne_u32_e32 0, v95
	s_cbranch_execz .LBB918_50
; %bb.48:                               ;   in Loop: Header=BB918_6 Depth=1
	s_waitcnt lgkmcnt(11)
	v_ashrrev_i32_e32 v16, 31, v15
	s_delay_alu instid0(VALU_DEP_1)
	v_cmp_gt_i64_e32 vcc_lo, s[30:31], v[15:16]
	s_and_b32 exec_lo, exec_lo, vcc_lo
	s_cbranch_execz .LBB918_50
; %bb.49:                               ;   in Loop: Header=BB918_6 Depth=1
	s_load_b32 s14, s[0:1], 0xc
	v_lshlrev_b64 v[15:16], 3, v[15:16]
	s_waitcnt lgkmcnt(0)
	s_and_b32 s14, s14, 0xffff
	s_delay_alu instid0(SALU_CYCLE_1) | instskip(NEXT) | instid1(SALU_CYCLE_1)
	s_lshl_b32 s14, s14, 2
	v_add_co_u32 v17, vcc_lo, v2, s14
	v_add_co_ci_u32_e32 v18, vcc_lo, 0, v3, vcc_lo
	v_add_co_u32 v15, vcc_lo, s37, v15
	v_add_co_ci_u32_e32 v16, vcc_lo, s38, v16, vcc_lo
	global_store_b64 v[15:16], v[17:18], off
.LBB918_50:                             ;   in Loop: Header=BB918_6 Depth=1
	s_or_b32 exec_lo, exec_lo, s13
	s_delay_alu instid0(SALU_CYCLE_1)
	s_mov_b32 s13, exec_lo
	v_cmpx_ne_u32_e32 0, v94
	s_cbranch_execz .LBB918_53
; %bb.51:                               ;   in Loop: Header=BB918_6 Depth=1
	s_waitcnt lgkmcnt(10)
	v_ashrrev_i32_e32 v15, 31, v14
	s_delay_alu instid0(VALU_DEP_1)
	v_cmp_gt_i64_e32 vcc_lo, s[30:31], v[14:15]
	s_and_b32 exec_lo, exec_lo, vcc_lo
	s_cbranch_execz .LBB918_53
; %bb.52:                               ;   in Loop: Header=BB918_6 Depth=1
	s_load_b32 s14, s[0:1], 0xc
	v_lshlrev_b64 v[14:15], 3, v[14:15]
	s_delay_alu instid0(VALU_DEP_1) | instskip(NEXT) | instid1(VALU_DEP_2)
	v_add_co_u32 v14, vcc_lo, s37, v14
	v_add_co_ci_u32_e32 v15, vcc_lo, s38, v15, vcc_lo
	s_waitcnt lgkmcnt(0)
	s_and_b32 s14, s14, 0xffff
	s_delay_alu instid0(SALU_CYCLE_1)
	v_mad_u64_u32 v[16:17], null, s14, 5, v[2:3]
	global_store_b64 v[14:15], v[16:17], off
.LBB918_53:                             ;   in Loop: Header=BB918_6 Depth=1
	s_or_b32 exec_lo, exec_lo, s13
	s_delay_alu instid0(SALU_CYCLE_1)
	s_mov_b32 s13, exec_lo
	v_cmpx_ne_u32_e32 0, v93
	s_cbranch_execz .LBB918_56
; %bb.54:                               ;   in Loop: Header=BB918_6 Depth=1
	s_waitcnt lgkmcnt(9)
	v_ashrrev_i32_e32 v14, 31, v13
	s_delay_alu instid0(VALU_DEP_1)
	v_cmp_gt_i64_e32 vcc_lo, s[30:31], v[13:14]
	s_and_b32 exec_lo, exec_lo, vcc_lo
	s_cbranch_execz .LBB918_56
; %bb.55:                               ;   in Loop: Header=BB918_6 Depth=1
	s_load_b32 s14, s[0:1], 0xc
	v_lshlrev_b64 v[13:14], 3, v[13:14]
	s_delay_alu instid0(VALU_DEP_1) | instskip(NEXT) | instid1(VALU_DEP_2)
	v_add_co_u32 v13, vcc_lo, s37, v13
	v_add_co_ci_u32_e32 v14, vcc_lo, s38, v14, vcc_lo
	s_waitcnt lgkmcnt(0)
	s_and_b32 s14, s14, 0xffff
	s_delay_alu instid0(SALU_CYCLE_1)
	v_mad_u64_u32 v[15:16], null, s14, 6, v[2:3]
	global_store_b64 v[13:14], v[15:16], off
.LBB918_56:                             ;   in Loop: Header=BB918_6 Depth=1
	;; [unrolled: 24-line block ×3, first 2 shown]
	s_or_b32 exec_lo, exec_lo, s13
	s_delay_alu instid0(SALU_CYCLE_1)
	s_mov_b32 s13, exec_lo
	v_cmpx_ne_u32_e32 0, v91
	s_cbranch_execz .LBB918_62
; %bb.60:                               ;   in Loop: Header=BB918_6 Depth=1
	s_waitcnt lgkmcnt(7)
	v_ashrrev_i32_e32 v12, 31, v11
	s_delay_alu instid0(VALU_DEP_1)
	v_cmp_gt_i64_e32 vcc_lo, s[30:31], v[11:12]
	s_and_b32 exec_lo, exec_lo, vcc_lo
	s_cbranch_execz .LBB918_62
; %bb.61:                               ;   in Loop: Header=BB918_6 Depth=1
	s_load_b32 s14, s[0:1], 0xc
	v_lshlrev_b64 v[11:12], 3, v[11:12]
	s_waitcnt lgkmcnt(0)
	s_and_b32 s14, s14, 0xffff
	s_delay_alu instid0(SALU_CYCLE_1) | instskip(NEXT) | instid1(SALU_CYCLE_1)
	s_lshl_b32 s14, s14, 3
	v_add_co_u32 v13, vcc_lo, v2, s14
	v_add_co_ci_u32_e32 v14, vcc_lo, 0, v3, vcc_lo
	v_add_co_u32 v11, vcc_lo, s37, v11
	v_add_co_ci_u32_e32 v12, vcc_lo, s38, v12, vcc_lo
	global_store_b64 v[11:12], v[13:14], off
.LBB918_62:                             ;   in Loop: Header=BB918_6 Depth=1
	s_or_b32 exec_lo, exec_lo, s13
	s_delay_alu instid0(SALU_CYCLE_1)
	s_mov_b32 s13, exec_lo
	v_cmpx_ne_u32_e32 0, v90
	s_cbranch_execz .LBB918_65
; %bb.63:                               ;   in Loop: Header=BB918_6 Depth=1
	s_waitcnt lgkmcnt(6)
	v_ashrrev_i32_e32 v11, 31, v10
	s_delay_alu instid0(VALU_DEP_1)
	v_cmp_gt_i64_e32 vcc_lo, s[30:31], v[10:11]
	s_and_b32 exec_lo, exec_lo, vcc_lo
	s_cbranch_execz .LBB918_65
; %bb.64:                               ;   in Loop: Header=BB918_6 Depth=1
	s_load_b32 s14, s[0:1], 0xc
	v_lshlrev_b64 v[10:11], 3, v[10:11]
	s_delay_alu instid0(VALU_DEP_1) | instskip(NEXT) | instid1(VALU_DEP_2)
	v_add_co_u32 v10, vcc_lo, s37, v10
	v_add_co_ci_u32_e32 v11, vcc_lo, s38, v11, vcc_lo
	s_waitcnt lgkmcnt(0)
	s_and_b32 s14, s14, 0xffff
	s_delay_alu instid0(SALU_CYCLE_1)
	v_mad_u64_u32 v[12:13], null, s14, 9, v[2:3]
	global_store_b64 v[10:11], v[12:13], off
.LBB918_65:                             ;   in Loop: Header=BB918_6 Depth=1
	s_or_b32 exec_lo, exec_lo, s13
	s_delay_alu instid0(SALU_CYCLE_1)
	s_mov_b32 s13, exec_lo
	v_cmpx_ne_u32_e32 0, v89
	s_cbranch_execz .LBB918_68
; %bb.66:                               ;   in Loop: Header=BB918_6 Depth=1
	s_waitcnt lgkmcnt(5)
	v_ashrrev_i32_e32 v10, 31, v9
	s_delay_alu instid0(VALU_DEP_1)
	v_cmp_gt_i64_e32 vcc_lo, s[30:31], v[9:10]
	s_and_b32 exec_lo, exec_lo, vcc_lo
	s_cbranch_execz .LBB918_68
; %bb.67:                               ;   in Loop: Header=BB918_6 Depth=1
	s_load_b32 s14, s[0:1], 0xc
	v_lshlrev_b64 v[9:10], 3, v[9:10]
	s_delay_alu instid0(VALU_DEP_1) | instskip(NEXT) | instid1(VALU_DEP_2)
	v_add_co_u32 v9, vcc_lo, s37, v9
	v_add_co_ci_u32_e32 v10, vcc_lo, s38, v10, vcc_lo
	s_waitcnt lgkmcnt(0)
	s_and_b32 s14, s14, 0xffff
	s_delay_alu instid0(SALU_CYCLE_1)
	v_mad_u64_u32 v[11:12], null, s14, 10, v[2:3]
	global_store_b64 v[9:10], v[11:12], off
.LBB918_68:                             ;   in Loop: Header=BB918_6 Depth=1
	;; [unrolled: 24-line block ×6, first 2 shown]
	s_or_b32 exec_lo, exec_lo, s13
	s_delay_alu instid0(SALU_CYCLE_1)
	s_mov_b32 s13, exec_lo
	v_cmpx_ne_u32_e32 0, v84
	s_cbranch_execz .LBB918_83
; %bb.81:                               ;   in Loop: Header=BB918_6 Depth=1
	s_waitcnt lgkmcnt(0)
	v_ashrrev_i32_e32 v5, 31, v4
	s_delay_alu instid0(VALU_DEP_1)
	v_cmp_gt_i64_e32 vcc_lo, s[30:31], v[4:5]
	s_and_b32 exec_lo, exec_lo, vcc_lo
	s_cbranch_execz .LBB918_83
; %bb.82:                               ;   in Loop: Header=BB918_6 Depth=1
	s_load_b32 s14, s[0:1], 0xc
	v_lshlrev_b64 v[4:5], 3, v[4:5]
	s_waitcnt lgkmcnt(0)
	s_and_b32 s14, s14, 0xffff
	s_delay_alu instid0(SALU_CYCLE_1) | instskip(NEXT) | instid1(VALU_DEP_2)
	v_mad_u64_u32 v[6:7], null, s14, 15, v[2:3]
	v_add_co_u32 v2, vcc_lo, s37, v4
	s_delay_alu instid0(VALU_DEP_3)
	v_add_co_ci_u32_e32 v3, vcc_lo, s38, v5, vcc_lo
	global_store_b64 v[2:3], v[6:7], off
.LBB918_83:                             ;   in Loop: Header=BB918_6 Depth=1
	s_or_b32 exec_lo, exec_lo, s13
	ds_load_b32 v2, v1 offset:33792
	v_cmp_gt_i64_e64 s13, 0x2001, s[34:35]
	s_waitcnt lgkmcnt(0)
	v_readfirstlane_b32 s14, v2
	s_delay_alu instid0(VALU_DEP_1) | instskip(SKIP_2) | instid1(SALU_CYCLE_1)
	s_ashr_i32 s15, s14, 31
	s_sub_u32 s30, s30, s14
	s_subb_u32 s31, s31, s15
	v_cmp_lt_i64_e64 s16, s[30:31], 1
	s_delay_alu instid0(VALU_DEP_1) | instskip(NEXT) | instid1(SALU_CYCLE_1)
	s_or_b32 s13, s13, s16
	s_and_b32 vcc_lo, exec_lo, s13
	s_cbranch_vccnz .LBB918_5
; %bb.84:                               ;   in Loop: Header=BB918_6 Depth=1
	s_add_u32 s28, s28, 0x2000
	s_addc_u32 s29, s29, 0
	s_add_u32 s33, s33, 0x8000
	s_addc_u32 s36, s36, 0
	s_lshl_b64 s[14:15], s[14:15], 3
	s_waitcnt_vscnt null, 0x0
	s_add_u32 s37, s37, s14
	s_addc_u32 s38, s38, s15
	s_barrier
	buffer_gl0_inv
	s_branch .LBB918_5
.LBB918_85:                             ;   in Loop: Header=BB918_6 Depth=1
	global_load_b32 v12, v[18:19], off
	v_mov_b32_e32 v15, v1
	v_mov_b32_e32 v2, v1
	;; [unrolled: 1-line block ×11, first 2 shown]
	s_waitcnt vmcnt(0)
	v_lshrrev_b32_e32 v13, 16, v12
	s_delay_alu instid0(VALU_DEP_1) | instskip(SKIP_2) | instid1(VALU_DEP_3)
	v_or_b32_e32 v16, v12, v13
	v_mov_b32_e32 v3, v1
	v_mov_b32_e32 v12, v1
	v_dual_mov_b32 v13, v1 :: v_dual_and_b32 v20, 0x7fff, v16
	v_mov_b32_e32 v17, v15
	s_delay_alu instid0(VALU_DEP_2) | instskip(NEXT) | instid1(VALU_DEP_4)
	v_dual_mov_b32 v16, v14 :: v_dual_mov_b32 v15, v13
	v_mov_b32_e32 v14, v12
	s_delay_alu instid0(VALU_DEP_4)
	v_cmp_ne_u16_e32 vcc_lo, 0, v20
	v_mov_b32_e32 v13, v11
	v_mov_b32_e32 v12, v10
	;; [unrolled: 1-line block ×12, first 2 shown]
	v_cndmask_b32_e64 v2, 0, 1, vcc_lo
	s_or_b32 exec_lo, exec_lo, s13
	s_delay_alu instid0(SALU_CYCLE_1)
	s_mov_b32 s13, exec_lo
	v_cmpx_gt_u32_e64 s34, v43
	s_cbranch_execz .LBB918_9
.LBB918_86:                             ;   in Loop: Header=BB918_6 Depth=1
	global_load_b32 v3, v[18:19], off offset:128
	s_waitcnt vmcnt(0)
	v_lshrrev_b32_e32 v20, 16, v3
	s_delay_alu instid0(VALU_DEP_1) | instskip(NEXT) | instid1(VALU_DEP_1)
	v_or_b32_e32 v3, v3, v20
	v_and_b32_e32 v3, 0x7fff, v3
	s_delay_alu instid0(VALU_DEP_1) | instskip(SKIP_2) | instid1(SALU_CYCLE_1)
	v_cmp_ne_u16_e32 vcc_lo, 0, v3
	v_cndmask_b32_e64 v3, 0, 1, vcc_lo
	s_or_b32 exec_lo, exec_lo, s13
	s_mov_b32 s13, exec_lo
	v_cmpx_gt_u32_e64 s34, v44
	s_cbranch_execz .LBB918_10
.LBB918_87:                             ;   in Loop: Header=BB918_6 Depth=1
	global_load_b32 v4, v[18:19], off offset:256
	s_waitcnt vmcnt(0)
	v_lshrrev_b32_e32 v20, 16, v4
	s_delay_alu instid0(VALU_DEP_1) | instskip(NEXT) | instid1(VALU_DEP_1)
	v_or_b32_e32 v4, v4, v20
	v_and_b32_e32 v4, 0x7fff, v4
	s_delay_alu instid0(VALU_DEP_1) | instskip(SKIP_2) | instid1(SALU_CYCLE_1)
	v_cmp_ne_u16_e32 vcc_lo, 0, v4
	v_cndmask_b32_e64 v4, 0, 1, vcc_lo
	s_or_b32 exec_lo, exec_lo, s13
	s_mov_b32 s13, exec_lo
	v_cmpx_gt_u32_e64 s34, v45
	s_cbranch_execz .LBB918_11
.LBB918_88:                             ;   in Loop: Header=BB918_6 Depth=1
	global_load_b32 v5, v[18:19], off offset:384
	s_waitcnt vmcnt(0)
	v_lshrrev_b32_e32 v20, 16, v5
	s_delay_alu instid0(VALU_DEP_1) | instskip(NEXT) | instid1(VALU_DEP_1)
	v_or_b32_e32 v5, v5, v20
	v_and_b32_e32 v5, 0x7fff, v5
	s_delay_alu instid0(VALU_DEP_1) | instskip(SKIP_2) | instid1(SALU_CYCLE_1)
	v_cmp_ne_u16_e32 vcc_lo, 0, v5
	v_cndmask_b32_e64 v5, 0, 1, vcc_lo
	s_or_b32 exec_lo, exec_lo, s13
	s_mov_b32 s13, exec_lo
	v_cmpx_gt_u32_e64 s34, v46
	s_cbranch_execz .LBB918_12
.LBB918_89:                             ;   in Loop: Header=BB918_6 Depth=1
	global_load_b32 v6, v[18:19], off offset:512
	s_waitcnt vmcnt(0)
	v_lshrrev_b32_e32 v20, 16, v6
	s_delay_alu instid0(VALU_DEP_1) | instskip(NEXT) | instid1(VALU_DEP_1)
	v_or_b32_e32 v6, v6, v20
	v_and_b32_e32 v6, 0x7fff, v6
	s_delay_alu instid0(VALU_DEP_1) | instskip(SKIP_2) | instid1(SALU_CYCLE_1)
	v_cmp_ne_u16_e32 vcc_lo, 0, v6
	v_cndmask_b32_e64 v6, 0, 1, vcc_lo
	s_or_b32 exec_lo, exec_lo, s13
	s_mov_b32 s13, exec_lo
	v_cmpx_gt_u32_e64 s34, v47
	s_cbranch_execz .LBB918_13
.LBB918_90:                             ;   in Loop: Header=BB918_6 Depth=1
	global_load_b32 v7, v[18:19], off offset:640
	s_waitcnt vmcnt(0)
	v_lshrrev_b32_e32 v20, 16, v7
	s_delay_alu instid0(VALU_DEP_1) | instskip(NEXT) | instid1(VALU_DEP_1)
	v_or_b32_e32 v7, v7, v20
	v_and_b32_e32 v7, 0x7fff, v7
	s_delay_alu instid0(VALU_DEP_1) | instskip(SKIP_2) | instid1(SALU_CYCLE_1)
	v_cmp_ne_u16_e32 vcc_lo, 0, v7
	v_cndmask_b32_e64 v7, 0, 1, vcc_lo
	s_or_b32 exec_lo, exec_lo, s13
	s_mov_b32 s13, exec_lo
	v_cmpx_gt_u32_e64 s34, v48
	s_cbranch_execz .LBB918_14
.LBB918_91:                             ;   in Loop: Header=BB918_6 Depth=1
	global_load_b32 v8, v[18:19], off offset:768
	s_waitcnt vmcnt(0)
	v_lshrrev_b32_e32 v20, 16, v8
	s_delay_alu instid0(VALU_DEP_1) | instskip(NEXT) | instid1(VALU_DEP_1)
	v_or_b32_e32 v8, v8, v20
	v_and_b32_e32 v8, 0x7fff, v8
	s_delay_alu instid0(VALU_DEP_1) | instskip(SKIP_2) | instid1(SALU_CYCLE_1)
	v_cmp_ne_u16_e32 vcc_lo, 0, v8
	v_cndmask_b32_e64 v8, 0, 1, vcc_lo
	s_or_b32 exec_lo, exec_lo, s13
	s_mov_b32 s13, exec_lo
	v_cmpx_gt_u32_e64 s34, v49
	s_cbranch_execz .LBB918_15
.LBB918_92:                             ;   in Loop: Header=BB918_6 Depth=1
	global_load_b32 v9, v[18:19], off offset:896
	s_waitcnt vmcnt(0)
	v_lshrrev_b32_e32 v20, 16, v9
	s_delay_alu instid0(VALU_DEP_1) | instskip(NEXT) | instid1(VALU_DEP_1)
	v_or_b32_e32 v9, v9, v20
	v_and_b32_e32 v9, 0x7fff, v9
	s_delay_alu instid0(VALU_DEP_1) | instskip(SKIP_2) | instid1(SALU_CYCLE_1)
	v_cmp_ne_u16_e32 vcc_lo, 0, v9
	v_cndmask_b32_e64 v9, 0, 1, vcc_lo
	s_or_b32 exec_lo, exec_lo, s13
	s_mov_b32 s13, exec_lo
	v_cmpx_gt_u32_e64 s34, v50
	s_cbranch_execz .LBB918_16
.LBB918_93:                             ;   in Loop: Header=BB918_6 Depth=1
	global_load_b32 v10, v[18:19], off offset:1024
	s_waitcnt vmcnt(0)
	v_lshrrev_b32_e32 v20, 16, v10
	s_delay_alu instid0(VALU_DEP_1) | instskip(NEXT) | instid1(VALU_DEP_1)
	v_or_b32_e32 v10, v10, v20
	v_and_b32_e32 v10, 0x7fff, v10
	s_delay_alu instid0(VALU_DEP_1) | instskip(SKIP_2) | instid1(SALU_CYCLE_1)
	v_cmp_ne_u16_e32 vcc_lo, 0, v10
	v_cndmask_b32_e64 v10, 0, 1, vcc_lo
	s_or_b32 exec_lo, exec_lo, s13
	s_mov_b32 s13, exec_lo
	v_cmpx_gt_u32_e64 s34, v51
	s_cbranch_execz .LBB918_17
.LBB918_94:                             ;   in Loop: Header=BB918_6 Depth=1
	global_load_b32 v11, v[18:19], off offset:1152
	s_waitcnt vmcnt(0)
	v_lshrrev_b32_e32 v20, 16, v11
	s_delay_alu instid0(VALU_DEP_1) | instskip(NEXT) | instid1(VALU_DEP_1)
	v_or_b32_e32 v11, v11, v20
	v_and_b32_e32 v11, 0x7fff, v11
	s_delay_alu instid0(VALU_DEP_1) | instskip(SKIP_2) | instid1(SALU_CYCLE_1)
	v_cmp_ne_u16_e32 vcc_lo, 0, v11
	v_cndmask_b32_e64 v11, 0, 1, vcc_lo
	s_or_b32 exec_lo, exec_lo, s13
	s_mov_b32 s13, exec_lo
	v_cmpx_gt_u32_e64 s34, v52
	s_cbranch_execz .LBB918_18
.LBB918_95:                             ;   in Loop: Header=BB918_6 Depth=1
	global_load_b32 v12, v[18:19], off offset:1280
	s_waitcnt vmcnt(0)
	v_lshrrev_b32_e32 v20, 16, v12
	s_delay_alu instid0(VALU_DEP_1) | instskip(NEXT) | instid1(VALU_DEP_1)
	v_or_b32_e32 v12, v12, v20
	v_and_b32_e32 v12, 0x7fff, v12
	s_delay_alu instid0(VALU_DEP_1) | instskip(SKIP_2) | instid1(SALU_CYCLE_1)
	v_cmp_ne_u16_e32 vcc_lo, 0, v12
	v_cndmask_b32_e64 v12, 0, 1, vcc_lo
	s_or_b32 exec_lo, exec_lo, s13
	s_mov_b32 s13, exec_lo
	v_cmpx_gt_u32_e64 s34, v53
	s_cbranch_execz .LBB918_19
.LBB918_96:                             ;   in Loop: Header=BB918_6 Depth=1
	global_load_b32 v13, v[18:19], off offset:1408
	s_waitcnt vmcnt(0)
	v_lshrrev_b32_e32 v20, 16, v13
	s_delay_alu instid0(VALU_DEP_1) | instskip(NEXT) | instid1(VALU_DEP_1)
	v_or_b32_e32 v13, v13, v20
	v_and_b32_e32 v13, 0x7fff, v13
	s_delay_alu instid0(VALU_DEP_1) | instskip(SKIP_2) | instid1(SALU_CYCLE_1)
	v_cmp_ne_u16_e32 vcc_lo, 0, v13
	v_cndmask_b32_e64 v13, 0, 1, vcc_lo
	s_or_b32 exec_lo, exec_lo, s13
	s_mov_b32 s13, exec_lo
	v_cmpx_gt_u32_e64 s34, v54
	s_cbranch_execz .LBB918_20
.LBB918_97:                             ;   in Loop: Header=BB918_6 Depth=1
	global_load_b32 v14, v[18:19], off offset:1536
	s_waitcnt vmcnt(0)
	v_lshrrev_b32_e32 v20, 16, v14
	s_delay_alu instid0(VALU_DEP_1) | instskip(NEXT) | instid1(VALU_DEP_1)
	v_or_b32_e32 v14, v14, v20
	v_and_b32_e32 v14, 0x7fff, v14
	s_delay_alu instid0(VALU_DEP_1) | instskip(SKIP_2) | instid1(SALU_CYCLE_1)
	v_cmp_ne_u16_e32 vcc_lo, 0, v14
	v_cndmask_b32_e64 v14, 0, 1, vcc_lo
	s_or_b32 exec_lo, exec_lo, s13
	s_mov_b32 s13, exec_lo
	v_cmpx_gt_u32_e64 s34, v55
	s_cbranch_execz .LBB918_21
.LBB918_98:                             ;   in Loop: Header=BB918_6 Depth=1
	global_load_b32 v15, v[18:19], off offset:1664
	s_waitcnt vmcnt(0)
	v_lshrrev_b32_e32 v20, 16, v15
	s_delay_alu instid0(VALU_DEP_1) | instskip(NEXT) | instid1(VALU_DEP_1)
	v_or_b32_e32 v15, v15, v20
	v_and_b32_e32 v15, 0x7fff, v15
	s_delay_alu instid0(VALU_DEP_1) | instskip(SKIP_2) | instid1(SALU_CYCLE_1)
	v_cmp_ne_u16_e32 vcc_lo, 0, v15
	v_cndmask_b32_e64 v15, 0, 1, vcc_lo
	s_or_b32 exec_lo, exec_lo, s13
	s_mov_b32 s13, exec_lo
	v_cmpx_gt_u32_e64 s34, v56
	s_cbranch_execz .LBB918_22
.LBB918_99:                             ;   in Loop: Header=BB918_6 Depth=1
	global_load_b32 v16, v[18:19], off offset:1792
	s_waitcnt vmcnt(0)
	v_lshrrev_b32_e32 v20, 16, v16
	s_delay_alu instid0(VALU_DEP_1) | instskip(NEXT) | instid1(VALU_DEP_1)
	v_or_b32_e32 v16, v16, v20
	v_and_b32_e32 v16, 0x7fff, v16
	s_delay_alu instid0(VALU_DEP_1) | instskip(SKIP_2) | instid1(SALU_CYCLE_1)
	v_cmp_ne_u16_e32 vcc_lo, 0, v16
	v_cndmask_b32_e64 v16, 0, 1, vcc_lo
	s_or_b32 exec_lo, exec_lo, s13
	s_mov_b32 s13, exec_lo
	v_cmpx_gt_u32_e64 s34, v57
	s_cbranch_execnz .LBB918_23
	s_branch .LBB918_24
.LBB918_100:
	s_nop 0
	s_sendmsg sendmsg(MSG_DEALLOC_VGPRS)
	s_endpgm
	.section	.rodata,"a",@progbits
	.p2align	6, 0x0
	.amdhsa_kernel _ZN2at6native12_GLOBAL__N_111flag_kernelILi512ELi16EN3c107complexINS3_4HalfEEEEEvPKT1_PlPKllli
		.amdhsa_group_segment_fixed_size 33796
		.amdhsa_private_segment_fixed_size 0
		.amdhsa_kernarg_size 304
		.amdhsa_user_sgpr_count 15
		.amdhsa_user_sgpr_dispatch_ptr 0
		.amdhsa_user_sgpr_queue_ptr 0
		.amdhsa_user_sgpr_kernarg_segment_ptr 1
		.amdhsa_user_sgpr_dispatch_id 0
		.amdhsa_user_sgpr_private_segment_size 0
		.amdhsa_wavefront_size32 1
		.amdhsa_uses_dynamic_stack 0
		.amdhsa_enable_private_segment 0
		.amdhsa_system_sgpr_workgroup_id_x 1
		.amdhsa_system_sgpr_workgroup_id_y 0
		.amdhsa_system_sgpr_workgroup_id_z 0
		.amdhsa_system_sgpr_workgroup_info 0
		.amdhsa_system_vgpr_workitem_id 0
		.amdhsa_next_free_vgpr 109
		.amdhsa_next_free_sgpr 40
		.amdhsa_reserve_vcc 1
		.amdhsa_float_round_mode_32 0
		.amdhsa_float_round_mode_16_64 0
		.amdhsa_float_denorm_mode_32 3
		.amdhsa_float_denorm_mode_16_64 3
		.amdhsa_dx10_clamp 1
		.amdhsa_ieee_mode 1
		.amdhsa_fp16_overflow 0
		.amdhsa_workgroup_processor_mode 1
		.amdhsa_memory_ordered 1
		.amdhsa_forward_progress 0
		.amdhsa_shared_vgpr_count 0
		.amdhsa_exception_fp_ieee_invalid_op 0
		.amdhsa_exception_fp_denorm_src 0
		.amdhsa_exception_fp_ieee_div_zero 0
		.amdhsa_exception_fp_ieee_overflow 0
		.amdhsa_exception_fp_ieee_underflow 0
		.amdhsa_exception_fp_ieee_inexact 0
		.amdhsa_exception_int_div_zero 0
	.end_amdhsa_kernel
	.section	.text._ZN2at6native12_GLOBAL__N_111flag_kernelILi512ELi16EN3c107complexINS3_4HalfEEEEEvPKT1_PlPKllli,"axG",@progbits,_ZN2at6native12_GLOBAL__N_111flag_kernelILi512ELi16EN3c107complexINS3_4HalfEEEEEvPKT1_PlPKllli,comdat
.Lfunc_end918:
	.size	_ZN2at6native12_GLOBAL__N_111flag_kernelILi512ELi16EN3c107complexINS3_4HalfEEEEEvPKT1_PlPKllli, .Lfunc_end918-_ZN2at6native12_GLOBAL__N_111flag_kernelILi512ELi16EN3c107complexINS3_4HalfEEEEEvPKT1_PlPKllli
                                        ; -- End function
	.section	.AMDGPU.csdata,"",@progbits
; Kernel info:
; codeLenInByte = 6848
; NumSgprs: 42
; NumVgprs: 109
; ScratchSize: 0
; MemoryBound: 0
; FloatMode: 240
; IeeeMode: 1
; LDSByteSize: 33796 bytes/workgroup (compile time only)
; SGPRBlocks: 5
; VGPRBlocks: 13
; NumSGPRsForWavesPerEU: 42
; NumVGPRsForWavesPerEU: 109
; Occupancy: 12
; WaveLimiterHint : 1
; COMPUTE_PGM_RSRC2:SCRATCH_EN: 0
; COMPUTE_PGM_RSRC2:USER_SGPR: 15
; COMPUTE_PGM_RSRC2:TRAP_HANDLER: 0
; COMPUTE_PGM_RSRC2:TGID_X_EN: 1
; COMPUTE_PGM_RSRC2:TGID_Y_EN: 0
; COMPUTE_PGM_RSRC2:TGID_Z_EN: 0
; COMPUTE_PGM_RSRC2:TIDIG_COMP_CNT: 0
	.section	.text._ZN2at4cuda3cub15calc_block_sumsILi512ELi16ELb1EbiEEvPKT2_PT3_li,"axG",@progbits,_ZN2at4cuda3cub15calc_block_sumsILi512ELi16ELb1EbiEEvPKT2_PT3_li,comdat
	.protected	_ZN2at4cuda3cub15calc_block_sumsILi512ELi16ELb1EbiEEvPKT2_PT3_li ; -- Begin function _ZN2at4cuda3cub15calc_block_sumsILi512ELi16ELb1EbiEEvPKT2_PT3_li
	.globl	_ZN2at4cuda3cub15calc_block_sumsILi512ELi16ELb1EbiEEvPKT2_PT3_li
	.p2align	8
	.type	_ZN2at4cuda3cub15calc_block_sumsILi512ELi16ELb1EbiEEvPKT2_PT3_li,@function
_ZN2at4cuda3cub15calc_block_sumsILi512ELi16ELb1EbiEEvPKT2_PT3_li: ; @_ZN2at4cuda3cub15calc_block_sumsILi512ELi16ELb1EbiEEvPKT2_PT3_li
; %bb.0:
	s_clause 0x1
	s_load_b32 s26, s[0:1], 0x18
	s_load_b64 s[4:5], s[0:1], 0x10
	s_waitcnt lgkmcnt(0)
	s_lshl_b32 s2, s26, 13
	s_delay_alu instid0(SALU_CYCLE_1)
	s_ashr_i32 s3, s2, 31
	s_mul_hi_u32 s7, s2, s15
	s_mul_i32 s3, s3, s15
	s_mul_i32 s6, s2, s15
	s_add_i32 s7, s7, s3
	s_sub_u32 s22, s4, s6
	s_subb_u32 s23, s5, s7
	s_delay_alu instid0(SALU_CYCLE_1) | instskip(NEXT) | instid1(VALU_DEP_1)
	v_cmp_lt_i64_e64 s2, s[22:23], 1
	s_and_b32 vcc_lo, exec_lo, s2
	s_cbranch_vccnz .LBB919_58
; %bb.1:
	s_load_b128 s[0:3], s[0:1], 0x0
	s_mov_b32 s20, s15
	s_cmp_gt_i32 s26, 0
	s_mov_b32 s21, 0
	s_cbranch_scc1 .LBB919_3
; %bb.2:
	s_mov_b32 s5, 0
	s_mov_b32 s8, s21
	v_mov_b32_e32 v19, s5
	s_and_not1_b32 vcc_lo, exec_lo, s8
	s_mov_b32 s5, s21
	s_cbranch_vccz .LBB919_4
	s_branch .LBB919_56
.LBB919_3:
                                        ; implicit-def: $sgpr5
	v_mov_b32_e32 v19, s5
	s_mov_b32 s5, s21
.LBB919_4:
	v_lshrrev_b32_e32 v1, 3, v0
	s_waitcnt lgkmcnt(0)
	s_add_u32 s24, s0, s6
	s_mul_i32 s0, s20, s26
	s_addc_u32 s25, s1, s7
	v_dual_mov_b32 v2, 0 :: v_dual_and_b32 v35, 0x7c, v1
	v_dual_mov_b32 v19, 0 :: v_dual_add_nc_u32 v20, 0x200, v0
	v_or_b32_e32 v21, 0x400, v0
	v_add_nc_u32_e32 v22, 0x600, v0
	v_or_b32_e32 v23, 0x800, v0
	v_add_nc_u32_e32 v24, 0xa00, v0
	;; [unrolled: 2-line block ×7, first 2 shown]
	s_lshl_b32 s1, s0, 13
	v_cmp_gt_u32_e64 s0, 32, v0
	v_mbcnt_lo_u32_b32 v36, -1, 0
	s_sub_i32 s27, s4, s1
	s_mov_b32 s4, 0
	s_mov_b32 s1, -1
	s_mov_b32 s28, 0
	v_cmp_gt_i64_e64 s5, 0x2000, s[22:23]
                                        ; implicit-def: $vgpr1
	s_delay_alu instid0(VALU_DEP_1)
	s_and_b32 vcc_lo, exec_lo, s5
	s_mov_b32 s5, -1
	s_cbranch_vccnz .LBB919_8
.LBB919_5:
	s_and_b32 vcc_lo, exec_lo, s5
	s_cbranch_vccnz .LBB919_30
.LBB919_6:
	v_cmp_lt_i64_e64 s5, 0x2000, s[22:23]
	s_delay_alu instid0(VALU_DEP_2) | instskip(NEXT) | instid1(VALU_DEP_2)
	v_add_nc_u32_e32 v19, v1, v19
	s_and_b32 vcc_lo, exec_lo, s5
	s_cbranch_vccz .LBB919_35
.LBB919_7:
	s_add_u32 s24, s24, 0x2000
	s_addc_u32 s25, s25, 0
	s_add_u32 s22, s22, 0xffffe000
	s_addc_u32 s23, s23, -1
	s_add_i32 s28, s28, 1
	s_mov_b32 s6, 0
	s_cmp_lt_i32 s28, s26
	s_cselect_b32 s5, -1, 0
	s_addk_i32 s27, 0xe000
	s_cmp_eq_u32 s26, s28
	s_barrier
	s_cselect_b32 s7, -1, 0
	buffer_gl0_inv
	s_and_not1_b32 vcc_lo, exec_lo, s7
	s_cbranch_vccnz .LBB919_36
	s_branch .LBB919_52
.LBB919_8:
	s_mov_b32 s5, s4
	s_mov_b32 s6, s4
	s_mov_b32 s7, s4
	s_mov_b32 s8, s4
	s_mov_b32 s9, s4
	s_mov_b32 s10, s4
	s_mov_b32 s11, s4
	s_mov_b32 s12, s4
	s_mov_b32 s13, s4
	s_mov_b32 s14, s4
	s_mov_b32 s15, s4
	s_mov_b32 s16, s4
	s_mov_b32 s17, s4
	s_mov_b32 s18, s4
	s_mov_b32 s19, s4
	v_dual_mov_b32 v3, s4 :: v_dual_mov_b32 v4, s5
	v_dual_mov_b32 v5, s6 :: v_dual_mov_b32 v6, s7
	v_dual_mov_b32 v7, s8 :: v_dual_mov_b32 v8, s9
	v_dual_mov_b32 v9, s10 :: v_dual_mov_b32 v10, s11
	v_dual_mov_b32 v11, s12 :: v_dual_mov_b32 v12, s13
	v_dual_mov_b32 v13, s14 :: v_dual_mov_b32 v14, s15
	v_dual_mov_b32 v15, s16 :: v_dual_mov_b32 v16, s17
	v_dual_mov_b32 v17, s18 :: v_dual_mov_b32 v18, s19
	s_mov_b32 s5, exec_lo
	v_cmpx_gt_u32_e64 s27, v0
	s_cbranch_execnz .LBB919_37
; %bb.9:
	s_or_b32 exec_lo, exec_lo, s5
	s_delay_alu instid0(SALU_CYCLE_1)
	s_mov_b32 s5, exec_lo
	v_cmpx_gt_u32_e64 s27, v20
	s_cbranch_execnz .LBB919_38
.LBB919_10:
	s_or_b32 exec_lo, exec_lo, s5
	s_delay_alu instid0(SALU_CYCLE_1)
	s_mov_b32 s5, exec_lo
	v_cmpx_gt_u32_e64 s27, v21
	s_cbranch_execnz .LBB919_39
.LBB919_11:
	s_or_b32 exec_lo, exec_lo, s5
	s_delay_alu instid0(SALU_CYCLE_1)
	s_mov_b32 s5, exec_lo
	v_cmpx_gt_u32_e64 s27, v22
	s_cbranch_execnz .LBB919_40
.LBB919_12:
	s_or_b32 exec_lo, exec_lo, s5
	s_delay_alu instid0(SALU_CYCLE_1)
	s_mov_b32 s5, exec_lo
	v_cmpx_gt_u32_e64 s27, v23
	s_cbranch_execnz .LBB919_41
.LBB919_13:
	s_or_b32 exec_lo, exec_lo, s5
	s_delay_alu instid0(SALU_CYCLE_1)
	s_mov_b32 s5, exec_lo
	v_cmpx_gt_u32_e64 s27, v24
	s_cbranch_execnz .LBB919_42
.LBB919_14:
	s_or_b32 exec_lo, exec_lo, s5
	s_delay_alu instid0(SALU_CYCLE_1)
	s_mov_b32 s5, exec_lo
	v_cmpx_gt_u32_e64 s27, v25
	s_cbranch_execnz .LBB919_43
.LBB919_15:
	s_or_b32 exec_lo, exec_lo, s5
	s_delay_alu instid0(SALU_CYCLE_1)
	s_mov_b32 s5, exec_lo
	v_cmpx_gt_u32_e64 s27, v26
	s_cbranch_execnz .LBB919_44
.LBB919_16:
	s_or_b32 exec_lo, exec_lo, s5
	s_delay_alu instid0(SALU_CYCLE_1)
	s_mov_b32 s5, exec_lo
	v_cmpx_gt_u32_e64 s27, v27
	s_cbranch_execnz .LBB919_45
.LBB919_17:
	s_or_b32 exec_lo, exec_lo, s5
	s_delay_alu instid0(SALU_CYCLE_1)
	s_mov_b32 s5, exec_lo
	v_cmpx_gt_u32_e64 s27, v28
	s_cbranch_execnz .LBB919_46
.LBB919_18:
	s_or_b32 exec_lo, exec_lo, s5
	s_delay_alu instid0(SALU_CYCLE_1)
	s_mov_b32 s5, exec_lo
	v_cmpx_gt_u32_e64 s27, v29
	s_cbranch_execnz .LBB919_47
.LBB919_19:
	s_or_b32 exec_lo, exec_lo, s5
	s_delay_alu instid0(SALU_CYCLE_1)
	s_mov_b32 s5, exec_lo
	v_cmpx_gt_u32_e64 s27, v30
	s_cbranch_execnz .LBB919_48
.LBB919_20:
	s_or_b32 exec_lo, exec_lo, s5
	s_delay_alu instid0(SALU_CYCLE_1)
	s_mov_b32 s5, exec_lo
	v_cmpx_gt_u32_e64 s27, v31
	s_cbranch_execnz .LBB919_49
.LBB919_21:
	s_or_b32 exec_lo, exec_lo, s5
	s_delay_alu instid0(SALU_CYCLE_1)
	s_mov_b32 s5, exec_lo
	v_cmpx_gt_u32_e64 s27, v32
	s_cbranch_execnz .LBB919_50
.LBB919_22:
	s_or_b32 exec_lo, exec_lo, s5
	s_delay_alu instid0(SALU_CYCLE_1)
	s_mov_b32 s5, exec_lo
	v_cmpx_gt_u32_e64 s27, v33
	s_cbranch_execnz .LBB919_51
.LBB919_23:
	s_or_b32 exec_lo, exec_lo, s5
	s_delay_alu instid0(SALU_CYCLE_1)
	s_mov_b32 s5, exec_lo
	v_cmpx_gt_u32_e64 s27, v34
	s_cbranch_execz .LBB919_25
.LBB919_24:
	v_add_co_u32 v1, s6, s24, v0
	s_delay_alu instid0(VALU_DEP_1) | instskip(NEXT) | instid1(VALU_DEP_2)
	v_add_co_ci_u32_e64 v18, null, s25, 0, s6
	v_add_co_u32 v37, vcc_lo, 0x1000, v1
	s_delay_alu instid0(VALU_DEP_2)
	v_add_co_ci_u32_e32 v38, vcc_lo, 0, v18, vcc_lo
	global_load_u8 v18, v[37:38], off offset:3584
.LBB919_25:
	s_or_b32 exec_lo, exec_lo, s5
	s_waitcnt vmcnt(0)
	v_add_nc_u32_e32 v1, v4, v3
	s_mov_b32 s5, exec_lo
	s_barrier
	buffer_gl0_inv
	v_add3_u32 v1, v1, v5, v6
	s_delay_alu instid0(VALU_DEP_1) | instskip(NEXT) | instid1(VALU_DEP_1)
	v_add3_u32 v1, v1, v7, v8
	v_add3_u32 v1, v1, v9, v10
	s_delay_alu instid0(VALU_DEP_1) | instskip(NEXT) | instid1(VALU_DEP_1)
	v_add3_u32 v1, v1, v11, v12
	;; [unrolled: 3-line block ×3, first 2 shown]
	v_add3_u32 v1, v1, v17, v18
	s_delay_alu instid0(VALU_DEP_1) | instskip(NEXT) | instid1(VALU_DEP_1)
	v_mov_b32_dpp v3, v1 quad_perm:[1,0,3,2] row_mask:0xf bank_mask:0xf
	v_add_nc_u32_e32 v1, v1, v3
	s_delay_alu instid0(VALU_DEP_1) | instskip(NEXT) | instid1(VALU_DEP_1)
	v_mov_b32_dpp v3, v1 quad_perm:[2,3,0,1] row_mask:0xf bank_mask:0xf
	v_add_nc_u32_e32 v1, v1, v3
	s_delay_alu instid0(VALU_DEP_1) | instskip(NEXT) | instid1(VALU_DEP_1)
	v_mov_b32_dpp v3, v1 row_ror:4 row_mask:0xf bank_mask:0xf
	v_add_nc_u32_e32 v1, v1, v3
	s_delay_alu instid0(VALU_DEP_1) | instskip(NEXT) | instid1(VALU_DEP_1)
	v_mov_b32_dpp v3, v1 row_ror:8 row_mask:0xf bank_mask:0xf
	v_add_nc_u32_e32 v1, v1, v3
	ds_swizzle_b32 v3, v1 offset:swizzle(BROADCAST,32,15)
	s_waitcnt lgkmcnt(0)
	v_add_nc_u32_e32 v1, v1, v3
	ds_bpermute_b32 v1, v2, v1 offset:124
	v_cmpx_eq_u32_e32 0, v36
	s_cbranch_execz .LBB919_27
; %bb.26:
	s_waitcnt lgkmcnt(0)
	ds_store_b32 v35, v1
.LBB919_27:
	s_or_b32 exec_lo, exec_lo, s5
	s_waitcnt lgkmcnt(0)
	s_barrier
	buffer_gl0_inv
	s_and_saveexec_b32 s5, s0
	s_cbranch_execz .LBB919_29
; %bb.28:
	v_and_b32_e32 v1, 15, v36
	s_delay_alu instid0(VALU_DEP_1) | instskip(SKIP_4) | instid1(VALU_DEP_2)
	v_lshlrev_b32_e32 v3, 2, v1
	v_cmp_ne_u32_e32 vcc_lo, 15, v1
	ds_load_b32 v3, v3
	v_add_co_ci_u32_e32 v4, vcc_lo, 0, v36, vcc_lo
	v_cmp_gt_u32_e32 vcc_lo, 14, v1
	v_lshlrev_b32_e32 v4, 2, v4
	v_cndmask_b32_e64 v5, 0, 1, vcc_lo
	v_cmp_gt_u32_e32 vcc_lo, 12, v1
	s_delay_alu instid0(VALU_DEP_2) | instskip(NEXT) | instid1(VALU_DEP_1)
	v_lshlrev_b32_e32 v5, 1, v5
	v_add_lshl_u32 v5, v5, v36, 2
	s_waitcnt lgkmcnt(0)
	ds_bpermute_b32 v4, v4, v3
	s_waitcnt lgkmcnt(0)
	v_add_nc_u32_e32 v3, v4, v3
	ds_bpermute_b32 v4, v5, v3
	v_cndmask_b32_e64 v5, 0, 1, vcc_lo
	v_cmp_gt_u32_e32 vcc_lo, 8, v1
	s_delay_alu instid0(VALU_DEP_2) | instskip(SKIP_1) | instid1(VALU_DEP_2)
	v_lshlrev_b32_e32 v5, 2, v5
	v_cndmask_b32_e64 v1, 0, 1, vcc_lo
	v_add_lshl_u32 v5, v5, v36, 2
	s_delay_alu instid0(VALU_DEP_2) | instskip(NEXT) | instid1(VALU_DEP_1)
	v_lshlrev_b32_e32 v1, 3, v1
	v_add_lshl_u32 v1, v1, v36, 2
	s_waitcnt lgkmcnt(0)
	v_add_nc_u32_e32 v3, v4, v3
	ds_bpermute_b32 v4, v5, v3
	s_waitcnt lgkmcnt(0)
	v_add_nc_u32_e32 v3, v4, v3
	ds_bpermute_b32 v1, v1, v3
	s_waitcnt lgkmcnt(0)
	v_add_nc_u32_e32 v1, v1, v3
.LBB919_29:
	s_or_b32 exec_lo, exec_lo, s5
	s_branch .LBB919_6
.LBB919_30:
	v_add_co_u32 v3, s5, s24, v0
	s_delay_alu instid0(VALU_DEP_1) | instskip(SKIP_1) | instid1(VALU_DEP_2)
	v_add_co_ci_u32_e64 v4, null, s25, 0, s5
	s_mov_b32 s5, exec_lo
	v_add_co_u32 v5, vcc_lo, 0x1000, v3
	s_clause 0x6
	global_load_u8 v1, v[3:4], off
	global_load_u8 v7, v[3:4], off offset:512
	global_load_u8 v8, v[3:4], off offset:1024
	;; [unrolled: 1-line block ×6, first 2 shown]
	v_add_co_ci_u32_e32 v6, vcc_lo, 0, v4, vcc_lo
	s_clause 0x8
	global_load_u8 v3, v[3:4], off offset:3584
	global_load_u8 v4, v[5:6], off
	global_load_u8 v13, v[5:6], off offset:512
	global_load_u8 v14, v[5:6], off offset:1024
	;; [unrolled: 1-line block ×7, first 2 shown]
	s_waitcnt vmcnt(0)
	s_barrier
	buffer_gl0_inv
	v_add_nc_u16 v1, v7, v1
	s_delay_alu instid0(VALU_DEP_1) | instskip(NEXT) | instid1(VALU_DEP_1)
	v_add_nc_u16 v1, v1, v8
	v_add_nc_u16 v1, v1, v9
	s_delay_alu instid0(VALU_DEP_1) | instskip(NEXT) | instid1(VALU_DEP_1)
	v_add_nc_u16 v1, v1, v10
	;; [unrolled: 3-line block ×3, first 2 shown]
	v_and_b32_e32 v1, 0xff, v1
	s_delay_alu instid0(VALU_DEP_1) | instskip(NEXT) | instid1(VALU_DEP_1)
	v_add_nc_u32_e32 v1, v1, v3
	v_add3_u32 v1, v1, v4, v13
	s_delay_alu instid0(VALU_DEP_1) | instskip(NEXT) | instid1(VALU_DEP_1)
	v_add3_u32 v1, v1, v14, v15
	v_add3_u32 v1, v1, v16, v17
	s_delay_alu instid0(VALU_DEP_1) | instskip(NEXT) | instid1(VALU_DEP_1)
	v_add3_u32 v1, v1, v18, v5
	v_mov_b32_dpp v3, v1 quad_perm:[1,0,3,2] row_mask:0xf bank_mask:0xf
	s_delay_alu instid0(VALU_DEP_1) | instskip(NEXT) | instid1(VALU_DEP_1)
	v_add_nc_u32_e32 v1, v3, v1
	v_mov_b32_dpp v3, v1 quad_perm:[2,3,0,1] row_mask:0xf bank_mask:0xf
	s_delay_alu instid0(VALU_DEP_1) | instskip(NEXT) | instid1(VALU_DEP_1)
	v_add_nc_u32_e32 v1, v1, v3
	v_mov_b32_dpp v3, v1 row_ror:4 row_mask:0xf bank_mask:0xf
	s_delay_alu instid0(VALU_DEP_1) | instskip(NEXT) | instid1(VALU_DEP_1)
	v_add_nc_u32_e32 v1, v1, v3
	v_mov_b32_dpp v3, v1 row_ror:8 row_mask:0xf bank_mask:0xf
	s_delay_alu instid0(VALU_DEP_1)
	v_add_nc_u32_e32 v1, v1, v3
	ds_swizzle_b32 v3, v1 offset:swizzle(BROADCAST,32,15)
	s_waitcnt lgkmcnt(0)
	v_add_nc_u32_e32 v1, v1, v3
	ds_bpermute_b32 v1, v2, v1 offset:124
	v_cmpx_eq_u32_e32 0, v36
	s_cbranch_execz .LBB919_32
; %bb.31:
	s_waitcnt lgkmcnt(0)
	ds_store_b32 v35, v1
.LBB919_32:
	s_or_b32 exec_lo, exec_lo, s5
	s_waitcnt lgkmcnt(0)
	s_barrier
	buffer_gl0_inv
	s_and_saveexec_b32 s5, s0
	s_cbranch_execz .LBB919_34
; %bb.33:
	v_and_b32_e32 v1, 15, v36
	s_delay_alu instid0(VALU_DEP_1) | instskip(SKIP_4) | instid1(VALU_DEP_2)
	v_lshlrev_b32_e32 v3, 2, v1
	v_cmp_ne_u32_e32 vcc_lo, 15, v1
	ds_load_b32 v3, v3
	v_add_co_ci_u32_e32 v4, vcc_lo, 0, v36, vcc_lo
	v_cmp_gt_u32_e32 vcc_lo, 14, v1
	v_lshlrev_b32_e32 v4, 2, v4
	v_cndmask_b32_e64 v5, 0, 1, vcc_lo
	v_cmp_gt_u32_e32 vcc_lo, 12, v1
	s_delay_alu instid0(VALU_DEP_2) | instskip(NEXT) | instid1(VALU_DEP_1)
	v_lshlrev_b32_e32 v5, 1, v5
	v_add_lshl_u32 v5, v5, v36, 2
	s_waitcnt lgkmcnt(0)
	ds_bpermute_b32 v4, v4, v3
	s_waitcnt lgkmcnt(0)
	v_add_nc_u32_e32 v3, v4, v3
	ds_bpermute_b32 v4, v5, v3
	v_cndmask_b32_e64 v5, 0, 1, vcc_lo
	v_cmp_gt_u32_e32 vcc_lo, 8, v1
	s_delay_alu instid0(VALU_DEP_2) | instskip(SKIP_1) | instid1(VALU_DEP_2)
	v_lshlrev_b32_e32 v5, 2, v5
	v_cndmask_b32_e64 v1, 0, 1, vcc_lo
	v_add_lshl_u32 v5, v5, v36, 2
	s_delay_alu instid0(VALU_DEP_2) | instskip(NEXT) | instid1(VALU_DEP_1)
	v_lshlrev_b32_e32 v1, 3, v1
	v_add_lshl_u32 v1, v1, v36, 2
	s_waitcnt lgkmcnt(0)
	v_add_nc_u32_e32 v3, v4, v3
	ds_bpermute_b32 v4, v5, v3
	s_waitcnt lgkmcnt(0)
	v_add_nc_u32_e32 v3, v4, v3
	ds_bpermute_b32 v1, v1, v3
	s_waitcnt lgkmcnt(0)
	v_add_nc_u32_e32 v1, v1, v3
.LBB919_34:
	s_or_b32 exec_lo, exec_lo, s5
	v_cmp_lt_i64_e64 s5, 0x2000, s[22:23]
	s_delay_alu instid0(VALU_DEP_2) | instskip(NEXT) | instid1(VALU_DEP_2)
	v_add_nc_u32_e32 v19, v1, v19
	s_and_b32 vcc_lo, exec_lo, s5
	s_cbranch_vccnz .LBB919_7
.LBB919_35:
	s_mov_b32 s6, -1
                                        ; implicit-def: $sgpr24_sgpr25
                                        ; implicit-def: $sgpr28
                                        ; implicit-def: $sgpr22_sgpr23
                                        ; implicit-def: $sgpr27
                                        ; implicit-def: $sgpr5
	s_branch .LBB919_52
.LBB919_36:
	s_mov_b32 s1, s5
	v_cmp_gt_i64_e64 s5, 0x2000, s[22:23]
                                        ; implicit-def: $vgpr1
	s_delay_alu instid0(VALU_DEP_1)
	s_and_b32 vcc_lo, exec_lo, s5
	s_mov_b32 s5, -1
	s_cbranch_vccnz .LBB919_8
	s_branch .LBB919_5
.LBB919_37:
	v_add_co_u32 v3, s6, s24, v0
	s_delay_alu instid0(VALU_DEP_1)
	v_add_co_ci_u32_e64 v4, null, s25, 0, s6
	v_dual_mov_b32 v1, 0 :: v_dual_mov_b32 v16, v2
	v_mov_b32_e32 v5, v2
	v_mov_b32_e32 v6, v2
	;; [unrolled: 1-line block ×3, first 2 shown]
	global_load_d16_u8 v1, v[3:4], off
	v_mov_b32_e32 v4, v2
	v_mov_b32_e32 v3, v2
	;; [unrolled: 1-line block ×10, first 2 shown]
	s_waitcnt vmcnt(0)
	v_mov_b32_e32 v18, v16
	s_delay_alu instid0(VALU_DEP_2)
	v_dual_mov_b32 v17, v15 :: v_dual_mov_b32 v16, v14
	v_mov_b32_e32 v15, v13
	v_mov_b32_e32 v14, v12
	;; [unrolled: 1-line block ×13, first 2 shown]
	s_or_b32 exec_lo, exec_lo, s5
	s_delay_alu instid0(SALU_CYCLE_1)
	s_mov_b32 s5, exec_lo
	v_cmpx_gt_u32_e64 s27, v20
	s_cbranch_execz .LBB919_10
.LBB919_38:
	v_add_co_u32 v37, s6, s24, v0
	s_delay_alu instid0(VALU_DEP_1) | instskip(SKIP_2) | instid1(SALU_CYCLE_1)
	v_add_co_ci_u32_e64 v38, null, s25, 0, s6
	global_load_u8 v4, v[37:38], off offset:512
	s_or_b32 exec_lo, exec_lo, s5
	s_mov_b32 s5, exec_lo
	v_cmpx_gt_u32_e64 s27, v21
	s_cbranch_execz .LBB919_11
.LBB919_39:
	v_add_co_u32 v37, s6, s24, v0
	s_delay_alu instid0(VALU_DEP_1) | instskip(SKIP_2) | instid1(SALU_CYCLE_1)
	v_add_co_ci_u32_e64 v38, null, s25, 0, s6
	global_load_u8 v5, v[37:38], off offset:1024
	s_or_b32 exec_lo, exec_lo, s5
	s_mov_b32 s5, exec_lo
	v_cmpx_gt_u32_e64 s27, v22
	s_cbranch_execz .LBB919_12
.LBB919_40:
	v_add_co_u32 v37, s6, s24, v0
	s_delay_alu instid0(VALU_DEP_1) | instskip(SKIP_2) | instid1(SALU_CYCLE_1)
	v_add_co_ci_u32_e64 v38, null, s25, 0, s6
	global_load_u8 v6, v[37:38], off offset:1536
	s_or_b32 exec_lo, exec_lo, s5
	s_mov_b32 s5, exec_lo
	v_cmpx_gt_u32_e64 s27, v23
	s_cbranch_execz .LBB919_13
.LBB919_41:
	v_add_co_u32 v37, s6, s24, v0
	s_delay_alu instid0(VALU_DEP_1) | instskip(SKIP_2) | instid1(SALU_CYCLE_1)
	v_add_co_ci_u32_e64 v38, null, s25, 0, s6
	global_load_u8 v7, v[37:38], off offset:2048
	s_or_b32 exec_lo, exec_lo, s5
	s_mov_b32 s5, exec_lo
	v_cmpx_gt_u32_e64 s27, v24
	s_cbranch_execz .LBB919_14
.LBB919_42:
	v_add_co_u32 v37, s6, s24, v0
	s_delay_alu instid0(VALU_DEP_1) | instskip(SKIP_2) | instid1(SALU_CYCLE_1)
	v_add_co_ci_u32_e64 v38, null, s25, 0, s6
	global_load_u8 v8, v[37:38], off offset:2560
	s_or_b32 exec_lo, exec_lo, s5
	s_mov_b32 s5, exec_lo
	v_cmpx_gt_u32_e64 s27, v25
	s_cbranch_execz .LBB919_15
.LBB919_43:
	v_add_co_u32 v37, s6, s24, v0
	s_delay_alu instid0(VALU_DEP_1) | instskip(SKIP_2) | instid1(SALU_CYCLE_1)
	v_add_co_ci_u32_e64 v38, null, s25, 0, s6
	global_load_u8 v9, v[37:38], off offset:3072
	s_or_b32 exec_lo, exec_lo, s5
	s_mov_b32 s5, exec_lo
	v_cmpx_gt_u32_e64 s27, v26
	s_cbranch_execz .LBB919_16
.LBB919_44:
	v_add_co_u32 v37, s6, s24, v0
	s_delay_alu instid0(VALU_DEP_1) | instskip(SKIP_2) | instid1(SALU_CYCLE_1)
	v_add_co_ci_u32_e64 v38, null, s25, 0, s6
	global_load_u8 v10, v[37:38], off offset:3584
	s_or_b32 exec_lo, exec_lo, s5
	s_mov_b32 s5, exec_lo
	v_cmpx_gt_u32_e64 s27, v27
	s_cbranch_execz .LBB919_17
.LBB919_45:
	v_add_co_u32 v1, s6, s24, v0
	s_delay_alu instid0(VALU_DEP_1) | instskip(NEXT) | instid1(VALU_DEP_2)
	v_add_co_ci_u32_e64 v11, null, s25, 0, s6
	v_add_co_u32 v37, vcc_lo, 0x1000, v1
	s_delay_alu instid0(VALU_DEP_2) | instskip(SKIP_2) | instid1(SALU_CYCLE_1)
	v_add_co_ci_u32_e32 v38, vcc_lo, 0, v11, vcc_lo
	global_load_u8 v11, v[37:38], off
	s_or_b32 exec_lo, exec_lo, s5
	s_mov_b32 s5, exec_lo
	v_cmpx_gt_u32_e64 s27, v28
	s_cbranch_execz .LBB919_18
.LBB919_46:
	v_add_co_u32 v1, s6, s24, v0
	s_delay_alu instid0(VALU_DEP_1) | instskip(NEXT) | instid1(VALU_DEP_2)
	v_add_co_ci_u32_e64 v12, null, s25, 0, s6
	v_add_co_u32 v37, vcc_lo, 0x1000, v1
	s_delay_alu instid0(VALU_DEP_2) | instskip(SKIP_2) | instid1(SALU_CYCLE_1)
	v_add_co_ci_u32_e32 v38, vcc_lo, 0, v12, vcc_lo
	global_load_u8 v12, v[37:38], off offset:512
	s_or_b32 exec_lo, exec_lo, s5
	s_mov_b32 s5, exec_lo
	v_cmpx_gt_u32_e64 s27, v29
	s_cbranch_execz .LBB919_19
.LBB919_47:
	v_add_co_u32 v1, s6, s24, v0
	s_delay_alu instid0(VALU_DEP_1) | instskip(NEXT) | instid1(VALU_DEP_2)
	v_add_co_ci_u32_e64 v13, null, s25, 0, s6
	v_add_co_u32 v37, vcc_lo, 0x1000, v1
	s_delay_alu instid0(VALU_DEP_2) | instskip(SKIP_2) | instid1(SALU_CYCLE_1)
	v_add_co_ci_u32_e32 v38, vcc_lo, 0, v13, vcc_lo
	global_load_u8 v13, v[37:38], off offset:1024
	s_or_b32 exec_lo, exec_lo, s5
	s_mov_b32 s5, exec_lo
	v_cmpx_gt_u32_e64 s27, v30
	s_cbranch_execz .LBB919_20
.LBB919_48:
	v_add_co_u32 v1, s6, s24, v0
	s_delay_alu instid0(VALU_DEP_1) | instskip(NEXT) | instid1(VALU_DEP_2)
	v_add_co_ci_u32_e64 v14, null, s25, 0, s6
	v_add_co_u32 v37, vcc_lo, 0x1000, v1
	s_delay_alu instid0(VALU_DEP_2) | instskip(SKIP_2) | instid1(SALU_CYCLE_1)
	v_add_co_ci_u32_e32 v38, vcc_lo, 0, v14, vcc_lo
	global_load_u8 v14, v[37:38], off offset:1536
	s_or_b32 exec_lo, exec_lo, s5
	s_mov_b32 s5, exec_lo
	v_cmpx_gt_u32_e64 s27, v31
	s_cbranch_execz .LBB919_21
.LBB919_49:
	v_add_co_u32 v1, s6, s24, v0
	s_delay_alu instid0(VALU_DEP_1) | instskip(NEXT) | instid1(VALU_DEP_2)
	v_add_co_ci_u32_e64 v15, null, s25, 0, s6
	v_add_co_u32 v37, vcc_lo, 0x1000, v1
	s_delay_alu instid0(VALU_DEP_2) | instskip(SKIP_2) | instid1(SALU_CYCLE_1)
	v_add_co_ci_u32_e32 v38, vcc_lo, 0, v15, vcc_lo
	global_load_u8 v15, v[37:38], off offset:2048
	s_or_b32 exec_lo, exec_lo, s5
	s_mov_b32 s5, exec_lo
	v_cmpx_gt_u32_e64 s27, v32
	s_cbranch_execz .LBB919_22
.LBB919_50:
	v_add_co_u32 v1, s6, s24, v0
	s_delay_alu instid0(VALU_DEP_1) | instskip(NEXT) | instid1(VALU_DEP_2)
	v_add_co_ci_u32_e64 v16, null, s25, 0, s6
	v_add_co_u32 v37, vcc_lo, 0x1000, v1
	s_delay_alu instid0(VALU_DEP_2) | instskip(SKIP_2) | instid1(SALU_CYCLE_1)
	v_add_co_ci_u32_e32 v38, vcc_lo, 0, v16, vcc_lo
	global_load_u8 v16, v[37:38], off offset:2560
	s_or_b32 exec_lo, exec_lo, s5
	s_mov_b32 s5, exec_lo
	v_cmpx_gt_u32_e64 s27, v33
	s_cbranch_execz .LBB919_23
.LBB919_51:
	v_add_co_u32 v1, s6, s24, v0
	s_delay_alu instid0(VALU_DEP_1) | instskip(NEXT) | instid1(VALU_DEP_2)
	v_add_co_ci_u32_e64 v17, null, s25, 0, s6
	v_add_co_u32 v37, vcc_lo, 0x1000, v1
	s_delay_alu instid0(VALU_DEP_2) | instskip(SKIP_2) | instid1(SALU_CYCLE_1)
	v_add_co_ci_u32_e32 v38, vcc_lo, 0, v17, vcc_lo
	global_load_u8 v17, v[37:38], off offset:3072
	s_or_b32 exec_lo, exec_lo, s5
	s_mov_b32 s5, exec_lo
	v_cmpx_gt_u32_e64 s27, v34
	s_cbranch_execnz .LBB919_24
	s_branch .LBB919_25
.LBB919_52:
	s_and_b32 vcc_lo, exec_lo, s6
	s_cbranch_vccz .LBB919_56
; %bb.53:
	s_mov_b32 s0, exec_lo
	v_cmpx_eq_u32_e32 0, v0
	s_cbranch_execz .LBB919_55
; %bb.54:
	s_lshl_b64 s[4:5], s[20:21], 2
	v_mov_b32_e32 v0, 0
	s_add_u32 s4, s2, s4
	s_addc_u32 s5, s3, s5
	global_store_b32 v0, v19, s[4:5]
.LBB919_55:
	s_or_b32 exec_lo, exec_lo, s0
	s_mov_b32 s5, s1
.LBB919_56:
	v_cmp_eq_u32_e32 vcc_lo, 0, v0
	s_waitcnt lgkmcnt(0)
	s_xor_b32 s0, s5, -1
	s_delay_alu instid0(SALU_CYCLE_1) | instskip(NEXT) | instid1(SALU_CYCLE_1)
	s_and_b32 s0, vcc_lo, s0
	s_and_saveexec_b32 s1, s0
	s_cbranch_execz .LBB919_58
; %bb.57:
	s_lshl_b64 s[0:1], s[20:21], 2
	v_mov_b32_e32 v0, 0
	s_add_u32 s0, s2, s0
	s_addc_u32 s1, s3, s1
	global_store_b32 v0, v19, s[0:1]
.LBB919_58:
	s_nop 0
	s_sendmsg sendmsg(MSG_DEALLOC_VGPRS)
	s_endpgm
	.section	.rodata,"a",@progbits
	.p2align	6, 0x0
	.amdhsa_kernel _ZN2at4cuda3cub15calc_block_sumsILi512ELi16ELb1EbiEEvPKT2_PT3_li
		.amdhsa_group_segment_fixed_size 64
		.amdhsa_private_segment_fixed_size 0
		.amdhsa_kernarg_size 28
		.amdhsa_user_sgpr_count 15
		.amdhsa_user_sgpr_dispatch_ptr 0
		.amdhsa_user_sgpr_queue_ptr 0
		.amdhsa_user_sgpr_kernarg_segment_ptr 1
		.amdhsa_user_sgpr_dispatch_id 0
		.amdhsa_user_sgpr_private_segment_size 0
		.amdhsa_wavefront_size32 1
		.amdhsa_uses_dynamic_stack 0
		.amdhsa_enable_private_segment 0
		.amdhsa_system_sgpr_workgroup_id_x 1
		.amdhsa_system_sgpr_workgroup_id_y 0
		.amdhsa_system_sgpr_workgroup_id_z 0
		.amdhsa_system_sgpr_workgroup_info 0
		.amdhsa_system_vgpr_workitem_id 0
		.amdhsa_next_free_vgpr 39
		.amdhsa_next_free_sgpr 29
		.amdhsa_reserve_vcc 1
		.amdhsa_float_round_mode_32 0
		.amdhsa_float_round_mode_16_64 0
		.amdhsa_float_denorm_mode_32 3
		.amdhsa_float_denorm_mode_16_64 3
		.amdhsa_dx10_clamp 1
		.amdhsa_ieee_mode 1
		.amdhsa_fp16_overflow 0
		.amdhsa_workgroup_processor_mode 1
		.amdhsa_memory_ordered 1
		.amdhsa_forward_progress 0
		.amdhsa_shared_vgpr_count 0
		.amdhsa_exception_fp_ieee_invalid_op 0
		.amdhsa_exception_fp_denorm_src 0
		.amdhsa_exception_fp_ieee_div_zero 0
		.amdhsa_exception_fp_ieee_overflow 0
		.amdhsa_exception_fp_ieee_underflow 0
		.amdhsa_exception_fp_ieee_inexact 0
		.amdhsa_exception_int_div_zero 0
	.end_amdhsa_kernel
	.section	.text._ZN2at4cuda3cub15calc_block_sumsILi512ELi16ELb1EbiEEvPKT2_PT3_li,"axG",@progbits,_ZN2at4cuda3cub15calc_block_sumsILi512ELi16ELb1EbiEEvPKT2_PT3_li,comdat
.Lfunc_end919:
	.size	_ZN2at4cuda3cub15calc_block_sumsILi512ELi16ELb1EbiEEvPKT2_PT3_li, .Lfunc_end919-_ZN2at4cuda3cub15calc_block_sumsILi512ELi16ELb1EbiEEvPKT2_PT3_li
                                        ; -- End function
	.section	.AMDGPU.csdata,"",@progbits
; Kernel info:
; codeLenInByte = 3264
; NumSgprs: 31
; NumVgprs: 39
; ScratchSize: 0
; MemoryBound: 0
; FloatMode: 240
; IeeeMode: 1
; LDSByteSize: 64 bytes/workgroup (compile time only)
; SGPRBlocks: 3
; VGPRBlocks: 4
; NumSGPRsForWavesPerEU: 31
; NumVGPRsForWavesPerEU: 39
; Occupancy: 16
; WaveLimiterHint : 1
; COMPUTE_PGM_RSRC2:SCRATCH_EN: 0
; COMPUTE_PGM_RSRC2:USER_SGPR: 15
; COMPUTE_PGM_RSRC2:TRAP_HANDLER: 0
; COMPUTE_PGM_RSRC2:TGID_X_EN: 1
; COMPUTE_PGM_RSRC2:TGID_Y_EN: 0
; COMPUTE_PGM_RSRC2:TGID_Z_EN: 0
; COMPUTE_PGM_RSRC2:TIDIG_COMP_CNT: 0
	.section	.text._ZN2at6native12_GLOBAL__N_111flag_kernelILi512ELi16EbEEvPKT1_PlPKllli,"axG",@progbits,_ZN2at6native12_GLOBAL__N_111flag_kernelILi512ELi16EbEEvPKT1_PlPKllli,comdat
	.globl	_ZN2at6native12_GLOBAL__N_111flag_kernelILi512ELi16EbEEvPKT1_PlPKllli ; -- Begin function _ZN2at6native12_GLOBAL__N_111flag_kernelILi512ELi16EbEEvPKT1_PlPKllli
	.p2align	8
	.type	_ZN2at6native12_GLOBAL__N_111flag_kernelILi512ELi16EbEEvPKT1_PlPKllli,@function
_ZN2at6native12_GLOBAL__N_111flag_kernelILi512ELi16EbEEvPKT1_PlPKllli: ; @_ZN2at6native12_GLOBAL__N_111flag_kernelILi512ELi16EbEEvPKT1_PlPKllli
; %bb.0:
	s_clause 0x1
	s_load_b32 s14, s[0:1], 0x28
	s_load_b256 s[4:11], s[0:1], 0x0
	s_waitcnt lgkmcnt(0)
	s_lshl_b32 s2, s14, 13
	s_delay_alu instid0(SALU_CYCLE_1) | instskip(SKIP_4) | instid1(SALU_CYCLE_1)
	s_ashr_i32 s3, s2, 31
	s_mul_hi_u32 s12, s2, s15
	s_mul_i32 s3, s3, s15
	s_mul_i32 s28, s2, s15
	s_add_i32 s29, s12, s3
	v_cmp_le_i64_e64 s2, s[10:11], s[28:29]
	s_delay_alu instid0(VALU_DEP_1)
	s_and_b32 vcc_lo, exec_lo, s2
	s_cbranch_vccnz .LBB920_100
; %bb.1:
	s_load_b64 s[12:13], s[0:1], 0x20
	s_cmp_eq_u32 s15, 0
	s_mov_b32 s3, 0
	s_cbranch_scc1 .LBB920_3
; %bb.2:
	s_add_i32 s2, s15, -1
	s_delay_alu instid0(SALU_CYCLE_1) | instskip(NEXT) | instid1(SALU_CYCLE_1)
	s_lshl_b64 s[2:3], s[2:3], 3
	s_add_u32 s2, s8, s2
	s_addc_u32 s3, s9, s3
	s_load_b64 s[2:3], s[2:3], 0x0
	s_cmp_lt_i32 s14, 1
	s_cbranch_scc0 .LBB920_4
	s_branch .LBB920_100
.LBB920_3:
	s_mov_b64 s[2:3], 0
	s_cmp_lt_i32 s14, 1
	s_cbranch_scc1 .LBB920_100
.LBB920_4:
	v_mbcnt_lo_u32_b32 v21, -1, 0
	s_add_u32 s33, s4, s28
	s_addc_u32 s36, s5, s29
	s_waitcnt lgkmcnt(0)
	s_sub_u32 s30, s12, s2
	s_subb_u32 s31, s13, s3
	v_and_b32_e32 v4, 15, v21
	s_sub_u32 s34, s10, s28
	s_subb_u32 s35, s11, s29
	s_lshl_b64 s[2:3], s[2:3], 3
	v_dual_mov_b32 v1, 0 :: v_dual_lshlrev_b32 v2, 4, v0
	s_add_u32 s37, s6, s2
	s_addc_u32 s38, s7, s3
	v_cmp_eq_u32_e64 s2, 0, v4
	v_cmp_lt_u32_e64 s3, 1, v4
	v_cmp_lt_u32_e64 s4, 3, v4
	v_cmp_lt_u32_e64 s5, 7, v4
	v_add_nc_u32_e32 v4, -1, v21
	v_and_b32_e32 v22, 0x3e00, v2
	v_and_b32_e32 v6, 16, v21
	v_lshrrev_b32_e32 v7, 3, v0
	v_lshlrev_b32_e32 v24, 2, v0
	v_cmp_gt_i32_e32 vcc_lo, 0, v4
	v_and_b32_e32 v3, 0x3e0, v0
	v_cmp_eq_u32_e64 s6, 0, v6
	v_or_b32_e32 v6, 0x800, v0
	v_dual_cndmask_b32 v4, v4, v21 :: v_dual_and_b32 v23, 0x7c, v7
	s_delay_alu instid0(VALU_DEP_4) | instskip(SKIP_1) | instid1(VALU_DEP_4)
	v_min_u32_e32 v5, 0x1e0, v3
	v_add_nc_u32_e32 v7, 0xa00, v0
	v_lshrrev_b32_e32 v6, 3, v6
	v_or_b32_e32 v41, v21, v22
	v_lshlrev_b32_e32 v26, 2, v4
	v_or_b32_e32 v5, 31, v5
	v_add_nc_u32_e32 v4, 0x200, v0
	v_lshrrev_b32_e32 v7, 3, v7
	v_or_b32_e32 v45, 32, v41
	v_or_b32_e32 v46, 64, v41
	v_cmp_eq_u32_e64 s7, v5, v0
	v_lshrrev_b32_e32 v5, 1, v0
	v_lshrrev_b32_e32 v4, 3, v4
	v_or_b32_e32 v47, 0x60, v41
	v_or_b32_e32 v48, 0x80, v41
	v_or_b32_e32 v49, 0xa0, v41
	v_add_lshl_u32 v27, v5, v2, 2
	v_or_b32_e32 v2, 0x400, v0
	v_add_nc_u32_e32 v5, 0x600, v0
	v_and_b32_e32 v4, 0xfc, v4
	v_or_b32_e32 v50, 0xc0, v41
	v_or_b32_e32 v52, 0x100, v41
	v_lshrrev_b32_e32 v2, 3, v2
	v_lshrrev_b32_e32 v5, 3, v5
	v_add_nc_u32_e32 v29, v24, v4
	v_or_b32_e32 v51, 0xe0, v41
	v_or_b32_e32 v53, 0x120, v41
	v_and_b32_e32 v2, 0xfc, v2
	v_and_b32_e32 v4, 0x1fc, v5
	;; [unrolled: 1-line block ×4, first 2 shown]
	v_or_b32_e32 v7, 0x1400, v0
	v_add_nc_u32_e32 v30, v24, v2
	v_or_b32_e32 v2, 0xc00, v0
	v_add_nc_u32_e32 v31, v24, v4
	v_add_nc_u32_e32 v32, v24, v5
	;; [unrolled: 1-line block ×3, first 2 shown]
	v_or_b32_e32 v5, 0x1000, v0
	v_lshrrev_b32_e32 v2, 3, v2
	v_add_nc_u32_e32 v33, v24, v6
	v_add_nc_u32_e32 v6, 0x1200, v0
	v_lshrrev_b32_e32 v4, 3, v4
	v_lshrrev_b32_e32 v5, 3, v5
	v_and_b32_e32 v2, 0x1fc, v2
	v_lshrrev_b32_e32 v7, 3, v7
	v_lshrrev_b32_e32 v6, 3, v6
	v_and_b32_e32 v4, 0x3fc, v4
	v_or_b32_e32 v54, 0x140, v41
	v_add_nc_u32_e32 v34, v24, v2
	v_and_b32_e32 v2, 0x27c, v5
	v_and_b32_e32 v5, 0x2fc, v6
	v_and_b32_e32 v6, 0x2fc, v7
	v_add_nc_u32_e32 v35, v24, v4
	v_add_nc_u32_e32 v4, 0x1600, v0
	;; [unrolled: 1-line block ×3, first 2 shown]
	v_or_b32_e32 v2, 0x1800, v0
	v_add_nc_u32_e32 v37, v24, v5
	v_add_nc_u32_e32 v38, v24, v6
	v_lshrrev_b32_e32 v4, 3, v4
	v_add_nc_u32_e32 v5, 0x1a00, v0
	v_or_b32_e32 v6, 0x1c00, v0
	v_lshrrev_b32_e32 v2, 3, v2
	v_add_nc_u32_e32 v7, 0x1e00, v0
	v_and_b32_e32 v4, 0x3fc, v4
	v_lshrrev_b32_e32 v5, 3, v5
	v_lshrrev_b32_e32 v6, 3, v6
	v_and_b32_e32 v2, 0x37c, v2
	v_lshrrev_b32_e32 v7, 3, v7
	v_add_nc_u32_e32 v39, v24, v4
	v_and_b32_e32 v4, 0x3fc, v5
	v_and_b32_e32 v5, 0x3fc, v6
	v_add_nc_u32_e32 v40, v24, v2
	v_lshrrev_b32_e32 v2, 5, v22
	v_and_b32_e32 v6, 0x7fc, v7
	v_add_nc_u32_e32 v42, v24, v4
	v_add_nc_u32_e32 v43, v24, v5
	v_lshrrev_b32_e32 v4, 5, v45
	v_lshrrev_b32_e32 v5, 5, v46
	v_add_lshl_u32 v60, v2, v41, 2
	v_lshrrev_b32_e32 v2, 5, v47
	v_add_nc_u32_e32 v44, v24, v6
	v_or_b32_e32 v55, 0x160, v41
	v_add_lshl_u32 v61, v4, v45, 2
	v_add_lshl_u32 v62, v5, v46, 2
	v_lshrrev_b32_e32 v4, 5, v48
	v_lshrrev_b32_e32 v5, 5, v49
	v_lshrrev_b32_e32 v6, 5, v50
	v_add_lshl_u32 v63, v2, v47, 2
	v_lshrrev_b32_e32 v2, 5, v52
	v_or_b32_e32 v3, v21, v3
	v_or_b32_e32 v56, 0x180, v41
	;; [unrolled: 1-line block ×5, first 2 shown]
	v_lshrrev_b32_e32 v7, 5, v51
	v_add_lshl_u32 v64, v4, v48, 2
	v_add_lshl_u32 v65, v5, v49, 2
	;; [unrolled: 1-line block ×3, first 2 shown]
	v_lshrrev_b32_e32 v4, 5, v53
	v_lshrrev_b32_e32 v5, 5, v54
	;; [unrolled: 1-line block ×3, first 2 shown]
	v_add_lshl_u32 v68, v2, v52, 2
	v_lshlrev_b32_e32 v2, 4, v3
	v_bfe_u32 v3, v3, 1, 27
	v_add_lshl_u32 v67, v7, v51, 2
	v_add_lshl_u32 v69, v4, v53, 2
	;; [unrolled: 1-line block ×4, first 2 shown]
	v_lshrrev_b32_e32 v4, 5, v56
	v_lshrrev_b32_e32 v5, 5, v57
	;; [unrolled: 1-line block ×4, first 2 shown]
	v_add_lshl_u32 v72, v3, v2, 2
	v_cmp_gt_u32_e64 s8, 16, v0
	v_cmp_lt_u32_e64 s9, 31, v0
	v_add_nc_u32_e32 v25, -4, v23
	v_cmp_eq_u32_e64 s10, 0, v21
	v_cmp_eq_u32_e64 s11, 0, v0
	v_add_nc_u32_e32 v28, v24, v23
	v_add_lshl_u32 v73, v4, v56, 2
	v_add_lshl_u32 v74, v5, v57, 2
	;; [unrolled: 1-line block ×4, first 2 shown]
	v_add_nc_u32_e32 v77, 56, v72
	v_add_nc_u32_e32 v78, 48, v72
	;; [unrolled: 1-line block ×7, first 2 shown]
	s_add_u32 s0, s0, 48
	s_addc_u32 s1, s1, 0
	s_add_i32 s39, s14, -1
	s_mov_b32 s12, 0
	s_branch .LBB920_6
.LBB920_5:                              ;   in Loop: Header=BB920_6 Depth=1
	s_cmp_eq_u32 s39, 0
	s_cselect_b32 s14, -1, 0
	s_delay_alu instid0(SALU_CYCLE_1)
	s_or_b32 s13, s13, s14
	s_add_u32 s34, s34, 0xffffe000
	s_addc_u32 s35, s35, -1
	s_and_not1_b32 vcc_lo, exec_lo, s13
	s_add_i32 s39, s39, -1
	s_cbranch_vccz .LBB920_100
.LBB920_6:                              ; =>This Inner Loop Header: Depth=1
	v_cmp_gt_i64_e64 s13, 0x2000, s[34:35]
	s_delay_alu instid0(VALU_DEP_1)
	s_and_b32 vcc_lo, exec_lo, s13
	s_mov_b32 s13, -1
	s_cbranch_vccz .LBB920_25
; %bb.7:                                ;   in Loop: Header=BB920_6 Depth=1
	v_add_co_u32 v2, s13, s33, v21
	s_delay_alu instid0(VALU_DEP_1) | instskip(SKIP_1) | instid1(VALU_DEP_2)
	v_add_co_ci_u32_e64 v3, null, s36, 0, s13
	s_mov_b32 s13, s12
	v_add_co_u32 v18, vcc_lo, v2, v22
	s_mov_b32 s14, s12
	s_mov_b32 s15, s12
	;; [unrolled: 1-line block ×14, first 2 shown]
	v_add_co_ci_u32_e32 v19, vcc_lo, 0, v3, vcc_lo
	v_dual_mov_b32 v2, s12 :: v_dual_mov_b32 v3, s13
	v_dual_mov_b32 v4, s14 :: v_dual_mov_b32 v5, s15
	;; [unrolled: 1-line block ×8, first 2 shown]
	v_mov_b32_e32 v2, 0
	s_mov_b32 s13, exec_lo
	v_cmpx_gt_u32_e64 s34, v41
	s_cbranch_execnz .LBB920_85
; %bb.8:                                ;   in Loop: Header=BB920_6 Depth=1
	s_or_b32 exec_lo, exec_lo, s13
	s_delay_alu instid0(SALU_CYCLE_1)
	s_mov_b32 s13, exec_lo
	v_cmpx_gt_u32_e64 s34, v45
	s_cbranch_execnz .LBB920_86
.LBB920_9:                              ;   in Loop: Header=BB920_6 Depth=1
	s_or_b32 exec_lo, exec_lo, s13
	s_delay_alu instid0(SALU_CYCLE_1)
	s_mov_b32 s13, exec_lo
	v_cmpx_gt_u32_e64 s34, v46
	s_cbranch_execnz .LBB920_87
.LBB920_10:                             ;   in Loop: Header=BB920_6 Depth=1
	s_or_b32 exec_lo, exec_lo, s13
	s_delay_alu instid0(SALU_CYCLE_1)
	s_mov_b32 s13, exec_lo
	v_cmpx_gt_u32_e64 s34, v47
	s_cbranch_execnz .LBB920_88
.LBB920_11:                             ;   in Loop: Header=BB920_6 Depth=1
	s_or_b32 exec_lo, exec_lo, s13
	s_delay_alu instid0(SALU_CYCLE_1)
	s_mov_b32 s13, exec_lo
	v_cmpx_gt_u32_e64 s34, v48
	s_cbranch_execnz .LBB920_89
.LBB920_12:                             ;   in Loop: Header=BB920_6 Depth=1
	s_or_b32 exec_lo, exec_lo, s13
	s_delay_alu instid0(SALU_CYCLE_1)
	s_mov_b32 s13, exec_lo
	v_cmpx_gt_u32_e64 s34, v49
	s_cbranch_execnz .LBB920_90
.LBB920_13:                             ;   in Loop: Header=BB920_6 Depth=1
	s_or_b32 exec_lo, exec_lo, s13
	s_delay_alu instid0(SALU_CYCLE_1)
	s_mov_b32 s13, exec_lo
	v_cmpx_gt_u32_e64 s34, v50
	s_cbranch_execnz .LBB920_91
.LBB920_14:                             ;   in Loop: Header=BB920_6 Depth=1
	s_or_b32 exec_lo, exec_lo, s13
	s_delay_alu instid0(SALU_CYCLE_1)
	s_mov_b32 s13, exec_lo
	v_cmpx_gt_u32_e64 s34, v51
	s_cbranch_execnz .LBB920_92
.LBB920_15:                             ;   in Loop: Header=BB920_6 Depth=1
	s_or_b32 exec_lo, exec_lo, s13
	s_delay_alu instid0(SALU_CYCLE_1)
	s_mov_b32 s13, exec_lo
	v_cmpx_gt_u32_e64 s34, v52
	s_cbranch_execnz .LBB920_93
.LBB920_16:                             ;   in Loop: Header=BB920_6 Depth=1
	s_or_b32 exec_lo, exec_lo, s13
	s_delay_alu instid0(SALU_CYCLE_1)
	s_mov_b32 s13, exec_lo
	v_cmpx_gt_u32_e64 s34, v53
	s_cbranch_execnz .LBB920_94
.LBB920_17:                             ;   in Loop: Header=BB920_6 Depth=1
	s_or_b32 exec_lo, exec_lo, s13
	s_delay_alu instid0(SALU_CYCLE_1)
	s_mov_b32 s13, exec_lo
	v_cmpx_gt_u32_e64 s34, v54
	s_cbranch_execnz .LBB920_95
.LBB920_18:                             ;   in Loop: Header=BB920_6 Depth=1
	s_or_b32 exec_lo, exec_lo, s13
	s_delay_alu instid0(SALU_CYCLE_1)
	s_mov_b32 s13, exec_lo
	v_cmpx_gt_u32_e64 s34, v55
	s_cbranch_execnz .LBB920_96
.LBB920_19:                             ;   in Loop: Header=BB920_6 Depth=1
	s_or_b32 exec_lo, exec_lo, s13
	s_delay_alu instid0(SALU_CYCLE_1)
	s_mov_b32 s13, exec_lo
	v_cmpx_gt_u32_e64 s34, v56
	s_cbranch_execnz .LBB920_97
.LBB920_20:                             ;   in Loop: Header=BB920_6 Depth=1
	s_or_b32 exec_lo, exec_lo, s13
	s_delay_alu instid0(SALU_CYCLE_1)
	s_mov_b32 s13, exec_lo
	v_cmpx_gt_u32_e64 s34, v57
	s_cbranch_execnz .LBB920_98
.LBB920_21:                             ;   in Loop: Header=BB920_6 Depth=1
	s_or_b32 exec_lo, exec_lo, s13
	s_delay_alu instid0(SALU_CYCLE_1)
	s_mov_b32 s13, exec_lo
	v_cmpx_gt_u32_e64 s34, v58
	s_cbranch_execnz .LBB920_99
.LBB920_22:                             ;   in Loop: Header=BB920_6 Depth=1
	s_or_b32 exec_lo, exec_lo, s13
	s_delay_alu instid0(SALU_CYCLE_1)
	s_mov_b32 s13, exec_lo
	v_cmpx_gt_u32_e64 s34, v59
	s_cbranch_execz .LBB920_24
.LBB920_23:                             ;   in Loop: Header=BB920_6 Depth=1
	global_load_u8 v17, v[18:19], off offset:480
.LBB920_24:                             ;   in Loop: Header=BB920_6 Depth=1
	s_or_b32 exec_lo, exec_lo, s13
	s_mov_b32 s13, 0
	ds_store_b32 v60, v2
	s_waitcnt vmcnt(0)
	ds_store_b32 v61, v3
	ds_store_b32 v62, v4
	;; [unrolled: 1-line block ×15, first 2 shown]
	; wave barrier
.LBB920_25:                             ;   in Loop: Header=BB920_6 Depth=1
	s_and_b32 vcc_lo, exec_lo, s13
	s_cbranch_vccz .LBB920_27
; %bb.26:                               ;   in Loop: Header=BB920_6 Depth=1
	v_add_co_u32 v2, s13, s33, v21
	s_delay_alu instid0(VALU_DEP_1) | instskip(NEXT) | instid1(VALU_DEP_2)
	v_add_co_ci_u32_e64 v3, null, s36, 0, s13
	v_add_co_u32 v2, vcc_lo, v2, v22
	s_delay_alu instid0(VALU_DEP_2)
	v_add_co_ci_u32_e32 v3, vcc_lo, 0, v3, vcc_lo
	s_clause 0xf
	global_load_u8 v4, v[2:3], off
	global_load_u8 v5, v[2:3], off offset:32
	global_load_u8 v6, v[2:3], off offset:64
	;; [unrolled: 1-line block ×15, first 2 shown]
	s_waitcnt vmcnt(15)
	ds_store_b32 v60, v4
	s_waitcnt vmcnt(14)
	ds_store_b32 v61, v5
	;; [unrolled: 2-line block ×16, first 2 shown]
	; wave barrier
.LBB920_27:                             ;   in Loop: Header=BB920_6 Depth=1
	ds_load_2addr_b32 v[16:17], v72 offset1:1
	ds_load_2addr_b32 v[12:13], v83 offset1:1
	;; [unrolled: 1-line block ×6, first 2 shown]
	s_waitcnt lgkmcnt(5)
	v_add_nc_u32_e32 v2, v17, v16
	s_waitcnt lgkmcnt(4)
	s_delay_alu instid0(VALU_DEP_1) | instskip(SKIP_1) | instid1(VALU_DEP_1)
	v_add3_u32 v2, v2, v12, v13
	s_waitcnt lgkmcnt(3)
	v_add3_u32 v18, v2, v8, v9
	ds_load_2addr_b32 v[4:5], v78 offset1:1
	ds_load_2addr_b32 v[2:3], v77 offset1:1
	s_waitcnt lgkmcnt(0)
	s_waitcnt_vscnt null, 0x0
	s_barrier
	buffer_gl0_inv
	v_add3_u32 v18, v18, v6, v7
	s_delay_alu instid0(VALU_DEP_1) | instskip(NEXT) | instid1(VALU_DEP_1)
	v_add3_u32 v18, v18, v14, v15
	v_add3_u32 v18, v18, v10, v11
	s_delay_alu instid0(VALU_DEP_1) | instskip(NEXT) | instid1(VALU_DEP_1)
	v_add3_u32 v18, v18, v4, v5
	v_add3_u32 v18, v18, v2, v3
	s_delay_alu instid0(VALU_DEP_1) | instskip(NEXT) | instid1(VALU_DEP_1)
	v_mov_b32_dpp v19, v18 row_shr:1 row_mask:0xf bank_mask:0xf
	v_cndmask_b32_e64 v19, v19, 0, s2
	s_delay_alu instid0(VALU_DEP_1) | instskip(NEXT) | instid1(VALU_DEP_1)
	v_add_nc_u32_e32 v18, v18, v19
	v_mov_b32_dpp v19, v18 row_shr:2 row_mask:0xf bank_mask:0xf
	s_delay_alu instid0(VALU_DEP_1) | instskip(NEXT) | instid1(VALU_DEP_1)
	v_cndmask_b32_e64 v19, 0, v19, s3
	v_add_nc_u32_e32 v18, v18, v19
	s_delay_alu instid0(VALU_DEP_1) | instskip(NEXT) | instid1(VALU_DEP_1)
	v_mov_b32_dpp v19, v18 row_shr:4 row_mask:0xf bank_mask:0xf
	v_cndmask_b32_e64 v19, 0, v19, s4
	s_delay_alu instid0(VALU_DEP_1) | instskip(NEXT) | instid1(VALU_DEP_1)
	v_add_nc_u32_e32 v18, v18, v19
	v_mov_b32_dpp v19, v18 row_shr:8 row_mask:0xf bank_mask:0xf
	s_delay_alu instid0(VALU_DEP_1) | instskip(NEXT) | instid1(VALU_DEP_1)
	v_cndmask_b32_e64 v19, 0, v19, s5
	v_add_nc_u32_e32 v18, v18, v19
	ds_swizzle_b32 v19, v18 offset:swizzle(BROADCAST,32,15)
	s_waitcnt lgkmcnt(0)
	v_cndmask_b32_e64 v19, v19, 0, s6
	s_delay_alu instid0(VALU_DEP_1)
	v_add_nc_u32_e32 v18, v18, v19
	s_and_saveexec_b32 s13, s7
	s_cbranch_execz .LBB920_29
; %bb.28:                               ;   in Loop: Header=BB920_6 Depth=1
	ds_store_b32 v23, v18
.LBB920_29:                             ;   in Loop: Header=BB920_6 Depth=1
	s_or_b32 exec_lo, exec_lo, s13
	s_waitcnt lgkmcnt(0)
	s_barrier
	buffer_gl0_inv
	s_and_saveexec_b32 s13, s8
	s_cbranch_execz .LBB920_31
; %bb.30:                               ;   in Loop: Header=BB920_6 Depth=1
	ds_load_b32 v19, v24
	s_waitcnt lgkmcnt(0)
	v_mov_b32_dpp v20, v19 row_shr:1 row_mask:0xf bank_mask:0xf
	s_delay_alu instid0(VALU_DEP_1) | instskip(NEXT) | instid1(VALU_DEP_1)
	v_cndmask_b32_e64 v20, v20, 0, s2
	v_add_nc_u32_e32 v19, v20, v19
	s_delay_alu instid0(VALU_DEP_1) | instskip(NEXT) | instid1(VALU_DEP_1)
	v_mov_b32_dpp v20, v19 row_shr:2 row_mask:0xf bank_mask:0xf
	v_cndmask_b32_e64 v20, 0, v20, s3
	s_delay_alu instid0(VALU_DEP_1) | instskip(NEXT) | instid1(VALU_DEP_1)
	v_add_nc_u32_e32 v19, v19, v20
	v_mov_b32_dpp v20, v19 row_shr:4 row_mask:0xf bank_mask:0xf
	s_delay_alu instid0(VALU_DEP_1) | instskip(NEXT) | instid1(VALU_DEP_1)
	v_cndmask_b32_e64 v20, 0, v20, s4
	v_add_nc_u32_e32 v19, v19, v20
	s_delay_alu instid0(VALU_DEP_1) | instskip(NEXT) | instid1(VALU_DEP_1)
	v_mov_b32_dpp v20, v19 row_shr:8 row_mask:0xf bank_mask:0xf
	v_cndmask_b32_e64 v20, 0, v20, s5
	s_delay_alu instid0(VALU_DEP_1)
	v_add_nc_u32_e32 v19, v19, v20
	ds_store_b32 v24, v19
.LBB920_31:                             ;   in Loop: Header=BB920_6 Depth=1
	s_or_b32 exec_lo, exec_lo, s13
	v_mov_b32_e32 v19, 0
	s_waitcnt lgkmcnt(0)
	s_barrier
	buffer_gl0_inv
	s_and_saveexec_b32 s13, s9
	s_cbranch_execz .LBB920_33
; %bb.32:                               ;   in Loop: Header=BB920_6 Depth=1
	ds_load_b32 v19, v25
.LBB920_33:                             ;   in Loop: Header=BB920_6 Depth=1
	s_or_b32 exec_lo, exec_lo, s13
	s_waitcnt lgkmcnt(0)
	v_add_nc_u32_e32 v18, v19, v18
	ds_bpermute_b32 v18, v26, v18
	s_and_saveexec_b32 s13, s11
	s_cbranch_execz .LBB920_35
; %bb.34:                               ;   in Loop: Header=BB920_6 Depth=1
	ds_load_b32 v20, v1 offset:60
	s_waitcnt lgkmcnt(0)
	ds_store_b32 v1, v20 offset:33792
.LBB920_35:                             ;   in Loop: Header=BB920_6 Depth=1
	s_or_b32 exec_lo, exec_lo, s13
	s_waitcnt lgkmcnt(0)
	v_cndmask_b32_e64 v18, v18, v19, s10
	s_barrier
	buffer_gl0_inv
	ds_store_2addr_b32 v27, v16, v17 offset1:1
	ds_store_2addr_b32 v27, v12, v13 offset0:2 offset1:3
	ds_store_2addr_b32 v27, v8, v9 offset0:4 offset1:5
	;; [unrolled: 1-line block ×3, first 2 shown]
	v_cndmask_b32_e64 v18, v18, 0, s11
	ds_store_2addr_b32 v27, v14, v15 offset0:8 offset1:9
	ds_store_2addr_b32 v27, v10, v11 offset0:10 offset1:11
	;; [unrolled: 1-line block ×4, first 2 shown]
	s_waitcnt lgkmcnt(0)
	s_barrier
	buffer_gl0_inv
	v_add_nc_u32_e32 v19, v18, v16
	ds_load_b32 v108, v28
	ds_load_b32 v98, v29 offset:2048
	ds_load_b32 v97, v30 offset:4096
	;; [unrolled: 1-line block ×15, first 2 shown]
	s_waitcnt lgkmcnt(0)
	s_barrier
	v_add_nc_u32_e32 v20, v19, v17
	buffer_gl0_inv
	v_add_nc_u32_e32 v99, v20, v12
	s_delay_alu instid0(VALU_DEP_1) | instskip(NEXT) | instid1(VALU_DEP_1)
	v_add_nc_u32_e32 v100, v99, v13
	v_add_nc_u32_e32 v101, v100, v8
	s_delay_alu instid0(VALU_DEP_1) | instskip(NEXT) | instid1(VALU_DEP_1)
	v_add_nc_u32_e32 v102, v101, v9
	;; [unrolled: 3-line block ×6, first 2 shown]
	v_add_nc_u32_e32 v2, v4, v2
	ds_store_2addr_b32 v27, v18, v19 offset1:1
	ds_store_2addr_b32 v27, v20, v99 offset0:2 offset1:3
	ds_store_2addr_b32 v27, v100, v101 offset0:4 offset1:5
	;; [unrolled: 1-line block ×7, first 2 shown]
	s_waitcnt lgkmcnt(0)
	s_barrier
	buffer_gl0_inv
	ds_load_b32 v18, v29 offset:2048
	ds_load_b32 v17, v30 offset:4096
	ds_load_b32 v16, v31 offset:6144
	ds_load_b32 v15, v32 offset:8192
	ds_load_b32 v14, v33 offset:10240
	ds_load_b32 v13, v34 offset:12288
	ds_load_b32 v12, v35 offset:14336
	ds_load_b32 v11, v36 offset:16384
	ds_load_b32 v10, v37 offset:18432
	ds_load_b32 v9, v38 offset:20480
	ds_load_b32 v8, v39 offset:22528
	ds_load_b32 v7, v40 offset:24576
	ds_load_b32 v6, v42 offset:26624
	ds_load_b32 v5, v43 offset:28672
	ds_load_b32 v4, v44 offset:30720
	v_add_co_u32 v2, s13, s28, v0
	s_delay_alu instid0(VALU_DEP_1)
	v_add_co_ci_u32_e64 v3, null, s29, 0, s13
	s_mov_b32 s13, exec_lo
	v_cmpx_ne_u32_e32 0, v108
	s_cbranch_execz .LBB920_38
; %bb.36:                               ;   in Loop: Header=BB920_6 Depth=1
	ds_load_b32 v19, v28
	s_waitcnt lgkmcnt(0)
	v_ashrrev_i32_e32 v20, 31, v19
	s_delay_alu instid0(VALU_DEP_1)
	v_cmp_gt_i64_e32 vcc_lo, s[30:31], v[19:20]
	s_and_b32 exec_lo, exec_lo, vcc_lo
	s_cbranch_execz .LBB920_38
; %bb.37:                               ;   in Loop: Header=BB920_6 Depth=1
	v_lshlrev_b64 v[19:20], 3, v[19:20]
	s_delay_alu instid0(VALU_DEP_1) | instskip(NEXT) | instid1(VALU_DEP_2)
	v_add_co_u32 v19, vcc_lo, s37, v19
	v_add_co_ci_u32_e32 v20, vcc_lo, s38, v20, vcc_lo
	global_store_b64 v[19:20], v[2:3], off
.LBB920_38:                             ;   in Loop: Header=BB920_6 Depth=1
	s_or_b32 exec_lo, exec_lo, s13
	s_delay_alu instid0(SALU_CYCLE_1)
	s_mov_b32 s13, exec_lo
	v_cmpx_ne_u32_e32 0, v98
	s_cbranch_execz .LBB920_41
; %bb.39:                               ;   in Loop: Header=BB920_6 Depth=1
	s_waitcnt lgkmcnt(14)
	v_ashrrev_i32_e32 v19, 31, v18
	s_delay_alu instid0(VALU_DEP_1)
	v_cmp_gt_i64_e32 vcc_lo, s[30:31], v[18:19]
	s_and_b32 exec_lo, exec_lo, vcc_lo
	s_cbranch_execz .LBB920_41
; %bb.40:                               ;   in Loop: Header=BB920_6 Depth=1
	s_load_b32 s14, s[0:1], 0xc
	v_lshlrev_b64 v[18:19], 3, v[18:19]
	s_waitcnt lgkmcnt(0)
	s_and_b32 s14, s14, 0xffff
	s_delay_alu instid0(SALU_CYCLE_1) | instskip(SKIP_1) | instid1(VALU_DEP_3)
	v_add_co_u32 v98, vcc_lo, v2, s14
	v_add_co_ci_u32_e32 v99, vcc_lo, 0, v3, vcc_lo
	v_add_co_u32 v18, vcc_lo, s37, v18
	v_add_co_ci_u32_e32 v19, vcc_lo, s38, v19, vcc_lo
	global_store_b64 v[18:19], v[98:99], off
.LBB920_41:                             ;   in Loop: Header=BB920_6 Depth=1
	s_or_b32 exec_lo, exec_lo, s13
	s_delay_alu instid0(SALU_CYCLE_1)
	s_mov_b32 s13, exec_lo
	v_cmpx_ne_u32_e32 0, v97
	s_cbranch_execz .LBB920_44
; %bb.42:                               ;   in Loop: Header=BB920_6 Depth=1
	s_waitcnt lgkmcnt(13)
	v_ashrrev_i32_e32 v18, 31, v17
	s_delay_alu instid0(VALU_DEP_1)
	v_cmp_gt_i64_e32 vcc_lo, s[30:31], v[17:18]
	s_and_b32 exec_lo, exec_lo, vcc_lo
	s_cbranch_execz .LBB920_44
; %bb.43:                               ;   in Loop: Header=BB920_6 Depth=1
	s_load_b32 s14, s[0:1], 0xc
	v_lshlrev_b64 v[17:18], 3, v[17:18]
	s_waitcnt lgkmcnt(0)
	s_and_b32 s14, s14, 0xffff
	s_delay_alu instid0(SALU_CYCLE_1) | instskip(NEXT) | instid1(SALU_CYCLE_1)
	s_lshl_b32 s14, s14, 1
	v_add_co_u32 v19, vcc_lo, v2, s14
	v_add_co_ci_u32_e32 v20, vcc_lo, 0, v3, vcc_lo
	v_add_co_u32 v17, vcc_lo, s37, v17
	v_add_co_ci_u32_e32 v18, vcc_lo, s38, v18, vcc_lo
	global_store_b64 v[17:18], v[19:20], off
.LBB920_44:                             ;   in Loop: Header=BB920_6 Depth=1
	s_or_b32 exec_lo, exec_lo, s13
	s_delay_alu instid0(SALU_CYCLE_1)
	s_mov_b32 s13, exec_lo
	v_cmpx_ne_u32_e32 0, v96
	s_cbranch_execz .LBB920_47
; %bb.45:                               ;   in Loop: Header=BB920_6 Depth=1
	s_waitcnt lgkmcnt(12)
	v_ashrrev_i32_e32 v17, 31, v16
	s_delay_alu instid0(VALU_DEP_1)
	v_cmp_gt_i64_e32 vcc_lo, s[30:31], v[16:17]
	s_and_b32 exec_lo, exec_lo, vcc_lo
	s_cbranch_execz .LBB920_47
; %bb.46:                               ;   in Loop: Header=BB920_6 Depth=1
	s_load_b32 s14, s[0:1], 0xc
	v_lshlrev_b64 v[16:17], 3, v[16:17]
	s_delay_alu instid0(VALU_DEP_1) | instskip(NEXT) | instid1(VALU_DEP_2)
	v_add_co_u32 v16, vcc_lo, s37, v16
	v_add_co_ci_u32_e32 v17, vcc_lo, s38, v17, vcc_lo
	s_waitcnt lgkmcnt(0)
	s_and_b32 s14, s14, 0xffff
	s_delay_alu instid0(SALU_CYCLE_1)
	v_mad_u64_u32 v[18:19], null, s14, 3, v[2:3]
	global_store_b64 v[16:17], v[18:19], off
.LBB920_47:                             ;   in Loop: Header=BB920_6 Depth=1
	s_or_b32 exec_lo, exec_lo, s13
	s_delay_alu instid0(SALU_CYCLE_1)
	s_mov_b32 s13, exec_lo
	v_cmpx_ne_u32_e32 0, v95
	s_cbranch_execz .LBB920_50
; %bb.48:                               ;   in Loop: Header=BB920_6 Depth=1
	s_waitcnt lgkmcnt(11)
	v_ashrrev_i32_e32 v16, 31, v15
	s_delay_alu instid0(VALU_DEP_1)
	v_cmp_gt_i64_e32 vcc_lo, s[30:31], v[15:16]
	s_and_b32 exec_lo, exec_lo, vcc_lo
	s_cbranch_execz .LBB920_50
; %bb.49:                               ;   in Loop: Header=BB920_6 Depth=1
	s_load_b32 s14, s[0:1], 0xc
	v_lshlrev_b64 v[15:16], 3, v[15:16]
	s_waitcnt lgkmcnt(0)
	s_and_b32 s14, s14, 0xffff
	s_delay_alu instid0(SALU_CYCLE_1) | instskip(NEXT) | instid1(SALU_CYCLE_1)
	s_lshl_b32 s14, s14, 2
	v_add_co_u32 v17, vcc_lo, v2, s14
	v_add_co_ci_u32_e32 v18, vcc_lo, 0, v3, vcc_lo
	v_add_co_u32 v15, vcc_lo, s37, v15
	v_add_co_ci_u32_e32 v16, vcc_lo, s38, v16, vcc_lo
	global_store_b64 v[15:16], v[17:18], off
.LBB920_50:                             ;   in Loop: Header=BB920_6 Depth=1
	s_or_b32 exec_lo, exec_lo, s13
	s_delay_alu instid0(SALU_CYCLE_1)
	s_mov_b32 s13, exec_lo
	v_cmpx_ne_u32_e32 0, v94
	s_cbranch_execz .LBB920_53
; %bb.51:                               ;   in Loop: Header=BB920_6 Depth=1
	s_waitcnt lgkmcnt(10)
	v_ashrrev_i32_e32 v15, 31, v14
	s_delay_alu instid0(VALU_DEP_1)
	v_cmp_gt_i64_e32 vcc_lo, s[30:31], v[14:15]
	s_and_b32 exec_lo, exec_lo, vcc_lo
	s_cbranch_execz .LBB920_53
; %bb.52:                               ;   in Loop: Header=BB920_6 Depth=1
	s_load_b32 s14, s[0:1], 0xc
	v_lshlrev_b64 v[14:15], 3, v[14:15]
	s_delay_alu instid0(VALU_DEP_1) | instskip(NEXT) | instid1(VALU_DEP_2)
	v_add_co_u32 v14, vcc_lo, s37, v14
	v_add_co_ci_u32_e32 v15, vcc_lo, s38, v15, vcc_lo
	s_waitcnt lgkmcnt(0)
	s_and_b32 s14, s14, 0xffff
	s_delay_alu instid0(SALU_CYCLE_1)
	v_mad_u64_u32 v[16:17], null, s14, 5, v[2:3]
	global_store_b64 v[14:15], v[16:17], off
.LBB920_53:                             ;   in Loop: Header=BB920_6 Depth=1
	s_or_b32 exec_lo, exec_lo, s13
	s_delay_alu instid0(SALU_CYCLE_1)
	s_mov_b32 s13, exec_lo
	v_cmpx_ne_u32_e32 0, v93
	s_cbranch_execz .LBB920_56
; %bb.54:                               ;   in Loop: Header=BB920_6 Depth=1
	s_waitcnt lgkmcnt(9)
	v_ashrrev_i32_e32 v14, 31, v13
	s_delay_alu instid0(VALU_DEP_1)
	v_cmp_gt_i64_e32 vcc_lo, s[30:31], v[13:14]
	s_and_b32 exec_lo, exec_lo, vcc_lo
	s_cbranch_execz .LBB920_56
; %bb.55:                               ;   in Loop: Header=BB920_6 Depth=1
	s_load_b32 s14, s[0:1], 0xc
	v_lshlrev_b64 v[13:14], 3, v[13:14]
	s_delay_alu instid0(VALU_DEP_1) | instskip(NEXT) | instid1(VALU_DEP_2)
	v_add_co_u32 v13, vcc_lo, s37, v13
	v_add_co_ci_u32_e32 v14, vcc_lo, s38, v14, vcc_lo
	s_waitcnt lgkmcnt(0)
	s_and_b32 s14, s14, 0xffff
	s_delay_alu instid0(SALU_CYCLE_1)
	v_mad_u64_u32 v[15:16], null, s14, 6, v[2:3]
	global_store_b64 v[13:14], v[15:16], off
.LBB920_56:                             ;   in Loop: Header=BB920_6 Depth=1
	;; [unrolled: 24-line block ×3, first 2 shown]
	s_or_b32 exec_lo, exec_lo, s13
	s_delay_alu instid0(SALU_CYCLE_1)
	s_mov_b32 s13, exec_lo
	v_cmpx_ne_u32_e32 0, v91
	s_cbranch_execz .LBB920_62
; %bb.60:                               ;   in Loop: Header=BB920_6 Depth=1
	s_waitcnt lgkmcnt(7)
	v_ashrrev_i32_e32 v12, 31, v11
	s_delay_alu instid0(VALU_DEP_1)
	v_cmp_gt_i64_e32 vcc_lo, s[30:31], v[11:12]
	s_and_b32 exec_lo, exec_lo, vcc_lo
	s_cbranch_execz .LBB920_62
; %bb.61:                               ;   in Loop: Header=BB920_6 Depth=1
	s_load_b32 s14, s[0:1], 0xc
	v_lshlrev_b64 v[11:12], 3, v[11:12]
	s_waitcnt lgkmcnt(0)
	s_and_b32 s14, s14, 0xffff
	s_delay_alu instid0(SALU_CYCLE_1) | instskip(NEXT) | instid1(SALU_CYCLE_1)
	s_lshl_b32 s14, s14, 3
	v_add_co_u32 v13, vcc_lo, v2, s14
	v_add_co_ci_u32_e32 v14, vcc_lo, 0, v3, vcc_lo
	v_add_co_u32 v11, vcc_lo, s37, v11
	v_add_co_ci_u32_e32 v12, vcc_lo, s38, v12, vcc_lo
	global_store_b64 v[11:12], v[13:14], off
.LBB920_62:                             ;   in Loop: Header=BB920_6 Depth=1
	s_or_b32 exec_lo, exec_lo, s13
	s_delay_alu instid0(SALU_CYCLE_1)
	s_mov_b32 s13, exec_lo
	v_cmpx_ne_u32_e32 0, v90
	s_cbranch_execz .LBB920_65
; %bb.63:                               ;   in Loop: Header=BB920_6 Depth=1
	s_waitcnt lgkmcnt(6)
	v_ashrrev_i32_e32 v11, 31, v10
	s_delay_alu instid0(VALU_DEP_1)
	v_cmp_gt_i64_e32 vcc_lo, s[30:31], v[10:11]
	s_and_b32 exec_lo, exec_lo, vcc_lo
	s_cbranch_execz .LBB920_65
; %bb.64:                               ;   in Loop: Header=BB920_6 Depth=1
	s_load_b32 s14, s[0:1], 0xc
	v_lshlrev_b64 v[10:11], 3, v[10:11]
	s_delay_alu instid0(VALU_DEP_1) | instskip(NEXT) | instid1(VALU_DEP_2)
	v_add_co_u32 v10, vcc_lo, s37, v10
	v_add_co_ci_u32_e32 v11, vcc_lo, s38, v11, vcc_lo
	s_waitcnt lgkmcnt(0)
	s_and_b32 s14, s14, 0xffff
	s_delay_alu instid0(SALU_CYCLE_1)
	v_mad_u64_u32 v[12:13], null, s14, 9, v[2:3]
	global_store_b64 v[10:11], v[12:13], off
.LBB920_65:                             ;   in Loop: Header=BB920_6 Depth=1
	s_or_b32 exec_lo, exec_lo, s13
	s_delay_alu instid0(SALU_CYCLE_1)
	s_mov_b32 s13, exec_lo
	v_cmpx_ne_u32_e32 0, v89
	s_cbranch_execz .LBB920_68
; %bb.66:                               ;   in Loop: Header=BB920_6 Depth=1
	s_waitcnt lgkmcnt(5)
	v_ashrrev_i32_e32 v10, 31, v9
	s_delay_alu instid0(VALU_DEP_1)
	v_cmp_gt_i64_e32 vcc_lo, s[30:31], v[9:10]
	s_and_b32 exec_lo, exec_lo, vcc_lo
	s_cbranch_execz .LBB920_68
; %bb.67:                               ;   in Loop: Header=BB920_6 Depth=1
	s_load_b32 s14, s[0:1], 0xc
	v_lshlrev_b64 v[9:10], 3, v[9:10]
	s_delay_alu instid0(VALU_DEP_1) | instskip(NEXT) | instid1(VALU_DEP_2)
	v_add_co_u32 v9, vcc_lo, s37, v9
	v_add_co_ci_u32_e32 v10, vcc_lo, s38, v10, vcc_lo
	s_waitcnt lgkmcnt(0)
	s_and_b32 s14, s14, 0xffff
	s_delay_alu instid0(SALU_CYCLE_1)
	v_mad_u64_u32 v[11:12], null, s14, 10, v[2:3]
	global_store_b64 v[9:10], v[11:12], off
.LBB920_68:                             ;   in Loop: Header=BB920_6 Depth=1
	;; [unrolled: 24-line block ×6, first 2 shown]
	s_or_b32 exec_lo, exec_lo, s13
	s_delay_alu instid0(SALU_CYCLE_1)
	s_mov_b32 s13, exec_lo
	v_cmpx_ne_u32_e32 0, v84
	s_cbranch_execz .LBB920_83
; %bb.81:                               ;   in Loop: Header=BB920_6 Depth=1
	s_waitcnt lgkmcnt(0)
	v_ashrrev_i32_e32 v5, 31, v4
	s_delay_alu instid0(VALU_DEP_1)
	v_cmp_gt_i64_e32 vcc_lo, s[30:31], v[4:5]
	s_and_b32 exec_lo, exec_lo, vcc_lo
	s_cbranch_execz .LBB920_83
; %bb.82:                               ;   in Loop: Header=BB920_6 Depth=1
	s_load_b32 s14, s[0:1], 0xc
	v_lshlrev_b64 v[4:5], 3, v[4:5]
	s_waitcnt lgkmcnt(0)
	s_and_b32 s14, s14, 0xffff
	s_delay_alu instid0(SALU_CYCLE_1) | instskip(NEXT) | instid1(VALU_DEP_2)
	v_mad_u64_u32 v[6:7], null, s14, 15, v[2:3]
	v_add_co_u32 v2, vcc_lo, s37, v4
	s_delay_alu instid0(VALU_DEP_3)
	v_add_co_ci_u32_e32 v3, vcc_lo, s38, v5, vcc_lo
	global_store_b64 v[2:3], v[6:7], off
.LBB920_83:                             ;   in Loop: Header=BB920_6 Depth=1
	s_or_b32 exec_lo, exec_lo, s13
	ds_load_b32 v2, v1 offset:33792
	v_cmp_gt_i64_e64 s13, 0x2001, s[34:35]
	s_waitcnt lgkmcnt(0)
	v_readfirstlane_b32 s14, v2
	s_delay_alu instid0(VALU_DEP_1) | instskip(SKIP_2) | instid1(SALU_CYCLE_1)
	s_ashr_i32 s15, s14, 31
	s_sub_u32 s30, s30, s14
	s_subb_u32 s31, s31, s15
	v_cmp_lt_i64_e64 s16, s[30:31], 1
	s_delay_alu instid0(VALU_DEP_1) | instskip(NEXT) | instid1(SALU_CYCLE_1)
	s_or_b32 s13, s13, s16
	s_and_b32 vcc_lo, exec_lo, s13
	s_cbranch_vccnz .LBB920_5
; %bb.84:                               ;   in Loop: Header=BB920_6 Depth=1
	s_add_u32 s28, s28, 0x2000
	s_addc_u32 s29, s29, 0
	s_add_u32 s33, s33, 0x2000
	s_addc_u32 s36, s36, 0
	s_lshl_b64 s[14:15], s[14:15], 3
	s_waitcnt_vscnt null, 0x0
	s_add_u32 s37, s37, s14
	s_addc_u32 s38, s38, s15
	s_barrier
	buffer_gl0_inv
	s_branch .LBB920_5
.LBB920_85:                             ;   in Loop: Header=BB920_6 Depth=1
	global_load_u8 v20, v[18:19], off
	v_mov_b32_e32 v15, v1
	v_mov_b32_e32 v2, v1
	;; [unrolled: 1-line block ×15, first 2 shown]
	s_delay_alu instid0(VALU_DEP_2)
	v_dual_mov_b32 v16, v14 :: v_dual_mov_b32 v15, v13
	v_mov_b32_e32 v14, v12
	v_mov_b32_e32 v13, v11
	;; [unrolled: 1-line block ×13, first 2 shown]
	s_waitcnt vmcnt(0)
	v_and_b32_e32 v2, 0xffff, v20
	s_or_b32 exec_lo, exec_lo, s13
	s_delay_alu instid0(SALU_CYCLE_1)
	s_mov_b32 s13, exec_lo
	v_cmpx_gt_u32_e64 s34, v45
	s_cbranch_execz .LBB920_9
.LBB920_86:                             ;   in Loop: Header=BB920_6 Depth=1
	global_load_u8 v3, v[18:19], off offset:32
	s_or_b32 exec_lo, exec_lo, s13
	s_delay_alu instid0(SALU_CYCLE_1)
	s_mov_b32 s13, exec_lo
	v_cmpx_gt_u32_e64 s34, v46
	s_cbranch_execz .LBB920_10
.LBB920_87:                             ;   in Loop: Header=BB920_6 Depth=1
	global_load_u8 v4, v[18:19], off offset:64
	s_or_b32 exec_lo, exec_lo, s13
	s_delay_alu instid0(SALU_CYCLE_1)
	s_mov_b32 s13, exec_lo
	v_cmpx_gt_u32_e64 s34, v47
	s_cbranch_execz .LBB920_11
.LBB920_88:                             ;   in Loop: Header=BB920_6 Depth=1
	global_load_u8 v5, v[18:19], off offset:96
	s_or_b32 exec_lo, exec_lo, s13
	s_delay_alu instid0(SALU_CYCLE_1)
	s_mov_b32 s13, exec_lo
	v_cmpx_gt_u32_e64 s34, v48
	s_cbranch_execz .LBB920_12
.LBB920_89:                             ;   in Loop: Header=BB920_6 Depth=1
	global_load_u8 v6, v[18:19], off offset:128
	s_or_b32 exec_lo, exec_lo, s13
	s_delay_alu instid0(SALU_CYCLE_1)
	s_mov_b32 s13, exec_lo
	v_cmpx_gt_u32_e64 s34, v49
	s_cbranch_execz .LBB920_13
.LBB920_90:                             ;   in Loop: Header=BB920_6 Depth=1
	global_load_u8 v7, v[18:19], off offset:160
	s_or_b32 exec_lo, exec_lo, s13
	s_delay_alu instid0(SALU_CYCLE_1)
	s_mov_b32 s13, exec_lo
	v_cmpx_gt_u32_e64 s34, v50
	s_cbranch_execz .LBB920_14
.LBB920_91:                             ;   in Loop: Header=BB920_6 Depth=1
	global_load_u8 v8, v[18:19], off offset:192
	s_or_b32 exec_lo, exec_lo, s13
	s_delay_alu instid0(SALU_CYCLE_1)
	s_mov_b32 s13, exec_lo
	v_cmpx_gt_u32_e64 s34, v51
	s_cbranch_execz .LBB920_15
.LBB920_92:                             ;   in Loop: Header=BB920_6 Depth=1
	global_load_u8 v9, v[18:19], off offset:224
	s_or_b32 exec_lo, exec_lo, s13
	s_delay_alu instid0(SALU_CYCLE_1)
	s_mov_b32 s13, exec_lo
	v_cmpx_gt_u32_e64 s34, v52
	s_cbranch_execz .LBB920_16
.LBB920_93:                             ;   in Loop: Header=BB920_6 Depth=1
	global_load_u8 v10, v[18:19], off offset:256
	s_or_b32 exec_lo, exec_lo, s13
	s_delay_alu instid0(SALU_CYCLE_1)
	s_mov_b32 s13, exec_lo
	v_cmpx_gt_u32_e64 s34, v53
	s_cbranch_execz .LBB920_17
.LBB920_94:                             ;   in Loop: Header=BB920_6 Depth=1
	global_load_u8 v11, v[18:19], off offset:288
	s_or_b32 exec_lo, exec_lo, s13
	s_delay_alu instid0(SALU_CYCLE_1)
	s_mov_b32 s13, exec_lo
	v_cmpx_gt_u32_e64 s34, v54
	s_cbranch_execz .LBB920_18
.LBB920_95:                             ;   in Loop: Header=BB920_6 Depth=1
	global_load_u8 v12, v[18:19], off offset:320
	s_or_b32 exec_lo, exec_lo, s13
	s_delay_alu instid0(SALU_CYCLE_1)
	s_mov_b32 s13, exec_lo
	v_cmpx_gt_u32_e64 s34, v55
	s_cbranch_execz .LBB920_19
.LBB920_96:                             ;   in Loop: Header=BB920_6 Depth=1
	global_load_u8 v13, v[18:19], off offset:352
	s_or_b32 exec_lo, exec_lo, s13
	s_delay_alu instid0(SALU_CYCLE_1)
	s_mov_b32 s13, exec_lo
	v_cmpx_gt_u32_e64 s34, v56
	s_cbranch_execz .LBB920_20
.LBB920_97:                             ;   in Loop: Header=BB920_6 Depth=1
	global_load_u8 v14, v[18:19], off offset:384
	s_or_b32 exec_lo, exec_lo, s13
	s_delay_alu instid0(SALU_CYCLE_1)
	s_mov_b32 s13, exec_lo
	v_cmpx_gt_u32_e64 s34, v57
	s_cbranch_execz .LBB920_21
.LBB920_98:                             ;   in Loop: Header=BB920_6 Depth=1
	global_load_u8 v15, v[18:19], off offset:416
	s_or_b32 exec_lo, exec_lo, s13
	s_delay_alu instid0(SALU_CYCLE_1)
	s_mov_b32 s13, exec_lo
	v_cmpx_gt_u32_e64 s34, v58
	s_cbranch_execz .LBB920_22
.LBB920_99:                             ;   in Loop: Header=BB920_6 Depth=1
	global_load_u8 v16, v[18:19], off offset:448
	s_or_b32 exec_lo, exec_lo, s13
	s_delay_alu instid0(SALU_CYCLE_1)
	s_mov_b32 s13, exec_lo
	v_cmpx_gt_u32_e64 s34, v59
	s_cbranch_execnz .LBB920_23
	s_branch .LBB920_24
.LBB920_100:
	s_nop 0
	s_sendmsg sendmsg(MSG_DEALLOC_VGPRS)
	s_endpgm
	.section	.rodata,"a",@progbits
	.p2align	6, 0x0
	.amdhsa_kernel _ZN2at6native12_GLOBAL__N_111flag_kernelILi512ELi16EbEEvPKT1_PlPKllli
		.amdhsa_group_segment_fixed_size 33796
		.amdhsa_private_segment_fixed_size 0
		.amdhsa_kernarg_size 304
		.amdhsa_user_sgpr_count 15
		.amdhsa_user_sgpr_dispatch_ptr 0
		.amdhsa_user_sgpr_queue_ptr 0
		.amdhsa_user_sgpr_kernarg_segment_ptr 1
		.amdhsa_user_sgpr_dispatch_id 0
		.amdhsa_user_sgpr_private_segment_size 0
		.amdhsa_wavefront_size32 1
		.amdhsa_uses_dynamic_stack 0
		.amdhsa_enable_private_segment 0
		.amdhsa_system_sgpr_workgroup_id_x 1
		.amdhsa_system_sgpr_workgroup_id_y 0
		.amdhsa_system_sgpr_workgroup_id_z 0
		.amdhsa_system_sgpr_workgroup_info 0
		.amdhsa_system_vgpr_workitem_id 0
		.amdhsa_next_free_vgpr 109
		.amdhsa_next_free_sgpr 40
		.amdhsa_reserve_vcc 1
		.amdhsa_float_round_mode_32 0
		.amdhsa_float_round_mode_16_64 0
		.amdhsa_float_denorm_mode_32 3
		.amdhsa_float_denorm_mode_16_64 3
		.amdhsa_dx10_clamp 1
		.amdhsa_ieee_mode 1
		.amdhsa_fp16_overflow 0
		.amdhsa_workgroup_processor_mode 1
		.amdhsa_memory_ordered 1
		.amdhsa_forward_progress 0
		.amdhsa_shared_vgpr_count 0
		.amdhsa_exception_fp_ieee_invalid_op 0
		.amdhsa_exception_fp_denorm_src 0
		.amdhsa_exception_fp_ieee_div_zero 0
		.amdhsa_exception_fp_ieee_overflow 0
		.amdhsa_exception_fp_ieee_underflow 0
		.amdhsa_exception_fp_ieee_inexact 0
		.amdhsa_exception_int_div_zero 0
	.end_amdhsa_kernel
	.section	.text._ZN2at6native12_GLOBAL__N_111flag_kernelILi512ELi16EbEEvPKT1_PlPKllli,"axG",@progbits,_ZN2at6native12_GLOBAL__N_111flag_kernelILi512ELi16EbEEvPKT1_PlPKllli,comdat
.Lfunc_end920:
	.size	_ZN2at6native12_GLOBAL__N_111flag_kernelILi512ELi16EbEEvPKT1_PlPKllli, .Lfunc_end920-_ZN2at6native12_GLOBAL__N_111flag_kernelILi512ELi16EbEEvPKT1_PlPKllli
                                        ; -- End function
	.section	.AMDGPU.csdata,"",@progbits
; Kernel info:
; codeLenInByte = 5820
; NumSgprs: 42
; NumVgprs: 109
; ScratchSize: 0
; MemoryBound: 0
; FloatMode: 240
; IeeeMode: 1
; LDSByteSize: 33796 bytes/workgroup (compile time only)
; SGPRBlocks: 5
; VGPRBlocks: 13
; NumSGPRsForWavesPerEU: 42
; NumVGPRsForWavesPerEU: 109
; Occupancy: 12
; WaveLimiterHint : 0
; COMPUTE_PGM_RSRC2:SCRATCH_EN: 0
; COMPUTE_PGM_RSRC2:USER_SGPR: 15
; COMPUTE_PGM_RSRC2:TRAP_HANDLER: 0
; COMPUTE_PGM_RSRC2:TGID_X_EN: 1
; COMPUTE_PGM_RSRC2:TGID_Y_EN: 0
; COMPUTE_PGM_RSRC2:TGID_Z_EN: 0
; COMPUTE_PGM_RSRC2:TIDIG_COMP_CNT: 0
	.section	.text._ZN2at4cuda3cub15calc_block_sumsILi512ELi16ELb1EN3c108BFloat16EiEEvPKT2_PT3_li,"axG",@progbits,_ZN2at4cuda3cub15calc_block_sumsILi512ELi16ELb1EN3c108BFloat16EiEEvPKT2_PT3_li,comdat
	.protected	_ZN2at4cuda3cub15calc_block_sumsILi512ELi16ELb1EN3c108BFloat16EiEEvPKT2_PT3_li ; -- Begin function _ZN2at4cuda3cub15calc_block_sumsILi512ELi16ELb1EN3c108BFloat16EiEEvPKT2_PT3_li
	.globl	_ZN2at4cuda3cub15calc_block_sumsILi512ELi16ELb1EN3c108BFloat16EiEEvPKT2_PT3_li
	.p2align	8
	.type	_ZN2at4cuda3cub15calc_block_sumsILi512ELi16ELb1EN3c108BFloat16EiEEvPKT2_PT3_li,@function
_ZN2at4cuda3cub15calc_block_sumsILi512ELi16ELb1EN3c108BFloat16EiEEvPKT2_PT3_li: ; @_ZN2at4cuda3cub15calc_block_sumsILi512ELi16ELb1EN3c108BFloat16EiEEvPKT2_PT3_li
; %bb.0:
	s_clause 0x1
	s_load_b32 s26, s[0:1], 0x18
	s_load_b64 s[4:5], s[0:1], 0x10
	s_waitcnt lgkmcnt(0)
	s_lshl_b32 s3, s26, 13
	s_delay_alu instid0(SALU_CYCLE_1)
	s_ashr_i32 s6, s3, 31
	s_mul_hi_u32 s8, s3, s15
	s_mul_i32 s7, s6, s15
	s_mul_i32 s6, s3, s15
	s_add_i32 s7, s8, s7
	s_sub_u32 s24, s4, s6
	s_subb_u32 s25, s5, s7
	s_delay_alu instid0(SALU_CYCLE_1) | instskip(NEXT) | instid1(VALU_DEP_1)
	v_cmp_lt_i64_e64 s3, s[24:25], 1
	s_and_b32 vcc_lo, exec_lo, s3
	s_cbranch_vccnz .LBB921_58
; %bb.1:
	s_load_b128 s[20:23], s[0:1], 0x0
	s_mov_b32 s2, s15
	s_cmp_gt_i32 s26, 0
	s_mov_b32 s3, 0
	s_cbranch_scc1 .LBB921_3
; %bb.2:
	s_mov_b32 s0, 0
	s_mov_b32 s1, s3
	v_mov_b32_e32 v21, s0
	s_and_not1_b32 vcc_lo, exec_lo, s1
	s_mov_b32 s5, s3
	s_cbranch_vccz .LBB921_4
	s_branch .LBB921_56
.LBB921_3:
                                        ; implicit-def: $sgpr0
	v_mov_b32_e32 v21, s0
	s_mov_b32 s5, s3
.LBB921_4:
	v_lshrrev_b32_e32 v1, 3, v0
	s_mul_i32 s0, s2, s26
	v_dual_mov_b32 v21, 0 :: v_dual_add_nc_u32 v22, 0x200, v0
	s_lshl_b32 s1, s0, 13
	s_delay_alu instid0(VALU_DEP_2)
	v_dual_mov_b32 v2, 0 :: v_dual_and_b32 v37, 0x7c, v1
	v_lshlrev_b32_e32 v1, 1, v0
	s_sub_i32 s27, s4, s1
	s_lshl_b64 s[4:5], s[6:7], 1
	v_or_b32_e32 v23, 0x400, v0
	s_waitcnt lgkmcnt(0)
	s_add_u32 s1, s20, s4
	s_addc_u32 s4, s21, s5
	v_add_co_u32 v19, s1, s1, v1
	v_add_nc_u32_e32 v24, 0x600, v0
	v_or_b32_e32 v25, 0x800, v0
	v_add_nc_u32_e32 v26, 0xa00, v0
	v_or_b32_e32 v27, 0xc00, v0
	;; [unrolled: 2-line block ×6, first 2 shown]
	v_add_nc_u32_e32 v36, 0x1e00, v0
	v_cmp_gt_u32_e64 s0, 32, v0
	v_add_co_ci_u32_e64 v20, null, s4, 0, s1
	v_mbcnt_lo_u32_b32 v38, -1, 0
	s_mov_b32 s4, 0
	s_mov_b32 s1, -1
	s_mov_b32 s20, 0
	v_cmp_gt_i64_e64 s5, 0x2000, s[24:25]
                                        ; implicit-def: $vgpr1
	s_delay_alu instid0(VALU_DEP_1)
	s_and_b32 vcc_lo, exec_lo, s5
	s_mov_b32 s5, -1
	s_cbranch_vccnz .LBB921_8
.LBB921_5:
	s_and_b32 vcc_lo, exec_lo, s5
	s_cbranch_vccnz .LBB921_30
.LBB921_6:
	v_cmp_lt_i64_e64 s5, 0x2000, s[24:25]
	s_delay_alu instid0(VALU_DEP_2) | instskip(NEXT) | instid1(VALU_DEP_2)
	v_add_nc_u32_e32 v21, v1, v21
	s_and_b32 vcc_lo, exec_lo, s5
	s_cbranch_vccz .LBB921_35
.LBB921_7:
	s_add_u32 s24, s24, 0xffffe000
	s_addc_u32 s25, s25, -1
	s_add_i32 s20, s20, 1
	v_add_co_u32 v19, vcc_lo, 0x4000, v19
	s_cmp_lt_i32 s20, s26
	v_add_co_ci_u32_e32 v20, vcc_lo, 0, v20, vcc_lo
	s_cselect_b32 s5, -1, 0
	s_addk_i32 s27, 0xe000
	s_cmp_eq_u32 s26, s20
	s_mov_b32 s6, 0
	s_cselect_b32 s7, -1, 0
	s_barrier
	buffer_gl0_inv
	s_and_not1_b32 vcc_lo, exec_lo, s7
	s_cbranch_vccnz .LBB921_36
	s_branch .LBB921_52
.LBB921_8:
	s_mov_b32 s5, s4
	s_mov_b32 s6, s4
	;; [unrolled: 1-line block ×15, first 2 shown]
	v_dual_mov_b32 v3, s4 :: v_dual_mov_b32 v4, s5
	v_dual_mov_b32 v5, s6 :: v_dual_mov_b32 v6, s7
	;; [unrolled: 1-line block ×8, first 2 shown]
	s_mov_b32 s5, exec_lo
	v_cmpx_gt_u32_e64 s27, v0
	s_cbranch_execnz .LBB921_37
; %bb.9:
	s_or_b32 exec_lo, exec_lo, s5
	s_delay_alu instid0(SALU_CYCLE_1)
	s_mov_b32 s5, exec_lo
	v_cmpx_gt_u32_e64 s27, v22
	s_cbranch_execnz .LBB921_38
.LBB921_10:
	s_or_b32 exec_lo, exec_lo, s5
	s_delay_alu instid0(SALU_CYCLE_1)
	s_mov_b32 s5, exec_lo
	v_cmpx_gt_u32_e64 s27, v23
	s_cbranch_execnz .LBB921_39
.LBB921_11:
	s_or_b32 exec_lo, exec_lo, s5
	s_delay_alu instid0(SALU_CYCLE_1)
	s_mov_b32 s5, exec_lo
	v_cmpx_gt_u32_e64 s27, v24
	s_cbranch_execnz .LBB921_40
.LBB921_12:
	s_or_b32 exec_lo, exec_lo, s5
	s_delay_alu instid0(SALU_CYCLE_1)
	s_mov_b32 s5, exec_lo
	v_cmpx_gt_u32_e64 s27, v25
	s_cbranch_execnz .LBB921_41
.LBB921_13:
	s_or_b32 exec_lo, exec_lo, s5
	s_delay_alu instid0(SALU_CYCLE_1)
	s_mov_b32 s5, exec_lo
	v_cmpx_gt_u32_e64 s27, v26
	s_cbranch_execnz .LBB921_42
.LBB921_14:
	s_or_b32 exec_lo, exec_lo, s5
	s_delay_alu instid0(SALU_CYCLE_1)
	s_mov_b32 s5, exec_lo
	v_cmpx_gt_u32_e64 s27, v27
	s_cbranch_execnz .LBB921_43
.LBB921_15:
	s_or_b32 exec_lo, exec_lo, s5
	s_delay_alu instid0(SALU_CYCLE_1)
	s_mov_b32 s5, exec_lo
	v_cmpx_gt_u32_e64 s27, v28
	s_cbranch_execnz .LBB921_44
.LBB921_16:
	s_or_b32 exec_lo, exec_lo, s5
	s_delay_alu instid0(SALU_CYCLE_1)
	s_mov_b32 s5, exec_lo
	v_cmpx_gt_u32_e64 s27, v29
	s_cbranch_execnz .LBB921_45
.LBB921_17:
	s_or_b32 exec_lo, exec_lo, s5
	s_delay_alu instid0(SALU_CYCLE_1)
	s_mov_b32 s5, exec_lo
	v_cmpx_gt_u32_e64 s27, v30
	s_cbranch_execnz .LBB921_46
.LBB921_18:
	s_or_b32 exec_lo, exec_lo, s5
	s_delay_alu instid0(SALU_CYCLE_1)
	s_mov_b32 s5, exec_lo
	v_cmpx_gt_u32_e64 s27, v31
	s_cbranch_execnz .LBB921_47
.LBB921_19:
	s_or_b32 exec_lo, exec_lo, s5
	s_delay_alu instid0(SALU_CYCLE_1)
	s_mov_b32 s5, exec_lo
	v_cmpx_gt_u32_e64 s27, v32
	s_cbranch_execnz .LBB921_48
.LBB921_20:
	s_or_b32 exec_lo, exec_lo, s5
	s_delay_alu instid0(SALU_CYCLE_1)
	s_mov_b32 s5, exec_lo
	v_cmpx_gt_u32_e64 s27, v33
	s_cbranch_execnz .LBB921_49
.LBB921_21:
	s_or_b32 exec_lo, exec_lo, s5
	s_delay_alu instid0(SALU_CYCLE_1)
	s_mov_b32 s5, exec_lo
	v_cmpx_gt_u32_e64 s27, v34
	s_cbranch_execnz .LBB921_50
.LBB921_22:
	s_or_b32 exec_lo, exec_lo, s5
	s_delay_alu instid0(SALU_CYCLE_1)
	s_mov_b32 s5, exec_lo
	v_cmpx_gt_u32_e64 s27, v35
	s_cbranch_execnz .LBB921_51
.LBB921_23:
	s_or_b32 exec_lo, exec_lo, s5
	s_delay_alu instid0(SALU_CYCLE_1)
	s_mov_b32 s5, exec_lo
	v_cmpx_gt_u32_e64 s27, v36
	s_cbranch_execz .LBB921_25
.LBB921_24:
	v_add_co_u32 v39, vcc_lo, 0x3000, v19
	v_add_co_ci_u32_e32 v40, vcc_lo, 0, v20, vcc_lo
	global_load_u16 v1, v[39:40], off offset:3072
	s_waitcnt vmcnt(0)
	v_and_b32_e32 v1, 0x7fff, v1
	s_delay_alu instid0(VALU_DEP_1)
	v_cmp_ne_u16_e32 vcc_lo, 0, v1
	v_cndmask_b32_e64 v18, 0, 1, vcc_lo
.LBB921_25:
	s_or_b32 exec_lo, exec_lo, s5
	v_add_nc_u32_e32 v1, v4, v3
	s_mov_b32 s5, exec_lo
	s_barrier
	buffer_gl0_inv
	v_add3_u32 v1, v1, v5, v6
	s_delay_alu instid0(VALU_DEP_1) | instskip(NEXT) | instid1(VALU_DEP_1)
	v_add3_u32 v1, v1, v7, v8
	v_add3_u32 v1, v1, v9, v10
	s_delay_alu instid0(VALU_DEP_1) | instskip(NEXT) | instid1(VALU_DEP_1)
	v_add3_u32 v1, v1, v11, v12
	v_add3_u32 v1, v1, v13, v14
	s_delay_alu instid0(VALU_DEP_1) | instskip(NEXT) | instid1(VALU_DEP_1)
	v_add3_u32 v1, v1, v15, v16
	v_add3_u32 v1, v1, v17, v18
	s_delay_alu instid0(VALU_DEP_1) | instskip(NEXT) | instid1(VALU_DEP_1)
	v_mov_b32_dpp v3, v1 quad_perm:[1,0,3,2] row_mask:0xf bank_mask:0xf
	v_add_nc_u32_e32 v1, v1, v3
	s_delay_alu instid0(VALU_DEP_1) | instskip(NEXT) | instid1(VALU_DEP_1)
	v_mov_b32_dpp v3, v1 quad_perm:[2,3,0,1] row_mask:0xf bank_mask:0xf
	v_add_nc_u32_e32 v1, v1, v3
	s_delay_alu instid0(VALU_DEP_1) | instskip(NEXT) | instid1(VALU_DEP_1)
	v_mov_b32_dpp v3, v1 row_ror:4 row_mask:0xf bank_mask:0xf
	v_add_nc_u32_e32 v1, v1, v3
	s_delay_alu instid0(VALU_DEP_1) | instskip(NEXT) | instid1(VALU_DEP_1)
	v_mov_b32_dpp v3, v1 row_ror:8 row_mask:0xf bank_mask:0xf
	v_add_nc_u32_e32 v1, v1, v3
	ds_swizzle_b32 v3, v1 offset:swizzle(BROADCAST,32,15)
	s_waitcnt lgkmcnt(0)
	v_add_nc_u32_e32 v1, v1, v3
	ds_bpermute_b32 v1, v2, v1 offset:124
	v_cmpx_eq_u32_e32 0, v38
	s_cbranch_execz .LBB921_27
; %bb.26:
	s_waitcnt lgkmcnt(0)
	ds_store_b32 v37, v1
.LBB921_27:
	s_or_b32 exec_lo, exec_lo, s5
	s_waitcnt lgkmcnt(0)
	s_barrier
	buffer_gl0_inv
	s_and_saveexec_b32 s5, s0
	s_cbranch_execz .LBB921_29
; %bb.28:
	v_and_b32_e32 v1, 15, v38
	s_delay_alu instid0(VALU_DEP_1) | instskip(SKIP_4) | instid1(VALU_DEP_2)
	v_lshlrev_b32_e32 v3, 2, v1
	v_cmp_ne_u32_e32 vcc_lo, 15, v1
	ds_load_b32 v3, v3
	v_add_co_ci_u32_e32 v4, vcc_lo, 0, v38, vcc_lo
	v_cmp_gt_u32_e32 vcc_lo, 14, v1
	v_lshlrev_b32_e32 v4, 2, v4
	v_cndmask_b32_e64 v5, 0, 1, vcc_lo
	v_cmp_gt_u32_e32 vcc_lo, 12, v1
	s_delay_alu instid0(VALU_DEP_2) | instskip(NEXT) | instid1(VALU_DEP_1)
	v_lshlrev_b32_e32 v5, 1, v5
	v_add_lshl_u32 v5, v5, v38, 2
	s_waitcnt lgkmcnt(0)
	ds_bpermute_b32 v4, v4, v3
	s_waitcnt lgkmcnt(0)
	v_add_nc_u32_e32 v3, v4, v3
	ds_bpermute_b32 v4, v5, v3
	v_cndmask_b32_e64 v5, 0, 1, vcc_lo
	v_cmp_gt_u32_e32 vcc_lo, 8, v1
	s_delay_alu instid0(VALU_DEP_2) | instskip(SKIP_1) | instid1(VALU_DEP_2)
	v_lshlrev_b32_e32 v5, 2, v5
	v_cndmask_b32_e64 v1, 0, 1, vcc_lo
	v_add_lshl_u32 v5, v5, v38, 2
	s_delay_alu instid0(VALU_DEP_2) | instskip(NEXT) | instid1(VALU_DEP_1)
	v_lshlrev_b32_e32 v1, 3, v1
	v_add_lshl_u32 v1, v1, v38, 2
	s_waitcnt lgkmcnt(0)
	v_add_nc_u32_e32 v3, v4, v3
	ds_bpermute_b32 v4, v5, v3
	s_waitcnt lgkmcnt(0)
	v_add_nc_u32_e32 v3, v4, v3
	ds_bpermute_b32 v1, v1, v3
	s_waitcnt lgkmcnt(0)
	v_add_nc_u32_e32 v1, v1, v3
.LBB921_29:
	s_or_b32 exec_lo, exec_lo, s5
	s_branch .LBB921_6
.LBB921_30:
	v_add_co_u32 v3, vcc_lo, 0x1000, v19
	v_add_co_ci_u32_e32 v4, vcc_lo, 0, v20, vcc_lo
	v_add_co_u32 v5, vcc_lo, v19, 0x2000
	v_add_co_ci_u32_e32 v6, vcc_lo, 0, v20, vcc_lo
	s_clause 0x7
	global_load_u16 v1, v[19:20], off
	global_load_u16 v9, v[19:20], off offset:1024
	global_load_u16 v10, v[19:20], off offset:2048
	;; [unrolled: 1-line block ×3, first 2 shown]
	global_load_u16 v12, v[5:6], off offset:-4096
	global_load_u16 v13, v[3:4], off offset:1024
	global_load_u16 v14, v[3:4], off offset:2048
	;; [unrolled: 1-line block ×3, first 2 shown]
	v_add_co_u32 v3, vcc_lo, 0x2000, v19
	v_add_co_ci_u32_e32 v4, vcc_lo, 0, v20, vcc_lo
	v_add_co_u32 v7, vcc_lo, 0x3000, v19
	v_add_co_ci_u32_e32 v8, vcc_lo, 0, v20, vcc_lo
	s_clause 0x7
	global_load_u16 v5, v[5:6], off
	global_load_u16 v6, v[3:4], off offset:1024
	global_load_u16 v16, v[3:4], off offset:2048
	;; [unrolled: 1-line block ×3, first 2 shown]
	global_load_u16 v4, v[7:8], off
	global_load_u16 v17, v[7:8], off offset:1024
	global_load_u16 v18, v[7:8], off offset:2048
	;; [unrolled: 1-line block ×3, first 2 shown]
	s_mov_b32 s5, exec_lo
	s_waitcnt vmcnt(0)
	s_barrier
	buffer_gl0_inv
	v_and_b32_e32 v1, 0x7fff, v1
	v_and_b32_e32 v9, 0x7fff, v9
	;; [unrolled: 1-line block ×5, first 2 shown]
	v_cmp_ne_u16_e32 vcc_lo, 0, v1
	v_and_b32_e32 v12, 0x7fff, v13
	v_and_b32_e32 v13, 0x7fff, v14
	;; [unrolled: 1-line block ×4, first 2 shown]
	v_cndmask_b32_e64 v1, 0, 1, vcc_lo
	v_cmp_ne_u16_e32 vcc_lo, 0, v8
	v_and_b32_e32 v15, 0x7fff, v16
	v_and_b32_e32 v6, 0x7fff, v6
	;; [unrolled: 1-line block ×4, first 2 shown]
	v_cndmask_b32_e64 v8, 0, 1, vcc_lo
	v_cmp_ne_u16_e32 vcc_lo, 0, v9
	v_and_b32_e32 v16, 0x7fff, v17
	v_and_b32_e32 v17, 0x7fff, v18
	v_add_co_ci_u32_e32 v1, vcc_lo, 0, v1, vcc_lo
	v_cmp_ne_u16_e32 vcc_lo, 0, v11
	v_cndmask_b32_e64 v9, 0, 1, vcc_lo
	v_cmp_ne_u16_e32 vcc_lo, 0, v10
	s_delay_alu instid0(VALU_DEP_4) | instskip(SKIP_3) | instid1(VALU_DEP_4)
	v_add_co_ci_u32_e32 v1, vcc_lo, v1, v8, vcc_lo
	v_cmp_ne_u16_e32 vcc_lo, 0, v13
	v_cndmask_b32_e64 v8, 0, 1, vcc_lo
	v_cmp_ne_u16_e32 vcc_lo, 0, v12
	v_add_co_ci_u32_e32 v1, vcc_lo, v1, v9, vcc_lo
	v_cmp_ne_u16_e32 vcc_lo, 0, v5
	v_cndmask_b32_e64 v5, 0, 1, vcc_lo
	v_cmp_ne_u16_e32 vcc_lo, 0, v14
	s_delay_alu instid0(VALU_DEP_4) | instskip(SKIP_3) | instid1(VALU_DEP_4)
	v_add_co_ci_u32_e32 v1, vcc_lo, v1, v8, vcc_lo
	v_cmp_ne_u16_e32 vcc_lo, 0, v15
	v_cndmask_b32_e64 v8, 0, 1, vcc_lo
	v_cmp_ne_u16_e32 vcc_lo, 0, v6
	v_add_co_ci_u32_e32 v1, vcc_lo, v1, v5, vcc_lo
	v_cmp_ne_u16_e32 vcc_lo, 0, v4
	v_and_b32_e32 v5, 0x7fff, v7
	v_cndmask_b32_e64 v4, 0, 1, vcc_lo
	v_cmp_ne_u16_e32 vcc_lo, 0, v3
	v_add_co_ci_u32_e32 v1, vcc_lo, v1, v8, vcc_lo
	v_cmp_ne_u16_e32 vcc_lo, 0, v17
	v_cndmask_b32_e64 v3, 0, 1, vcc_lo
	v_cmp_ne_u16_e32 vcc_lo, 0, v16
	s_delay_alu instid0(VALU_DEP_4) | instskip(SKIP_1) | instid1(VALU_DEP_2)
	v_add_co_ci_u32_e32 v1, vcc_lo, v1, v4, vcc_lo
	v_cmp_ne_u16_e32 vcc_lo, 0, v5
	v_add_co_ci_u32_e32 v1, vcc_lo, v1, v3, vcc_lo
	s_delay_alu instid0(VALU_DEP_1) | instskip(NEXT) | instid1(VALU_DEP_1)
	v_mov_b32_dpp v3, v1 quad_perm:[1,0,3,2] row_mask:0xf bank_mask:0xf
	v_add_nc_u32_e32 v1, v3, v1
	s_delay_alu instid0(VALU_DEP_1) | instskip(NEXT) | instid1(VALU_DEP_1)
	v_mov_b32_dpp v3, v1 quad_perm:[2,3,0,1] row_mask:0xf bank_mask:0xf
	v_add_nc_u32_e32 v1, v1, v3
	s_delay_alu instid0(VALU_DEP_1) | instskip(NEXT) | instid1(VALU_DEP_1)
	v_mov_b32_dpp v3, v1 row_ror:4 row_mask:0xf bank_mask:0xf
	v_add_nc_u32_e32 v1, v1, v3
	s_delay_alu instid0(VALU_DEP_1) | instskip(NEXT) | instid1(VALU_DEP_1)
	v_mov_b32_dpp v3, v1 row_ror:8 row_mask:0xf bank_mask:0xf
	v_add_nc_u32_e32 v1, v1, v3
	ds_swizzle_b32 v3, v1 offset:swizzle(BROADCAST,32,15)
	s_waitcnt lgkmcnt(0)
	v_add_nc_u32_e32 v1, v1, v3
	ds_bpermute_b32 v1, v2, v1 offset:124
	v_cmpx_eq_u32_e32 0, v38
	s_cbranch_execz .LBB921_32
; %bb.31:
	s_waitcnt lgkmcnt(0)
	ds_store_b32 v37, v1
.LBB921_32:
	s_or_b32 exec_lo, exec_lo, s5
	s_waitcnt lgkmcnt(0)
	s_barrier
	buffer_gl0_inv
	s_and_saveexec_b32 s5, s0
	s_cbranch_execz .LBB921_34
; %bb.33:
	v_and_b32_e32 v1, 15, v38
	s_delay_alu instid0(VALU_DEP_1) | instskip(SKIP_4) | instid1(VALU_DEP_2)
	v_lshlrev_b32_e32 v3, 2, v1
	v_cmp_ne_u32_e32 vcc_lo, 15, v1
	ds_load_b32 v3, v3
	v_add_co_ci_u32_e32 v4, vcc_lo, 0, v38, vcc_lo
	v_cmp_gt_u32_e32 vcc_lo, 14, v1
	v_lshlrev_b32_e32 v4, 2, v4
	v_cndmask_b32_e64 v5, 0, 1, vcc_lo
	v_cmp_gt_u32_e32 vcc_lo, 12, v1
	s_delay_alu instid0(VALU_DEP_2) | instskip(NEXT) | instid1(VALU_DEP_1)
	v_lshlrev_b32_e32 v5, 1, v5
	v_add_lshl_u32 v5, v5, v38, 2
	s_waitcnt lgkmcnt(0)
	ds_bpermute_b32 v4, v4, v3
	s_waitcnt lgkmcnt(0)
	v_add_nc_u32_e32 v3, v4, v3
	ds_bpermute_b32 v4, v5, v3
	v_cndmask_b32_e64 v5, 0, 1, vcc_lo
	v_cmp_gt_u32_e32 vcc_lo, 8, v1
	s_delay_alu instid0(VALU_DEP_2) | instskip(SKIP_1) | instid1(VALU_DEP_2)
	v_lshlrev_b32_e32 v5, 2, v5
	v_cndmask_b32_e64 v1, 0, 1, vcc_lo
	v_add_lshl_u32 v5, v5, v38, 2
	s_delay_alu instid0(VALU_DEP_2) | instskip(NEXT) | instid1(VALU_DEP_1)
	v_lshlrev_b32_e32 v1, 3, v1
	v_add_lshl_u32 v1, v1, v38, 2
	s_waitcnt lgkmcnt(0)
	v_add_nc_u32_e32 v3, v4, v3
	ds_bpermute_b32 v4, v5, v3
	s_waitcnt lgkmcnt(0)
	v_add_nc_u32_e32 v3, v4, v3
	ds_bpermute_b32 v1, v1, v3
	s_waitcnt lgkmcnt(0)
	v_add_nc_u32_e32 v1, v1, v3
.LBB921_34:
	s_or_b32 exec_lo, exec_lo, s5
	v_cmp_lt_i64_e64 s5, 0x2000, s[24:25]
	s_delay_alu instid0(VALU_DEP_2) | instskip(NEXT) | instid1(VALU_DEP_2)
	v_add_nc_u32_e32 v21, v1, v21
	s_and_b32 vcc_lo, exec_lo, s5
	s_cbranch_vccnz .LBB921_7
.LBB921_35:
	s_mov_b32 s6, -1
                                        ; implicit-def: $sgpr20
                                        ; implicit-def: $sgpr24_sgpr25
                                        ; implicit-def: $sgpr27
                                        ; implicit-def: $vgpr19_vgpr20
                                        ; implicit-def: $sgpr5
	s_branch .LBB921_52
.LBB921_36:
	s_mov_b32 s1, s5
	v_cmp_gt_i64_e64 s5, 0x2000, s[24:25]
                                        ; implicit-def: $vgpr1
	s_delay_alu instid0(VALU_DEP_1)
	s_and_b32 vcc_lo, exec_lo, s5
	s_mov_b32 s5, -1
	s_cbranch_vccnz .LBB921_8
	s_branch .LBB921_5
.LBB921_37:
	global_load_u16 v1, v[19:20], off
	v_mov_b32_e32 v4, v2
	v_mov_b32_e32 v16, v2
	;; [unrolled: 1-line block ×13, first 2 shown]
	s_waitcnt vmcnt(0)
	v_and_b32_e32 v1, 0x7fff, v1
	s_delay_alu instid0(VALU_DEP_1) | instskip(SKIP_1) | instid1(VALU_DEP_1)
	v_cmp_ne_u16_e32 vcc_lo, 0, v1
	v_cndmask_b32_e64 v1, 0, 1, vcc_lo
	v_dual_mov_b32 v6, v2 :: v_dual_and_b32 v1, 0xffff, v1
	v_mov_b32_e32 v18, v16
	v_dual_mov_b32 v17, v15 :: v_dual_mov_b32 v16, v14
	v_mov_b32_e32 v15, v13
	v_mov_b32_e32 v14, v12
	;; [unrolled: 1-line block ×13, first 2 shown]
	s_or_b32 exec_lo, exec_lo, s5
	s_delay_alu instid0(SALU_CYCLE_1)
	s_mov_b32 s5, exec_lo
	v_cmpx_gt_u32_e64 s27, v22
	s_cbranch_execz .LBB921_10
.LBB921_38:
	global_load_u16 v1, v[19:20], off offset:1024
	s_waitcnt vmcnt(0)
	v_and_b32_e32 v1, 0x7fff, v1
	s_delay_alu instid0(VALU_DEP_1) | instskip(SKIP_2) | instid1(SALU_CYCLE_1)
	v_cmp_ne_u16_e32 vcc_lo, 0, v1
	v_cndmask_b32_e64 v4, 0, 1, vcc_lo
	s_or_b32 exec_lo, exec_lo, s5
	s_mov_b32 s5, exec_lo
	v_cmpx_gt_u32_e64 s27, v23
	s_cbranch_execz .LBB921_11
.LBB921_39:
	global_load_u16 v1, v[19:20], off offset:2048
	s_waitcnt vmcnt(0)
	v_and_b32_e32 v1, 0x7fff, v1
	s_delay_alu instid0(VALU_DEP_1) | instskip(SKIP_2) | instid1(SALU_CYCLE_1)
	v_cmp_ne_u16_e32 vcc_lo, 0, v1
	v_cndmask_b32_e64 v5, 0, 1, vcc_lo
	s_or_b32 exec_lo, exec_lo, s5
	s_mov_b32 s5, exec_lo
	v_cmpx_gt_u32_e64 s27, v24
	s_cbranch_execz .LBB921_12
.LBB921_40:
	global_load_u16 v1, v[19:20], off offset:3072
	s_waitcnt vmcnt(0)
	v_and_b32_e32 v1, 0x7fff, v1
	s_delay_alu instid0(VALU_DEP_1) | instskip(SKIP_2) | instid1(SALU_CYCLE_1)
	v_cmp_ne_u16_e32 vcc_lo, 0, v1
	v_cndmask_b32_e64 v6, 0, 1, vcc_lo
	s_or_b32 exec_lo, exec_lo, s5
	s_mov_b32 s5, exec_lo
	v_cmpx_gt_u32_e64 s27, v25
	s_cbranch_execz .LBB921_13
.LBB921_41:
	v_add_co_u32 v39, vcc_lo, 0x1000, v19
	v_add_co_ci_u32_e32 v40, vcc_lo, 0, v20, vcc_lo
	global_load_u16 v1, v[39:40], off
	s_waitcnt vmcnt(0)
	v_and_b32_e32 v1, 0x7fff, v1
	s_delay_alu instid0(VALU_DEP_1) | instskip(SKIP_2) | instid1(SALU_CYCLE_1)
	v_cmp_ne_u16_e32 vcc_lo, 0, v1
	v_cndmask_b32_e64 v7, 0, 1, vcc_lo
	s_or_b32 exec_lo, exec_lo, s5
	s_mov_b32 s5, exec_lo
	v_cmpx_gt_u32_e64 s27, v26
	s_cbranch_execz .LBB921_14
.LBB921_42:
	v_add_co_u32 v39, vcc_lo, 0x1000, v19
	v_add_co_ci_u32_e32 v40, vcc_lo, 0, v20, vcc_lo
	global_load_u16 v1, v[39:40], off offset:1024
	s_waitcnt vmcnt(0)
	v_and_b32_e32 v1, 0x7fff, v1
	s_delay_alu instid0(VALU_DEP_1) | instskip(SKIP_2) | instid1(SALU_CYCLE_1)
	v_cmp_ne_u16_e32 vcc_lo, 0, v1
	v_cndmask_b32_e64 v8, 0, 1, vcc_lo
	s_or_b32 exec_lo, exec_lo, s5
	s_mov_b32 s5, exec_lo
	v_cmpx_gt_u32_e64 s27, v27
	s_cbranch_execz .LBB921_15
.LBB921_43:
	v_add_co_u32 v39, vcc_lo, 0x1000, v19
	v_add_co_ci_u32_e32 v40, vcc_lo, 0, v20, vcc_lo
	global_load_u16 v1, v[39:40], off offset:2048
	s_waitcnt vmcnt(0)
	v_and_b32_e32 v1, 0x7fff, v1
	s_delay_alu instid0(VALU_DEP_1) | instskip(SKIP_2) | instid1(SALU_CYCLE_1)
	v_cmp_ne_u16_e32 vcc_lo, 0, v1
	v_cndmask_b32_e64 v9, 0, 1, vcc_lo
	s_or_b32 exec_lo, exec_lo, s5
	s_mov_b32 s5, exec_lo
	v_cmpx_gt_u32_e64 s27, v28
	s_cbranch_execz .LBB921_16
.LBB921_44:
	v_add_co_u32 v39, vcc_lo, 0x1000, v19
	v_add_co_ci_u32_e32 v40, vcc_lo, 0, v20, vcc_lo
	global_load_u16 v1, v[39:40], off offset:3072
	s_waitcnt vmcnt(0)
	v_and_b32_e32 v1, 0x7fff, v1
	s_delay_alu instid0(VALU_DEP_1) | instskip(SKIP_2) | instid1(SALU_CYCLE_1)
	v_cmp_ne_u16_e32 vcc_lo, 0, v1
	v_cndmask_b32_e64 v10, 0, 1, vcc_lo
	s_or_b32 exec_lo, exec_lo, s5
	s_mov_b32 s5, exec_lo
	v_cmpx_gt_u32_e64 s27, v29
	s_cbranch_execz .LBB921_17
.LBB921_45:
	v_add_co_u32 v39, vcc_lo, 0x2000, v19
	v_add_co_ci_u32_e32 v40, vcc_lo, 0, v20, vcc_lo
	global_load_u16 v1, v[39:40], off
	s_waitcnt vmcnt(0)
	v_and_b32_e32 v1, 0x7fff, v1
	s_delay_alu instid0(VALU_DEP_1) | instskip(SKIP_2) | instid1(SALU_CYCLE_1)
	v_cmp_ne_u16_e32 vcc_lo, 0, v1
	v_cndmask_b32_e64 v11, 0, 1, vcc_lo
	s_or_b32 exec_lo, exec_lo, s5
	s_mov_b32 s5, exec_lo
	v_cmpx_gt_u32_e64 s27, v30
	s_cbranch_execz .LBB921_18
.LBB921_46:
	v_add_co_u32 v39, vcc_lo, 0x2000, v19
	v_add_co_ci_u32_e32 v40, vcc_lo, 0, v20, vcc_lo
	global_load_u16 v1, v[39:40], off offset:1024
	s_waitcnt vmcnt(0)
	v_and_b32_e32 v1, 0x7fff, v1
	s_delay_alu instid0(VALU_DEP_1) | instskip(SKIP_2) | instid1(SALU_CYCLE_1)
	v_cmp_ne_u16_e32 vcc_lo, 0, v1
	v_cndmask_b32_e64 v12, 0, 1, vcc_lo
	s_or_b32 exec_lo, exec_lo, s5
	s_mov_b32 s5, exec_lo
	v_cmpx_gt_u32_e64 s27, v31
	s_cbranch_execz .LBB921_19
.LBB921_47:
	v_add_co_u32 v39, vcc_lo, 0x2000, v19
	v_add_co_ci_u32_e32 v40, vcc_lo, 0, v20, vcc_lo
	global_load_u16 v1, v[39:40], off offset:2048
	s_waitcnt vmcnt(0)
	v_and_b32_e32 v1, 0x7fff, v1
	s_delay_alu instid0(VALU_DEP_1) | instskip(SKIP_2) | instid1(SALU_CYCLE_1)
	v_cmp_ne_u16_e32 vcc_lo, 0, v1
	v_cndmask_b32_e64 v13, 0, 1, vcc_lo
	s_or_b32 exec_lo, exec_lo, s5
	s_mov_b32 s5, exec_lo
	v_cmpx_gt_u32_e64 s27, v32
	s_cbranch_execz .LBB921_20
.LBB921_48:
	v_add_co_u32 v39, vcc_lo, 0x2000, v19
	v_add_co_ci_u32_e32 v40, vcc_lo, 0, v20, vcc_lo
	global_load_u16 v1, v[39:40], off offset:3072
	s_waitcnt vmcnt(0)
	v_and_b32_e32 v1, 0x7fff, v1
	s_delay_alu instid0(VALU_DEP_1) | instskip(SKIP_2) | instid1(SALU_CYCLE_1)
	v_cmp_ne_u16_e32 vcc_lo, 0, v1
	v_cndmask_b32_e64 v14, 0, 1, vcc_lo
	s_or_b32 exec_lo, exec_lo, s5
	s_mov_b32 s5, exec_lo
	v_cmpx_gt_u32_e64 s27, v33
	s_cbranch_execz .LBB921_21
.LBB921_49:
	v_add_co_u32 v39, vcc_lo, 0x3000, v19
	v_add_co_ci_u32_e32 v40, vcc_lo, 0, v20, vcc_lo
	global_load_u16 v1, v[39:40], off
	s_waitcnt vmcnt(0)
	v_and_b32_e32 v1, 0x7fff, v1
	s_delay_alu instid0(VALU_DEP_1) | instskip(SKIP_2) | instid1(SALU_CYCLE_1)
	v_cmp_ne_u16_e32 vcc_lo, 0, v1
	v_cndmask_b32_e64 v15, 0, 1, vcc_lo
	s_or_b32 exec_lo, exec_lo, s5
	s_mov_b32 s5, exec_lo
	v_cmpx_gt_u32_e64 s27, v34
	s_cbranch_execz .LBB921_22
.LBB921_50:
	v_add_co_u32 v39, vcc_lo, 0x3000, v19
	v_add_co_ci_u32_e32 v40, vcc_lo, 0, v20, vcc_lo
	global_load_u16 v1, v[39:40], off offset:1024
	s_waitcnt vmcnt(0)
	v_and_b32_e32 v1, 0x7fff, v1
	s_delay_alu instid0(VALU_DEP_1) | instskip(SKIP_2) | instid1(SALU_CYCLE_1)
	v_cmp_ne_u16_e32 vcc_lo, 0, v1
	v_cndmask_b32_e64 v16, 0, 1, vcc_lo
	s_or_b32 exec_lo, exec_lo, s5
	s_mov_b32 s5, exec_lo
	v_cmpx_gt_u32_e64 s27, v35
	s_cbranch_execz .LBB921_23
.LBB921_51:
	v_add_co_u32 v39, vcc_lo, 0x3000, v19
	v_add_co_ci_u32_e32 v40, vcc_lo, 0, v20, vcc_lo
	global_load_u16 v1, v[39:40], off offset:2048
	s_waitcnt vmcnt(0)
	v_and_b32_e32 v1, 0x7fff, v1
	s_delay_alu instid0(VALU_DEP_1) | instskip(SKIP_2) | instid1(SALU_CYCLE_1)
	v_cmp_ne_u16_e32 vcc_lo, 0, v1
	v_cndmask_b32_e64 v17, 0, 1, vcc_lo
	s_or_b32 exec_lo, exec_lo, s5
	s_mov_b32 s5, exec_lo
	v_cmpx_gt_u32_e64 s27, v36
	s_cbranch_execnz .LBB921_24
	s_branch .LBB921_25
.LBB921_52:
	s_and_b32 vcc_lo, exec_lo, s6
	s_cbranch_vccz .LBB921_56
; %bb.53:
	s_mov_b32 s0, exec_lo
	v_cmpx_eq_u32_e32 0, v0
	s_cbranch_execz .LBB921_55
; %bb.54:
	s_lshl_b64 s[4:5], s[2:3], 2
	v_mov_b32_e32 v0, 0
	s_add_u32 s4, s22, s4
	s_addc_u32 s5, s23, s5
	global_store_b32 v0, v21, s[4:5]
.LBB921_55:
	s_or_b32 exec_lo, exec_lo, s0
	s_mov_b32 s5, s1
.LBB921_56:
	v_cmp_eq_u32_e32 vcc_lo, 0, v0
	s_xor_b32 s0, s5, -1
	s_delay_alu instid0(SALU_CYCLE_1) | instskip(NEXT) | instid1(SALU_CYCLE_1)
	s_and_b32 s0, vcc_lo, s0
	s_and_saveexec_b32 s1, s0
	s_cbranch_execz .LBB921_58
; %bb.57:
	s_lshl_b64 s[0:1], s[2:3], 2
	v_mov_b32_e32 v0, 0
	s_waitcnt lgkmcnt(0)
	s_add_u32 s0, s22, s0
	s_addc_u32 s1, s23, s1
	global_store_b32 v0, v21, s[0:1]
.LBB921_58:
	s_nop 0
	s_sendmsg sendmsg(MSG_DEALLOC_VGPRS)
	s_endpgm
	.section	.rodata,"a",@progbits
	.p2align	6, 0x0
	.amdhsa_kernel _ZN2at4cuda3cub15calc_block_sumsILi512ELi16ELb1EN3c108BFloat16EiEEvPKT2_PT3_li
		.amdhsa_group_segment_fixed_size 64
		.amdhsa_private_segment_fixed_size 0
		.amdhsa_kernarg_size 28
		.amdhsa_user_sgpr_count 15
		.amdhsa_user_sgpr_dispatch_ptr 0
		.amdhsa_user_sgpr_queue_ptr 0
		.amdhsa_user_sgpr_kernarg_segment_ptr 1
		.amdhsa_user_sgpr_dispatch_id 0
		.amdhsa_user_sgpr_private_segment_size 0
		.amdhsa_wavefront_size32 1
		.amdhsa_uses_dynamic_stack 0
		.amdhsa_enable_private_segment 0
		.amdhsa_system_sgpr_workgroup_id_x 1
		.amdhsa_system_sgpr_workgroup_id_y 0
		.amdhsa_system_sgpr_workgroup_id_z 0
		.amdhsa_system_sgpr_workgroup_info 0
		.amdhsa_system_vgpr_workitem_id 0
		.amdhsa_next_free_vgpr 41
		.amdhsa_next_free_sgpr 28
		.amdhsa_reserve_vcc 1
		.amdhsa_float_round_mode_32 0
		.amdhsa_float_round_mode_16_64 0
		.amdhsa_float_denorm_mode_32 3
		.amdhsa_float_denorm_mode_16_64 3
		.amdhsa_dx10_clamp 1
		.amdhsa_ieee_mode 1
		.amdhsa_fp16_overflow 0
		.amdhsa_workgroup_processor_mode 1
		.amdhsa_memory_ordered 1
		.amdhsa_forward_progress 0
		.amdhsa_shared_vgpr_count 0
		.amdhsa_exception_fp_ieee_invalid_op 0
		.amdhsa_exception_fp_denorm_src 0
		.amdhsa_exception_fp_ieee_div_zero 0
		.amdhsa_exception_fp_ieee_overflow 0
		.amdhsa_exception_fp_ieee_underflow 0
		.amdhsa_exception_fp_ieee_inexact 0
		.amdhsa_exception_int_div_zero 0
	.end_amdhsa_kernel
	.section	.text._ZN2at4cuda3cub15calc_block_sumsILi512ELi16ELb1EN3c108BFloat16EiEEvPKT2_PT3_li,"axG",@progbits,_ZN2at4cuda3cub15calc_block_sumsILi512ELi16ELb1EN3c108BFloat16EiEEvPKT2_PT3_li,comdat
.Lfunc_end921:
	.size	_ZN2at4cuda3cub15calc_block_sumsILi512ELi16ELb1EN3c108BFloat16EiEEvPKT2_PT3_li, .Lfunc_end921-_ZN2at4cuda3cub15calc_block_sumsILi512ELi16ELb1EN3c108BFloat16EiEEvPKT2_PT3_li
                                        ; -- End function
	.section	.AMDGPU.csdata,"",@progbits
; Kernel info:
; codeLenInByte = 3660
; NumSgprs: 30
; NumVgprs: 41
; ScratchSize: 0
; MemoryBound: 0
; FloatMode: 240
; IeeeMode: 1
; LDSByteSize: 64 bytes/workgroup (compile time only)
; SGPRBlocks: 3
; VGPRBlocks: 5
; NumSGPRsForWavesPerEU: 30
; NumVGPRsForWavesPerEU: 41
; Occupancy: 16
; WaveLimiterHint : 1
; COMPUTE_PGM_RSRC2:SCRATCH_EN: 0
; COMPUTE_PGM_RSRC2:USER_SGPR: 15
; COMPUTE_PGM_RSRC2:TRAP_HANDLER: 0
; COMPUTE_PGM_RSRC2:TGID_X_EN: 1
; COMPUTE_PGM_RSRC2:TGID_Y_EN: 0
; COMPUTE_PGM_RSRC2:TGID_Z_EN: 0
; COMPUTE_PGM_RSRC2:TIDIG_COMP_CNT: 0
	.section	.text._ZN2at6native12_GLOBAL__N_111flag_kernelILi512ELi16EN3c108BFloat16EEEvPKT1_PlPKllli,"axG",@progbits,_ZN2at6native12_GLOBAL__N_111flag_kernelILi512ELi16EN3c108BFloat16EEEvPKT1_PlPKllli,comdat
	.globl	_ZN2at6native12_GLOBAL__N_111flag_kernelILi512ELi16EN3c108BFloat16EEEvPKT1_PlPKllli ; -- Begin function _ZN2at6native12_GLOBAL__N_111flag_kernelILi512ELi16EN3c108BFloat16EEEvPKT1_PlPKllli
	.p2align	8
	.type	_ZN2at6native12_GLOBAL__N_111flag_kernelILi512ELi16EN3c108BFloat16EEEvPKT1_PlPKllli,@function
_ZN2at6native12_GLOBAL__N_111flag_kernelILi512ELi16EN3c108BFloat16EEEvPKT1_PlPKllli: ; @_ZN2at6native12_GLOBAL__N_111flag_kernelILi512ELi16EN3c108BFloat16EEEvPKT1_PlPKllli
; %bb.0:
	s_clause 0x1
	s_load_b32 s14, s[0:1], 0x28
	s_load_b256 s[4:11], s[0:1], 0x0
	s_waitcnt lgkmcnt(0)
	s_lshl_b32 s2, s14, 13
	s_delay_alu instid0(SALU_CYCLE_1) | instskip(SKIP_4) | instid1(SALU_CYCLE_1)
	s_ashr_i32 s3, s2, 31
	s_mul_hi_u32 s12, s2, s15
	s_mul_i32 s3, s3, s15
	s_mul_i32 s28, s2, s15
	s_add_i32 s29, s12, s3
	v_cmp_le_i64_e64 s2, s[10:11], s[28:29]
	s_delay_alu instid0(VALU_DEP_1)
	s_and_b32 vcc_lo, exec_lo, s2
	s_cbranch_vccnz .LBB922_100
; %bb.1:
	s_load_b64 s[2:3], s[0:1], 0x20
	s_cmp_eq_u32 s15, 0
	s_mov_b32 s13, 0
	s_cbranch_scc1 .LBB922_3
; %bb.2:
	s_add_i32 s12, s15, -1
	s_delay_alu instid0(SALU_CYCLE_1) | instskip(NEXT) | instid1(SALU_CYCLE_1)
	s_lshl_b64 s[12:13], s[12:13], 3
	s_add_u32 s8, s8, s12
	s_addc_u32 s9, s9, s13
	s_load_b64 s[8:9], s[8:9], 0x0
	s_cmp_lt_i32 s14, 1
	s_cbranch_scc0 .LBB922_4
	s_branch .LBB922_100
.LBB922_3:
	s_mov_b64 s[8:9], 0
	s_cmp_lt_i32 s14, 1
	s_cbranch_scc1 .LBB922_100
.LBB922_4:
	s_lshl_b64 s[12:13], s[28:29], 1
	v_mbcnt_lo_u32_b32 v2, -1, 0
	s_add_u32 s33, s4, s12
	s_addc_u32 s36, s5, s13
	s_waitcnt lgkmcnt(0)
	s_sub_u32 s30, s2, s8
	s_subb_u32 s31, s3, s9
	v_dual_mov_b32 v1, 0 :: v_dual_and_b32 v4, 0x3e0, v0
	v_and_b32_e32 v5, 15, v2
	s_sub_u32 s34, s10, s28
	s_subb_u32 s35, s11, s29
	s_lshl_b64 s[2:3], s[8:9], 3
	v_min_u32_e32 v7, 0x1e0, v4
	s_add_u32 s37, s6, s2
	s_addc_u32 s38, s7, s3
	v_cmp_eq_u32_e64 s2, 0, v5
	v_cmp_lt_u32_e64 s3, 1, v5
	v_cmp_lt_u32_e64 s4, 3, v5
	;; [unrolled: 1-line block ×3, first 2 shown]
	v_add_nc_u32_e32 v5, -1, v2
	v_lshlrev_b32_e32 v3, 4, v0
	v_or_b32_e32 v7, 31, v7
	v_and_b32_e32 v8, 16, v2
	v_lshrrev_b32_e32 v9, 3, v0
	v_cmp_gt_i32_e32 vcc_lo, 0, v5
	v_and_b32_e32 v6, 0x3e00, v3
	v_cmp_eq_u32_e64 s7, v7, v0
	v_lshrrev_b32_e32 v7, 1, v0
	v_cmp_eq_u32_e64 s6, 0, v8
	v_cndmask_b32_e32 v5, v5, v2, vcc_lo
	v_or_b32_e32 v8, 0x800, v0
	v_and_b32_e32 v21, 0x7c, v9
	v_add_lshl_u32 v25, v7, v3, 2
	v_or_b32_e32 v3, 0x400, v0
	v_lshlrev_b32_e32 v24, 2, v5
	v_add_nc_u32_e32 v5, 0x200, v0
	v_add_nc_u32_e32 v7, 0x600, v0
	v_lshlrev_b32_e32 v22, 2, v0
	v_lshrrev_b32_e32 v3, 3, v3
	v_add_nc_u32_e32 v9, 0xa00, v0
	v_lshrrev_b32_e32 v5, 3, v5
	v_lshrrev_b32_e32 v7, 3, v7
	;; [unrolled: 1-line block ×3, first 2 shown]
	v_and_b32_e32 v3, 0xfc, v3
	v_lshrrev_b32_e32 v9, 3, v9
	v_and_b32_e32 v5, 0xfc, v5
	v_or_b32_e32 v39, v2, v6
	v_or_b32_e32 v4, v2, v4
	v_add_nc_u32_e32 v28, v22, v3
	v_or_b32_e32 v3, 0xc00, v0
	v_add_nc_u32_e32 v27, v22, v5
	v_and_b32_e32 v5, 0x1fc, v7
	v_and_b32_e32 v7, 0x17c, v8
	;; [unrolled: 1-line block ×3, first 2 shown]
	v_lshrrev_b32_e32 v3, 3, v3
	v_or_b32_e32 v9, 0x1400, v0
	v_add_nc_u32_e32 v29, v22, v5
	v_add_nc_u32_e32 v30, v22, v7
	;; [unrolled: 1-line block ×3, first 2 shown]
	v_or_b32_e32 v7, 0x1000, v0
	v_add_nc_u32_e32 v31, v22, v8
	v_add_nc_u32_e32 v8, 0x1200, v0
	v_and_b32_e32 v3, 0x1fc, v3
	v_lshrrev_b32_e32 v5, 3, v5
	v_lshrrev_b32_e32 v7, 3, v7
	;; [unrolled: 1-line block ×4, first 2 shown]
	v_add_nc_u32_e32 v32, v22, v3
	v_and_b32_e32 v5, 0x3fc, v5
	v_and_b32_e32 v3, 0x27c, v7
	v_or_b32_e32 v43, 32, v39
	v_and_b32_e32 v7, 0x2fc, v8
	v_and_b32_e32 v8, 0x2fc, v9
	v_add_nc_u32_e32 v33, v22, v5
	v_add_nc_u32_e32 v5, 0x1600, v0
	;; [unrolled: 1-line block ×3, first 2 shown]
	v_or_b32_e32 v3, 0x1800, v0
	v_add_nc_u32_e32 v35, v22, v7
	v_add_nc_u32_e32 v36, v22, v8
	v_lshrrev_b32_e32 v5, 3, v5
	v_add_nc_u32_e32 v7, 0x1a00, v0
	v_or_b32_e32 v8, 0x1c00, v0
	v_lshrrev_b32_e32 v3, 3, v3
	v_add_nc_u32_e32 v9, 0x1e00, v0
	v_and_b32_e32 v5, 0x3fc, v5
	v_lshrrev_b32_e32 v7, 3, v7
	v_lshrrev_b32_e32 v8, 3, v8
	v_and_b32_e32 v3, 0x37c, v3
	v_lshrrev_b32_e32 v9, 3, v9
	v_add_nc_u32_e32 v37, v22, v5
	v_and_b32_e32 v5, 0x3fc, v7
	v_and_b32_e32 v7, 0x3fc, v8
	v_add_nc_u32_e32 v38, v22, v3
	v_or_b32_e32 v44, 64, v39
	v_or_b32_e32 v45, 0x60, v39
	v_lshrrev_b32_e32 v3, 5, v6
	v_and_b32_e32 v8, 0x7fc, v9
	v_add_nc_u32_e32 v40, v22, v5
	v_add_nc_u32_e32 v41, v22, v7
	v_or_b32_e32 v46, 0x80, v39
	v_or_b32_e32 v47, 0xa0, v39
	v_or_b32_e32 v48, 0xc0, v39
	v_or_b32_e32 v50, 0x100, v39
	v_lshrrev_b32_e32 v5, 5, v43
	v_lshrrev_b32_e32 v7, 5, v44
	v_add_lshl_u32 v58, v3, v39, 2
	v_lshrrev_b32_e32 v3, 5, v45
	v_add_nc_u32_e32 v42, v22, v8
	v_or_b32_e32 v49, 0xe0, v39
	v_or_b32_e32 v51, 0x120, v39
	;; [unrolled: 1-line block ×4, first 2 shown]
	v_add_lshl_u32 v59, v5, v43, 2
	v_add_lshl_u32 v60, v7, v44, 2
	v_lshrrev_b32_e32 v5, 5, v46
	v_lshrrev_b32_e32 v7, 5, v47
	;; [unrolled: 1-line block ×3, first 2 shown]
	v_add_lshl_u32 v61, v3, v45, 2
	v_lshrrev_b32_e32 v3, 5, v50
	v_or_b32_e32 v54, 0x180, v39
	v_or_b32_e32 v55, 0x1a0, v39
	;; [unrolled: 1-line block ×4, first 2 shown]
	v_lshrrev_b32_e32 v9, 5, v49
	v_add_lshl_u32 v62, v5, v46, 2
	v_add_lshl_u32 v63, v7, v47, 2
	;; [unrolled: 1-line block ×3, first 2 shown]
	v_lshrrev_b32_e32 v5, 5, v51
	v_lshrrev_b32_e32 v7, 5, v52
	;; [unrolled: 1-line block ×3, first 2 shown]
	v_add_lshl_u32 v66, v3, v50, 2
	v_lshlrev_b32_e32 v3, 4, v4
	v_bfe_u32 v4, v4, 1, 27
	v_add_lshl_u32 v65, v9, v49, 2
	v_add_lshl_u32 v67, v5, v51, 2
	;; [unrolled: 1-line block ×4, first 2 shown]
	v_lshrrev_b32_e32 v5, 5, v54
	v_lshrrev_b32_e32 v7, 5, v55
	;; [unrolled: 1-line block ×4, first 2 shown]
	v_add_lshl_u32 v70, v4, v3, 2
	v_cmp_gt_u32_e64 s8, 16, v0
	v_cmp_lt_u32_e64 s9, 31, v0
	v_add_nc_u32_e32 v23, -4, v21
	v_cmp_eq_u32_e64 s10, 0, v2
	v_cmp_eq_u32_e64 s11, 0, v0
	v_add_nc_u32_e32 v26, v22, v21
	v_add_lshl_u32 v71, v5, v54, 2
	v_add_lshl_u32 v72, v7, v55, 2
	;; [unrolled: 1-line block ×4, first 2 shown]
	v_add_nc_u32_e32 v75, 56, v70
	v_add_nc_u32_e32 v76, 48, v70
	;; [unrolled: 1-line block ×7, first 2 shown]
	v_lshlrev_b32_e32 v82, 1, v2
	v_lshlrev_b32_e32 v83, 1, v6
	s_add_u32 s0, s0, 48
	s_addc_u32 s1, s1, 0
	s_add_i32 s39, s14, -1
	s_mov_b32 s12, 0
	s_branch .LBB922_6
.LBB922_5:                              ;   in Loop: Header=BB922_6 Depth=1
	s_cmp_eq_u32 s39, 0
	s_cselect_b32 s14, -1, 0
	s_delay_alu instid0(SALU_CYCLE_1)
	s_or_b32 s13, s13, s14
	s_add_u32 s34, s34, 0xffffe000
	s_addc_u32 s35, s35, -1
	s_and_not1_b32 vcc_lo, exec_lo, s13
	s_add_i32 s39, s39, -1
	s_cbranch_vccz .LBB922_100
.LBB922_6:                              ; =>This Inner Loop Header: Depth=1
	v_cmp_gt_i64_e64 s13, 0x2000, s[34:35]
	s_delay_alu instid0(VALU_DEP_1)
	s_and_b32 vcc_lo, exec_lo, s13
	s_mov_b32 s13, -1
	s_cbranch_vccz .LBB922_25
; %bb.7:                                ;   in Loop: Header=BB922_6 Depth=1
	v_add_co_u32 v2, s13, s33, v82
	s_delay_alu instid0(VALU_DEP_1) | instskip(SKIP_1) | instid1(VALU_DEP_2)
	v_add_co_ci_u32_e64 v3, null, s36, 0, s13
	s_mov_b32 s13, s12
	v_add_co_u32 v18, vcc_lo, v2, v83
	s_mov_b32 s14, s12
	s_mov_b32 s15, s12
	;; [unrolled: 1-line block ×14, first 2 shown]
	v_add_co_ci_u32_e32 v19, vcc_lo, 0, v3, vcc_lo
	v_dual_mov_b32 v2, s12 :: v_dual_mov_b32 v3, s13
	v_dual_mov_b32 v4, s14 :: v_dual_mov_b32 v5, s15
	;; [unrolled: 1-line block ×8, first 2 shown]
	v_mov_b32_e32 v2, 0
	s_mov_b32 s13, exec_lo
	v_cmpx_gt_u32_e64 s34, v39
	s_cbranch_execnz .LBB922_85
; %bb.8:                                ;   in Loop: Header=BB922_6 Depth=1
	s_or_b32 exec_lo, exec_lo, s13
	s_delay_alu instid0(SALU_CYCLE_1)
	s_mov_b32 s13, exec_lo
	v_cmpx_gt_u32_e64 s34, v43
	s_cbranch_execnz .LBB922_86
.LBB922_9:                              ;   in Loop: Header=BB922_6 Depth=1
	s_or_b32 exec_lo, exec_lo, s13
	s_delay_alu instid0(SALU_CYCLE_1)
	s_mov_b32 s13, exec_lo
	v_cmpx_gt_u32_e64 s34, v44
	s_cbranch_execnz .LBB922_87
.LBB922_10:                             ;   in Loop: Header=BB922_6 Depth=1
	s_or_b32 exec_lo, exec_lo, s13
	s_delay_alu instid0(SALU_CYCLE_1)
	s_mov_b32 s13, exec_lo
	v_cmpx_gt_u32_e64 s34, v45
	s_cbranch_execnz .LBB922_88
.LBB922_11:                             ;   in Loop: Header=BB922_6 Depth=1
	s_or_b32 exec_lo, exec_lo, s13
	s_delay_alu instid0(SALU_CYCLE_1)
	s_mov_b32 s13, exec_lo
	v_cmpx_gt_u32_e64 s34, v46
	s_cbranch_execnz .LBB922_89
.LBB922_12:                             ;   in Loop: Header=BB922_6 Depth=1
	s_or_b32 exec_lo, exec_lo, s13
	s_delay_alu instid0(SALU_CYCLE_1)
	s_mov_b32 s13, exec_lo
	v_cmpx_gt_u32_e64 s34, v47
	s_cbranch_execnz .LBB922_90
.LBB922_13:                             ;   in Loop: Header=BB922_6 Depth=1
	s_or_b32 exec_lo, exec_lo, s13
	s_delay_alu instid0(SALU_CYCLE_1)
	s_mov_b32 s13, exec_lo
	v_cmpx_gt_u32_e64 s34, v48
	s_cbranch_execnz .LBB922_91
.LBB922_14:                             ;   in Loop: Header=BB922_6 Depth=1
	s_or_b32 exec_lo, exec_lo, s13
	s_delay_alu instid0(SALU_CYCLE_1)
	s_mov_b32 s13, exec_lo
	v_cmpx_gt_u32_e64 s34, v49
	s_cbranch_execnz .LBB922_92
.LBB922_15:                             ;   in Loop: Header=BB922_6 Depth=1
	s_or_b32 exec_lo, exec_lo, s13
	s_delay_alu instid0(SALU_CYCLE_1)
	s_mov_b32 s13, exec_lo
	v_cmpx_gt_u32_e64 s34, v50
	s_cbranch_execnz .LBB922_93
.LBB922_16:                             ;   in Loop: Header=BB922_6 Depth=1
	s_or_b32 exec_lo, exec_lo, s13
	s_delay_alu instid0(SALU_CYCLE_1)
	s_mov_b32 s13, exec_lo
	v_cmpx_gt_u32_e64 s34, v51
	s_cbranch_execnz .LBB922_94
.LBB922_17:                             ;   in Loop: Header=BB922_6 Depth=1
	s_or_b32 exec_lo, exec_lo, s13
	s_delay_alu instid0(SALU_CYCLE_1)
	s_mov_b32 s13, exec_lo
	v_cmpx_gt_u32_e64 s34, v52
	s_cbranch_execnz .LBB922_95
.LBB922_18:                             ;   in Loop: Header=BB922_6 Depth=1
	s_or_b32 exec_lo, exec_lo, s13
	s_delay_alu instid0(SALU_CYCLE_1)
	s_mov_b32 s13, exec_lo
	v_cmpx_gt_u32_e64 s34, v53
	s_cbranch_execnz .LBB922_96
.LBB922_19:                             ;   in Loop: Header=BB922_6 Depth=1
	s_or_b32 exec_lo, exec_lo, s13
	s_delay_alu instid0(SALU_CYCLE_1)
	s_mov_b32 s13, exec_lo
	v_cmpx_gt_u32_e64 s34, v54
	s_cbranch_execnz .LBB922_97
.LBB922_20:                             ;   in Loop: Header=BB922_6 Depth=1
	s_or_b32 exec_lo, exec_lo, s13
	s_delay_alu instid0(SALU_CYCLE_1)
	s_mov_b32 s13, exec_lo
	v_cmpx_gt_u32_e64 s34, v55
	s_cbranch_execnz .LBB922_98
.LBB922_21:                             ;   in Loop: Header=BB922_6 Depth=1
	s_or_b32 exec_lo, exec_lo, s13
	s_delay_alu instid0(SALU_CYCLE_1)
	s_mov_b32 s13, exec_lo
	v_cmpx_gt_u32_e64 s34, v56
	s_cbranch_execnz .LBB922_99
.LBB922_22:                             ;   in Loop: Header=BB922_6 Depth=1
	s_or_b32 exec_lo, exec_lo, s13
	s_delay_alu instid0(SALU_CYCLE_1)
	s_mov_b32 s13, exec_lo
	v_cmpx_gt_u32_e64 s34, v57
	s_cbranch_execz .LBB922_24
.LBB922_23:                             ;   in Loop: Header=BB922_6 Depth=1
	global_load_u16 v17, v[18:19], off offset:960
	s_waitcnt vmcnt(0)
	v_and_b32_e32 v17, 0x7fff, v17
	s_delay_alu instid0(VALU_DEP_1)
	v_cmp_ne_u16_e32 vcc_lo, 0, v17
	v_cndmask_b32_e64 v17, 0, 1, vcc_lo
.LBB922_24:                             ;   in Loop: Header=BB922_6 Depth=1
	s_or_b32 exec_lo, exec_lo, s13
	s_mov_b32 s13, 0
	ds_store_b32 v58, v2
	ds_store_b32 v59, v3
	ds_store_b32 v60, v4
	ds_store_b32 v61, v5
	ds_store_b32 v62, v6
	ds_store_b32 v63, v7
	ds_store_b32 v64, v8
	ds_store_b32 v65, v9
	ds_store_b32 v66, v10
	ds_store_b32 v67, v11
	ds_store_b32 v68, v12
	ds_store_b32 v69, v13
	ds_store_b32 v71, v14
	ds_store_b32 v72, v15
	ds_store_b32 v73, v16
	ds_store_b32 v74, v17
	; wave barrier
.LBB922_25:                             ;   in Loop: Header=BB922_6 Depth=1
	s_and_b32 vcc_lo, exec_lo, s13
	s_cbranch_vccz .LBB922_27
; %bb.26:                               ;   in Loop: Header=BB922_6 Depth=1
	v_add_co_u32 v2, s13, s33, v82
	s_delay_alu instid0(VALU_DEP_1) | instskip(NEXT) | instid1(VALU_DEP_2)
	v_add_co_ci_u32_e64 v3, null, s36, 0, s13
	v_add_co_u32 v2, vcc_lo, v2, v83
	s_delay_alu instid0(VALU_DEP_2)
	v_add_co_ci_u32_e32 v3, vcc_lo, 0, v3, vcc_lo
	s_clause 0xf
	global_load_u16 v4, v[2:3], off
	global_load_u16 v5, v[2:3], off offset:64
	global_load_u16 v6, v[2:3], off offset:128
	;; [unrolled: 1-line block ×15, first 2 shown]
	s_waitcnt vmcnt(15)
	v_and_b32_e32 v3, 0x7fff, v4
	s_waitcnt vmcnt(14)
	v_and_b32_e32 v4, 0x7fff, v5
	;; [unrolled: 2-line block ×5, first 2 shown]
	v_cmp_ne_u16_e32 vcc_lo, 0, v3
	s_waitcnt vmcnt(10)
	v_and_b32_e32 v8, 0x7fff, v9
	s_waitcnt vmcnt(9)
	v_and_b32_e32 v9, 0x7fff, v10
	s_waitcnt vmcnt(8)
	v_and_b32_e32 v10, 0x7fff, v11
	s_waitcnt vmcnt(7)
	v_and_b32_e32 v11, 0x7fff, v12
	v_cndmask_b32_e64 v3, 0, 1, vcc_lo
	v_cmp_ne_u16_e32 vcc_lo, 0, v4
	s_waitcnt vmcnt(6)
	v_and_b32_e32 v12, 0x7fff, v13
	s_waitcnt vmcnt(5)
	v_and_b32_e32 v13, 0x7fff, v14
	;; [unrolled: 2-line block ×4, first 2 shown]
	v_cndmask_b32_e64 v4, 0, 1, vcc_lo
	v_cmp_ne_u16_e32 vcc_lo, 0, v5
	s_waitcnt vmcnt(2)
	v_and_b32_e32 v16, 0x7fff, v17
	s_waitcnt vmcnt(1)
	v_and_b32_e32 v17, 0x7fff, v18
	;; [unrolled: 2-line block ×3, first 2 shown]
	v_cndmask_b32_e64 v5, 0, 1, vcc_lo
	v_cmp_ne_u16_e32 vcc_lo, 0, v6
	v_cndmask_b32_e64 v6, 0, 1, vcc_lo
	v_cmp_ne_u16_e32 vcc_lo, 0, v7
	v_cndmask_b32_e64 v7, 0, 1, vcc_lo
	v_cmp_ne_u16_e32 vcc_lo, 0, v8
	v_cndmask_b32_e64 v8, 0, 1, vcc_lo
	v_cmp_ne_u16_e32 vcc_lo, 0, v9
	v_cndmask_b32_e64 v9, 0, 1, vcc_lo
	v_cmp_ne_u16_e32 vcc_lo, 0, v10
	v_cndmask_b32_e64 v10, 0, 1, vcc_lo
	v_cmp_ne_u16_e32 vcc_lo, 0, v11
	v_cndmask_b32_e64 v11, 0, 1, vcc_lo
	v_cmp_ne_u16_e32 vcc_lo, 0, v12
	v_cndmask_b32_e64 v12, 0, 1, vcc_lo
	v_cmp_ne_u16_e32 vcc_lo, 0, v13
	v_cndmask_b32_e64 v13, 0, 1, vcc_lo
	v_cmp_ne_u16_e32 vcc_lo, 0, v14
	v_cndmask_b32_e64 v14, 0, 1, vcc_lo
	v_cmp_ne_u16_e32 vcc_lo, 0, v15
	v_cndmask_b32_e64 v15, 0, 1, vcc_lo
	v_cmp_ne_u16_e32 vcc_lo, 0, v16
	v_cndmask_b32_e64 v16, 0, 1, vcc_lo
	v_cmp_ne_u16_e32 vcc_lo, 0, v17
	v_cndmask_b32_e64 v17, 0, 1, vcc_lo
	v_cmp_ne_u16_e32 vcc_lo, 0, v2
	v_cndmask_b32_e64 v2, 0, 1, vcc_lo
	ds_store_b32 v58, v3
	ds_store_b32 v59, v4
	;; [unrolled: 1-line block ×16, first 2 shown]
	; wave barrier
.LBB922_27:                             ;   in Loop: Header=BB922_6 Depth=1
	ds_load_2addr_b32 v[16:17], v70 offset1:1
	ds_load_2addr_b32 v[12:13], v81 offset1:1
	;; [unrolled: 1-line block ×6, first 2 shown]
	s_waitcnt lgkmcnt(5)
	v_add_nc_u32_e32 v2, v17, v16
	s_waitcnt lgkmcnt(4)
	s_delay_alu instid0(VALU_DEP_1) | instskip(SKIP_1) | instid1(VALU_DEP_1)
	v_add3_u32 v2, v2, v12, v13
	s_waitcnt lgkmcnt(3)
	v_add3_u32 v18, v2, v8, v9
	ds_load_2addr_b32 v[4:5], v76 offset1:1
	ds_load_2addr_b32 v[2:3], v75 offset1:1
	s_waitcnt lgkmcnt(0)
	s_waitcnt_vscnt null, 0x0
	s_barrier
	buffer_gl0_inv
	v_add3_u32 v18, v18, v6, v7
	s_delay_alu instid0(VALU_DEP_1) | instskip(NEXT) | instid1(VALU_DEP_1)
	v_add3_u32 v18, v18, v14, v15
	v_add3_u32 v18, v18, v10, v11
	s_delay_alu instid0(VALU_DEP_1) | instskip(NEXT) | instid1(VALU_DEP_1)
	v_add3_u32 v18, v18, v4, v5
	v_add3_u32 v18, v18, v2, v3
	s_delay_alu instid0(VALU_DEP_1) | instskip(NEXT) | instid1(VALU_DEP_1)
	v_mov_b32_dpp v19, v18 row_shr:1 row_mask:0xf bank_mask:0xf
	v_cndmask_b32_e64 v19, v19, 0, s2
	s_delay_alu instid0(VALU_DEP_1) | instskip(NEXT) | instid1(VALU_DEP_1)
	v_add_nc_u32_e32 v18, v18, v19
	v_mov_b32_dpp v19, v18 row_shr:2 row_mask:0xf bank_mask:0xf
	s_delay_alu instid0(VALU_DEP_1) | instskip(NEXT) | instid1(VALU_DEP_1)
	v_cndmask_b32_e64 v19, 0, v19, s3
	v_add_nc_u32_e32 v18, v18, v19
	s_delay_alu instid0(VALU_DEP_1) | instskip(NEXT) | instid1(VALU_DEP_1)
	v_mov_b32_dpp v19, v18 row_shr:4 row_mask:0xf bank_mask:0xf
	v_cndmask_b32_e64 v19, 0, v19, s4
	s_delay_alu instid0(VALU_DEP_1) | instskip(NEXT) | instid1(VALU_DEP_1)
	v_add_nc_u32_e32 v18, v18, v19
	v_mov_b32_dpp v19, v18 row_shr:8 row_mask:0xf bank_mask:0xf
	s_delay_alu instid0(VALU_DEP_1) | instskip(NEXT) | instid1(VALU_DEP_1)
	v_cndmask_b32_e64 v19, 0, v19, s5
	v_add_nc_u32_e32 v18, v18, v19
	ds_swizzle_b32 v19, v18 offset:swizzle(BROADCAST,32,15)
	s_waitcnt lgkmcnt(0)
	v_cndmask_b32_e64 v19, v19, 0, s6
	s_delay_alu instid0(VALU_DEP_1)
	v_add_nc_u32_e32 v18, v18, v19
	s_and_saveexec_b32 s13, s7
	s_cbranch_execz .LBB922_29
; %bb.28:                               ;   in Loop: Header=BB922_6 Depth=1
	ds_store_b32 v21, v18
.LBB922_29:                             ;   in Loop: Header=BB922_6 Depth=1
	s_or_b32 exec_lo, exec_lo, s13
	s_waitcnt lgkmcnt(0)
	s_barrier
	buffer_gl0_inv
	s_and_saveexec_b32 s13, s8
	s_cbranch_execz .LBB922_31
; %bb.30:                               ;   in Loop: Header=BB922_6 Depth=1
	ds_load_b32 v19, v22
	s_waitcnt lgkmcnt(0)
	v_mov_b32_dpp v20, v19 row_shr:1 row_mask:0xf bank_mask:0xf
	s_delay_alu instid0(VALU_DEP_1) | instskip(NEXT) | instid1(VALU_DEP_1)
	v_cndmask_b32_e64 v20, v20, 0, s2
	v_add_nc_u32_e32 v19, v20, v19
	s_delay_alu instid0(VALU_DEP_1) | instskip(NEXT) | instid1(VALU_DEP_1)
	v_mov_b32_dpp v20, v19 row_shr:2 row_mask:0xf bank_mask:0xf
	v_cndmask_b32_e64 v20, 0, v20, s3
	s_delay_alu instid0(VALU_DEP_1) | instskip(NEXT) | instid1(VALU_DEP_1)
	v_add_nc_u32_e32 v19, v19, v20
	v_mov_b32_dpp v20, v19 row_shr:4 row_mask:0xf bank_mask:0xf
	s_delay_alu instid0(VALU_DEP_1) | instskip(NEXT) | instid1(VALU_DEP_1)
	v_cndmask_b32_e64 v20, 0, v20, s4
	v_add_nc_u32_e32 v19, v19, v20
	s_delay_alu instid0(VALU_DEP_1) | instskip(NEXT) | instid1(VALU_DEP_1)
	v_mov_b32_dpp v20, v19 row_shr:8 row_mask:0xf bank_mask:0xf
	v_cndmask_b32_e64 v20, 0, v20, s5
	s_delay_alu instid0(VALU_DEP_1)
	v_add_nc_u32_e32 v19, v19, v20
	ds_store_b32 v22, v19
.LBB922_31:                             ;   in Loop: Header=BB922_6 Depth=1
	s_or_b32 exec_lo, exec_lo, s13
	v_mov_b32_e32 v19, 0
	s_waitcnt lgkmcnt(0)
	s_barrier
	buffer_gl0_inv
	s_and_saveexec_b32 s13, s9
	s_cbranch_execz .LBB922_33
; %bb.32:                               ;   in Loop: Header=BB922_6 Depth=1
	ds_load_b32 v19, v23
.LBB922_33:                             ;   in Loop: Header=BB922_6 Depth=1
	s_or_b32 exec_lo, exec_lo, s13
	s_waitcnt lgkmcnt(0)
	v_add_nc_u32_e32 v18, v19, v18
	ds_bpermute_b32 v18, v24, v18
	s_and_saveexec_b32 s13, s11
	s_cbranch_execz .LBB922_35
; %bb.34:                               ;   in Loop: Header=BB922_6 Depth=1
	ds_load_b32 v20, v1 offset:60
	s_waitcnt lgkmcnt(0)
	ds_store_b32 v1, v20 offset:33792
.LBB922_35:                             ;   in Loop: Header=BB922_6 Depth=1
	s_or_b32 exec_lo, exec_lo, s13
	s_waitcnt lgkmcnt(0)
	v_cndmask_b32_e64 v18, v18, v19, s10
	s_barrier
	buffer_gl0_inv
	ds_store_2addr_b32 v25, v16, v17 offset1:1
	ds_store_2addr_b32 v25, v12, v13 offset0:2 offset1:3
	ds_store_2addr_b32 v25, v8, v9 offset0:4 offset1:5
	;; [unrolled: 1-line block ×3, first 2 shown]
	v_cndmask_b32_e64 v18, v18, 0, s11
	ds_store_2addr_b32 v25, v14, v15 offset0:8 offset1:9
	ds_store_2addr_b32 v25, v10, v11 offset0:10 offset1:11
	;; [unrolled: 1-line block ×4, first 2 shown]
	s_waitcnt lgkmcnt(0)
	s_barrier
	buffer_gl0_inv
	v_add_nc_u32_e32 v19, v18, v16
	ds_load_b32 v108, v26
	ds_load_b32 v98, v27 offset:2048
	ds_load_b32 v97, v28 offset:4096
	;; [unrolled: 1-line block ×15, first 2 shown]
	s_waitcnt lgkmcnt(0)
	s_barrier
	v_add_nc_u32_e32 v20, v19, v17
	buffer_gl0_inv
	v_add_nc_u32_e32 v99, v20, v12
	s_delay_alu instid0(VALU_DEP_1) | instskip(NEXT) | instid1(VALU_DEP_1)
	v_add_nc_u32_e32 v100, v99, v13
	v_add_nc_u32_e32 v101, v100, v8
	s_delay_alu instid0(VALU_DEP_1) | instskip(NEXT) | instid1(VALU_DEP_1)
	v_add_nc_u32_e32 v102, v101, v9
	;; [unrolled: 3-line block ×6, first 2 shown]
	v_add_nc_u32_e32 v2, v4, v2
	ds_store_2addr_b32 v25, v18, v19 offset1:1
	ds_store_2addr_b32 v25, v20, v99 offset0:2 offset1:3
	ds_store_2addr_b32 v25, v100, v101 offset0:4 offset1:5
	;; [unrolled: 1-line block ×7, first 2 shown]
	s_waitcnt lgkmcnt(0)
	s_barrier
	buffer_gl0_inv
	ds_load_b32 v18, v27 offset:2048
	ds_load_b32 v17, v28 offset:4096
	;; [unrolled: 1-line block ×15, first 2 shown]
	v_add_co_u32 v2, s13, s28, v0
	s_delay_alu instid0(VALU_DEP_1)
	v_add_co_ci_u32_e64 v3, null, s29, 0, s13
	s_mov_b32 s13, exec_lo
	v_cmpx_ne_u32_e32 0, v108
	s_cbranch_execz .LBB922_38
; %bb.36:                               ;   in Loop: Header=BB922_6 Depth=1
	ds_load_b32 v19, v26
	s_waitcnt lgkmcnt(0)
	v_ashrrev_i32_e32 v20, 31, v19
	s_delay_alu instid0(VALU_DEP_1)
	v_cmp_gt_i64_e32 vcc_lo, s[30:31], v[19:20]
	s_and_b32 exec_lo, exec_lo, vcc_lo
	s_cbranch_execz .LBB922_38
; %bb.37:                               ;   in Loop: Header=BB922_6 Depth=1
	v_lshlrev_b64 v[19:20], 3, v[19:20]
	s_delay_alu instid0(VALU_DEP_1) | instskip(NEXT) | instid1(VALU_DEP_2)
	v_add_co_u32 v19, vcc_lo, s37, v19
	v_add_co_ci_u32_e32 v20, vcc_lo, s38, v20, vcc_lo
	global_store_b64 v[19:20], v[2:3], off
.LBB922_38:                             ;   in Loop: Header=BB922_6 Depth=1
	s_or_b32 exec_lo, exec_lo, s13
	s_delay_alu instid0(SALU_CYCLE_1)
	s_mov_b32 s13, exec_lo
	v_cmpx_ne_u32_e32 0, v98
	s_cbranch_execz .LBB922_41
; %bb.39:                               ;   in Loop: Header=BB922_6 Depth=1
	s_waitcnt lgkmcnt(14)
	v_ashrrev_i32_e32 v19, 31, v18
	s_delay_alu instid0(VALU_DEP_1)
	v_cmp_gt_i64_e32 vcc_lo, s[30:31], v[18:19]
	s_and_b32 exec_lo, exec_lo, vcc_lo
	s_cbranch_execz .LBB922_41
; %bb.40:                               ;   in Loop: Header=BB922_6 Depth=1
	s_load_b32 s14, s[0:1], 0xc
	v_lshlrev_b64 v[18:19], 3, v[18:19]
	s_waitcnt lgkmcnt(0)
	s_and_b32 s14, s14, 0xffff
	s_delay_alu instid0(SALU_CYCLE_1) | instskip(SKIP_1) | instid1(VALU_DEP_3)
	v_add_co_u32 v98, vcc_lo, v2, s14
	v_add_co_ci_u32_e32 v99, vcc_lo, 0, v3, vcc_lo
	v_add_co_u32 v18, vcc_lo, s37, v18
	v_add_co_ci_u32_e32 v19, vcc_lo, s38, v19, vcc_lo
	global_store_b64 v[18:19], v[98:99], off
.LBB922_41:                             ;   in Loop: Header=BB922_6 Depth=1
	s_or_b32 exec_lo, exec_lo, s13
	s_delay_alu instid0(SALU_CYCLE_1)
	s_mov_b32 s13, exec_lo
	v_cmpx_ne_u32_e32 0, v97
	s_cbranch_execz .LBB922_44
; %bb.42:                               ;   in Loop: Header=BB922_6 Depth=1
	s_waitcnt lgkmcnt(13)
	v_ashrrev_i32_e32 v18, 31, v17
	s_delay_alu instid0(VALU_DEP_1)
	v_cmp_gt_i64_e32 vcc_lo, s[30:31], v[17:18]
	s_and_b32 exec_lo, exec_lo, vcc_lo
	s_cbranch_execz .LBB922_44
; %bb.43:                               ;   in Loop: Header=BB922_6 Depth=1
	s_load_b32 s14, s[0:1], 0xc
	v_lshlrev_b64 v[17:18], 3, v[17:18]
	s_waitcnt lgkmcnt(0)
	s_and_b32 s14, s14, 0xffff
	s_delay_alu instid0(SALU_CYCLE_1) | instskip(NEXT) | instid1(SALU_CYCLE_1)
	s_lshl_b32 s14, s14, 1
	v_add_co_u32 v19, vcc_lo, v2, s14
	v_add_co_ci_u32_e32 v20, vcc_lo, 0, v3, vcc_lo
	v_add_co_u32 v17, vcc_lo, s37, v17
	v_add_co_ci_u32_e32 v18, vcc_lo, s38, v18, vcc_lo
	global_store_b64 v[17:18], v[19:20], off
.LBB922_44:                             ;   in Loop: Header=BB922_6 Depth=1
	s_or_b32 exec_lo, exec_lo, s13
	s_delay_alu instid0(SALU_CYCLE_1)
	s_mov_b32 s13, exec_lo
	v_cmpx_ne_u32_e32 0, v96
	s_cbranch_execz .LBB922_47
; %bb.45:                               ;   in Loop: Header=BB922_6 Depth=1
	s_waitcnt lgkmcnt(12)
	v_ashrrev_i32_e32 v17, 31, v16
	s_delay_alu instid0(VALU_DEP_1)
	v_cmp_gt_i64_e32 vcc_lo, s[30:31], v[16:17]
	s_and_b32 exec_lo, exec_lo, vcc_lo
	s_cbranch_execz .LBB922_47
; %bb.46:                               ;   in Loop: Header=BB922_6 Depth=1
	s_load_b32 s14, s[0:1], 0xc
	v_lshlrev_b64 v[16:17], 3, v[16:17]
	s_delay_alu instid0(VALU_DEP_1) | instskip(NEXT) | instid1(VALU_DEP_2)
	v_add_co_u32 v16, vcc_lo, s37, v16
	v_add_co_ci_u32_e32 v17, vcc_lo, s38, v17, vcc_lo
	s_waitcnt lgkmcnt(0)
	s_and_b32 s14, s14, 0xffff
	s_delay_alu instid0(SALU_CYCLE_1)
	v_mad_u64_u32 v[18:19], null, s14, 3, v[2:3]
	global_store_b64 v[16:17], v[18:19], off
.LBB922_47:                             ;   in Loop: Header=BB922_6 Depth=1
	s_or_b32 exec_lo, exec_lo, s13
	s_delay_alu instid0(SALU_CYCLE_1)
	s_mov_b32 s13, exec_lo
	v_cmpx_ne_u32_e32 0, v95
	s_cbranch_execz .LBB922_50
; %bb.48:                               ;   in Loop: Header=BB922_6 Depth=1
	s_waitcnt lgkmcnt(11)
	v_ashrrev_i32_e32 v16, 31, v15
	s_delay_alu instid0(VALU_DEP_1)
	v_cmp_gt_i64_e32 vcc_lo, s[30:31], v[15:16]
	s_and_b32 exec_lo, exec_lo, vcc_lo
	s_cbranch_execz .LBB922_50
; %bb.49:                               ;   in Loop: Header=BB922_6 Depth=1
	s_load_b32 s14, s[0:1], 0xc
	v_lshlrev_b64 v[15:16], 3, v[15:16]
	s_waitcnt lgkmcnt(0)
	s_and_b32 s14, s14, 0xffff
	s_delay_alu instid0(SALU_CYCLE_1) | instskip(NEXT) | instid1(SALU_CYCLE_1)
	s_lshl_b32 s14, s14, 2
	v_add_co_u32 v17, vcc_lo, v2, s14
	v_add_co_ci_u32_e32 v18, vcc_lo, 0, v3, vcc_lo
	v_add_co_u32 v15, vcc_lo, s37, v15
	v_add_co_ci_u32_e32 v16, vcc_lo, s38, v16, vcc_lo
	global_store_b64 v[15:16], v[17:18], off
.LBB922_50:                             ;   in Loop: Header=BB922_6 Depth=1
	s_or_b32 exec_lo, exec_lo, s13
	s_delay_alu instid0(SALU_CYCLE_1)
	s_mov_b32 s13, exec_lo
	v_cmpx_ne_u32_e32 0, v94
	s_cbranch_execz .LBB922_53
; %bb.51:                               ;   in Loop: Header=BB922_6 Depth=1
	s_waitcnt lgkmcnt(10)
	v_ashrrev_i32_e32 v15, 31, v14
	s_delay_alu instid0(VALU_DEP_1)
	v_cmp_gt_i64_e32 vcc_lo, s[30:31], v[14:15]
	s_and_b32 exec_lo, exec_lo, vcc_lo
	s_cbranch_execz .LBB922_53
; %bb.52:                               ;   in Loop: Header=BB922_6 Depth=1
	s_load_b32 s14, s[0:1], 0xc
	v_lshlrev_b64 v[14:15], 3, v[14:15]
	s_delay_alu instid0(VALU_DEP_1) | instskip(NEXT) | instid1(VALU_DEP_2)
	v_add_co_u32 v14, vcc_lo, s37, v14
	v_add_co_ci_u32_e32 v15, vcc_lo, s38, v15, vcc_lo
	s_waitcnt lgkmcnt(0)
	s_and_b32 s14, s14, 0xffff
	s_delay_alu instid0(SALU_CYCLE_1)
	v_mad_u64_u32 v[16:17], null, s14, 5, v[2:3]
	global_store_b64 v[14:15], v[16:17], off
.LBB922_53:                             ;   in Loop: Header=BB922_6 Depth=1
	s_or_b32 exec_lo, exec_lo, s13
	s_delay_alu instid0(SALU_CYCLE_1)
	s_mov_b32 s13, exec_lo
	v_cmpx_ne_u32_e32 0, v93
	s_cbranch_execz .LBB922_56
; %bb.54:                               ;   in Loop: Header=BB922_6 Depth=1
	s_waitcnt lgkmcnt(9)
	v_ashrrev_i32_e32 v14, 31, v13
	s_delay_alu instid0(VALU_DEP_1)
	v_cmp_gt_i64_e32 vcc_lo, s[30:31], v[13:14]
	s_and_b32 exec_lo, exec_lo, vcc_lo
	s_cbranch_execz .LBB922_56
; %bb.55:                               ;   in Loop: Header=BB922_6 Depth=1
	s_load_b32 s14, s[0:1], 0xc
	v_lshlrev_b64 v[13:14], 3, v[13:14]
	s_delay_alu instid0(VALU_DEP_1) | instskip(NEXT) | instid1(VALU_DEP_2)
	v_add_co_u32 v13, vcc_lo, s37, v13
	v_add_co_ci_u32_e32 v14, vcc_lo, s38, v14, vcc_lo
	s_waitcnt lgkmcnt(0)
	s_and_b32 s14, s14, 0xffff
	s_delay_alu instid0(SALU_CYCLE_1)
	v_mad_u64_u32 v[15:16], null, s14, 6, v[2:3]
	global_store_b64 v[13:14], v[15:16], off
.LBB922_56:                             ;   in Loop: Header=BB922_6 Depth=1
	;; [unrolled: 24-line block ×3, first 2 shown]
	s_or_b32 exec_lo, exec_lo, s13
	s_delay_alu instid0(SALU_CYCLE_1)
	s_mov_b32 s13, exec_lo
	v_cmpx_ne_u32_e32 0, v91
	s_cbranch_execz .LBB922_62
; %bb.60:                               ;   in Loop: Header=BB922_6 Depth=1
	s_waitcnt lgkmcnt(7)
	v_ashrrev_i32_e32 v12, 31, v11
	s_delay_alu instid0(VALU_DEP_1)
	v_cmp_gt_i64_e32 vcc_lo, s[30:31], v[11:12]
	s_and_b32 exec_lo, exec_lo, vcc_lo
	s_cbranch_execz .LBB922_62
; %bb.61:                               ;   in Loop: Header=BB922_6 Depth=1
	s_load_b32 s14, s[0:1], 0xc
	v_lshlrev_b64 v[11:12], 3, v[11:12]
	s_waitcnt lgkmcnt(0)
	s_and_b32 s14, s14, 0xffff
	s_delay_alu instid0(SALU_CYCLE_1) | instskip(NEXT) | instid1(SALU_CYCLE_1)
	s_lshl_b32 s14, s14, 3
	v_add_co_u32 v13, vcc_lo, v2, s14
	v_add_co_ci_u32_e32 v14, vcc_lo, 0, v3, vcc_lo
	v_add_co_u32 v11, vcc_lo, s37, v11
	v_add_co_ci_u32_e32 v12, vcc_lo, s38, v12, vcc_lo
	global_store_b64 v[11:12], v[13:14], off
.LBB922_62:                             ;   in Loop: Header=BB922_6 Depth=1
	s_or_b32 exec_lo, exec_lo, s13
	s_delay_alu instid0(SALU_CYCLE_1)
	s_mov_b32 s13, exec_lo
	v_cmpx_ne_u32_e32 0, v90
	s_cbranch_execz .LBB922_65
; %bb.63:                               ;   in Loop: Header=BB922_6 Depth=1
	s_waitcnt lgkmcnt(6)
	v_ashrrev_i32_e32 v11, 31, v10
	s_delay_alu instid0(VALU_DEP_1)
	v_cmp_gt_i64_e32 vcc_lo, s[30:31], v[10:11]
	s_and_b32 exec_lo, exec_lo, vcc_lo
	s_cbranch_execz .LBB922_65
; %bb.64:                               ;   in Loop: Header=BB922_6 Depth=1
	s_load_b32 s14, s[0:1], 0xc
	v_lshlrev_b64 v[10:11], 3, v[10:11]
	s_delay_alu instid0(VALU_DEP_1) | instskip(NEXT) | instid1(VALU_DEP_2)
	v_add_co_u32 v10, vcc_lo, s37, v10
	v_add_co_ci_u32_e32 v11, vcc_lo, s38, v11, vcc_lo
	s_waitcnt lgkmcnt(0)
	s_and_b32 s14, s14, 0xffff
	s_delay_alu instid0(SALU_CYCLE_1)
	v_mad_u64_u32 v[12:13], null, s14, 9, v[2:3]
	global_store_b64 v[10:11], v[12:13], off
.LBB922_65:                             ;   in Loop: Header=BB922_6 Depth=1
	s_or_b32 exec_lo, exec_lo, s13
	s_delay_alu instid0(SALU_CYCLE_1)
	s_mov_b32 s13, exec_lo
	v_cmpx_ne_u32_e32 0, v89
	s_cbranch_execz .LBB922_68
; %bb.66:                               ;   in Loop: Header=BB922_6 Depth=1
	s_waitcnt lgkmcnt(5)
	v_ashrrev_i32_e32 v10, 31, v9
	s_delay_alu instid0(VALU_DEP_1)
	v_cmp_gt_i64_e32 vcc_lo, s[30:31], v[9:10]
	s_and_b32 exec_lo, exec_lo, vcc_lo
	s_cbranch_execz .LBB922_68
; %bb.67:                               ;   in Loop: Header=BB922_6 Depth=1
	s_load_b32 s14, s[0:1], 0xc
	v_lshlrev_b64 v[9:10], 3, v[9:10]
	s_delay_alu instid0(VALU_DEP_1) | instskip(NEXT) | instid1(VALU_DEP_2)
	v_add_co_u32 v9, vcc_lo, s37, v9
	v_add_co_ci_u32_e32 v10, vcc_lo, s38, v10, vcc_lo
	s_waitcnt lgkmcnt(0)
	s_and_b32 s14, s14, 0xffff
	s_delay_alu instid0(SALU_CYCLE_1)
	v_mad_u64_u32 v[11:12], null, s14, 10, v[2:3]
	global_store_b64 v[9:10], v[11:12], off
.LBB922_68:                             ;   in Loop: Header=BB922_6 Depth=1
	;; [unrolled: 24-line block ×6, first 2 shown]
	s_or_b32 exec_lo, exec_lo, s13
	s_delay_alu instid0(SALU_CYCLE_1)
	s_mov_b32 s13, exec_lo
	v_cmpx_ne_u32_e32 0, v84
	s_cbranch_execz .LBB922_83
; %bb.81:                               ;   in Loop: Header=BB922_6 Depth=1
	s_waitcnt lgkmcnt(0)
	v_ashrrev_i32_e32 v5, 31, v4
	s_delay_alu instid0(VALU_DEP_1)
	v_cmp_gt_i64_e32 vcc_lo, s[30:31], v[4:5]
	s_and_b32 exec_lo, exec_lo, vcc_lo
	s_cbranch_execz .LBB922_83
; %bb.82:                               ;   in Loop: Header=BB922_6 Depth=1
	s_load_b32 s14, s[0:1], 0xc
	v_lshlrev_b64 v[4:5], 3, v[4:5]
	s_waitcnt lgkmcnt(0)
	s_and_b32 s14, s14, 0xffff
	s_delay_alu instid0(SALU_CYCLE_1) | instskip(NEXT) | instid1(VALU_DEP_2)
	v_mad_u64_u32 v[6:7], null, s14, 15, v[2:3]
	v_add_co_u32 v2, vcc_lo, s37, v4
	s_delay_alu instid0(VALU_DEP_3)
	v_add_co_ci_u32_e32 v3, vcc_lo, s38, v5, vcc_lo
	global_store_b64 v[2:3], v[6:7], off
.LBB922_83:                             ;   in Loop: Header=BB922_6 Depth=1
	s_or_b32 exec_lo, exec_lo, s13
	ds_load_b32 v2, v1 offset:33792
	v_cmp_gt_i64_e64 s13, 0x2001, s[34:35]
	s_waitcnt lgkmcnt(0)
	v_readfirstlane_b32 s14, v2
	s_delay_alu instid0(VALU_DEP_1) | instskip(SKIP_2) | instid1(SALU_CYCLE_1)
	s_ashr_i32 s15, s14, 31
	s_sub_u32 s30, s30, s14
	s_subb_u32 s31, s31, s15
	v_cmp_lt_i64_e64 s16, s[30:31], 1
	s_delay_alu instid0(VALU_DEP_1) | instskip(NEXT) | instid1(SALU_CYCLE_1)
	s_or_b32 s13, s13, s16
	s_and_b32 vcc_lo, exec_lo, s13
	s_cbranch_vccnz .LBB922_5
; %bb.84:                               ;   in Loop: Header=BB922_6 Depth=1
	s_add_u32 s28, s28, 0x2000
	s_addc_u32 s29, s29, 0
	s_add_u32 s33, s33, 0x4000
	s_addc_u32 s36, s36, 0
	s_lshl_b64 s[14:15], s[14:15], 3
	s_waitcnt_vscnt null, 0x0
	s_add_u32 s37, s37, s14
	s_addc_u32 s38, s38, s15
	s_barrier
	buffer_gl0_inv
	s_branch .LBB922_5
.LBB922_85:                             ;   in Loop: Header=BB922_6 Depth=1
	global_load_u16 v16, v[18:19], off
	v_mov_b32_e32 v3, v1
	v_mov_b32_e32 v15, v1
	;; [unrolled: 1-line block ×14, first 2 shown]
	s_waitcnt vmcnt(0)
	v_dual_mov_b32 v17, v15 :: v_dual_and_b32 v20, 0x7fff, v16
	s_delay_alu instid0(VALU_DEP_2) | instskip(SKIP_1) | instid1(VALU_DEP_3)
	v_dual_mov_b32 v16, v14 :: v_dual_mov_b32 v15, v13
	v_mov_b32_e32 v14, v12
	v_cmp_ne_u16_e32 vcc_lo, 0, v20
	v_mov_b32_e32 v13, v11
	v_mov_b32_e32 v12, v10
	;; [unrolled: 1-line block ×12, first 2 shown]
	v_cndmask_b32_e64 v2, 0, 1, vcc_lo
	s_or_b32 exec_lo, exec_lo, s13
	s_delay_alu instid0(SALU_CYCLE_1)
	s_mov_b32 s13, exec_lo
	v_cmpx_gt_u32_e64 s34, v43
	s_cbranch_execz .LBB922_9
.LBB922_86:                             ;   in Loop: Header=BB922_6 Depth=1
	global_load_u16 v3, v[18:19], off offset:64
	s_waitcnt vmcnt(0)
	v_and_b32_e32 v3, 0x7fff, v3
	s_delay_alu instid0(VALU_DEP_1) | instskip(SKIP_2) | instid1(SALU_CYCLE_1)
	v_cmp_ne_u16_e32 vcc_lo, 0, v3
	v_cndmask_b32_e64 v3, 0, 1, vcc_lo
	s_or_b32 exec_lo, exec_lo, s13
	s_mov_b32 s13, exec_lo
	v_cmpx_gt_u32_e64 s34, v44
	s_cbranch_execz .LBB922_10
.LBB922_87:                             ;   in Loop: Header=BB922_6 Depth=1
	global_load_u16 v4, v[18:19], off offset:128
	s_waitcnt vmcnt(0)
	v_and_b32_e32 v4, 0x7fff, v4
	s_delay_alu instid0(VALU_DEP_1) | instskip(SKIP_2) | instid1(SALU_CYCLE_1)
	v_cmp_ne_u16_e32 vcc_lo, 0, v4
	v_cndmask_b32_e64 v4, 0, 1, vcc_lo
	s_or_b32 exec_lo, exec_lo, s13
	s_mov_b32 s13, exec_lo
	v_cmpx_gt_u32_e64 s34, v45
	s_cbranch_execz .LBB922_11
.LBB922_88:                             ;   in Loop: Header=BB922_6 Depth=1
	global_load_u16 v5, v[18:19], off offset:192
	s_waitcnt vmcnt(0)
	v_and_b32_e32 v5, 0x7fff, v5
	s_delay_alu instid0(VALU_DEP_1) | instskip(SKIP_2) | instid1(SALU_CYCLE_1)
	v_cmp_ne_u16_e32 vcc_lo, 0, v5
	v_cndmask_b32_e64 v5, 0, 1, vcc_lo
	s_or_b32 exec_lo, exec_lo, s13
	s_mov_b32 s13, exec_lo
	v_cmpx_gt_u32_e64 s34, v46
	s_cbranch_execz .LBB922_12
.LBB922_89:                             ;   in Loop: Header=BB922_6 Depth=1
	global_load_u16 v6, v[18:19], off offset:256
	s_waitcnt vmcnt(0)
	v_and_b32_e32 v6, 0x7fff, v6
	s_delay_alu instid0(VALU_DEP_1) | instskip(SKIP_2) | instid1(SALU_CYCLE_1)
	v_cmp_ne_u16_e32 vcc_lo, 0, v6
	v_cndmask_b32_e64 v6, 0, 1, vcc_lo
	s_or_b32 exec_lo, exec_lo, s13
	s_mov_b32 s13, exec_lo
	v_cmpx_gt_u32_e64 s34, v47
	s_cbranch_execz .LBB922_13
.LBB922_90:                             ;   in Loop: Header=BB922_6 Depth=1
	global_load_u16 v7, v[18:19], off offset:320
	s_waitcnt vmcnt(0)
	v_and_b32_e32 v7, 0x7fff, v7
	s_delay_alu instid0(VALU_DEP_1) | instskip(SKIP_2) | instid1(SALU_CYCLE_1)
	v_cmp_ne_u16_e32 vcc_lo, 0, v7
	v_cndmask_b32_e64 v7, 0, 1, vcc_lo
	s_or_b32 exec_lo, exec_lo, s13
	s_mov_b32 s13, exec_lo
	v_cmpx_gt_u32_e64 s34, v48
	s_cbranch_execz .LBB922_14
.LBB922_91:                             ;   in Loop: Header=BB922_6 Depth=1
	global_load_u16 v8, v[18:19], off offset:384
	s_waitcnt vmcnt(0)
	v_and_b32_e32 v8, 0x7fff, v8
	s_delay_alu instid0(VALU_DEP_1) | instskip(SKIP_2) | instid1(SALU_CYCLE_1)
	v_cmp_ne_u16_e32 vcc_lo, 0, v8
	v_cndmask_b32_e64 v8, 0, 1, vcc_lo
	s_or_b32 exec_lo, exec_lo, s13
	s_mov_b32 s13, exec_lo
	v_cmpx_gt_u32_e64 s34, v49
	s_cbranch_execz .LBB922_15
.LBB922_92:                             ;   in Loop: Header=BB922_6 Depth=1
	global_load_u16 v9, v[18:19], off offset:448
	s_waitcnt vmcnt(0)
	v_and_b32_e32 v9, 0x7fff, v9
	s_delay_alu instid0(VALU_DEP_1) | instskip(SKIP_2) | instid1(SALU_CYCLE_1)
	v_cmp_ne_u16_e32 vcc_lo, 0, v9
	v_cndmask_b32_e64 v9, 0, 1, vcc_lo
	s_or_b32 exec_lo, exec_lo, s13
	s_mov_b32 s13, exec_lo
	v_cmpx_gt_u32_e64 s34, v50
	s_cbranch_execz .LBB922_16
.LBB922_93:                             ;   in Loop: Header=BB922_6 Depth=1
	global_load_u16 v10, v[18:19], off offset:512
	s_waitcnt vmcnt(0)
	v_and_b32_e32 v10, 0x7fff, v10
	s_delay_alu instid0(VALU_DEP_1) | instskip(SKIP_2) | instid1(SALU_CYCLE_1)
	v_cmp_ne_u16_e32 vcc_lo, 0, v10
	v_cndmask_b32_e64 v10, 0, 1, vcc_lo
	s_or_b32 exec_lo, exec_lo, s13
	s_mov_b32 s13, exec_lo
	v_cmpx_gt_u32_e64 s34, v51
	s_cbranch_execz .LBB922_17
.LBB922_94:                             ;   in Loop: Header=BB922_6 Depth=1
	global_load_u16 v11, v[18:19], off offset:576
	s_waitcnt vmcnt(0)
	v_and_b32_e32 v11, 0x7fff, v11
	s_delay_alu instid0(VALU_DEP_1) | instskip(SKIP_2) | instid1(SALU_CYCLE_1)
	v_cmp_ne_u16_e32 vcc_lo, 0, v11
	v_cndmask_b32_e64 v11, 0, 1, vcc_lo
	s_or_b32 exec_lo, exec_lo, s13
	s_mov_b32 s13, exec_lo
	v_cmpx_gt_u32_e64 s34, v52
	s_cbranch_execz .LBB922_18
.LBB922_95:                             ;   in Loop: Header=BB922_6 Depth=1
	global_load_u16 v12, v[18:19], off offset:640
	s_waitcnt vmcnt(0)
	v_and_b32_e32 v12, 0x7fff, v12
	s_delay_alu instid0(VALU_DEP_1) | instskip(SKIP_2) | instid1(SALU_CYCLE_1)
	v_cmp_ne_u16_e32 vcc_lo, 0, v12
	v_cndmask_b32_e64 v12, 0, 1, vcc_lo
	s_or_b32 exec_lo, exec_lo, s13
	s_mov_b32 s13, exec_lo
	v_cmpx_gt_u32_e64 s34, v53
	s_cbranch_execz .LBB922_19
.LBB922_96:                             ;   in Loop: Header=BB922_6 Depth=1
	global_load_u16 v13, v[18:19], off offset:704
	s_waitcnt vmcnt(0)
	v_and_b32_e32 v13, 0x7fff, v13
	s_delay_alu instid0(VALU_DEP_1) | instskip(SKIP_2) | instid1(SALU_CYCLE_1)
	v_cmp_ne_u16_e32 vcc_lo, 0, v13
	v_cndmask_b32_e64 v13, 0, 1, vcc_lo
	s_or_b32 exec_lo, exec_lo, s13
	s_mov_b32 s13, exec_lo
	v_cmpx_gt_u32_e64 s34, v54
	s_cbranch_execz .LBB922_20
.LBB922_97:                             ;   in Loop: Header=BB922_6 Depth=1
	global_load_u16 v14, v[18:19], off offset:768
	s_waitcnt vmcnt(0)
	v_and_b32_e32 v14, 0x7fff, v14
	s_delay_alu instid0(VALU_DEP_1) | instskip(SKIP_2) | instid1(SALU_CYCLE_1)
	v_cmp_ne_u16_e32 vcc_lo, 0, v14
	v_cndmask_b32_e64 v14, 0, 1, vcc_lo
	s_or_b32 exec_lo, exec_lo, s13
	s_mov_b32 s13, exec_lo
	v_cmpx_gt_u32_e64 s34, v55
	s_cbranch_execz .LBB922_21
.LBB922_98:                             ;   in Loop: Header=BB922_6 Depth=1
	global_load_u16 v15, v[18:19], off offset:832
	s_waitcnt vmcnt(0)
	v_and_b32_e32 v15, 0x7fff, v15
	s_delay_alu instid0(VALU_DEP_1) | instskip(SKIP_2) | instid1(SALU_CYCLE_1)
	v_cmp_ne_u16_e32 vcc_lo, 0, v15
	v_cndmask_b32_e64 v15, 0, 1, vcc_lo
	s_or_b32 exec_lo, exec_lo, s13
	s_mov_b32 s13, exec_lo
	v_cmpx_gt_u32_e64 s34, v56
	s_cbranch_execz .LBB922_22
.LBB922_99:                             ;   in Loop: Header=BB922_6 Depth=1
	global_load_u16 v16, v[18:19], off offset:896
	s_waitcnt vmcnt(0)
	v_and_b32_e32 v16, 0x7fff, v16
	s_delay_alu instid0(VALU_DEP_1) | instskip(SKIP_2) | instid1(SALU_CYCLE_1)
	v_cmp_ne_u16_e32 vcc_lo, 0, v16
	v_cndmask_b32_e64 v16, 0, 1, vcc_lo
	s_or_b32 exec_lo, exec_lo, s13
	s_mov_b32 s13, exec_lo
	v_cmpx_gt_u32_e64 s34, v57
	s_cbranch_execnz .LBB922_23
	s_branch .LBB922_24
.LBB922_100:
	s_nop 0
	s_sendmsg sendmsg(MSG_DEALLOC_VGPRS)
	s_endpgm
	.section	.rodata,"a",@progbits
	.p2align	6, 0x0
	.amdhsa_kernel _ZN2at6native12_GLOBAL__N_111flag_kernelILi512ELi16EN3c108BFloat16EEEvPKT1_PlPKllli
		.amdhsa_group_segment_fixed_size 33796
		.amdhsa_private_segment_fixed_size 0
		.amdhsa_kernarg_size 304
		.amdhsa_user_sgpr_count 15
		.amdhsa_user_sgpr_dispatch_ptr 0
		.amdhsa_user_sgpr_queue_ptr 0
		.amdhsa_user_sgpr_kernarg_segment_ptr 1
		.amdhsa_user_sgpr_dispatch_id 0
		.amdhsa_user_sgpr_private_segment_size 0
		.amdhsa_wavefront_size32 1
		.amdhsa_uses_dynamic_stack 0
		.amdhsa_enable_private_segment 0
		.amdhsa_system_sgpr_workgroup_id_x 1
		.amdhsa_system_sgpr_workgroup_id_y 0
		.amdhsa_system_sgpr_workgroup_id_z 0
		.amdhsa_system_sgpr_workgroup_info 0
		.amdhsa_system_vgpr_workitem_id 0
		.amdhsa_next_free_vgpr 109
		.amdhsa_next_free_sgpr 40
		.amdhsa_reserve_vcc 1
		.amdhsa_float_round_mode_32 0
		.amdhsa_float_round_mode_16_64 0
		.amdhsa_float_denorm_mode_32 3
		.amdhsa_float_denorm_mode_16_64 3
		.amdhsa_dx10_clamp 1
		.amdhsa_ieee_mode 1
		.amdhsa_fp16_overflow 0
		.amdhsa_workgroup_processor_mode 1
		.amdhsa_memory_ordered 1
		.amdhsa_forward_progress 0
		.amdhsa_shared_vgpr_count 0
		.amdhsa_exception_fp_ieee_invalid_op 0
		.amdhsa_exception_fp_denorm_src 0
		.amdhsa_exception_fp_ieee_div_zero 0
		.amdhsa_exception_fp_ieee_overflow 0
		.amdhsa_exception_fp_ieee_underflow 0
		.amdhsa_exception_fp_ieee_inexact 0
		.amdhsa_exception_int_div_zero 0
	.end_amdhsa_kernel
	.section	.text._ZN2at6native12_GLOBAL__N_111flag_kernelILi512ELi16EN3c108BFloat16EEEvPKT1_PlPKllli,"axG",@progbits,_ZN2at6native12_GLOBAL__N_111flag_kernelILi512ELi16EN3c108BFloat16EEEvPKT1_PlPKllli,comdat
.Lfunc_end922:
	.size	_ZN2at6native12_GLOBAL__N_111flag_kernelILi512ELi16EN3c108BFloat16EEEvPKT1_PlPKllli, .Lfunc_end922-_ZN2at6native12_GLOBAL__N_111flag_kernelILi512ELi16EN3c108BFloat16EEEvPKT1_PlPKllli
                                        ; -- End function
	.section	.AMDGPU.csdata,"",@progbits
; Kernel info:
; codeLenInByte = 6520
; NumSgprs: 42
; NumVgprs: 109
; ScratchSize: 0
; MemoryBound: 0
; FloatMode: 240
; IeeeMode: 1
; LDSByteSize: 33796 bytes/workgroup (compile time only)
; SGPRBlocks: 5
; VGPRBlocks: 13
; NumSGPRsForWavesPerEU: 42
; NumVGPRsForWavesPerEU: 109
; Occupancy: 12
; WaveLimiterHint : 0
; COMPUTE_PGM_RSRC2:SCRATCH_EN: 0
; COMPUTE_PGM_RSRC2:USER_SGPR: 15
; COMPUTE_PGM_RSRC2:TRAP_HANDLER: 0
; COMPUTE_PGM_RSRC2:TGID_X_EN: 1
; COMPUTE_PGM_RSRC2:TGID_Y_EN: 0
; COMPUTE_PGM_RSRC2:TGID_Z_EN: 0
; COMPUTE_PGM_RSRC2:TIDIG_COMP_CNT: 0
	.section	.text._ZN2at4cuda3cub15calc_block_sumsILi512ELi16ELb1EN3c104HalfEiEEvPKT2_PT3_li,"axG",@progbits,_ZN2at4cuda3cub15calc_block_sumsILi512ELi16ELb1EN3c104HalfEiEEvPKT2_PT3_li,comdat
	.protected	_ZN2at4cuda3cub15calc_block_sumsILi512ELi16ELb1EN3c104HalfEiEEvPKT2_PT3_li ; -- Begin function _ZN2at4cuda3cub15calc_block_sumsILi512ELi16ELb1EN3c104HalfEiEEvPKT2_PT3_li
	.globl	_ZN2at4cuda3cub15calc_block_sumsILi512ELi16ELb1EN3c104HalfEiEEvPKT2_PT3_li
	.p2align	8
	.type	_ZN2at4cuda3cub15calc_block_sumsILi512ELi16ELb1EN3c104HalfEiEEvPKT2_PT3_li,@function
_ZN2at4cuda3cub15calc_block_sumsILi512ELi16ELb1EN3c104HalfEiEEvPKT2_PT3_li: ; @_ZN2at4cuda3cub15calc_block_sumsILi512ELi16ELb1EN3c104HalfEiEEvPKT2_PT3_li
; %bb.0:
	s_clause 0x1
	s_load_b32 s26, s[0:1], 0x18
	s_load_b64 s[4:5], s[0:1], 0x10
	s_waitcnt lgkmcnt(0)
	s_lshl_b32 s3, s26, 13
	s_delay_alu instid0(SALU_CYCLE_1)
	s_ashr_i32 s6, s3, 31
	s_mul_hi_u32 s8, s3, s15
	s_mul_i32 s7, s6, s15
	s_mul_i32 s6, s3, s15
	s_add_i32 s7, s8, s7
	s_sub_u32 s24, s4, s6
	s_subb_u32 s25, s5, s7
	s_delay_alu instid0(SALU_CYCLE_1) | instskip(NEXT) | instid1(VALU_DEP_1)
	v_cmp_lt_i64_e64 s3, s[24:25], 1
	s_and_b32 vcc_lo, exec_lo, s3
	s_cbranch_vccnz .LBB923_58
; %bb.1:
	s_load_b128 s[20:23], s[0:1], 0x0
	s_mov_b32 s2, s15
	s_cmp_gt_i32 s26, 0
	s_mov_b32 s3, 0
	s_cbranch_scc1 .LBB923_3
; %bb.2:
	s_mov_b32 s0, 0
	s_mov_b32 s1, s3
	v_mov_b32_e32 v21, s0
	s_and_not1_b32 vcc_lo, exec_lo, s1
	s_mov_b32 s5, s3
	s_cbranch_vccz .LBB923_4
	s_branch .LBB923_56
.LBB923_3:
                                        ; implicit-def: $sgpr0
	v_mov_b32_e32 v21, s0
	s_mov_b32 s5, s3
.LBB923_4:
	v_lshrrev_b32_e32 v1, 3, v0
	s_mul_i32 s0, s2, s26
	v_dual_mov_b32 v21, 0 :: v_dual_add_nc_u32 v22, 0x200, v0
	s_lshl_b32 s1, s0, 13
	s_delay_alu instid0(VALU_DEP_2)
	v_dual_mov_b32 v2, 0 :: v_dual_and_b32 v37, 0x7c, v1
	v_lshlrev_b32_e32 v1, 1, v0
	s_sub_i32 s27, s4, s1
	s_lshl_b64 s[4:5], s[6:7], 1
	v_or_b32_e32 v23, 0x400, v0
	s_waitcnt lgkmcnt(0)
	s_add_u32 s1, s20, s4
	s_addc_u32 s4, s21, s5
	v_add_co_u32 v19, s1, s1, v1
	v_add_nc_u32_e32 v24, 0x600, v0
	v_or_b32_e32 v25, 0x800, v0
	v_add_nc_u32_e32 v26, 0xa00, v0
	v_or_b32_e32 v27, 0xc00, v0
	;; [unrolled: 2-line block ×6, first 2 shown]
	v_add_nc_u32_e32 v36, 0x1e00, v0
	v_cmp_gt_u32_e64 s0, 32, v0
	v_add_co_ci_u32_e64 v20, null, s4, 0, s1
	v_mbcnt_lo_u32_b32 v38, -1, 0
	s_mov_b32 s4, 0
	s_mov_b32 s1, -1
	s_mov_b32 s20, 0
	v_cmp_gt_i64_e64 s5, 0x2000, s[24:25]
                                        ; implicit-def: $vgpr1
	s_delay_alu instid0(VALU_DEP_1)
	s_and_b32 vcc_lo, exec_lo, s5
	s_mov_b32 s5, -1
	s_cbranch_vccnz .LBB923_8
.LBB923_5:
	s_and_b32 vcc_lo, exec_lo, s5
	s_cbranch_vccnz .LBB923_30
.LBB923_6:
	v_cmp_lt_i64_e64 s5, 0x2000, s[24:25]
	s_delay_alu instid0(VALU_DEP_2) | instskip(NEXT) | instid1(VALU_DEP_2)
	v_add_nc_u32_e32 v21, v1, v21
	s_and_b32 vcc_lo, exec_lo, s5
	s_cbranch_vccz .LBB923_35
.LBB923_7:
	s_add_u32 s24, s24, 0xffffe000
	s_addc_u32 s25, s25, -1
	s_add_i32 s20, s20, 1
	v_add_co_u32 v19, vcc_lo, 0x4000, v19
	s_cmp_lt_i32 s20, s26
	v_add_co_ci_u32_e32 v20, vcc_lo, 0, v20, vcc_lo
	s_cselect_b32 s5, -1, 0
	s_addk_i32 s27, 0xe000
	s_cmp_eq_u32 s26, s20
	s_mov_b32 s6, 0
	s_cselect_b32 s7, -1, 0
	s_barrier
	buffer_gl0_inv
	s_and_not1_b32 vcc_lo, exec_lo, s7
	s_cbranch_vccnz .LBB923_36
	s_branch .LBB923_52
.LBB923_8:
	s_mov_b32 s5, s4
	s_mov_b32 s6, s4
	;; [unrolled: 1-line block ×15, first 2 shown]
	v_dual_mov_b32 v3, s4 :: v_dual_mov_b32 v4, s5
	v_dual_mov_b32 v5, s6 :: v_dual_mov_b32 v6, s7
	;; [unrolled: 1-line block ×8, first 2 shown]
	s_mov_b32 s5, exec_lo
	v_cmpx_gt_u32_e64 s27, v0
	s_cbranch_execnz .LBB923_37
; %bb.9:
	s_or_b32 exec_lo, exec_lo, s5
	s_delay_alu instid0(SALU_CYCLE_1)
	s_mov_b32 s5, exec_lo
	v_cmpx_gt_u32_e64 s27, v22
	s_cbranch_execnz .LBB923_38
.LBB923_10:
	s_or_b32 exec_lo, exec_lo, s5
	s_delay_alu instid0(SALU_CYCLE_1)
	s_mov_b32 s5, exec_lo
	v_cmpx_gt_u32_e64 s27, v23
	s_cbranch_execnz .LBB923_39
.LBB923_11:
	s_or_b32 exec_lo, exec_lo, s5
	s_delay_alu instid0(SALU_CYCLE_1)
	s_mov_b32 s5, exec_lo
	v_cmpx_gt_u32_e64 s27, v24
	s_cbranch_execnz .LBB923_40
.LBB923_12:
	s_or_b32 exec_lo, exec_lo, s5
	s_delay_alu instid0(SALU_CYCLE_1)
	s_mov_b32 s5, exec_lo
	v_cmpx_gt_u32_e64 s27, v25
	s_cbranch_execnz .LBB923_41
.LBB923_13:
	s_or_b32 exec_lo, exec_lo, s5
	s_delay_alu instid0(SALU_CYCLE_1)
	s_mov_b32 s5, exec_lo
	v_cmpx_gt_u32_e64 s27, v26
	s_cbranch_execnz .LBB923_42
.LBB923_14:
	s_or_b32 exec_lo, exec_lo, s5
	s_delay_alu instid0(SALU_CYCLE_1)
	s_mov_b32 s5, exec_lo
	v_cmpx_gt_u32_e64 s27, v27
	s_cbranch_execnz .LBB923_43
.LBB923_15:
	s_or_b32 exec_lo, exec_lo, s5
	s_delay_alu instid0(SALU_CYCLE_1)
	s_mov_b32 s5, exec_lo
	v_cmpx_gt_u32_e64 s27, v28
	s_cbranch_execnz .LBB923_44
.LBB923_16:
	s_or_b32 exec_lo, exec_lo, s5
	s_delay_alu instid0(SALU_CYCLE_1)
	s_mov_b32 s5, exec_lo
	v_cmpx_gt_u32_e64 s27, v29
	s_cbranch_execnz .LBB923_45
.LBB923_17:
	s_or_b32 exec_lo, exec_lo, s5
	s_delay_alu instid0(SALU_CYCLE_1)
	s_mov_b32 s5, exec_lo
	v_cmpx_gt_u32_e64 s27, v30
	s_cbranch_execnz .LBB923_46
.LBB923_18:
	s_or_b32 exec_lo, exec_lo, s5
	s_delay_alu instid0(SALU_CYCLE_1)
	s_mov_b32 s5, exec_lo
	v_cmpx_gt_u32_e64 s27, v31
	s_cbranch_execnz .LBB923_47
.LBB923_19:
	s_or_b32 exec_lo, exec_lo, s5
	s_delay_alu instid0(SALU_CYCLE_1)
	s_mov_b32 s5, exec_lo
	v_cmpx_gt_u32_e64 s27, v32
	s_cbranch_execnz .LBB923_48
.LBB923_20:
	s_or_b32 exec_lo, exec_lo, s5
	s_delay_alu instid0(SALU_CYCLE_1)
	s_mov_b32 s5, exec_lo
	v_cmpx_gt_u32_e64 s27, v33
	s_cbranch_execnz .LBB923_49
.LBB923_21:
	s_or_b32 exec_lo, exec_lo, s5
	s_delay_alu instid0(SALU_CYCLE_1)
	s_mov_b32 s5, exec_lo
	v_cmpx_gt_u32_e64 s27, v34
	s_cbranch_execnz .LBB923_50
.LBB923_22:
	s_or_b32 exec_lo, exec_lo, s5
	s_delay_alu instid0(SALU_CYCLE_1)
	s_mov_b32 s5, exec_lo
	v_cmpx_gt_u32_e64 s27, v35
	s_cbranch_execnz .LBB923_51
.LBB923_23:
	s_or_b32 exec_lo, exec_lo, s5
	s_delay_alu instid0(SALU_CYCLE_1)
	s_mov_b32 s5, exec_lo
	v_cmpx_gt_u32_e64 s27, v36
	s_cbranch_execz .LBB923_25
.LBB923_24:
	v_add_co_u32 v39, vcc_lo, 0x3000, v19
	v_add_co_ci_u32_e32 v40, vcc_lo, 0, v20, vcc_lo
	global_load_u16 v1, v[39:40], off offset:3072
	s_waitcnt vmcnt(0)
	v_and_b32_e32 v1, 0x7fff, v1
	s_delay_alu instid0(VALU_DEP_1)
	v_cmp_ne_u16_e32 vcc_lo, 0, v1
	v_cndmask_b32_e64 v18, 0, 1, vcc_lo
.LBB923_25:
	s_or_b32 exec_lo, exec_lo, s5
	v_add_nc_u32_e32 v1, v4, v3
	s_mov_b32 s5, exec_lo
	s_barrier
	buffer_gl0_inv
	v_add3_u32 v1, v1, v5, v6
	s_delay_alu instid0(VALU_DEP_1) | instskip(NEXT) | instid1(VALU_DEP_1)
	v_add3_u32 v1, v1, v7, v8
	v_add3_u32 v1, v1, v9, v10
	s_delay_alu instid0(VALU_DEP_1) | instskip(NEXT) | instid1(VALU_DEP_1)
	v_add3_u32 v1, v1, v11, v12
	v_add3_u32 v1, v1, v13, v14
	s_delay_alu instid0(VALU_DEP_1) | instskip(NEXT) | instid1(VALU_DEP_1)
	v_add3_u32 v1, v1, v15, v16
	v_add3_u32 v1, v1, v17, v18
	s_delay_alu instid0(VALU_DEP_1) | instskip(NEXT) | instid1(VALU_DEP_1)
	v_mov_b32_dpp v3, v1 quad_perm:[1,0,3,2] row_mask:0xf bank_mask:0xf
	v_add_nc_u32_e32 v1, v1, v3
	s_delay_alu instid0(VALU_DEP_1) | instskip(NEXT) | instid1(VALU_DEP_1)
	v_mov_b32_dpp v3, v1 quad_perm:[2,3,0,1] row_mask:0xf bank_mask:0xf
	v_add_nc_u32_e32 v1, v1, v3
	s_delay_alu instid0(VALU_DEP_1) | instskip(NEXT) | instid1(VALU_DEP_1)
	v_mov_b32_dpp v3, v1 row_ror:4 row_mask:0xf bank_mask:0xf
	v_add_nc_u32_e32 v1, v1, v3
	s_delay_alu instid0(VALU_DEP_1) | instskip(NEXT) | instid1(VALU_DEP_1)
	v_mov_b32_dpp v3, v1 row_ror:8 row_mask:0xf bank_mask:0xf
	v_add_nc_u32_e32 v1, v1, v3
	ds_swizzle_b32 v3, v1 offset:swizzle(BROADCAST,32,15)
	s_waitcnt lgkmcnt(0)
	v_add_nc_u32_e32 v1, v1, v3
	ds_bpermute_b32 v1, v2, v1 offset:124
	v_cmpx_eq_u32_e32 0, v38
	s_cbranch_execz .LBB923_27
; %bb.26:
	s_waitcnt lgkmcnt(0)
	ds_store_b32 v37, v1
.LBB923_27:
	s_or_b32 exec_lo, exec_lo, s5
	s_waitcnt lgkmcnt(0)
	s_barrier
	buffer_gl0_inv
	s_and_saveexec_b32 s5, s0
	s_cbranch_execz .LBB923_29
; %bb.28:
	v_and_b32_e32 v1, 15, v38
	s_delay_alu instid0(VALU_DEP_1) | instskip(SKIP_4) | instid1(VALU_DEP_2)
	v_lshlrev_b32_e32 v3, 2, v1
	v_cmp_ne_u32_e32 vcc_lo, 15, v1
	ds_load_b32 v3, v3
	v_add_co_ci_u32_e32 v4, vcc_lo, 0, v38, vcc_lo
	v_cmp_gt_u32_e32 vcc_lo, 14, v1
	v_lshlrev_b32_e32 v4, 2, v4
	v_cndmask_b32_e64 v5, 0, 1, vcc_lo
	v_cmp_gt_u32_e32 vcc_lo, 12, v1
	s_delay_alu instid0(VALU_DEP_2) | instskip(NEXT) | instid1(VALU_DEP_1)
	v_lshlrev_b32_e32 v5, 1, v5
	v_add_lshl_u32 v5, v5, v38, 2
	s_waitcnt lgkmcnt(0)
	ds_bpermute_b32 v4, v4, v3
	s_waitcnt lgkmcnt(0)
	v_add_nc_u32_e32 v3, v4, v3
	ds_bpermute_b32 v4, v5, v3
	v_cndmask_b32_e64 v5, 0, 1, vcc_lo
	v_cmp_gt_u32_e32 vcc_lo, 8, v1
	s_delay_alu instid0(VALU_DEP_2) | instskip(SKIP_1) | instid1(VALU_DEP_2)
	v_lshlrev_b32_e32 v5, 2, v5
	v_cndmask_b32_e64 v1, 0, 1, vcc_lo
	v_add_lshl_u32 v5, v5, v38, 2
	s_delay_alu instid0(VALU_DEP_2) | instskip(NEXT) | instid1(VALU_DEP_1)
	v_lshlrev_b32_e32 v1, 3, v1
	v_add_lshl_u32 v1, v1, v38, 2
	s_waitcnt lgkmcnt(0)
	v_add_nc_u32_e32 v3, v4, v3
	ds_bpermute_b32 v4, v5, v3
	s_waitcnt lgkmcnt(0)
	v_add_nc_u32_e32 v3, v4, v3
	ds_bpermute_b32 v1, v1, v3
	s_waitcnt lgkmcnt(0)
	v_add_nc_u32_e32 v1, v1, v3
.LBB923_29:
	s_or_b32 exec_lo, exec_lo, s5
	s_branch .LBB923_6
.LBB923_30:
	v_add_co_u32 v3, vcc_lo, 0x1000, v19
	v_add_co_ci_u32_e32 v4, vcc_lo, 0, v20, vcc_lo
	v_add_co_u32 v5, vcc_lo, v19, 0x2000
	v_add_co_ci_u32_e32 v6, vcc_lo, 0, v20, vcc_lo
	s_clause 0x7
	global_load_u16 v1, v[19:20], off
	global_load_u16 v9, v[19:20], off offset:1024
	global_load_u16 v10, v[19:20], off offset:2048
	;; [unrolled: 1-line block ×3, first 2 shown]
	global_load_u16 v12, v[5:6], off offset:-4096
	global_load_u16 v13, v[3:4], off offset:1024
	global_load_u16 v14, v[3:4], off offset:2048
	;; [unrolled: 1-line block ×3, first 2 shown]
	v_add_co_u32 v3, vcc_lo, 0x2000, v19
	v_add_co_ci_u32_e32 v4, vcc_lo, 0, v20, vcc_lo
	v_add_co_u32 v7, vcc_lo, 0x3000, v19
	v_add_co_ci_u32_e32 v8, vcc_lo, 0, v20, vcc_lo
	s_clause 0x7
	global_load_u16 v5, v[5:6], off
	global_load_u16 v6, v[3:4], off offset:1024
	global_load_u16 v16, v[3:4], off offset:2048
	;; [unrolled: 1-line block ×3, first 2 shown]
	global_load_u16 v4, v[7:8], off
	global_load_u16 v17, v[7:8], off offset:1024
	global_load_u16 v18, v[7:8], off offset:2048
	;; [unrolled: 1-line block ×3, first 2 shown]
	s_mov_b32 s5, exec_lo
	s_waitcnt vmcnt(0)
	s_barrier
	buffer_gl0_inv
	v_and_b32_e32 v1, 0x7fff, v1
	v_and_b32_e32 v9, 0x7fff, v9
	;; [unrolled: 1-line block ×5, first 2 shown]
	v_cmp_ne_u16_e32 vcc_lo, 0, v1
	v_and_b32_e32 v12, 0x7fff, v13
	v_and_b32_e32 v13, 0x7fff, v14
	;; [unrolled: 1-line block ×4, first 2 shown]
	v_cndmask_b32_e64 v1, 0, 1, vcc_lo
	v_cmp_ne_u16_e32 vcc_lo, 0, v8
	v_and_b32_e32 v15, 0x7fff, v16
	v_and_b32_e32 v6, 0x7fff, v6
	;; [unrolled: 1-line block ×4, first 2 shown]
	v_cndmask_b32_e64 v8, 0, 1, vcc_lo
	v_cmp_ne_u16_e32 vcc_lo, 0, v9
	v_and_b32_e32 v16, 0x7fff, v17
	v_and_b32_e32 v17, 0x7fff, v18
	v_add_co_ci_u32_e32 v1, vcc_lo, 0, v1, vcc_lo
	v_cmp_ne_u16_e32 vcc_lo, 0, v11
	v_cndmask_b32_e64 v9, 0, 1, vcc_lo
	v_cmp_ne_u16_e32 vcc_lo, 0, v10
	s_delay_alu instid0(VALU_DEP_4) | instskip(SKIP_3) | instid1(VALU_DEP_4)
	v_add_co_ci_u32_e32 v1, vcc_lo, v1, v8, vcc_lo
	v_cmp_ne_u16_e32 vcc_lo, 0, v13
	v_cndmask_b32_e64 v8, 0, 1, vcc_lo
	v_cmp_ne_u16_e32 vcc_lo, 0, v12
	v_add_co_ci_u32_e32 v1, vcc_lo, v1, v9, vcc_lo
	v_cmp_ne_u16_e32 vcc_lo, 0, v5
	v_cndmask_b32_e64 v5, 0, 1, vcc_lo
	v_cmp_ne_u16_e32 vcc_lo, 0, v14
	s_delay_alu instid0(VALU_DEP_4) | instskip(SKIP_3) | instid1(VALU_DEP_4)
	v_add_co_ci_u32_e32 v1, vcc_lo, v1, v8, vcc_lo
	v_cmp_ne_u16_e32 vcc_lo, 0, v15
	v_cndmask_b32_e64 v8, 0, 1, vcc_lo
	v_cmp_ne_u16_e32 vcc_lo, 0, v6
	v_add_co_ci_u32_e32 v1, vcc_lo, v1, v5, vcc_lo
	v_cmp_ne_u16_e32 vcc_lo, 0, v4
	v_and_b32_e32 v5, 0x7fff, v7
	v_cndmask_b32_e64 v4, 0, 1, vcc_lo
	v_cmp_ne_u16_e32 vcc_lo, 0, v3
	v_add_co_ci_u32_e32 v1, vcc_lo, v1, v8, vcc_lo
	v_cmp_ne_u16_e32 vcc_lo, 0, v17
	v_cndmask_b32_e64 v3, 0, 1, vcc_lo
	v_cmp_ne_u16_e32 vcc_lo, 0, v16
	s_delay_alu instid0(VALU_DEP_4) | instskip(SKIP_1) | instid1(VALU_DEP_2)
	v_add_co_ci_u32_e32 v1, vcc_lo, v1, v4, vcc_lo
	v_cmp_ne_u16_e32 vcc_lo, 0, v5
	v_add_co_ci_u32_e32 v1, vcc_lo, v1, v3, vcc_lo
	s_delay_alu instid0(VALU_DEP_1) | instskip(NEXT) | instid1(VALU_DEP_1)
	v_mov_b32_dpp v3, v1 quad_perm:[1,0,3,2] row_mask:0xf bank_mask:0xf
	v_add_nc_u32_e32 v1, v3, v1
	s_delay_alu instid0(VALU_DEP_1) | instskip(NEXT) | instid1(VALU_DEP_1)
	v_mov_b32_dpp v3, v1 quad_perm:[2,3,0,1] row_mask:0xf bank_mask:0xf
	v_add_nc_u32_e32 v1, v1, v3
	s_delay_alu instid0(VALU_DEP_1) | instskip(NEXT) | instid1(VALU_DEP_1)
	v_mov_b32_dpp v3, v1 row_ror:4 row_mask:0xf bank_mask:0xf
	v_add_nc_u32_e32 v1, v1, v3
	s_delay_alu instid0(VALU_DEP_1) | instskip(NEXT) | instid1(VALU_DEP_1)
	v_mov_b32_dpp v3, v1 row_ror:8 row_mask:0xf bank_mask:0xf
	v_add_nc_u32_e32 v1, v1, v3
	ds_swizzle_b32 v3, v1 offset:swizzle(BROADCAST,32,15)
	s_waitcnt lgkmcnt(0)
	v_add_nc_u32_e32 v1, v1, v3
	ds_bpermute_b32 v1, v2, v1 offset:124
	v_cmpx_eq_u32_e32 0, v38
	s_cbranch_execz .LBB923_32
; %bb.31:
	s_waitcnt lgkmcnt(0)
	ds_store_b32 v37, v1
.LBB923_32:
	s_or_b32 exec_lo, exec_lo, s5
	s_waitcnt lgkmcnt(0)
	s_barrier
	buffer_gl0_inv
	s_and_saveexec_b32 s5, s0
	s_cbranch_execz .LBB923_34
; %bb.33:
	v_and_b32_e32 v1, 15, v38
	s_delay_alu instid0(VALU_DEP_1) | instskip(SKIP_4) | instid1(VALU_DEP_2)
	v_lshlrev_b32_e32 v3, 2, v1
	v_cmp_ne_u32_e32 vcc_lo, 15, v1
	ds_load_b32 v3, v3
	v_add_co_ci_u32_e32 v4, vcc_lo, 0, v38, vcc_lo
	v_cmp_gt_u32_e32 vcc_lo, 14, v1
	v_lshlrev_b32_e32 v4, 2, v4
	v_cndmask_b32_e64 v5, 0, 1, vcc_lo
	v_cmp_gt_u32_e32 vcc_lo, 12, v1
	s_delay_alu instid0(VALU_DEP_2) | instskip(NEXT) | instid1(VALU_DEP_1)
	v_lshlrev_b32_e32 v5, 1, v5
	v_add_lshl_u32 v5, v5, v38, 2
	s_waitcnt lgkmcnt(0)
	ds_bpermute_b32 v4, v4, v3
	s_waitcnt lgkmcnt(0)
	v_add_nc_u32_e32 v3, v4, v3
	ds_bpermute_b32 v4, v5, v3
	v_cndmask_b32_e64 v5, 0, 1, vcc_lo
	v_cmp_gt_u32_e32 vcc_lo, 8, v1
	s_delay_alu instid0(VALU_DEP_2) | instskip(SKIP_1) | instid1(VALU_DEP_2)
	v_lshlrev_b32_e32 v5, 2, v5
	v_cndmask_b32_e64 v1, 0, 1, vcc_lo
	v_add_lshl_u32 v5, v5, v38, 2
	s_delay_alu instid0(VALU_DEP_2) | instskip(NEXT) | instid1(VALU_DEP_1)
	v_lshlrev_b32_e32 v1, 3, v1
	v_add_lshl_u32 v1, v1, v38, 2
	s_waitcnt lgkmcnt(0)
	v_add_nc_u32_e32 v3, v4, v3
	ds_bpermute_b32 v4, v5, v3
	s_waitcnt lgkmcnt(0)
	v_add_nc_u32_e32 v3, v4, v3
	ds_bpermute_b32 v1, v1, v3
	s_waitcnt lgkmcnt(0)
	v_add_nc_u32_e32 v1, v1, v3
.LBB923_34:
	s_or_b32 exec_lo, exec_lo, s5
	v_cmp_lt_i64_e64 s5, 0x2000, s[24:25]
	s_delay_alu instid0(VALU_DEP_2) | instskip(NEXT) | instid1(VALU_DEP_2)
	v_add_nc_u32_e32 v21, v1, v21
	s_and_b32 vcc_lo, exec_lo, s5
	s_cbranch_vccnz .LBB923_7
.LBB923_35:
	s_mov_b32 s6, -1
                                        ; implicit-def: $sgpr20
                                        ; implicit-def: $sgpr24_sgpr25
                                        ; implicit-def: $sgpr27
                                        ; implicit-def: $vgpr19_vgpr20
                                        ; implicit-def: $sgpr5
	s_branch .LBB923_52
.LBB923_36:
	s_mov_b32 s1, s5
	v_cmp_gt_i64_e64 s5, 0x2000, s[24:25]
                                        ; implicit-def: $vgpr1
	s_delay_alu instid0(VALU_DEP_1)
	s_and_b32 vcc_lo, exec_lo, s5
	s_mov_b32 s5, -1
	s_cbranch_vccnz .LBB923_8
	s_branch .LBB923_5
.LBB923_37:
	global_load_u16 v1, v[19:20], off
	v_mov_b32_e32 v4, v2
	v_mov_b32_e32 v16, v2
	;; [unrolled: 1-line block ×13, first 2 shown]
	s_waitcnt vmcnt(0)
	v_and_b32_e32 v1, 0x7fff, v1
	s_delay_alu instid0(VALU_DEP_1) | instskip(SKIP_1) | instid1(VALU_DEP_1)
	v_cmp_ne_u16_e32 vcc_lo, 0, v1
	v_cndmask_b32_e64 v1, 0, 1, vcc_lo
	v_dual_mov_b32 v6, v2 :: v_dual_and_b32 v1, 0xffff, v1
	v_mov_b32_e32 v18, v16
	v_dual_mov_b32 v17, v15 :: v_dual_mov_b32 v16, v14
	v_mov_b32_e32 v15, v13
	v_mov_b32_e32 v14, v12
	;; [unrolled: 1-line block ×13, first 2 shown]
	s_or_b32 exec_lo, exec_lo, s5
	s_delay_alu instid0(SALU_CYCLE_1)
	s_mov_b32 s5, exec_lo
	v_cmpx_gt_u32_e64 s27, v22
	s_cbranch_execz .LBB923_10
.LBB923_38:
	global_load_u16 v1, v[19:20], off offset:1024
	s_waitcnt vmcnt(0)
	v_and_b32_e32 v1, 0x7fff, v1
	s_delay_alu instid0(VALU_DEP_1) | instskip(SKIP_2) | instid1(SALU_CYCLE_1)
	v_cmp_ne_u16_e32 vcc_lo, 0, v1
	v_cndmask_b32_e64 v4, 0, 1, vcc_lo
	s_or_b32 exec_lo, exec_lo, s5
	s_mov_b32 s5, exec_lo
	v_cmpx_gt_u32_e64 s27, v23
	s_cbranch_execz .LBB923_11
.LBB923_39:
	global_load_u16 v1, v[19:20], off offset:2048
	s_waitcnt vmcnt(0)
	v_and_b32_e32 v1, 0x7fff, v1
	s_delay_alu instid0(VALU_DEP_1) | instskip(SKIP_2) | instid1(SALU_CYCLE_1)
	v_cmp_ne_u16_e32 vcc_lo, 0, v1
	v_cndmask_b32_e64 v5, 0, 1, vcc_lo
	s_or_b32 exec_lo, exec_lo, s5
	s_mov_b32 s5, exec_lo
	v_cmpx_gt_u32_e64 s27, v24
	s_cbranch_execz .LBB923_12
.LBB923_40:
	global_load_u16 v1, v[19:20], off offset:3072
	s_waitcnt vmcnt(0)
	v_and_b32_e32 v1, 0x7fff, v1
	s_delay_alu instid0(VALU_DEP_1) | instskip(SKIP_2) | instid1(SALU_CYCLE_1)
	v_cmp_ne_u16_e32 vcc_lo, 0, v1
	v_cndmask_b32_e64 v6, 0, 1, vcc_lo
	s_or_b32 exec_lo, exec_lo, s5
	s_mov_b32 s5, exec_lo
	v_cmpx_gt_u32_e64 s27, v25
	s_cbranch_execz .LBB923_13
.LBB923_41:
	v_add_co_u32 v39, vcc_lo, 0x1000, v19
	v_add_co_ci_u32_e32 v40, vcc_lo, 0, v20, vcc_lo
	global_load_u16 v1, v[39:40], off
	s_waitcnt vmcnt(0)
	v_and_b32_e32 v1, 0x7fff, v1
	s_delay_alu instid0(VALU_DEP_1) | instskip(SKIP_2) | instid1(SALU_CYCLE_1)
	v_cmp_ne_u16_e32 vcc_lo, 0, v1
	v_cndmask_b32_e64 v7, 0, 1, vcc_lo
	s_or_b32 exec_lo, exec_lo, s5
	s_mov_b32 s5, exec_lo
	v_cmpx_gt_u32_e64 s27, v26
	s_cbranch_execz .LBB923_14
.LBB923_42:
	v_add_co_u32 v39, vcc_lo, 0x1000, v19
	v_add_co_ci_u32_e32 v40, vcc_lo, 0, v20, vcc_lo
	global_load_u16 v1, v[39:40], off offset:1024
	s_waitcnt vmcnt(0)
	v_and_b32_e32 v1, 0x7fff, v1
	s_delay_alu instid0(VALU_DEP_1) | instskip(SKIP_2) | instid1(SALU_CYCLE_1)
	v_cmp_ne_u16_e32 vcc_lo, 0, v1
	v_cndmask_b32_e64 v8, 0, 1, vcc_lo
	s_or_b32 exec_lo, exec_lo, s5
	s_mov_b32 s5, exec_lo
	v_cmpx_gt_u32_e64 s27, v27
	s_cbranch_execz .LBB923_15
.LBB923_43:
	v_add_co_u32 v39, vcc_lo, 0x1000, v19
	v_add_co_ci_u32_e32 v40, vcc_lo, 0, v20, vcc_lo
	global_load_u16 v1, v[39:40], off offset:2048
	s_waitcnt vmcnt(0)
	v_and_b32_e32 v1, 0x7fff, v1
	s_delay_alu instid0(VALU_DEP_1) | instskip(SKIP_2) | instid1(SALU_CYCLE_1)
	v_cmp_ne_u16_e32 vcc_lo, 0, v1
	v_cndmask_b32_e64 v9, 0, 1, vcc_lo
	s_or_b32 exec_lo, exec_lo, s5
	s_mov_b32 s5, exec_lo
	v_cmpx_gt_u32_e64 s27, v28
	s_cbranch_execz .LBB923_16
.LBB923_44:
	v_add_co_u32 v39, vcc_lo, 0x1000, v19
	v_add_co_ci_u32_e32 v40, vcc_lo, 0, v20, vcc_lo
	global_load_u16 v1, v[39:40], off offset:3072
	s_waitcnt vmcnt(0)
	v_and_b32_e32 v1, 0x7fff, v1
	s_delay_alu instid0(VALU_DEP_1) | instskip(SKIP_2) | instid1(SALU_CYCLE_1)
	v_cmp_ne_u16_e32 vcc_lo, 0, v1
	v_cndmask_b32_e64 v10, 0, 1, vcc_lo
	s_or_b32 exec_lo, exec_lo, s5
	s_mov_b32 s5, exec_lo
	v_cmpx_gt_u32_e64 s27, v29
	s_cbranch_execz .LBB923_17
.LBB923_45:
	v_add_co_u32 v39, vcc_lo, 0x2000, v19
	v_add_co_ci_u32_e32 v40, vcc_lo, 0, v20, vcc_lo
	global_load_u16 v1, v[39:40], off
	s_waitcnt vmcnt(0)
	v_and_b32_e32 v1, 0x7fff, v1
	s_delay_alu instid0(VALU_DEP_1) | instskip(SKIP_2) | instid1(SALU_CYCLE_1)
	v_cmp_ne_u16_e32 vcc_lo, 0, v1
	v_cndmask_b32_e64 v11, 0, 1, vcc_lo
	s_or_b32 exec_lo, exec_lo, s5
	s_mov_b32 s5, exec_lo
	v_cmpx_gt_u32_e64 s27, v30
	s_cbranch_execz .LBB923_18
.LBB923_46:
	v_add_co_u32 v39, vcc_lo, 0x2000, v19
	v_add_co_ci_u32_e32 v40, vcc_lo, 0, v20, vcc_lo
	global_load_u16 v1, v[39:40], off offset:1024
	s_waitcnt vmcnt(0)
	v_and_b32_e32 v1, 0x7fff, v1
	s_delay_alu instid0(VALU_DEP_1) | instskip(SKIP_2) | instid1(SALU_CYCLE_1)
	v_cmp_ne_u16_e32 vcc_lo, 0, v1
	v_cndmask_b32_e64 v12, 0, 1, vcc_lo
	s_or_b32 exec_lo, exec_lo, s5
	s_mov_b32 s5, exec_lo
	v_cmpx_gt_u32_e64 s27, v31
	s_cbranch_execz .LBB923_19
.LBB923_47:
	v_add_co_u32 v39, vcc_lo, 0x2000, v19
	v_add_co_ci_u32_e32 v40, vcc_lo, 0, v20, vcc_lo
	global_load_u16 v1, v[39:40], off offset:2048
	s_waitcnt vmcnt(0)
	v_and_b32_e32 v1, 0x7fff, v1
	s_delay_alu instid0(VALU_DEP_1) | instskip(SKIP_2) | instid1(SALU_CYCLE_1)
	v_cmp_ne_u16_e32 vcc_lo, 0, v1
	v_cndmask_b32_e64 v13, 0, 1, vcc_lo
	s_or_b32 exec_lo, exec_lo, s5
	s_mov_b32 s5, exec_lo
	v_cmpx_gt_u32_e64 s27, v32
	s_cbranch_execz .LBB923_20
.LBB923_48:
	v_add_co_u32 v39, vcc_lo, 0x2000, v19
	v_add_co_ci_u32_e32 v40, vcc_lo, 0, v20, vcc_lo
	global_load_u16 v1, v[39:40], off offset:3072
	s_waitcnt vmcnt(0)
	v_and_b32_e32 v1, 0x7fff, v1
	s_delay_alu instid0(VALU_DEP_1) | instskip(SKIP_2) | instid1(SALU_CYCLE_1)
	v_cmp_ne_u16_e32 vcc_lo, 0, v1
	v_cndmask_b32_e64 v14, 0, 1, vcc_lo
	s_or_b32 exec_lo, exec_lo, s5
	s_mov_b32 s5, exec_lo
	v_cmpx_gt_u32_e64 s27, v33
	s_cbranch_execz .LBB923_21
.LBB923_49:
	v_add_co_u32 v39, vcc_lo, 0x3000, v19
	v_add_co_ci_u32_e32 v40, vcc_lo, 0, v20, vcc_lo
	global_load_u16 v1, v[39:40], off
	s_waitcnt vmcnt(0)
	v_and_b32_e32 v1, 0x7fff, v1
	s_delay_alu instid0(VALU_DEP_1) | instskip(SKIP_2) | instid1(SALU_CYCLE_1)
	v_cmp_ne_u16_e32 vcc_lo, 0, v1
	v_cndmask_b32_e64 v15, 0, 1, vcc_lo
	s_or_b32 exec_lo, exec_lo, s5
	s_mov_b32 s5, exec_lo
	v_cmpx_gt_u32_e64 s27, v34
	s_cbranch_execz .LBB923_22
.LBB923_50:
	v_add_co_u32 v39, vcc_lo, 0x3000, v19
	v_add_co_ci_u32_e32 v40, vcc_lo, 0, v20, vcc_lo
	global_load_u16 v1, v[39:40], off offset:1024
	s_waitcnt vmcnt(0)
	v_and_b32_e32 v1, 0x7fff, v1
	s_delay_alu instid0(VALU_DEP_1) | instskip(SKIP_2) | instid1(SALU_CYCLE_1)
	v_cmp_ne_u16_e32 vcc_lo, 0, v1
	v_cndmask_b32_e64 v16, 0, 1, vcc_lo
	s_or_b32 exec_lo, exec_lo, s5
	s_mov_b32 s5, exec_lo
	v_cmpx_gt_u32_e64 s27, v35
	s_cbranch_execz .LBB923_23
.LBB923_51:
	v_add_co_u32 v39, vcc_lo, 0x3000, v19
	v_add_co_ci_u32_e32 v40, vcc_lo, 0, v20, vcc_lo
	global_load_u16 v1, v[39:40], off offset:2048
	s_waitcnt vmcnt(0)
	v_and_b32_e32 v1, 0x7fff, v1
	s_delay_alu instid0(VALU_DEP_1) | instskip(SKIP_2) | instid1(SALU_CYCLE_1)
	v_cmp_ne_u16_e32 vcc_lo, 0, v1
	v_cndmask_b32_e64 v17, 0, 1, vcc_lo
	s_or_b32 exec_lo, exec_lo, s5
	s_mov_b32 s5, exec_lo
	v_cmpx_gt_u32_e64 s27, v36
	s_cbranch_execnz .LBB923_24
	s_branch .LBB923_25
.LBB923_52:
	s_and_b32 vcc_lo, exec_lo, s6
	s_cbranch_vccz .LBB923_56
; %bb.53:
	s_mov_b32 s0, exec_lo
	v_cmpx_eq_u32_e32 0, v0
	s_cbranch_execz .LBB923_55
; %bb.54:
	s_lshl_b64 s[4:5], s[2:3], 2
	v_mov_b32_e32 v0, 0
	s_add_u32 s4, s22, s4
	s_addc_u32 s5, s23, s5
	global_store_b32 v0, v21, s[4:5]
.LBB923_55:
	s_or_b32 exec_lo, exec_lo, s0
	s_mov_b32 s5, s1
.LBB923_56:
	v_cmp_eq_u32_e32 vcc_lo, 0, v0
	s_xor_b32 s0, s5, -1
	s_delay_alu instid0(SALU_CYCLE_1) | instskip(NEXT) | instid1(SALU_CYCLE_1)
	s_and_b32 s0, vcc_lo, s0
	s_and_saveexec_b32 s1, s0
	s_cbranch_execz .LBB923_58
; %bb.57:
	s_lshl_b64 s[0:1], s[2:3], 2
	v_mov_b32_e32 v0, 0
	s_waitcnt lgkmcnt(0)
	s_add_u32 s0, s22, s0
	s_addc_u32 s1, s23, s1
	global_store_b32 v0, v21, s[0:1]
.LBB923_58:
	s_nop 0
	s_sendmsg sendmsg(MSG_DEALLOC_VGPRS)
	s_endpgm
	.section	.rodata,"a",@progbits
	.p2align	6, 0x0
	.amdhsa_kernel _ZN2at4cuda3cub15calc_block_sumsILi512ELi16ELb1EN3c104HalfEiEEvPKT2_PT3_li
		.amdhsa_group_segment_fixed_size 64
		.amdhsa_private_segment_fixed_size 0
		.amdhsa_kernarg_size 28
		.amdhsa_user_sgpr_count 15
		.amdhsa_user_sgpr_dispatch_ptr 0
		.amdhsa_user_sgpr_queue_ptr 0
		.amdhsa_user_sgpr_kernarg_segment_ptr 1
		.amdhsa_user_sgpr_dispatch_id 0
		.amdhsa_user_sgpr_private_segment_size 0
		.amdhsa_wavefront_size32 1
		.amdhsa_uses_dynamic_stack 0
		.amdhsa_enable_private_segment 0
		.amdhsa_system_sgpr_workgroup_id_x 1
		.amdhsa_system_sgpr_workgroup_id_y 0
		.amdhsa_system_sgpr_workgroup_id_z 0
		.amdhsa_system_sgpr_workgroup_info 0
		.amdhsa_system_vgpr_workitem_id 0
		.amdhsa_next_free_vgpr 41
		.amdhsa_next_free_sgpr 28
		.amdhsa_reserve_vcc 1
		.amdhsa_float_round_mode_32 0
		.amdhsa_float_round_mode_16_64 0
		.amdhsa_float_denorm_mode_32 3
		.amdhsa_float_denorm_mode_16_64 3
		.amdhsa_dx10_clamp 1
		.amdhsa_ieee_mode 1
		.amdhsa_fp16_overflow 0
		.amdhsa_workgroup_processor_mode 1
		.amdhsa_memory_ordered 1
		.amdhsa_forward_progress 0
		.amdhsa_shared_vgpr_count 0
		.amdhsa_exception_fp_ieee_invalid_op 0
		.amdhsa_exception_fp_denorm_src 0
		.amdhsa_exception_fp_ieee_div_zero 0
		.amdhsa_exception_fp_ieee_overflow 0
		.amdhsa_exception_fp_ieee_underflow 0
		.amdhsa_exception_fp_ieee_inexact 0
		.amdhsa_exception_int_div_zero 0
	.end_amdhsa_kernel
	.section	.text._ZN2at4cuda3cub15calc_block_sumsILi512ELi16ELb1EN3c104HalfEiEEvPKT2_PT3_li,"axG",@progbits,_ZN2at4cuda3cub15calc_block_sumsILi512ELi16ELb1EN3c104HalfEiEEvPKT2_PT3_li,comdat
.Lfunc_end923:
	.size	_ZN2at4cuda3cub15calc_block_sumsILi512ELi16ELb1EN3c104HalfEiEEvPKT2_PT3_li, .Lfunc_end923-_ZN2at4cuda3cub15calc_block_sumsILi512ELi16ELb1EN3c104HalfEiEEvPKT2_PT3_li
                                        ; -- End function
	.section	.AMDGPU.csdata,"",@progbits
; Kernel info:
; codeLenInByte = 3660
; NumSgprs: 30
; NumVgprs: 41
; ScratchSize: 0
; MemoryBound: 0
; FloatMode: 240
; IeeeMode: 1
; LDSByteSize: 64 bytes/workgroup (compile time only)
; SGPRBlocks: 3
; VGPRBlocks: 5
; NumSGPRsForWavesPerEU: 30
; NumVGPRsForWavesPerEU: 41
; Occupancy: 16
; WaveLimiterHint : 1
; COMPUTE_PGM_RSRC2:SCRATCH_EN: 0
; COMPUTE_PGM_RSRC2:USER_SGPR: 15
; COMPUTE_PGM_RSRC2:TRAP_HANDLER: 0
; COMPUTE_PGM_RSRC2:TGID_X_EN: 1
; COMPUTE_PGM_RSRC2:TGID_Y_EN: 0
; COMPUTE_PGM_RSRC2:TGID_Z_EN: 0
; COMPUTE_PGM_RSRC2:TIDIG_COMP_CNT: 0
	.section	.text._ZN2at6native12_GLOBAL__N_111flag_kernelILi512ELi16EN3c104HalfEEEvPKT1_PlPKllli,"axG",@progbits,_ZN2at6native12_GLOBAL__N_111flag_kernelILi512ELi16EN3c104HalfEEEvPKT1_PlPKllli,comdat
	.globl	_ZN2at6native12_GLOBAL__N_111flag_kernelILi512ELi16EN3c104HalfEEEvPKT1_PlPKllli ; -- Begin function _ZN2at6native12_GLOBAL__N_111flag_kernelILi512ELi16EN3c104HalfEEEvPKT1_PlPKllli
	.p2align	8
	.type	_ZN2at6native12_GLOBAL__N_111flag_kernelILi512ELi16EN3c104HalfEEEvPKT1_PlPKllli,@function
_ZN2at6native12_GLOBAL__N_111flag_kernelILi512ELi16EN3c104HalfEEEvPKT1_PlPKllli: ; @_ZN2at6native12_GLOBAL__N_111flag_kernelILi512ELi16EN3c104HalfEEEvPKT1_PlPKllli
; %bb.0:
	s_clause 0x1
	s_load_b32 s14, s[0:1], 0x28
	s_load_b256 s[4:11], s[0:1], 0x0
	s_waitcnt lgkmcnt(0)
	s_lshl_b32 s2, s14, 13
	s_delay_alu instid0(SALU_CYCLE_1) | instskip(SKIP_4) | instid1(SALU_CYCLE_1)
	s_ashr_i32 s3, s2, 31
	s_mul_hi_u32 s12, s2, s15
	s_mul_i32 s3, s3, s15
	s_mul_i32 s28, s2, s15
	s_add_i32 s29, s12, s3
	v_cmp_le_i64_e64 s2, s[10:11], s[28:29]
	s_delay_alu instid0(VALU_DEP_1)
	s_and_b32 vcc_lo, exec_lo, s2
	s_cbranch_vccnz .LBB924_100
; %bb.1:
	s_load_b64 s[2:3], s[0:1], 0x20
	s_cmp_eq_u32 s15, 0
	s_mov_b32 s13, 0
	s_cbranch_scc1 .LBB924_3
; %bb.2:
	s_add_i32 s12, s15, -1
	s_delay_alu instid0(SALU_CYCLE_1) | instskip(NEXT) | instid1(SALU_CYCLE_1)
	s_lshl_b64 s[12:13], s[12:13], 3
	s_add_u32 s8, s8, s12
	s_addc_u32 s9, s9, s13
	s_load_b64 s[8:9], s[8:9], 0x0
	s_cmp_lt_i32 s14, 1
	s_cbranch_scc0 .LBB924_4
	s_branch .LBB924_100
.LBB924_3:
	s_mov_b64 s[8:9], 0
	s_cmp_lt_i32 s14, 1
	s_cbranch_scc1 .LBB924_100
.LBB924_4:
	s_lshl_b64 s[12:13], s[28:29], 1
	v_mbcnt_lo_u32_b32 v2, -1, 0
	s_add_u32 s33, s4, s12
	s_addc_u32 s36, s5, s13
	s_waitcnt lgkmcnt(0)
	s_sub_u32 s30, s2, s8
	s_subb_u32 s31, s3, s9
	v_dual_mov_b32 v1, 0 :: v_dual_and_b32 v4, 0x3e0, v0
	v_and_b32_e32 v5, 15, v2
	s_sub_u32 s34, s10, s28
	s_subb_u32 s35, s11, s29
	s_lshl_b64 s[2:3], s[8:9], 3
	v_min_u32_e32 v7, 0x1e0, v4
	s_add_u32 s37, s6, s2
	s_addc_u32 s38, s7, s3
	v_cmp_eq_u32_e64 s2, 0, v5
	v_cmp_lt_u32_e64 s3, 1, v5
	v_cmp_lt_u32_e64 s4, 3, v5
	v_cmp_lt_u32_e64 s5, 7, v5
	v_add_nc_u32_e32 v5, -1, v2
	v_lshlrev_b32_e32 v3, 4, v0
	v_or_b32_e32 v7, 31, v7
	v_and_b32_e32 v8, 16, v2
	v_lshrrev_b32_e32 v9, 3, v0
	v_cmp_gt_i32_e32 vcc_lo, 0, v5
	v_and_b32_e32 v6, 0x3e00, v3
	v_cmp_eq_u32_e64 s7, v7, v0
	v_lshrrev_b32_e32 v7, 1, v0
	v_cmp_eq_u32_e64 s6, 0, v8
	v_cndmask_b32_e32 v5, v5, v2, vcc_lo
	v_or_b32_e32 v8, 0x800, v0
	v_and_b32_e32 v21, 0x7c, v9
	v_add_lshl_u32 v25, v7, v3, 2
	v_or_b32_e32 v3, 0x400, v0
	v_lshlrev_b32_e32 v24, 2, v5
	v_add_nc_u32_e32 v5, 0x200, v0
	v_add_nc_u32_e32 v7, 0x600, v0
	v_lshlrev_b32_e32 v22, 2, v0
	v_lshrrev_b32_e32 v3, 3, v3
	v_add_nc_u32_e32 v9, 0xa00, v0
	v_lshrrev_b32_e32 v5, 3, v5
	v_lshrrev_b32_e32 v7, 3, v7
	;; [unrolled: 1-line block ×3, first 2 shown]
	v_and_b32_e32 v3, 0xfc, v3
	v_lshrrev_b32_e32 v9, 3, v9
	v_and_b32_e32 v5, 0xfc, v5
	v_or_b32_e32 v39, v2, v6
	v_or_b32_e32 v4, v2, v4
	v_add_nc_u32_e32 v28, v22, v3
	v_or_b32_e32 v3, 0xc00, v0
	v_add_nc_u32_e32 v27, v22, v5
	v_and_b32_e32 v5, 0x1fc, v7
	v_and_b32_e32 v7, 0x17c, v8
	;; [unrolled: 1-line block ×3, first 2 shown]
	v_lshrrev_b32_e32 v3, 3, v3
	v_or_b32_e32 v9, 0x1400, v0
	v_add_nc_u32_e32 v29, v22, v5
	v_add_nc_u32_e32 v30, v22, v7
	;; [unrolled: 1-line block ×3, first 2 shown]
	v_or_b32_e32 v7, 0x1000, v0
	v_add_nc_u32_e32 v31, v22, v8
	v_add_nc_u32_e32 v8, 0x1200, v0
	v_and_b32_e32 v3, 0x1fc, v3
	v_lshrrev_b32_e32 v5, 3, v5
	v_lshrrev_b32_e32 v7, 3, v7
	v_lshrrev_b32_e32 v9, 3, v9
	v_lshrrev_b32_e32 v8, 3, v8
	v_add_nc_u32_e32 v32, v22, v3
	v_and_b32_e32 v5, 0x3fc, v5
	v_and_b32_e32 v3, 0x27c, v7
	v_or_b32_e32 v43, 32, v39
	v_and_b32_e32 v7, 0x2fc, v8
	v_and_b32_e32 v8, 0x2fc, v9
	v_add_nc_u32_e32 v33, v22, v5
	v_add_nc_u32_e32 v5, 0x1600, v0
	;; [unrolled: 1-line block ×3, first 2 shown]
	v_or_b32_e32 v3, 0x1800, v0
	v_add_nc_u32_e32 v35, v22, v7
	v_add_nc_u32_e32 v36, v22, v8
	v_lshrrev_b32_e32 v5, 3, v5
	v_add_nc_u32_e32 v7, 0x1a00, v0
	v_or_b32_e32 v8, 0x1c00, v0
	v_lshrrev_b32_e32 v3, 3, v3
	v_add_nc_u32_e32 v9, 0x1e00, v0
	v_and_b32_e32 v5, 0x3fc, v5
	v_lshrrev_b32_e32 v7, 3, v7
	v_lshrrev_b32_e32 v8, 3, v8
	v_and_b32_e32 v3, 0x37c, v3
	v_lshrrev_b32_e32 v9, 3, v9
	v_add_nc_u32_e32 v37, v22, v5
	v_and_b32_e32 v5, 0x3fc, v7
	v_and_b32_e32 v7, 0x3fc, v8
	v_add_nc_u32_e32 v38, v22, v3
	v_or_b32_e32 v44, 64, v39
	v_or_b32_e32 v45, 0x60, v39
	v_lshrrev_b32_e32 v3, 5, v6
	v_and_b32_e32 v8, 0x7fc, v9
	v_add_nc_u32_e32 v40, v22, v5
	v_add_nc_u32_e32 v41, v22, v7
	v_or_b32_e32 v46, 0x80, v39
	v_or_b32_e32 v47, 0xa0, v39
	;; [unrolled: 1-line block ×4, first 2 shown]
	v_lshrrev_b32_e32 v5, 5, v43
	v_lshrrev_b32_e32 v7, 5, v44
	v_add_lshl_u32 v58, v3, v39, 2
	v_lshrrev_b32_e32 v3, 5, v45
	v_add_nc_u32_e32 v42, v22, v8
	v_or_b32_e32 v49, 0xe0, v39
	v_or_b32_e32 v51, 0x120, v39
	;; [unrolled: 1-line block ×4, first 2 shown]
	v_add_lshl_u32 v59, v5, v43, 2
	v_add_lshl_u32 v60, v7, v44, 2
	v_lshrrev_b32_e32 v5, 5, v46
	v_lshrrev_b32_e32 v7, 5, v47
	;; [unrolled: 1-line block ×3, first 2 shown]
	v_add_lshl_u32 v61, v3, v45, 2
	v_lshrrev_b32_e32 v3, 5, v50
	v_or_b32_e32 v54, 0x180, v39
	v_or_b32_e32 v55, 0x1a0, v39
	;; [unrolled: 1-line block ×4, first 2 shown]
	v_lshrrev_b32_e32 v9, 5, v49
	v_add_lshl_u32 v62, v5, v46, 2
	v_add_lshl_u32 v63, v7, v47, 2
	;; [unrolled: 1-line block ×3, first 2 shown]
	v_lshrrev_b32_e32 v5, 5, v51
	v_lshrrev_b32_e32 v7, 5, v52
	;; [unrolled: 1-line block ×3, first 2 shown]
	v_add_lshl_u32 v66, v3, v50, 2
	v_lshlrev_b32_e32 v3, 4, v4
	v_bfe_u32 v4, v4, 1, 27
	v_add_lshl_u32 v65, v9, v49, 2
	v_add_lshl_u32 v67, v5, v51, 2
	v_add_lshl_u32 v68, v7, v52, 2
	v_add_lshl_u32 v69, v8, v53, 2
	v_lshrrev_b32_e32 v5, 5, v54
	v_lshrrev_b32_e32 v7, 5, v55
	;; [unrolled: 1-line block ×4, first 2 shown]
	v_add_lshl_u32 v70, v4, v3, 2
	v_cmp_gt_u32_e64 s8, 16, v0
	v_cmp_lt_u32_e64 s9, 31, v0
	v_add_nc_u32_e32 v23, -4, v21
	v_cmp_eq_u32_e64 s10, 0, v2
	v_cmp_eq_u32_e64 s11, 0, v0
	v_add_nc_u32_e32 v26, v22, v21
	v_add_lshl_u32 v71, v5, v54, 2
	v_add_lshl_u32 v72, v7, v55, 2
	v_add_lshl_u32 v73, v8, v56, 2
	v_add_lshl_u32 v74, v9, v57, 2
	v_add_nc_u32_e32 v75, 56, v70
	v_add_nc_u32_e32 v76, 48, v70
	;; [unrolled: 1-line block ×7, first 2 shown]
	v_lshlrev_b32_e32 v82, 1, v2
	v_lshlrev_b32_e32 v83, 1, v6
	s_add_u32 s0, s0, 48
	s_addc_u32 s1, s1, 0
	s_add_i32 s39, s14, -1
	s_mov_b32 s12, 0
	s_branch .LBB924_6
.LBB924_5:                              ;   in Loop: Header=BB924_6 Depth=1
	s_cmp_eq_u32 s39, 0
	s_cselect_b32 s14, -1, 0
	s_delay_alu instid0(SALU_CYCLE_1)
	s_or_b32 s13, s13, s14
	s_add_u32 s34, s34, 0xffffe000
	s_addc_u32 s35, s35, -1
	s_and_not1_b32 vcc_lo, exec_lo, s13
	s_add_i32 s39, s39, -1
	s_cbranch_vccz .LBB924_100
.LBB924_6:                              ; =>This Inner Loop Header: Depth=1
	v_cmp_gt_i64_e64 s13, 0x2000, s[34:35]
	s_delay_alu instid0(VALU_DEP_1)
	s_and_b32 vcc_lo, exec_lo, s13
	s_mov_b32 s13, -1
	s_cbranch_vccz .LBB924_25
; %bb.7:                                ;   in Loop: Header=BB924_6 Depth=1
	v_add_co_u32 v2, s13, s33, v82
	s_delay_alu instid0(VALU_DEP_1) | instskip(SKIP_1) | instid1(VALU_DEP_2)
	v_add_co_ci_u32_e64 v3, null, s36, 0, s13
	s_mov_b32 s13, s12
	v_add_co_u32 v18, vcc_lo, v2, v83
	s_mov_b32 s14, s12
	s_mov_b32 s15, s12
	;; [unrolled: 1-line block ×14, first 2 shown]
	v_add_co_ci_u32_e32 v19, vcc_lo, 0, v3, vcc_lo
	v_dual_mov_b32 v2, s12 :: v_dual_mov_b32 v3, s13
	v_dual_mov_b32 v4, s14 :: v_dual_mov_b32 v5, s15
	;; [unrolled: 1-line block ×8, first 2 shown]
	v_mov_b32_e32 v2, 0
	s_mov_b32 s13, exec_lo
	v_cmpx_gt_u32_e64 s34, v39
	s_cbranch_execnz .LBB924_85
; %bb.8:                                ;   in Loop: Header=BB924_6 Depth=1
	s_or_b32 exec_lo, exec_lo, s13
	s_delay_alu instid0(SALU_CYCLE_1)
	s_mov_b32 s13, exec_lo
	v_cmpx_gt_u32_e64 s34, v43
	s_cbranch_execnz .LBB924_86
.LBB924_9:                              ;   in Loop: Header=BB924_6 Depth=1
	s_or_b32 exec_lo, exec_lo, s13
	s_delay_alu instid0(SALU_CYCLE_1)
	s_mov_b32 s13, exec_lo
	v_cmpx_gt_u32_e64 s34, v44
	s_cbranch_execnz .LBB924_87
.LBB924_10:                             ;   in Loop: Header=BB924_6 Depth=1
	s_or_b32 exec_lo, exec_lo, s13
	s_delay_alu instid0(SALU_CYCLE_1)
	s_mov_b32 s13, exec_lo
	v_cmpx_gt_u32_e64 s34, v45
	s_cbranch_execnz .LBB924_88
.LBB924_11:                             ;   in Loop: Header=BB924_6 Depth=1
	s_or_b32 exec_lo, exec_lo, s13
	s_delay_alu instid0(SALU_CYCLE_1)
	s_mov_b32 s13, exec_lo
	v_cmpx_gt_u32_e64 s34, v46
	s_cbranch_execnz .LBB924_89
.LBB924_12:                             ;   in Loop: Header=BB924_6 Depth=1
	s_or_b32 exec_lo, exec_lo, s13
	s_delay_alu instid0(SALU_CYCLE_1)
	s_mov_b32 s13, exec_lo
	v_cmpx_gt_u32_e64 s34, v47
	s_cbranch_execnz .LBB924_90
.LBB924_13:                             ;   in Loop: Header=BB924_6 Depth=1
	s_or_b32 exec_lo, exec_lo, s13
	s_delay_alu instid0(SALU_CYCLE_1)
	s_mov_b32 s13, exec_lo
	v_cmpx_gt_u32_e64 s34, v48
	s_cbranch_execnz .LBB924_91
.LBB924_14:                             ;   in Loop: Header=BB924_6 Depth=1
	s_or_b32 exec_lo, exec_lo, s13
	s_delay_alu instid0(SALU_CYCLE_1)
	s_mov_b32 s13, exec_lo
	v_cmpx_gt_u32_e64 s34, v49
	s_cbranch_execnz .LBB924_92
.LBB924_15:                             ;   in Loop: Header=BB924_6 Depth=1
	s_or_b32 exec_lo, exec_lo, s13
	s_delay_alu instid0(SALU_CYCLE_1)
	s_mov_b32 s13, exec_lo
	v_cmpx_gt_u32_e64 s34, v50
	s_cbranch_execnz .LBB924_93
.LBB924_16:                             ;   in Loop: Header=BB924_6 Depth=1
	s_or_b32 exec_lo, exec_lo, s13
	s_delay_alu instid0(SALU_CYCLE_1)
	s_mov_b32 s13, exec_lo
	v_cmpx_gt_u32_e64 s34, v51
	s_cbranch_execnz .LBB924_94
.LBB924_17:                             ;   in Loop: Header=BB924_6 Depth=1
	s_or_b32 exec_lo, exec_lo, s13
	s_delay_alu instid0(SALU_CYCLE_1)
	s_mov_b32 s13, exec_lo
	v_cmpx_gt_u32_e64 s34, v52
	s_cbranch_execnz .LBB924_95
.LBB924_18:                             ;   in Loop: Header=BB924_6 Depth=1
	s_or_b32 exec_lo, exec_lo, s13
	s_delay_alu instid0(SALU_CYCLE_1)
	s_mov_b32 s13, exec_lo
	v_cmpx_gt_u32_e64 s34, v53
	s_cbranch_execnz .LBB924_96
.LBB924_19:                             ;   in Loop: Header=BB924_6 Depth=1
	s_or_b32 exec_lo, exec_lo, s13
	s_delay_alu instid0(SALU_CYCLE_1)
	s_mov_b32 s13, exec_lo
	v_cmpx_gt_u32_e64 s34, v54
	s_cbranch_execnz .LBB924_97
.LBB924_20:                             ;   in Loop: Header=BB924_6 Depth=1
	s_or_b32 exec_lo, exec_lo, s13
	s_delay_alu instid0(SALU_CYCLE_1)
	s_mov_b32 s13, exec_lo
	v_cmpx_gt_u32_e64 s34, v55
	s_cbranch_execnz .LBB924_98
.LBB924_21:                             ;   in Loop: Header=BB924_6 Depth=1
	s_or_b32 exec_lo, exec_lo, s13
	s_delay_alu instid0(SALU_CYCLE_1)
	s_mov_b32 s13, exec_lo
	v_cmpx_gt_u32_e64 s34, v56
	s_cbranch_execnz .LBB924_99
.LBB924_22:                             ;   in Loop: Header=BB924_6 Depth=1
	s_or_b32 exec_lo, exec_lo, s13
	s_delay_alu instid0(SALU_CYCLE_1)
	s_mov_b32 s13, exec_lo
	v_cmpx_gt_u32_e64 s34, v57
	s_cbranch_execz .LBB924_24
.LBB924_23:                             ;   in Loop: Header=BB924_6 Depth=1
	global_load_u16 v17, v[18:19], off offset:960
	s_waitcnt vmcnt(0)
	v_and_b32_e32 v17, 0x7fff, v17
	s_delay_alu instid0(VALU_DEP_1)
	v_cmp_ne_u16_e32 vcc_lo, 0, v17
	v_cndmask_b32_e64 v17, 0, 1, vcc_lo
.LBB924_24:                             ;   in Loop: Header=BB924_6 Depth=1
	s_or_b32 exec_lo, exec_lo, s13
	s_mov_b32 s13, 0
	ds_store_b32 v58, v2
	ds_store_b32 v59, v3
	;; [unrolled: 1-line block ×16, first 2 shown]
	; wave barrier
.LBB924_25:                             ;   in Loop: Header=BB924_6 Depth=1
	s_and_b32 vcc_lo, exec_lo, s13
	s_cbranch_vccz .LBB924_27
; %bb.26:                               ;   in Loop: Header=BB924_6 Depth=1
	v_add_co_u32 v2, s13, s33, v82
	s_delay_alu instid0(VALU_DEP_1) | instskip(NEXT) | instid1(VALU_DEP_2)
	v_add_co_ci_u32_e64 v3, null, s36, 0, s13
	v_add_co_u32 v2, vcc_lo, v2, v83
	s_delay_alu instid0(VALU_DEP_2)
	v_add_co_ci_u32_e32 v3, vcc_lo, 0, v3, vcc_lo
	s_clause 0xf
	global_load_u16 v4, v[2:3], off
	global_load_u16 v5, v[2:3], off offset:64
	global_load_u16 v6, v[2:3], off offset:128
	global_load_u16 v7, v[2:3], off offset:192
	global_load_u16 v8, v[2:3], off offset:256
	global_load_u16 v9, v[2:3], off offset:320
	global_load_u16 v10, v[2:3], off offset:384
	global_load_u16 v11, v[2:3], off offset:448
	global_load_u16 v12, v[2:3], off offset:512
	global_load_u16 v13, v[2:3], off offset:576
	global_load_u16 v14, v[2:3], off offset:640
	global_load_u16 v15, v[2:3], off offset:704
	global_load_u16 v16, v[2:3], off offset:768
	global_load_u16 v17, v[2:3], off offset:832
	global_load_u16 v18, v[2:3], off offset:896
	global_load_u16 v2, v[2:3], off offset:960
	s_waitcnt vmcnt(15)
	v_and_b32_e32 v3, 0x7fff, v4
	s_waitcnt vmcnt(14)
	v_and_b32_e32 v4, 0x7fff, v5
	;; [unrolled: 2-line block ×5, first 2 shown]
	v_cmp_ne_u16_e32 vcc_lo, 0, v3
	s_waitcnt vmcnt(10)
	v_and_b32_e32 v8, 0x7fff, v9
	s_waitcnt vmcnt(9)
	v_and_b32_e32 v9, 0x7fff, v10
	;; [unrolled: 2-line block ×4, first 2 shown]
	v_cndmask_b32_e64 v3, 0, 1, vcc_lo
	v_cmp_ne_u16_e32 vcc_lo, 0, v4
	s_waitcnt vmcnt(6)
	v_and_b32_e32 v12, 0x7fff, v13
	s_waitcnt vmcnt(5)
	v_and_b32_e32 v13, 0x7fff, v14
	;; [unrolled: 2-line block ×4, first 2 shown]
	v_cndmask_b32_e64 v4, 0, 1, vcc_lo
	v_cmp_ne_u16_e32 vcc_lo, 0, v5
	s_waitcnt vmcnt(2)
	v_and_b32_e32 v16, 0x7fff, v17
	s_waitcnt vmcnt(1)
	v_and_b32_e32 v17, 0x7fff, v18
	;; [unrolled: 2-line block ×3, first 2 shown]
	v_cndmask_b32_e64 v5, 0, 1, vcc_lo
	v_cmp_ne_u16_e32 vcc_lo, 0, v6
	v_cndmask_b32_e64 v6, 0, 1, vcc_lo
	v_cmp_ne_u16_e32 vcc_lo, 0, v7
	;; [unrolled: 2-line block ×13, first 2 shown]
	v_cndmask_b32_e64 v2, 0, 1, vcc_lo
	ds_store_b32 v58, v3
	ds_store_b32 v59, v4
	;; [unrolled: 1-line block ×16, first 2 shown]
	; wave barrier
.LBB924_27:                             ;   in Loop: Header=BB924_6 Depth=1
	ds_load_2addr_b32 v[16:17], v70 offset1:1
	ds_load_2addr_b32 v[12:13], v81 offset1:1
	;; [unrolled: 1-line block ×6, first 2 shown]
	s_waitcnt lgkmcnt(5)
	v_add_nc_u32_e32 v2, v17, v16
	s_waitcnt lgkmcnt(4)
	s_delay_alu instid0(VALU_DEP_1) | instskip(SKIP_1) | instid1(VALU_DEP_1)
	v_add3_u32 v2, v2, v12, v13
	s_waitcnt lgkmcnt(3)
	v_add3_u32 v18, v2, v8, v9
	ds_load_2addr_b32 v[4:5], v76 offset1:1
	ds_load_2addr_b32 v[2:3], v75 offset1:1
	s_waitcnt lgkmcnt(0)
	s_waitcnt_vscnt null, 0x0
	s_barrier
	buffer_gl0_inv
	v_add3_u32 v18, v18, v6, v7
	s_delay_alu instid0(VALU_DEP_1) | instskip(NEXT) | instid1(VALU_DEP_1)
	v_add3_u32 v18, v18, v14, v15
	v_add3_u32 v18, v18, v10, v11
	s_delay_alu instid0(VALU_DEP_1) | instskip(NEXT) | instid1(VALU_DEP_1)
	v_add3_u32 v18, v18, v4, v5
	v_add3_u32 v18, v18, v2, v3
	s_delay_alu instid0(VALU_DEP_1) | instskip(NEXT) | instid1(VALU_DEP_1)
	v_mov_b32_dpp v19, v18 row_shr:1 row_mask:0xf bank_mask:0xf
	v_cndmask_b32_e64 v19, v19, 0, s2
	s_delay_alu instid0(VALU_DEP_1) | instskip(NEXT) | instid1(VALU_DEP_1)
	v_add_nc_u32_e32 v18, v18, v19
	v_mov_b32_dpp v19, v18 row_shr:2 row_mask:0xf bank_mask:0xf
	s_delay_alu instid0(VALU_DEP_1) | instskip(NEXT) | instid1(VALU_DEP_1)
	v_cndmask_b32_e64 v19, 0, v19, s3
	v_add_nc_u32_e32 v18, v18, v19
	s_delay_alu instid0(VALU_DEP_1) | instskip(NEXT) | instid1(VALU_DEP_1)
	v_mov_b32_dpp v19, v18 row_shr:4 row_mask:0xf bank_mask:0xf
	v_cndmask_b32_e64 v19, 0, v19, s4
	s_delay_alu instid0(VALU_DEP_1) | instskip(NEXT) | instid1(VALU_DEP_1)
	v_add_nc_u32_e32 v18, v18, v19
	v_mov_b32_dpp v19, v18 row_shr:8 row_mask:0xf bank_mask:0xf
	s_delay_alu instid0(VALU_DEP_1) | instskip(NEXT) | instid1(VALU_DEP_1)
	v_cndmask_b32_e64 v19, 0, v19, s5
	v_add_nc_u32_e32 v18, v18, v19
	ds_swizzle_b32 v19, v18 offset:swizzle(BROADCAST,32,15)
	s_waitcnt lgkmcnt(0)
	v_cndmask_b32_e64 v19, v19, 0, s6
	s_delay_alu instid0(VALU_DEP_1)
	v_add_nc_u32_e32 v18, v18, v19
	s_and_saveexec_b32 s13, s7
	s_cbranch_execz .LBB924_29
; %bb.28:                               ;   in Loop: Header=BB924_6 Depth=1
	ds_store_b32 v21, v18
.LBB924_29:                             ;   in Loop: Header=BB924_6 Depth=1
	s_or_b32 exec_lo, exec_lo, s13
	s_waitcnt lgkmcnt(0)
	s_barrier
	buffer_gl0_inv
	s_and_saveexec_b32 s13, s8
	s_cbranch_execz .LBB924_31
; %bb.30:                               ;   in Loop: Header=BB924_6 Depth=1
	ds_load_b32 v19, v22
	s_waitcnt lgkmcnt(0)
	v_mov_b32_dpp v20, v19 row_shr:1 row_mask:0xf bank_mask:0xf
	s_delay_alu instid0(VALU_DEP_1) | instskip(NEXT) | instid1(VALU_DEP_1)
	v_cndmask_b32_e64 v20, v20, 0, s2
	v_add_nc_u32_e32 v19, v20, v19
	s_delay_alu instid0(VALU_DEP_1) | instskip(NEXT) | instid1(VALU_DEP_1)
	v_mov_b32_dpp v20, v19 row_shr:2 row_mask:0xf bank_mask:0xf
	v_cndmask_b32_e64 v20, 0, v20, s3
	s_delay_alu instid0(VALU_DEP_1) | instskip(NEXT) | instid1(VALU_DEP_1)
	v_add_nc_u32_e32 v19, v19, v20
	v_mov_b32_dpp v20, v19 row_shr:4 row_mask:0xf bank_mask:0xf
	s_delay_alu instid0(VALU_DEP_1) | instskip(NEXT) | instid1(VALU_DEP_1)
	v_cndmask_b32_e64 v20, 0, v20, s4
	v_add_nc_u32_e32 v19, v19, v20
	s_delay_alu instid0(VALU_DEP_1) | instskip(NEXT) | instid1(VALU_DEP_1)
	v_mov_b32_dpp v20, v19 row_shr:8 row_mask:0xf bank_mask:0xf
	v_cndmask_b32_e64 v20, 0, v20, s5
	s_delay_alu instid0(VALU_DEP_1)
	v_add_nc_u32_e32 v19, v19, v20
	ds_store_b32 v22, v19
.LBB924_31:                             ;   in Loop: Header=BB924_6 Depth=1
	s_or_b32 exec_lo, exec_lo, s13
	v_mov_b32_e32 v19, 0
	s_waitcnt lgkmcnt(0)
	s_barrier
	buffer_gl0_inv
	s_and_saveexec_b32 s13, s9
	s_cbranch_execz .LBB924_33
; %bb.32:                               ;   in Loop: Header=BB924_6 Depth=1
	ds_load_b32 v19, v23
.LBB924_33:                             ;   in Loop: Header=BB924_6 Depth=1
	s_or_b32 exec_lo, exec_lo, s13
	s_waitcnt lgkmcnt(0)
	v_add_nc_u32_e32 v18, v19, v18
	ds_bpermute_b32 v18, v24, v18
	s_and_saveexec_b32 s13, s11
	s_cbranch_execz .LBB924_35
; %bb.34:                               ;   in Loop: Header=BB924_6 Depth=1
	ds_load_b32 v20, v1 offset:60
	s_waitcnt lgkmcnt(0)
	ds_store_b32 v1, v20 offset:33792
.LBB924_35:                             ;   in Loop: Header=BB924_6 Depth=1
	s_or_b32 exec_lo, exec_lo, s13
	s_waitcnt lgkmcnt(0)
	v_cndmask_b32_e64 v18, v18, v19, s10
	s_barrier
	buffer_gl0_inv
	ds_store_2addr_b32 v25, v16, v17 offset1:1
	ds_store_2addr_b32 v25, v12, v13 offset0:2 offset1:3
	ds_store_2addr_b32 v25, v8, v9 offset0:4 offset1:5
	;; [unrolled: 1-line block ×3, first 2 shown]
	v_cndmask_b32_e64 v18, v18, 0, s11
	ds_store_2addr_b32 v25, v14, v15 offset0:8 offset1:9
	ds_store_2addr_b32 v25, v10, v11 offset0:10 offset1:11
	;; [unrolled: 1-line block ×4, first 2 shown]
	s_waitcnt lgkmcnt(0)
	s_barrier
	buffer_gl0_inv
	v_add_nc_u32_e32 v19, v18, v16
	ds_load_b32 v108, v26
	ds_load_b32 v98, v27 offset:2048
	ds_load_b32 v97, v28 offset:4096
	;; [unrolled: 1-line block ×15, first 2 shown]
	s_waitcnt lgkmcnt(0)
	s_barrier
	v_add_nc_u32_e32 v20, v19, v17
	buffer_gl0_inv
	v_add_nc_u32_e32 v99, v20, v12
	s_delay_alu instid0(VALU_DEP_1) | instskip(NEXT) | instid1(VALU_DEP_1)
	v_add_nc_u32_e32 v100, v99, v13
	v_add_nc_u32_e32 v101, v100, v8
	s_delay_alu instid0(VALU_DEP_1) | instskip(NEXT) | instid1(VALU_DEP_1)
	v_add_nc_u32_e32 v102, v101, v9
	;; [unrolled: 3-line block ×6, first 2 shown]
	v_add_nc_u32_e32 v2, v4, v2
	ds_store_2addr_b32 v25, v18, v19 offset1:1
	ds_store_2addr_b32 v25, v20, v99 offset0:2 offset1:3
	ds_store_2addr_b32 v25, v100, v101 offset0:4 offset1:5
	ds_store_2addr_b32 v25, v102, v103 offset0:6 offset1:7
	ds_store_2addr_b32 v25, v104, v105 offset0:8 offset1:9
	ds_store_2addr_b32 v25, v106, v107 offset0:10 offset1:11
	ds_store_2addr_b32 v25, v6, v3 offset0:12 offset1:13
	ds_store_2addr_b32 v25, v4, v2 offset0:14 offset1:15
	s_waitcnt lgkmcnt(0)
	s_barrier
	buffer_gl0_inv
	ds_load_b32 v18, v27 offset:2048
	ds_load_b32 v17, v28 offset:4096
	;; [unrolled: 1-line block ×15, first 2 shown]
	v_add_co_u32 v2, s13, s28, v0
	s_delay_alu instid0(VALU_DEP_1)
	v_add_co_ci_u32_e64 v3, null, s29, 0, s13
	s_mov_b32 s13, exec_lo
	v_cmpx_ne_u32_e32 0, v108
	s_cbranch_execz .LBB924_38
; %bb.36:                               ;   in Loop: Header=BB924_6 Depth=1
	ds_load_b32 v19, v26
	s_waitcnt lgkmcnt(0)
	v_ashrrev_i32_e32 v20, 31, v19
	s_delay_alu instid0(VALU_DEP_1)
	v_cmp_gt_i64_e32 vcc_lo, s[30:31], v[19:20]
	s_and_b32 exec_lo, exec_lo, vcc_lo
	s_cbranch_execz .LBB924_38
; %bb.37:                               ;   in Loop: Header=BB924_6 Depth=1
	v_lshlrev_b64 v[19:20], 3, v[19:20]
	s_delay_alu instid0(VALU_DEP_1) | instskip(NEXT) | instid1(VALU_DEP_2)
	v_add_co_u32 v19, vcc_lo, s37, v19
	v_add_co_ci_u32_e32 v20, vcc_lo, s38, v20, vcc_lo
	global_store_b64 v[19:20], v[2:3], off
.LBB924_38:                             ;   in Loop: Header=BB924_6 Depth=1
	s_or_b32 exec_lo, exec_lo, s13
	s_delay_alu instid0(SALU_CYCLE_1)
	s_mov_b32 s13, exec_lo
	v_cmpx_ne_u32_e32 0, v98
	s_cbranch_execz .LBB924_41
; %bb.39:                               ;   in Loop: Header=BB924_6 Depth=1
	s_waitcnt lgkmcnt(14)
	v_ashrrev_i32_e32 v19, 31, v18
	s_delay_alu instid0(VALU_DEP_1)
	v_cmp_gt_i64_e32 vcc_lo, s[30:31], v[18:19]
	s_and_b32 exec_lo, exec_lo, vcc_lo
	s_cbranch_execz .LBB924_41
; %bb.40:                               ;   in Loop: Header=BB924_6 Depth=1
	s_load_b32 s14, s[0:1], 0xc
	v_lshlrev_b64 v[18:19], 3, v[18:19]
	s_waitcnt lgkmcnt(0)
	s_and_b32 s14, s14, 0xffff
	s_delay_alu instid0(SALU_CYCLE_1) | instskip(SKIP_1) | instid1(VALU_DEP_3)
	v_add_co_u32 v98, vcc_lo, v2, s14
	v_add_co_ci_u32_e32 v99, vcc_lo, 0, v3, vcc_lo
	v_add_co_u32 v18, vcc_lo, s37, v18
	v_add_co_ci_u32_e32 v19, vcc_lo, s38, v19, vcc_lo
	global_store_b64 v[18:19], v[98:99], off
.LBB924_41:                             ;   in Loop: Header=BB924_6 Depth=1
	s_or_b32 exec_lo, exec_lo, s13
	s_delay_alu instid0(SALU_CYCLE_1)
	s_mov_b32 s13, exec_lo
	v_cmpx_ne_u32_e32 0, v97
	s_cbranch_execz .LBB924_44
; %bb.42:                               ;   in Loop: Header=BB924_6 Depth=1
	s_waitcnt lgkmcnt(13)
	v_ashrrev_i32_e32 v18, 31, v17
	s_delay_alu instid0(VALU_DEP_1)
	v_cmp_gt_i64_e32 vcc_lo, s[30:31], v[17:18]
	s_and_b32 exec_lo, exec_lo, vcc_lo
	s_cbranch_execz .LBB924_44
; %bb.43:                               ;   in Loop: Header=BB924_6 Depth=1
	s_load_b32 s14, s[0:1], 0xc
	v_lshlrev_b64 v[17:18], 3, v[17:18]
	s_waitcnt lgkmcnt(0)
	s_and_b32 s14, s14, 0xffff
	s_delay_alu instid0(SALU_CYCLE_1) | instskip(NEXT) | instid1(SALU_CYCLE_1)
	s_lshl_b32 s14, s14, 1
	v_add_co_u32 v19, vcc_lo, v2, s14
	v_add_co_ci_u32_e32 v20, vcc_lo, 0, v3, vcc_lo
	v_add_co_u32 v17, vcc_lo, s37, v17
	v_add_co_ci_u32_e32 v18, vcc_lo, s38, v18, vcc_lo
	global_store_b64 v[17:18], v[19:20], off
.LBB924_44:                             ;   in Loop: Header=BB924_6 Depth=1
	s_or_b32 exec_lo, exec_lo, s13
	s_delay_alu instid0(SALU_CYCLE_1)
	s_mov_b32 s13, exec_lo
	v_cmpx_ne_u32_e32 0, v96
	s_cbranch_execz .LBB924_47
; %bb.45:                               ;   in Loop: Header=BB924_6 Depth=1
	s_waitcnt lgkmcnt(12)
	v_ashrrev_i32_e32 v17, 31, v16
	s_delay_alu instid0(VALU_DEP_1)
	v_cmp_gt_i64_e32 vcc_lo, s[30:31], v[16:17]
	s_and_b32 exec_lo, exec_lo, vcc_lo
	s_cbranch_execz .LBB924_47
; %bb.46:                               ;   in Loop: Header=BB924_6 Depth=1
	s_load_b32 s14, s[0:1], 0xc
	v_lshlrev_b64 v[16:17], 3, v[16:17]
	s_delay_alu instid0(VALU_DEP_1) | instskip(NEXT) | instid1(VALU_DEP_2)
	v_add_co_u32 v16, vcc_lo, s37, v16
	v_add_co_ci_u32_e32 v17, vcc_lo, s38, v17, vcc_lo
	s_waitcnt lgkmcnt(0)
	s_and_b32 s14, s14, 0xffff
	s_delay_alu instid0(SALU_CYCLE_1)
	v_mad_u64_u32 v[18:19], null, s14, 3, v[2:3]
	global_store_b64 v[16:17], v[18:19], off
.LBB924_47:                             ;   in Loop: Header=BB924_6 Depth=1
	s_or_b32 exec_lo, exec_lo, s13
	s_delay_alu instid0(SALU_CYCLE_1)
	s_mov_b32 s13, exec_lo
	v_cmpx_ne_u32_e32 0, v95
	s_cbranch_execz .LBB924_50
; %bb.48:                               ;   in Loop: Header=BB924_6 Depth=1
	s_waitcnt lgkmcnt(11)
	v_ashrrev_i32_e32 v16, 31, v15
	s_delay_alu instid0(VALU_DEP_1)
	v_cmp_gt_i64_e32 vcc_lo, s[30:31], v[15:16]
	s_and_b32 exec_lo, exec_lo, vcc_lo
	s_cbranch_execz .LBB924_50
; %bb.49:                               ;   in Loop: Header=BB924_6 Depth=1
	s_load_b32 s14, s[0:1], 0xc
	v_lshlrev_b64 v[15:16], 3, v[15:16]
	s_waitcnt lgkmcnt(0)
	s_and_b32 s14, s14, 0xffff
	s_delay_alu instid0(SALU_CYCLE_1) | instskip(NEXT) | instid1(SALU_CYCLE_1)
	s_lshl_b32 s14, s14, 2
	v_add_co_u32 v17, vcc_lo, v2, s14
	v_add_co_ci_u32_e32 v18, vcc_lo, 0, v3, vcc_lo
	v_add_co_u32 v15, vcc_lo, s37, v15
	v_add_co_ci_u32_e32 v16, vcc_lo, s38, v16, vcc_lo
	global_store_b64 v[15:16], v[17:18], off
.LBB924_50:                             ;   in Loop: Header=BB924_6 Depth=1
	s_or_b32 exec_lo, exec_lo, s13
	s_delay_alu instid0(SALU_CYCLE_1)
	s_mov_b32 s13, exec_lo
	v_cmpx_ne_u32_e32 0, v94
	s_cbranch_execz .LBB924_53
; %bb.51:                               ;   in Loop: Header=BB924_6 Depth=1
	s_waitcnt lgkmcnt(10)
	v_ashrrev_i32_e32 v15, 31, v14
	s_delay_alu instid0(VALU_DEP_1)
	v_cmp_gt_i64_e32 vcc_lo, s[30:31], v[14:15]
	s_and_b32 exec_lo, exec_lo, vcc_lo
	s_cbranch_execz .LBB924_53
; %bb.52:                               ;   in Loop: Header=BB924_6 Depth=1
	s_load_b32 s14, s[0:1], 0xc
	v_lshlrev_b64 v[14:15], 3, v[14:15]
	s_delay_alu instid0(VALU_DEP_1) | instskip(NEXT) | instid1(VALU_DEP_2)
	v_add_co_u32 v14, vcc_lo, s37, v14
	v_add_co_ci_u32_e32 v15, vcc_lo, s38, v15, vcc_lo
	s_waitcnt lgkmcnt(0)
	s_and_b32 s14, s14, 0xffff
	s_delay_alu instid0(SALU_CYCLE_1)
	v_mad_u64_u32 v[16:17], null, s14, 5, v[2:3]
	global_store_b64 v[14:15], v[16:17], off
.LBB924_53:                             ;   in Loop: Header=BB924_6 Depth=1
	s_or_b32 exec_lo, exec_lo, s13
	s_delay_alu instid0(SALU_CYCLE_1)
	s_mov_b32 s13, exec_lo
	v_cmpx_ne_u32_e32 0, v93
	s_cbranch_execz .LBB924_56
; %bb.54:                               ;   in Loop: Header=BB924_6 Depth=1
	s_waitcnt lgkmcnt(9)
	v_ashrrev_i32_e32 v14, 31, v13
	s_delay_alu instid0(VALU_DEP_1)
	v_cmp_gt_i64_e32 vcc_lo, s[30:31], v[13:14]
	s_and_b32 exec_lo, exec_lo, vcc_lo
	s_cbranch_execz .LBB924_56
; %bb.55:                               ;   in Loop: Header=BB924_6 Depth=1
	s_load_b32 s14, s[0:1], 0xc
	v_lshlrev_b64 v[13:14], 3, v[13:14]
	s_delay_alu instid0(VALU_DEP_1) | instskip(NEXT) | instid1(VALU_DEP_2)
	v_add_co_u32 v13, vcc_lo, s37, v13
	v_add_co_ci_u32_e32 v14, vcc_lo, s38, v14, vcc_lo
	s_waitcnt lgkmcnt(0)
	s_and_b32 s14, s14, 0xffff
	s_delay_alu instid0(SALU_CYCLE_1)
	v_mad_u64_u32 v[15:16], null, s14, 6, v[2:3]
	global_store_b64 v[13:14], v[15:16], off
.LBB924_56:                             ;   in Loop: Header=BB924_6 Depth=1
	;; [unrolled: 24-line block ×3, first 2 shown]
	s_or_b32 exec_lo, exec_lo, s13
	s_delay_alu instid0(SALU_CYCLE_1)
	s_mov_b32 s13, exec_lo
	v_cmpx_ne_u32_e32 0, v91
	s_cbranch_execz .LBB924_62
; %bb.60:                               ;   in Loop: Header=BB924_6 Depth=1
	s_waitcnt lgkmcnt(7)
	v_ashrrev_i32_e32 v12, 31, v11
	s_delay_alu instid0(VALU_DEP_1)
	v_cmp_gt_i64_e32 vcc_lo, s[30:31], v[11:12]
	s_and_b32 exec_lo, exec_lo, vcc_lo
	s_cbranch_execz .LBB924_62
; %bb.61:                               ;   in Loop: Header=BB924_6 Depth=1
	s_load_b32 s14, s[0:1], 0xc
	v_lshlrev_b64 v[11:12], 3, v[11:12]
	s_waitcnt lgkmcnt(0)
	s_and_b32 s14, s14, 0xffff
	s_delay_alu instid0(SALU_CYCLE_1) | instskip(NEXT) | instid1(SALU_CYCLE_1)
	s_lshl_b32 s14, s14, 3
	v_add_co_u32 v13, vcc_lo, v2, s14
	v_add_co_ci_u32_e32 v14, vcc_lo, 0, v3, vcc_lo
	v_add_co_u32 v11, vcc_lo, s37, v11
	v_add_co_ci_u32_e32 v12, vcc_lo, s38, v12, vcc_lo
	global_store_b64 v[11:12], v[13:14], off
.LBB924_62:                             ;   in Loop: Header=BB924_6 Depth=1
	s_or_b32 exec_lo, exec_lo, s13
	s_delay_alu instid0(SALU_CYCLE_1)
	s_mov_b32 s13, exec_lo
	v_cmpx_ne_u32_e32 0, v90
	s_cbranch_execz .LBB924_65
; %bb.63:                               ;   in Loop: Header=BB924_6 Depth=1
	s_waitcnt lgkmcnt(6)
	v_ashrrev_i32_e32 v11, 31, v10
	s_delay_alu instid0(VALU_DEP_1)
	v_cmp_gt_i64_e32 vcc_lo, s[30:31], v[10:11]
	s_and_b32 exec_lo, exec_lo, vcc_lo
	s_cbranch_execz .LBB924_65
; %bb.64:                               ;   in Loop: Header=BB924_6 Depth=1
	s_load_b32 s14, s[0:1], 0xc
	v_lshlrev_b64 v[10:11], 3, v[10:11]
	s_delay_alu instid0(VALU_DEP_1) | instskip(NEXT) | instid1(VALU_DEP_2)
	v_add_co_u32 v10, vcc_lo, s37, v10
	v_add_co_ci_u32_e32 v11, vcc_lo, s38, v11, vcc_lo
	s_waitcnt lgkmcnt(0)
	s_and_b32 s14, s14, 0xffff
	s_delay_alu instid0(SALU_CYCLE_1)
	v_mad_u64_u32 v[12:13], null, s14, 9, v[2:3]
	global_store_b64 v[10:11], v[12:13], off
.LBB924_65:                             ;   in Loop: Header=BB924_6 Depth=1
	s_or_b32 exec_lo, exec_lo, s13
	s_delay_alu instid0(SALU_CYCLE_1)
	s_mov_b32 s13, exec_lo
	v_cmpx_ne_u32_e32 0, v89
	s_cbranch_execz .LBB924_68
; %bb.66:                               ;   in Loop: Header=BB924_6 Depth=1
	s_waitcnt lgkmcnt(5)
	v_ashrrev_i32_e32 v10, 31, v9
	s_delay_alu instid0(VALU_DEP_1)
	v_cmp_gt_i64_e32 vcc_lo, s[30:31], v[9:10]
	s_and_b32 exec_lo, exec_lo, vcc_lo
	s_cbranch_execz .LBB924_68
; %bb.67:                               ;   in Loop: Header=BB924_6 Depth=1
	s_load_b32 s14, s[0:1], 0xc
	v_lshlrev_b64 v[9:10], 3, v[9:10]
	s_delay_alu instid0(VALU_DEP_1) | instskip(NEXT) | instid1(VALU_DEP_2)
	v_add_co_u32 v9, vcc_lo, s37, v9
	v_add_co_ci_u32_e32 v10, vcc_lo, s38, v10, vcc_lo
	s_waitcnt lgkmcnt(0)
	s_and_b32 s14, s14, 0xffff
	s_delay_alu instid0(SALU_CYCLE_1)
	v_mad_u64_u32 v[11:12], null, s14, 10, v[2:3]
	global_store_b64 v[9:10], v[11:12], off
.LBB924_68:                             ;   in Loop: Header=BB924_6 Depth=1
	;; [unrolled: 24-line block ×6, first 2 shown]
	s_or_b32 exec_lo, exec_lo, s13
	s_delay_alu instid0(SALU_CYCLE_1)
	s_mov_b32 s13, exec_lo
	v_cmpx_ne_u32_e32 0, v84
	s_cbranch_execz .LBB924_83
; %bb.81:                               ;   in Loop: Header=BB924_6 Depth=1
	s_waitcnt lgkmcnt(0)
	v_ashrrev_i32_e32 v5, 31, v4
	s_delay_alu instid0(VALU_DEP_1)
	v_cmp_gt_i64_e32 vcc_lo, s[30:31], v[4:5]
	s_and_b32 exec_lo, exec_lo, vcc_lo
	s_cbranch_execz .LBB924_83
; %bb.82:                               ;   in Loop: Header=BB924_6 Depth=1
	s_load_b32 s14, s[0:1], 0xc
	v_lshlrev_b64 v[4:5], 3, v[4:5]
	s_waitcnt lgkmcnt(0)
	s_and_b32 s14, s14, 0xffff
	s_delay_alu instid0(SALU_CYCLE_1) | instskip(NEXT) | instid1(VALU_DEP_2)
	v_mad_u64_u32 v[6:7], null, s14, 15, v[2:3]
	v_add_co_u32 v2, vcc_lo, s37, v4
	s_delay_alu instid0(VALU_DEP_3)
	v_add_co_ci_u32_e32 v3, vcc_lo, s38, v5, vcc_lo
	global_store_b64 v[2:3], v[6:7], off
.LBB924_83:                             ;   in Loop: Header=BB924_6 Depth=1
	s_or_b32 exec_lo, exec_lo, s13
	ds_load_b32 v2, v1 offset:33792
	v_cmp_gt_i64_e64 s13, 0x2001, s[34:35]
	s_waitcnt lgkmcnt(0)
	v_readfirstlane_b32 s14, v2
	s_delay_alu instid0(VALU_DEP_1) | instskip(SKIP_2) | instid1(SALU_CYCLE_1)
	s_ashr_i32 s15, s14, 31
	s_sub_u32 s30, s30, s14
	s_subb_u32 s31, s31, s15
	v_cmp_lt_i64_e64 s16, s[30:31], 1
	s_delay_alu instid0(VALU_DEP_1) | instskip(NEXT) | instid1(SALU_CYCLE_1)
	s_or_b32 s13, s13, s16
	s_and_b32 vcc_lo, exec_lo, s13
	s_cbranch_vccnz .LBB924_5
; %bb.84:                               ;   in Loop: Header=BB924_6 Depth=1
	s_add_u32 s28, s28, 0x2000
	s_addc_u32 s29, s29, 0
	s_add_u32 s33, s33, 0x4000
	s_addc_u32 s36, s36, 0
	s_lshl_b64 s[14:15], s[14:15], 3
	s_waitcnt_vscnt null, 0x0
	s_add_u32 s37, s37, s14
	s_addc_u32 s38, s38, s15
	s_barrier
	buffer_gl0_inv
	s_branch .LBB924_5
.LBB924_85:                             ;   in Loop: Header=BB924_6 Depth=1
	global_load_u16 v16, v[18:19], off
	v_mov_b32_e32 v3, v1
	v_mov_b32_e32 v15, v1
	v_mov_b32_e32 v2, v1
	v_mov_b32_e32 v4, v1
	v_mov_b32_e32 v5, v1
	v_mov_b32_e32 v6, v1
	v_mov_b32_e32 v7, v1
	v_mov_b32_e32 v8, v1
	v_mov_b32_e32 v9, v1
	v_mov_b32_e32 v10, v1
	v_mov_b32_e32 v11, v1
	v_mov_b32_e32 v12, v1
	v_mov_b32_e32 v13, v1
	v_mov_b32_e32 v14, v1
	s_waitcnt vmcnt(0)
	v_dual_mov_b32 v17, v15 :: v_dual_and_b32 v20, 0x7fff, v16
	s_delay_alu instid0(VALU_DEP_2) | instskip(SKIP_1) | instid1(VALU_DEP_3)
	v_dual_mov_b32 v16, v14 :: v_dual_mov_b32 v15, v13
	v_mov_b32_e32 v14, v12
	v_cmp_ne_u16_e32 vcc_lo, 0, v20
	v_mov_b32_e32 v13, v11
	v_mov_b32_e32 v12, v10
	;; [unrolled: 1-line block ×12, first 2 shown]
	v_cndmask_b32_e64 v2, 0, 1, vcc_lo
	s_or_b32 exec_lo, exec_lo, s13
	s_delay_alu instid0(SALU_CYCLE_1)
	s_mov_b32 s13, exec_lo
	v_cmpx_gt_u32_e64 s34, v43
	s_cbranch_execz .LBB924_9
.LBB924_86:                             ;   in Loop: Header=BB924_6 Depth=1
	global_load_u16 v3, v[18:19], off offset:64
	s_waitcnt vmcnt(0)
	v_and_b32_e32 v3, 0x7fff, v3
	s_delay_alu instid0(VALU_DEP_1) | instskip(SKIP_2) | instid1(SALU_CYCLE_1)
	v_cmp_ne_u16_e32 vcc_lo, 0, v3
	v_cndmask_b32_e64 v3, 0, 1, vcc_lo
	s_or_b32 exec_lo, exec_lo, s13
	s_mov_b32 s13, exec_lo
	v_cmpx_gt_u32_e64 s34, v44
	s_cbranch_execz .LBB924_10
.LBB924_87:                             ;   in Loop: Header=BB924_6 Depth=1
	global_load_u16 v4, v[18:19], off offset:128
	s_waitcnt vmcnt(0)
	v_and_b32_e32 v4, 0x7fff, v4
	s_delay_alu instid0(VALU_DEP_1) | instskip(SKIP_2) | instid1(SALU_CYCLE_1)
	v_cmp_ne_u16_e32 vcc_lo, 0, v4
	v_cndmask_b32_e64 v4, 0, 1, vcc_lo
	s_or_b32 exec_lo, exec_lo, s13
	s_mov_b32 s13, exec_lo
	v_cmpx_gt_u32_e64 s34, v45
	s_cbranch_execz .LBB924_11
.LBB924_88:                             ;   in Loop: Header=BB924_6 Depth=1
	global_load_u16 v5, v[18:19], off offset:192
	s_waitcnt vmcnt(0)
	v_and_b32_e32 v5, 0x7fff, v5
	s_delay_alu instid0(VALU_DEP_1) | instskip(SKIP_2) | instid1(SALU_CYCLE_1)
	v_cmp_ne_u16_e32 vcc_lo, 0, v5
	v_cndmask_b32_e64 v5, 0, 1, vcc_lo
	s_or_b32 exec_lo, exec_lo, s13
	s_mov_b32 s13, exec_lo
	v_cmpx_gt_u32_e64 s34, v46
	s_cbranch_execz .LBB924_12
.LBB924_89:                             ;   in Loop: Header=BB924_6 Depth=1
	global_load_u16 v6, v[18:19], off offset:256
	s_waitcnt vmcnt(0)
	v_and_b32_e32 v6, 0x7fff, v6
	s_delay_alu instid0(VALU_DEP_1) | instskip(SKIP_2) | instid1(SALU_CYCLE_1)
	v_cmp_ne_u16_e32 vcc_lo, 0, v6
	v_cndmask_b32_e64 v6, 0, 1, vcc_lo
	s_or_b32 exec_lo, exec_lo, s13
	s_mov_b32 s13, exec_lo
	v_cmpx_gt_u32_e64 s34, v47
	s_cbranch_execz .LBB924_13
.LBB924_90:                             ;   in Loop: Header=BB924_6 Depth=1
	global_load_u16 v7, v[18:19], off offset:320
	s_waitcnt vmcnt(0)
	v_and_b32_e32 v7, 0x7fff, v7
	s_delay_alu instid0(VALU_DEP_1) | instskip(SKIP_2) | instid1(SALU_CYCLE_1)
	v_cmp_ne_u16_e32 vcc_lo, 0, v7
	v_cndmask_b32_e64 v7, 0, 1, vcc_lo
	s_or_b32 exec_lo, exec_lo, s13
	s_mov_b32 s13, exec_lo
	v_cmpx_gt_u32_e64 s34, v48
	s_cbranch_execz .LBB924_14
.LBB924_91:                             ;   in Loop: Header=BB924_6 Depth=1
	global_load_u16 v8, v[18:19], off offset:384
	s_waitcnt vmcnt(0)
	v_and_b32_e32 v8, 0x7fff, v8
	s_delay_alu instid0(VALU_DEP_1) | instskip(SKIP_2) | instid1(SALU_CYCLE_1)
	v_cmp_ne_u16_e32 vcc_lo, 0, v8
	v_cndmask_b32_e64 v8, 0, 1, vcc_lo
	s_or_b32 exec_lo, exec_lo, s13
	s_mov_b32 s13, exec_lo
	v_cmpx_gt_u32_e64 s34, v49
	s_cbranch_execz .LBB924_15
.LBB924_92:                             ;   in Loop: Header=BB924_6 Depth=1
	global_load_u16 v9, v[18:19], off offset:448
	s_waitcnt vmcnt(0)
	v_and_b32_e32 v9, 0x7fff, v9
	s_delay_alu instid0(VALU_DEP_1) | instskip(SKIP_2) | instid1(SALU_CYCLE_1)
	v_cmp_ne_u16_e32 vcc_lo, 0, v9
	v_cndmask_b32_e64 v9, 0, 1, vcc_lo
	s_or_b32 exec_lo, exec_lo, s13
	s_mov_b32 s13, exec_lo
	v_cmpx_gt_u32_e64 s34, v50
	s_cbranch_execz .LBB924_16
.LBB924_93:                             ;   in Loop: Header=BB924_6 Depth=1
	global_load_u16 v10, v[18:19], off offset:512
	s_waitcnt vmcnt(0)
	v_and_b32_e32 v10, 0x7fff, v10
	s_delay_alu instid0(VALU_DEP_1) | instskip(SKIP_2) | instid1(SALU_CYCLE_1)
	v_cmp_ne_u16_e32 vcc_lo, 0, v10
	v_cndmask_b32_e64 v10, 0, 1, vcc_lo
	s_or_b32 exec_lo, exec_lo, s13
	s_mov_b32 s13, exec_lo
	v_cmpx_gt_u32_e64 s34, v51
	s_cbranch_execz .LBB924_17
.LBB924_94:                             ;   in Loop: Header=BB924_6 Depth=1
	global_load_u16 v11, v[18:19], off offset:576
	s_waitcnt vmcnt(0)
	v_and_b32_e32 v11, 0x7fff, v11
	s_delay_alu instid0(VALU_DEP_1) | instskip(SKIP_2) | instid1(SALU_CYCLE_1)
	v_cmp_ne_u16_e32 vcc_lo, 0, v11
	v_cndmask_b32_e64 v11, 0, 1, vcc_lo
	s_or_b32 exec_lo, exec_lo, s13
	s_mov_b32 s13, exec_lo
	v_cmpx_gt_u32_e64 s34, v52
	s_cbranch_execz .LBB924_18
.LBB924_95:                             ;   in Loop: Header=BB924_6 Depth=1
	global_load_u16 v12, v[18:19], off offset:640
	s_waitcnt vmcnt(0)
	v_and_b32_e32 v12, 0x7fff, v12
	s_delay_alu instid0(VALU_DEP_1) | instskip(SKIP_2) | instid1(SALU_CYCLE_1)
	v_cmp_ne_u16_e32 vcc_lo, 0, v12
	v_cndmask_b32_e64 v12, 0, 1, vcc_lo
	s_or_b32 exec_lo, exec_lo, s13
	s_mov_b32 s13, exec_lo
	v_cmpx_gt_u32_e64 s34, v53
	s_cbranch_execz .LBB924_19
.LBB924_96:                             ;   in Loop: Header=BB924_6 Depth=1
	global_load_u16 v13, v[18:19], off offset:704
	s_waitcnt vmcnt(0)
	v_and_b32_e32 v13, 0x7fff, v13
	s_delay_alu instid0(VALU_DEP_1) | instskip(SKIP_2) | instid1(SALU_CYCLE_1)
	v_cmp_ne_u16_e32 vcc_lo, 0, v13
	v_cndmask_b32_e64 v13, 0, 1, vcc_lo
	s_or_b32 exec_lo, exec_lo, s13
	s_mov_b32 s13, exec_lo
	v_cmpx_gt_u32_e64 s34, v54
	s_cbranch_execz .LBB924_20
.LBB924_97:                             ;   in Loop: Header=BB924_6 Depth=1
	global_load_u16 v14, v[18:19], off offset:768
	s_waitcnt vmcnt(0)
	v_and_b32_e32 v14, 0x7fff, v14
	s_delay_alu instid0(VALU_DEP_1) | instskip(SKIP_2) | instid1(SALU_CYCLE_1)
	v_cmp_ne_u16_e32 vcc_lo, 0, v14
	v_cndmask_b32_e64 v14, 0, 1, vcc_lo
	s_or_b32 exec_lo, exec_lo, s13
	s_mov_b32 s13, exec_lo
	v_cmpx_gt_u32_e64 s34, v55
	s_cbranch_execz .LBB924_21
.LBB924_98:                             ;   in Loop: Header=BB924_6 Depth=1
	global_load_u16 v15, v[18:19], off offset:832
	s_waitcnt vmcnt(0)
	v_and_b32_e32 v15, 0x7fff, v15
	s_delay_alu instid0(VALU_DEP_1) | instskip(SKIP_2) | instid1(SALU_CYCLE_1)
	v_cmp_ne_u16_e32 vcc_lo, 0, v15
	v_cndmask_b32_e64 v15, 0, 1, vcc_lo
	s_or_b32 exec_lo, exec_lo, s13
	s_mov_b32 s13, exec_lo
	v_cmpx_gt_u32_e64 s34, v56
	s_cbranch_execz .LBB924_22
.LBB924_99:                             ;   in Loop: Header=BB924_6 Depth=1
	global_load_u16 v16, v[18:19], off offset:896
	s_waitcnt vmcnt(0)
	v_and_b32_e32 v16, 0x7fff, v16
	s_delay_alu instid0(VALU_DEP_1) | instskip(SKIP_2) | instid1(SALU_CYCLE_1)
	v_cmp_ne_u16_e32 vcc_lo, 0, v16
	v_cndmask_b32_e64 v16, 0, 1, vcc_lo
	s_or_b32 exec_lo, exec_lo, s13
	s_mov_b32 s13, exec_lo
	v_cmpx_gt_u32_e64 s34, v57
	s_cbranch_execnz .LBB924_23
	s_branch .LBB924_24
.LBB924_100:
	s_nop 0
	s_sendmsg sendmsg(MSG_DEALLOC_VGPRS)
	s_endpgm
	.section	.rodata,"a",@progbits
	.p2align	6, 0x0
	.amdhsa_kernel _ZN2at6native12_GLOBAL__N_111flag_kernelILi512ELi16EN3c104HalfEEEvPKT1_PlPKllli
		.amdhsa_group_segment_fixed_size 33796
		.amdhsa_private_segment_fixed_size 0
		.amdhsa_kernarg_size 304
		.amdhsa_user_sgpr_count 15
		.amdhsa_user_sgpr_dispatch_ptr 0
		.amdhsa_user_sgpr_queue_ptr 0
		.amdhsa_user_sgpr_kernarg_segment_ptr 1
		.amdhsa_user_sgpr_dispatch_id 0
		.amdhsa_user_sgpr_private_segment_size 0
		.amdhsa_wavefront_size32 1
		.amdhsa_uses_dynamic_stack 0
		.amdhsa_enable_private_segment 0
		.amdhsa_system_sgpr_workgroup_id_x 1
		.amdhsa_system_sgpr_workgroup_id_y 0
		.amdhsa_system_sgpr_workgroup_id_z 0
		.amdhsa_system_sgpr_workgroup_info 0
		.amdhsa_system_vgpr_workitem_id 0
		.amdhsa_next_free_vgpr 109
		.amdhsa_next_free_sgpr 40
		.amdhsa_reserve_vcc 1
		.amdhsa_float_round_mode_32 0
		.amdhsa_float_round_mode_16_64 0
		.amdhsa_float_denorm_mode_32 3
		.amdhsa_float_denorm_mode_16_64 3
		.amdhsa_dx10_clamp 1
		.amdhsa_ieee_mode 1
		.amdhsa_fp16_overflow 0
		.amdhsa_workgroup_processor_mode 1
		.amdhsa_memory_ordered 1
		.amdhsa_forward_progress 0
		.amdhsa_shared_vgpr_count 0
		.amdhsa_exception_fp_ieee_invalid_op 0
		.amdhsa_exception_fp_denorm_src 0
		.amdhsa_exception_fp_ieee_div_zero 0
		.amdhsa_exception_fp_ieee_overflow 0
		.amdhsa_exception_fp_ieee_underflow 0
		.amdhsa_exception_fp_ieee_inexact 0
		.amdhsa_exception_int_div_zero 0
	.end_amdhsa_kernel
	.section	.text._ZN2at6native12_GLOBAL__N_111flag_kernelILi512ELi16EN3c104HalfEEEvPKT1_PlPKllli,"axG",@progbits,_ZN2at6native12_GLOBAL__N_111flag_kernelILi512ELi16EN3c104HalfEEEvPKT1_PlPKllli,comdat
.Lfunc_end924:
	.size	_ZN2at6native12_GLOBAL__N_111flag_kernelILi512ELi16EN3c104HalfEEEvPKT1_PlPKllli, .Lfunc_end924-_ZN2at6native12_GLOBAL__N_111flag_kernelILi512ELi16EN3c104HalfEEEvPKT1_PlPKllli
                                        ; -- End function
	.section	.AMDGPU.csdata,"",@progbits
; Kernel info:
; codeLenInByte = 6520
; NumSgprs: 42
; NumVgprs: 109
; ScratchSize: 0
; MemoryBound: 0
; FloatMode: 240
; IeeeMode: 1
; LDSByteSize: 33796 bytes/workgroup (compile time only)
; SGPRBlocks: 5
; VGPRBlocks: 13
; NumSGPRsForWavesPerEU: 42
; NumVGPRsForWavesPerEU: 109
; Occupancy: 12
; WaveLimiterHint : 0
; COMPUTE_PGM_RSRC2:SCRATCH_EN: 0
; COMPUTE_PGM_RSRC2:USER_SGPR: 15
; COMPUTE_PGM_RSRC2:TRAP_HANDLER: 0
; COMPUTE_PGM_RSRC2:TGID_X_EN: 1
; COMPUTE_PGM_RSRC2:TGID_Y_EN: 0
; COMPUTE_PGM_RSRC2:TGID_Z_EN: 0
; COMPUTE_PGM_RSRC2:TIDIG_COMP_CNT: 0
	.text
	.p2alignl 7, 3214868480
	.fill 96, 4, 3214868480
	.type	__hip_cuid_3722331212c6b2a6,@object ; @__hip_cuid_3722331212c6b2a6
	.section	.bss,"aw",@nobits
	.globl	__hip_cuid_3722331212c6b2a6
__hip_cuid_3722331212c6b2a6:
	.byte	0                               ; 0x0
	.size	__hip_cuid_3722331212c6b2a6, 1

	.ident	"AMD clang version 19.0.0git (https://github.com/RadeonOpenCompute/llvm-project roc-6.4.0 25133 c7fe45cf4b819c5991fe208aaa96edf142730f1d)"
	.section	".note.GNU-stack","",@progbits
	.addrsig
	.addrsig_sym __hip_cuid_3722331212c6b2a6
	.amdgpu_metadata
---
amdhsa.kernels:
  - .args:
      - .address_space:  global
        .offset:         0
        .size:           8
        .value_kind:     global_buffer
      - .address_space:  global
        .offset:         8
        .size:           8
        .value_kind:     global_buffer
      - .offset:         16
        .size:           8
        .value_kind:     by_value
      - .offset:         24
        .size:           8
        .value_kind:     by_value
      - .offset:         32
        .size:           4
        .value_kind:     hidden_block_count_x
      - .offset:         36
        .size:           4
        .value_kind:     hidden_block_count_y
      - .offset:         40
        .size:           4
        .value_kind:     hidden_block_count_z
      - .offset:         44
        .size:           2
        .value_kind:     hidden_group_size_x
      - .offset:         46
        .size:           2
        .value_kind:     hidden_group_size_y
      - .offset:         48
        .size:           2
        .value_kind:     hidden_group_size_z
      - .offset:         50
        .size:           2
        .value_kind:     hidden_remainder_x
      - .offset:         52
        .size:           2
        .value_kind:     hidden_remainder_y
      - .offset:         54
        .size:           2
        .value_kind:     hidden_remainder_z
      - .offset:         72
        .size:           8
        .value_kind:     hidden_global_offset_x
      - .offset:         80
        .size:           8
        .value_kind:     hidden_global_offset_y
      - .offset:         88
        .size:           8
        .value_kind:     hidden_global_offset_z
      - .offset:         96
        .size:           2
        .value_kind:     hidden_grid_dims
    .group_segment_fixed_size: 0
    .kernarg_segment_align: 8
    .kernarg_segment_size: 288
    .language:       OpenCL C
    .language_version:
      - 2
      - 0
    .max_flat_workgroup_size: 1024
    .name:           _ZN2at6native12_GLOBAL__N_116write_fill_valueEPlS2_ll
    .private_segment_fixed_size: 0
    .sgpr_count:     18
    .sgpr_spill_count: 0
    .symbol:         _ZN2at6native12_GLOBAL__N_116write_fill_valueEPlS2_ll.kd
    .uniform_work_group_size: 1
    .uses_dynamic_stack: false
    .vgpr_count:     6
    .vgpr_spill_count: 0
    .wavefront_size: 32
    .workgroup_processor_mode: 1
  - .args:
      - .offset:         0
        .size:           56
        .value_kind:     by_value
    .group_segment_fixed_size: 0
    .kernarg_segment_align: 8
    .kernarg_segment_size: 56
    .language:       OpenCL C
    .language_version:
      - 2
      - 0
    .max_flat_workgroup_size: 256
    .name:           _ZN7rocprim17ROCPRIM_400000_NS6detail17trampoline_kernelINS0_14default_configENS1_22reduce_config_selectorIiEEZNS1_11reduce_implILb1ES3_PiS7_iN6hipcub16HIPCUB_304000_NS6detail34convert_binary_result_type_wrapperINS9_3SumENS9_22TransformInputIteratorIbN2at6native12_GLOBAL__N_19NonZeroOpIhEEPKhlEEiEEEE10hipError_tPvRmT1_T2_T3_mT4_P12ihipStream_tbEUlT_E0_NS1_11comp_targetILNS1_3genE0ELNS1_11target_archE4294967295ELNS1_3gpuE0ELNS1_3repE0EEENS1_30default_config_static_selectorELNS0_4arch9wavefront6targetE0EEEvSQ_
    .private_segment_fixed_size: 0
    .sgpr_count:     0
    .sgpr_spill_count: 0
    .symbol:         _ZN7rocprim17ROCPRIM_400000_NS6detail17trampoline_kernelINS0_14default_configENS1_22reduce_config_selectorIiEEZNS1_11reduce_implILb1ES3_PiS7_iN6hipcub16HIPCUB_304000_NS6detail34convert_binary_result_type_wrapperINS9_3SumENS9_22TransformInputIteratorIbN2at6native12_GLOBAL__N_19NonZeroOpIhEEPKhlEEiEEEE10hipError_tPvRmT1_T2_T3_mT4_P12ihipStream_tbEUlT_E0_NS1_11comp_targetILNS1_3genE0ELNS1_11target_archE4294967295ELNS1_3gpuE0ELNS1_3repE0EEENS1_30default_config_static_selectorELNS0_4arch9wavefront6targetE0EEEvSQ_.kd
    .uniform_work_group_size: 1
    .uses_dynamic_stack: false
    .vgpr_count:     0
    .vgpr_spill_count: 0
    .wavefront_size: 32
    .workgroup_processor_mode: 1
  - .args:
      - .offset:         0
        .size:           56
        .value_kind:     by_value
    .group_segment_fixed_size: 0
    .kernarg_segment_align: 8
    .kernarg_segment_size: 56
    .language:       OpenCL C
    .language_version:
      - 2
      - 0
    .max_flat_workgroup_size: 256
    .name:           _ZN7rocprim17ROCPRIM_400000_NS6detail17trampoline_kernelINS0_14default_configENS1_22reduce_config_selectorIiEEZNS1_11reduce_implILb1ES3_PiS7_iN6hipcub16HIPCUB_304000_NS6detail34convert_binary_result_type_wrapperINS9_3SumENS9_22TransformInputIteratorIbN2at6native12_GLOBAL__N_19NonZeroOpIhEEPKhlEEiEEEE10hipError_tPvRmT1_T2_T3_mT4_P12ihipStream_tbEUlT_E0_NS1_11comp_targetILNS1_3genE5ELNS1_11target_archE942ELNS1_3gpuE9ELNS1_3repE0EEENS1_30default_config_static_selectorELNS0_4arch9wavefront6targetE0EEEvSQ_
    .private_segment_fixed_size: 0
    .sgpr_count:     0
    .sgpr_spill_count: 0
    .symbol:         _ZN7rocprim17ROCPRIM_400000_NS6detail17trampoline_kernelINS0_14default_configENS1_22reduce_config_selectorIiEEZNS1_11reduce_implILb1ES3_PiS7_iN6hipcub16HIPCUB_304000_NS6detail34convert_binary_result_type_wrapperINS9_3SumENS9_22TransformInputIteratorIbN2at6native12_GLOBAL__N_19NonZeroOpIhEEPKhlEEiEEEE10hipError_tPvRmT1_T2_T3_mT4_P12ihipStream_tbEUlT_E0_NS1_11comp_targetILNS1_3genE5ELNS1_11target_archE942ELNS1_3gpuE9ELNS1_3repE0EEENS1_30default_config_static_selectorELNS0_4arch9wavefront6targetE0EEEvSQ_.kd
    .uniform_work_group_size: 1
    .uses_dynamic_stack: false
    .vgpr_count:     0
    .vgpr_spill_count: 0
    .wavefront_size: 32
    .workgroup_processor_mode: 1
  - .args:
      - .offset:         0
        .size:           56
        .value_kind:     by_value
    .group_segment_fixed_size: 0
    .kernarg_segment_align: 8
    .kernarg_segment_size: 56
    .language:       OpenCL C
    .language_version:
      - 2
      - 0
    .max_flat_workgroup_size: 128
    .name:           _ZN7rocprim17ROCPRIM_400000_NS6detail17trampoline_kernelINS0_14default_configENS1_22reduce_config_selectorIiEEZNS1_11reduce_implILb1ES3_PiS7_iN6hipcub16HIPCUB_304000_NS6detail34convert_binary_result_type_wrapperINS9_3SumENS9_22TransformInputIteratorIbN2at6native12_GLOBAL__N_19NonZeroOpIhEEPKhlEEiEEEE10hipError_tPvRmT1_T2_T3_mT4_P12ihipStream_tbEUlT_E0_NS1_11comp_targetILNS1_3genE4ELNS1_11target_archE910ELNS1_3gpuE8ELNS1_3repE0EEENS1_30default_config_static_selectorELNS0_4arch9wavefront6targetE0EEEvSQ_
    .private_segment_fixed_size: 0
    .sgpr_count:     0
    .sgpr_spill_count: 0
    .symbol:         _ZN7rocprim17ROCPRIM_400000_NS6detail17trampoline_kernelINS0_14default_configENS1_22reduce_config_selectorIiEEZNS1_11reduce_implILb1ES3_PiS7_iN6hipcub16HIPCUB_304000_NS6detail34convert_binary_result_type_wrapperINS9_3SumENS9_22TransformInputIteratorIbN2at6native12_GLOBAL__N_19NonZeroOpIhEEPKhlEEiEEEE10hipError_tPvRmT1_T2_T3_mT4_P12ihipStream_tbEUlT_E0_NS1_11comp_targetILNS1_3genE4ELNS1_11target_archE910ELNS1_3gpuE8ELNS1_3repE0EEENS1_30default_config_static_selectorELNS0_4arch9wavefront6targetE0EEEvSQ_.kd
    .uniform_work_group_size: 1
    .uses_dynamic_stack: false
    .vgpr_count:     0
    .vgpr_spill_count: 0
    .wavefront_size: 32
    .workgroup_processor_mode: 1
  - .args:
      - .offset:         0
        .size:           56
        .value_kind:     by_value
    .group_segment_fixed_size: 0
    .kernarg_segment_align: 8
    .kernarg_segment_size: 56
    .language:       OpenCL C
    .language_version:
      - 2
      - 0
    .max_flat_workgroup_size: 256
    .name:           _ZN7rocprim17ROCPRIM_400000_NS6detail17trampoline_kernelINS0_14default_configENS1_22reduce_config_selectorIiEEZNS1_11reduce_implILb1ES3_PiS7_iN6hipcub16HIPCUB_304000_NS6detail34convert_binary_result_type_wrapperINS9_3SumENS9_22TransformInputIteratorIbN2at6native12_GLOBAL__N_19NonZeroOpIhEEPKhlEEiEEEE10hipError_tPvRmT1_T2_T3_mT4_P12ihipStream_tbEUlT_E0_NS1_11comp_targetILNS1_3genE3ELNS1_11target_archE908ELNS1_3gpuE7ELNS1_3repE0EEENS1_30default_config_static_selectorELNS0_4arch9wavefront6targetE0EEEvSQ_
    .private_segment_fixed_size: 0
    .sgpr_count:     0
    .sgpr_spill_count: 0
    .symbol:         _ZN7rocprim17ROCPRIM_400000_NS6detail17trampoline_kernelINS0_14default_configENS1_22reduce_config_selectorIiEEZNS1_11reduce_implILb1ES3_PiS7_iN6hipcub16HIPCUB_304000_NS6detail34convert_binary_result_type_wrapperINS9_3SumENS9_22TransformInputIteratorIbN2at6native12_GLOBAL__N_19NonZeroOpIhEEPKhlEEiEEEE10hipError_tPvRmT1_T2_T3_mT4_P12ihipStream_tbEUlT_E0_NS1_11comp_targetILNS1_3genE3ELNS1_11target_archE908ELNS1_3gpuE7ELNS1_3repE0EEENS1_30default_config_static_selectorELNS0_4arch9wavefront6targetE0EEEvSQ_.kd
    .uniform_work_group_size: 1
    .uses_dynamic_stack: false
    .vgpr_count:     0
    .vgpr_spill_count: 0
    .wavefront_size: 32
    .workgroup_processor_mode: 1
  - .args:
      - .offset:         0
        .size:           56
        .value_kind:     by_value
    .group_segment_fixed_size: 0
    .kernarg_segment_align: 8
    .kernarg_segment_size: 56
    .language:       OpenCL C
    .language_version:
      - 2
      - 0
    .max_flat_workgroup_size: 256
    .name:           _ZN7rocprim17ROCPRIM_400000_NS6detail17trampoline_kernelINS0_14default_configENS1_22reduce_config_selectorIiEEZNS1_11reduce_implILb1ES3_PiS7_iN6hipcub16HIPCUB_304000_NS6detail34convert_binary_result_type_wrapperINS9_3SumENS9_22TransformInputIteratorIbN2at6native12_GLOBAL__N_19NonZeroOpIhEEPKhlEEiEEEE10hipError_tPvRmT1_T2_T3_mT4_P12ihipStream_tbEUlT_E0_NS1_11comp_targetILNS1_3genE2ELNS1_11target_archE906ELNS1_3gpuE6ELNS1_3repE0EEENS1_30default_config_static_selectorELNS0_4arch9wavefront6targetE0EEEvSQ_
    .private_segment_fixed_size: 0
    .sgpr_count:     0
    .sgpr_spill_count: 0
    .symbol:         _ZN7rocprim17ROCPRIM_400000_NS6detail17trampoline_kernelINS0_14default_configENS1_22reduce_config_selectorIiEEZNS1_11reduce_implILb1ES3_PiS7_iN6hipcub16HIPCUB_304000_NS6detail34convert_binary_result_type_wrapperINS9_3SumENS9_22TransformInputIteratorIbN2at6native12_GLOBAL__N_19NonZeroOpIhEEPKhlEEiEEEE10hipError_tPvRmT1_T2_T3_mT4_P12ihipStream_tbEUlT_E0_NS1_11comp_targetILNS1_3genE2ELNS1_11target_archE906ELNS1_3gpuE6ELNS1_3repE0EEENS1_30default_config_static_selectorELNS0_4arch9wavefront6targetE0EEEvSQ_.kd
    .uniform_work_group_size: 1
    .uses_dynamic_stack: false
    .vgpr_count:     0
    .vgpr_spill_count: 0
    .wavefront_size: 32
    .workgroup_processor_mode: 1
  - .args:
      - .offset:         0
        .size:           56
        .value_kind:     by_value
    .group_segment_fixed_size: 0
    .kernarg_segment_align: 8
    .kernarg_segment_size: 56
    .language:       OpenCL C
    .language_version:
      - 2
      - 0
    .max_flat_workgroup_size: 256
    .name:           _ZN7rocprim17ROCPRIM_400000_NS6detail17trampoline_kernelINS0_14default_configENS1_22reduce_config_selectorIiEEZNS1_11reduce_implILb1ES3_PiS7_iN6hipcub16HIPCUB_304000_NS6detail34convert_binary_result_type_wrapperINS9_3SumENS9_22TransformInputIteratorIbN2at6native12_GLOBAL__N_19NonZeroOpIhEEPKhlEEiEEEE10hipError_tPvRmT1_T2_T3_mT4_P12ihipStream_tbEUlT_E0_NS1_11comp_targetILNS1_3genE10ELNS1_11target_archE1201ELNS1_3gpuE5ELNS1_3repE0EEENS1_30default_config_static_selectorELNS0_4arch9wavefront6targetE0EEEvSQ_
    .private_segment_fixed_size: 0
    .sgpr_count:     0
    .sgpr_spill_count: 0
    .symbol:         _ZN7rocprim17ROCPRIM_400000_NS6detail17trampoline_kernelINS0_14default_configENS1_22reduce_config_selectorIiEEZNS1_11reduce_implILb1ES3_PiS7_iN6hipcub16HIPCUB_304000_NS6detail34convert_binary_result_type_wrapperINS9_3SumENS9_22TransformInputIteratorIbN2at6native12_GLOBAL__N_19NonZeroOpIhEEPKhlEEiEEEE10hipError_tPvRmT1_T2_T3_mT4_P12ihipStream_tbEUlT_E0_NS1_11comp_targetILNS1_3genE10ELNS1_11target_archE1201ELNS1_3gpuE5ELNS1_3repE0EEENS1_30default_config_static_selectorELNS0_4arch9wavefront6targetE0EEEvSQ_.kd
    .uniform_work_group_size: 1
    .uses_dynamic_stack: false
    .vgpr_count:     0
    .vgpr_spill_count: 0
    .wavefront_size: 32
    .workgroup_processor_mode: 1
  - .args:
      - .offset:         0
        .size:           56
        .value_kind:     by_value
    .group_segment_fixed_size: 0
    .kernarg_segment_align: 8
    .kernarg_segment_size: 56
    .language:       OpenCL C
    .language_version:
      - 2
      - 0
    .max_flat_workgroup_size: 256
    .name:           _ZN7rocprim17ROCPRIM_400000_NS6detail17trampoline_kernelINS0_14default_configENS1_22reduce_config_selectorIiEEZNS1_11reduce_implILb1ES3_PiS7_iN6hipcub16HIPCUB_304000_NS6detail34convert_binary_result_type_wrapperINS9_3SumENS9_22TransformInputIteratorIbN2at6native12_GLOBAL__N_19NonZeroOpIhEEPKhlEEiEEEE10hipError_tPvRmT1_T2_T3_mT4_P12ihipStream_tbEUlT_E0_NS1_11comp_targetILNS1_3genE10ELNS1_11target_archE1200ELNS1_3gpuE4ELNS1_3repE0EEENS1_30default_config_static_selectorELNS0_4arch9wavefront6targetE0EEEvSQ_
    .private_segment_fixed_size: 0
    .sgpr_count:     0
    .sgpr_spill_count: 0
    .symbol:         _ZN7rocprim17ROCPRIM_400000_NS6detail17trampoline_kernelINS0_14default_configENS1_22reduce_config_selectorIiEEZNS1_11reduce_implILb1ES3_PiS7_iN6hipcub16HIPCUB_304000_NS6detail34convert_binary_result_type_wrapperINS9_3SumENS9_22TransformInputIteratorIbN2at6native12_GLOBAL__N_19NonZeroOpIhEEPKhlEEiEEEE10hipError_tPvRmT1_T2_T3_mT4_P12ihipStream_tbEUlT_E0_NS1_11comp_targetILNS1_3genE10ELNS1_11target_archE1200ELNS1_3gpuE4ELNS1_3repE0EEENS1_30default_config_static_selectorELNS0_4arch9wavefront6targetE0EEEvSQ_.kd
    .uniform_work_group_size: 1
    .uses_dynamic_stack: false
    .vgpr_count:     0
    .vgpr_spill_count: 0
    .wavefront_size: 32
    .workgroup_processor_mode: 1
  - .args:
      - .offset:         0
        .size:           56
        .value_kind:     by_value
    .group_segment_fixed_size: 64
    .kernarg_segment_align: 8
    .kernarg_segment_size: 56
    .language:       OpenCL C
    .language_version:
      - 2
      - 0
    .max_flat_workgroup_size: 256
    .name:           _ZN7rocprim17ROCPRIM_400000_NS6detail17trampoline_kernelINS0_14default_configENS1_22reduce_config_selectorIiEEZNS1_11reduce_implILb1ES3_PiS7_iN6hipcub16HIPCUB_304000_NS6detail34convert_binary_result_type_wrapperINS9_3SumENS9_22TransformInputIteratorIbN2at6native12_GLOBAL__N_19NonZeroOpIhEEPKhlEEiEEEE10hipError_tPvRmT1_T2_T3_mT4_P12ihipStream_tbEUlT_E0_NS1_11comp_targetILNS1_3genE9ELNS1_11target_archE1100ELNS1_3gpuE3ELNS1_3repE0EEENS1_30default_config_static_selectorELNS0_4arch9wavefront6targetE0EEEvSQ_
    .private_segment_fixed_size: 0
    .sgpr_count:     24
    .sgpr_spill_count: 0
    .symbol:         _ZN7rocprim17ROCPRIM_400000_NS6detail17trampoline_kernelINS0_14default_configENS1_22reduce_config_selectorIiEEZNS1_11reduce_implILb1ES3_PiS7_iN6hipcub16HIPCUB_304000_NS6detail34convert_binary_result_type_wrapperINS9_3SumENS9_22TransformInputIteratorIbN2at6native12_GLOBAL__N_19NonZeroOpIhEEPKhlEEiEEEE10hipError_tPvRmT1_T2_T3_mT4_P12ihipStream_tbEUlT_E0_NS1_11comp_targetILNS1_3genE9ELNS1_11target_archE1100ELNS1_3gpuE3ELNS1_3repE0EEENS1_30default_config_static_selectorELNS0_4arch9wavefront6targetE0EEEvSQ_.kd
    .uniform_work_group_size: 1
    .uses_dynamic_stack: false
    .vgpr_count:     12
    .vgpr_spill_count: 0
    .wavefront_size: 32
    .workgroup_processor_mode: 1
  - .args:
      - .offset:         0
        .size:           56
        .value_kind:     by_value
    .group_segment_fixed_size: 0
    .kernarg_segment_align: 8
    .kernarg_segment_size: 56
    .language:       OpenCL C
    .language_version:
      - 2
      - 0
    .max_flat_workgroup_size: 256
    .name:           _ZN7rocprim17ROCPRIM_400000_NS6detail17trampoline_kernelINS0_14default_configENS1_22reduce_config_selectorIiEEZNS1_11reduce_implILb1ES3_PiS7_iN6hipcub16HIPCUB_304000_NS6detail34convert_binary_result_type_wrapperINS9_3SumENS9_22TransformInputIteratorIbN2at6native12_GLOBAL__N_19NonZeroOpIhEEPKhlEEiEEEE10hipError_tPvRmT1_T2_T3_mT4_P12ihipStream_tbEUlT_E0_NS1_11comp_targetILNS1_3genE8ELNS1_11target_archE1030ELNS1_3gpuE2ELNS1_3repE0EEENS1_30default_config_static_selectorELNS0_4arch9wavefront6targetE0EEEvSQ_
    .private_segment_fixed_size: 0
    .sgpr_count:     0
    .sgpr_spill_count: 0
    .symbol:         _ZN7rocprim17ROCPRIM_400000_NS6detail17trampoline_kernelINS0_14default_configENS1_22reduce_config_selectorIiEEZNS1_11reduce_implILb1ES3_PiS7_iN6hipcub16HIPCUB_304000_NS6detail34convert_binary_result_type_wrapperINS9_3SumENS9_22TransformInputIteratorIbN2at6native12_GLOBAL__N_19NonZeroOpIhEEPKhlEEiEEEE10hipError_tPvRmT1_T2_T3_mT4_P12ihipStream_tbEUlT_E0_NS1_11comp_targetILNS1_3genE8ELNS1_11target_archE1030ELNS1_3gpuE2ELNS1_3repE0EEENS1_30default_config_static_selectorELNS0_4arch9wavefront6targetE0EEEvSQ_.kd
    .uniform_work_group_size: 1
    .uses_dynamic_stack: false
    .vgpr_count:     0
    .vgpr_spill_count: 0
    .wavefront_size: 32
    .workgroup_processor_mode: 1
  - .args:
      - .offset:         0
        .size:           40
        .value_kind:     by_value
    .group_segment_fixed_size: 0
    .kernarg_segment_align: 8
    .kernarg_segment_size: 40
    .language:       OpenCL C
    .language_version:
      - 2
      - 0
    .max_flat_workgroup_size: 256
    .name:           _ZN7rocprim17ROCPRIM_400000_NS6detail17trampoline_kernelINS0_14default_configENS1_22reduce_config_selectorIiEEZNS1_11reduce_implILb1ES3_PiS7_iN6hipcub16HIPCUB_304000_NS6detail34convert_binary_result_type_wrapperINS9_3SumENS9_22TransformInputIteratorIbN2at6native12_GLOBAL__N_19NonZeroOpIhEEPKhlEEiEEEE10hipError_tPvRmT1_T2_T3_mT4_P12ihipStream_tbEUlT_E1_NS1_11comp_targetILNS1_3genE0ELNS1_11target_archE4294967295ELNS1_3gpuE0ELNS1_3repE0EEENS1_30default_config_static_selectorELNS0_4arch9wavefront6targetE0EEEvSQ_
    .private_segment_fixed_size: 0
    .sgpr_count:     0
    .sgpr_spill_count: 0
    .symbol:         _ZN7rocprim17ROCPRIM_400000_NS6detail17trampoline_kernelINS0_14default_configENS1_22reduce_config_selectorIiEEZNS1_11reduce_implILb1ES3_PiS7_iN6hipcub16HIPCUB_304000_NS6detail34convert_binary_result_type_wrapperINS9_3SumENS9_22TransformInputIteratorIbN2at6native12_GLOBAL__N_19NonZeroOpIhEEPKhlEEiEEEE10hipError_tPvRmT1_T2_T3_mT4_P12ihipStream_tbEUlT_E1_NS1_11comp_targetILNS1_3genE0ELNS1_11target_archE4294967295ELNS1_3gpuE0ELNS1_3repE0EEENS1_30default_config_static_selectorELNS0_4arch9wavefront6targetE0EEEvSQ_.kd
    .uniform_work_group_size: 1
    .uses_dynamic_stack: false
    .vgpr_count:     0
    .vgpr_spill_count: 0
    .wavefront_size: 32
    .workgroup_processor_mode: 1
  - .args:
      - .offset:         0
        .size:           40
        .value_kind:     by_value
    .group_segment_fixed_size: 0
    .kernarg_segment_align: 8
    .kernarg_segment_size: 40
    .language:       OpenCL C
    .language_version:
      - 2
      - 0
    .max_flat_workgroup_size: 256
    .name:           _ZN7rocprim17ROCPRIM_400000_NS6detail17trampoline_kernelINS0_14default_configENS1_22reduce_config_selectorIiEEZNS1_11reduce_implILb1ES3_PiS7_iN6hipcub16HIPCUB_304000_NS6detail34convert_binary_result_type_wrapperINS9_3SumENS9_22TransformInputIteratorIbN2at6native12_GLOBAL__N_19NonZeroOpIhEEPKhlEEiEEEE10hipError_tPvRmT1_T2_T3_mT4_P12ihipStream_tbEUlT_E1_NS1_11comp_targetILNS1_3genE5ELNS1_11target_archE942ELNS1_3gpuE9ELNS1_3repE0EEENS1_30default_config_static_selectorELNS0_4arch9wavefront6targetE0EEEvSQ_
    .private_segment_fixed_size: 0
    .sgpr_count:     0
    .sgpr_spill_count: 0
    .symbol:         _ZN7rocprim17ROCPRIM_400000_NS6detail17trampoline_kernelINS0_14default_configENS1_22reduce_config_selectorIiEEZNS1_11reduce_implILb1ES3_PiS7_iN6hipcub16HIPCUB_304000_NS6detail34convert_binary_result_type_wrapperINS9_3SumENS9_22TransformInputIteratorIbN2at6native12_GLOBAL__N_19NonZeroOpIhEEPKhlEEiEEEE10hipError_tPvRmT1_T2_T3_mT4_P12ihipStream_tbEUlT_E1_NS1_11comp_targetILNS1_3genE5ELNS1_11target_archE942ELNS1_3gpuE9ELNS1_3repE0EEENS1_30default_config_static_selectorELNS0_4arch9wavefront6targetE0EEEvSQ_.kd
    .uniform_work_group_size: 1
    .uses_dynamic_stack: false
    .vgpr_count:     0
    .vgpr_spill_count: 0
    .wavefront_size: 32
    .workgroup_processor_mode: 1
  - .args:
      - .offset:         0
        .size:           40
        .value_kind:     by_value
    .group_segment_fixed_size: 0
    .kernarg_segment_align: 8
    .kernarg_segment_size: 40
    .language:       OpenCL C
    .language_version:
      - 2
      - 0
    .max_flat_workgroup_size: 128
    .name:           _ZN7rocprim17ROCPRIM_400000_NS6detail17trampoline_kernelINS0_14default_configENS1_22reduce_config_selectorIiEEZNS1_11reduce_implILb1ES3_PiS7_iN6hipcub16HIPCUB_304000_NS6detail34convert_binary_result_type_wrapperINS9_3SumENS9_22TransformInputIteratorIbN2at6native12_GLOBAL__N_19NonZeroOpIhEEPKhlEEiEEEE10hipError_tPvRmT1_T2_T3_mT4_P12ihipStream_tbEUlT_E1_NS1_11comp_targetILNS1_3genE4ELNS1_11target_archE910ELNS1_3gpuE8ELNS1_3repE0EEENS1_30default_config_static_selectorELNS0_4arch9wavefront6targetE0EEEvSQ_
    .private_segment_fixed_size: 0
    .sgpr_count:     0
    .sgpr_spill_count: 0
    .symbol:         _ZN7rocprim17ROCPRIM_400000_NS6detail17trampoline_kernelINS0_14default_configENS1_22reduce_config_selectorIiEEZNS1_11reduce_implILb1ES3_PiS7_iN6hipcub16HIPCUB_304000_NS6detail34convert_binary_result_type_wrapperINS9_3SumENS9_22TransformInputIteratorIbN2at6native12_GLOBAL__N_19NonZeroOpIhEEPKhlEEiEEEE10hipError_tPvRmT1_T2_T3_mT4_P12ihipStream_tbEUlT_E1_NS1_11comp_targetILNS1_3genE4ELNS1_11target_archE910ELNS1_3gpuE8ELNS1_3repE0EEENS1_30default_config_static_selectorELNS0_4arch9wavefront6targetE0EEEvSQ_.kd
    .uniform_work_group_size: 1
    .uses_dynamic_stack: false
    .vgpr_count:     0
    .vgpr_spill_count: 0
    .wavefront_size: 32
    .workgroup_processor_mode: 1
  - .args:
      - .offset:         0
        .size:           40
        .value_kind:     by_value
    .group_segment_fixed_size: 0
    .kernarg_segment_align: 8
    .kernarg_segment_size: 40
    .language:       OpenCL C
    .language_version:
      - 2
      - 0
    .max_flat_workgroup_size: 256
    .name:           _ZN7rocprim17ROCPRIM_400000_NS6detail17trampoline_kernelINS0_14default_configENS1_22reduce_config_selectorIiEEZNS1_11reduce_implILb1ES3_PiS7_iN6hipcub16HIPCUB_304000_NS6detail34convert_binary_result_type_wrapperINS9_3SumENS9_22TransformInputIteratorIbN2at6native12_GLOBAL__N_19NonZeroOpIhEEPKhlEEiEEEE10hipError_tPvRmT1_T2_T3_mT4_P12ihipStream_tbEUlT_E1_NS1_11comp_targetILNS1_3genE3ELNS1_11target_archE908ELNS1_3gpuE7ELNS1_3repE0EEENS1_30default_config_static_selectorELNS0_4arch9wavefront6targetE0EEEvSQ_
    .private_segment_fixed_size: 0
    .sgpr_count:     0
    .sgpr_spill_count: 0
    .symbol:         _ZN7rocprim17ROCPRIM_400000_NS6detail17trampoline_kernelINS0_14default_configENS1_22reduce_config_selectorIiEEZNS1_11reduce_implILb1ES3_PiS7_iN6hipcub16HIPCUB_304000_NS6detail34convert_binary_result_type_wrapperINS9_3SumENS9_22TransformInputIteratorIbN2at6native12_GLOBAL__N_19NonZeroOpIhEEPKhlEEiEEEE10hipError_tPvRmT1_T2_T3_mT4_P12ihipStream_tbEUlT_E1_NS1_11comp_targetILNS1_3genE3ELNS1_11target_archE908ELNS1_3gpuE7ELNS1_3repE0EEENS1_30default_config_static_selectorELNS0_4arch9wavefront6targetE0EEEvSQ_.kd
    .uniform_work_group_size: 1
    .uses_dynamic_stack: false
    .vgpr_count:     0
    .vgpr_spill_count: 0
    .wavefront_size: 32
    .workgroup_processor_mode: 1
  - .args:
      - .offset:         0
        .size:           40
        .value_kind:     by_value
    .group_segment_fixed_size: 0
    .kernarg_segment_align: 8
    .kernarg_segment_size: 40
    .language:       OpenCL C
    .language_version:
      - 2
      - 0
    .max_flat_workgroup_size: 256
    .name:           _ZN7rocprim17ROCPRIM_400000_NS6detail17trampoline_kernelINS0_14default_configENS1_22reduce_config_selectorIiEEZNS1_11reduce_implILb1ES3_PiS7_iN6hipcub16HIPCUB_304000_NS6detail34convert_binary_result_type_wrapperINS9_3SumENS9_22TransformInputIteratorIbN2at6native12_GLOBAL__N_19NonZeroOpIhEEPKhlEEiEEEE10hipError_tPvRmT1_T2_T3_mT4_P12ihipStream_tbEUlT_E1_NS1_11comp_targetILNS1_3genE2ELNS1_11target_archE906ELNS1_3gpuE6ELNS1_3repE0EEENS1_30default_config_static_selectorELNS0_4arch9wavefront6targetE0EEEvSQ_
    .private_segment_fixed_size: 0
    .sgpr_count:     0
    .sgpr_spill_count: 0
    .symbol:         _ZN7rocprim17ROCPRIM_400000_NS6detail17trampoline_kernelINS0_14default_configENS1_22reduce_config_selectorIiEEZNS1_11reduce_implILb1ES3_PiS7_iN6hipcub16HIPCUB_304000_NS6detail34convert_binary_result_type_wrapperINS9_3SumENS9_22TransformInputIteratorIbN2at6native12_GLOBAL__N_19NonZeroOpIhEEPKhlEEiEEEE10hipError_tPvRmT1_T2_T3_mT4_P12ihipStream_tbEUlT_E1_NS1_11comp_targetILNS1_3genE2ELNS1_11target_archE906ELNS1_3gpuE6ELNS1_3repE0EEENS1_30default_config_static_selectorELNS0_4arch9wavefront6targetE0EEEvSQ_.kd
    .uniform_work_group_size: 1
    .uses_dynamic_stack: false
    .vgpr_count:     0
    .vgpr_spill_count: 0
    .wavefront_size: 32
    .workgroup_processor_mode: 1
  - .args:
      - .offset:         0
        .size:           40
        .value_kind:     by_value
    .group_segment_fixed_size: 0
    .kernarg_segment_align: 8
    .kernarg_segment_size: 40
    .language:       OpenCL C
    .language_version:
      - 2
      - 0
    .max_flat_workgroup_size: 256
    .name:           _ZN7rocprim17ROCPRIM_400000_NS6detail17trampoline_kernelINS0_14default_configENS1_22reduce_config_selectorIiEEZNS1_11reduce_implILb1ES3_PiS7_iN6hipcub16HIPCUB_304000_NS6detail34convert_binary_result_type_wrapperINS9_3SumENS9_22TransformInputIteratorIbN2at6native12_GLOBAL__N_19NonZeroOpIhEEPKhlEEiEEEE10hipError_tPvRmT1_T2_T3_mT4_P12ihipStream_tbEUlT_E1_NS1_11comp_targetILNS1_3genE10ELNS1_11target_archE1201ELNS1_3gpuE5ELNS1_3repE0EEENS1_30default_config_static_selectorELNS0_4arch9wavefront6targetE0EEEvSQ_
    .private_segment_fixed_size: 0
    .sgpr_count:     0
    .sgpr_spill_count: 0
    .symbol:         _ZN7rocprim17ROCPRIM_400000_NS6detail17trampoline_kernelINS0_14default_configENS1_22reduce_config_selectorIiEEZNS1_11reduce_implILb1ES3_PiS7_iN6hipcub16HIPCUB_304000_NS6detail34convert_binary_result_type_wrapperINS9_3SumENS9_22TransformInputIteratorIbN2at6native12_GLOBAL__N_19NonZeroOpIhEEPKhlEEiEEEE10hipError_tPvRmT1_T2_T3_mT4_P12ihipStream_tbEUlT_E1_NS1_11comp_targetILNS1_3genE10ELNS1_11target_archE1201ELNS1_3gpuE5ELNS1_3repE0EEENS1_30default_config_static_selectorELNS0_4arch9wavefront6targetE0EEEvSQ_.kd
    .uniform_work_group_size: 1
    .uses_dynamic_stack: false
    .vgpr_count:     0
    .vgpr_spill_count: 0
    .wavefront_size: 32
    .workgroup_processor_mode: 1
  - .args:
      - .offset:         0
        .size:           40
        .value_kind:     by_value
    .group_segment_fixed_size: 0
    .kernarg_segment_align: 8
    .kernarg_segment_size: 40
    .language:       OpenCL C
    .language_version:
      - 2
      - 0
    .max_flat_workgroup_size: 256
    .name:           _ZN7rocprim17ROCPRIM_400000_NS6detail17trampoline_kernelINS0_14default_configENS1_22reduce_config_selectorIiEEZNS1_11reduce_implILb1ES3_PiS7_iN6hipcub16HIPCUB_304000_NS6detail34convert_binary_result_type_wrapperINS9_3SumENS9_22TransformInputIteratorIbN2at6native12_GLOBAL__N_19NonZeroOpIhEEPKhlEEiEEEE10hipError_tPvRmT1_T2_T3_mT4_P12ihipStream_tbEUlT_E1_NS1_11comp_targetILNS1_3genE10ELNS1_11target_archE1200ELNS1_3gpuE4ELNS1_3repE0EEENS1_30default_config_static_selectorELNS0_4arch9wavefront6targetE0EEEvSQ_
    .private_segment_fixed_size: 0
    .sgpr_count:     0
    .sgpr_spill_count: 0
    .symbol:         _ZN7rocprim17ROCPRIM_400000_NS6detail17trampoline_kernelINS0_14default_configENS1_22reduce_config_selectorIiEEZNS1_11reduce_implILb1ES3_PiS7_iN6hipcub16HIPCUB_304000_NS6detail34convert_binary_result_type_wrapperINS9_3SumENS9_22TransformInputIteratorIbN2at6native12_GLOBAL__N_19NonZeroOpIhEEPKhlEEiEEEE10hipError_tPvRmT1_T2_T3_mT4_P12ihipStream_tbEUlT_E1_NS1_11comp_targetILNS1_3genE10ELNS1_11target_archE1200ELNS1_3gpuE4ELNS1_3repE0EEENS1_30default_config_static_selectorELNS0_4arch9wavefront6targetE0EEEvSQ_.kd
    .uniform_work_group_size: 1
    .uses_dynamic_stack: false
    .vgpr_count:     0
    .vgpr_spill_count: 0
    .wavefront_size: 32
    .workgroup_processor_mode: 1
  - .args:
      - .offset:         0
        .size:           40
        .value_kind:     by_value
    .group_segment_fixed_size: 224
    .kernarg_segment_align: 8
    .kernarg_segment_size: 40
    .language:       OpenCL C
    .language_version:
      - 2
      - 0
    .max_flat_workgroup_size: 256
    .name:           _ZN7rocprim17ROCPRIM_400000_NS6detail17trampoline_kernelINS0_14default_configENS1_22reduce_config_selectorIiEEZNS1_11reduce_implILb1ES3_PiS7_iN6hipcub16HIPCUB_304000_NS6detail34convert_binary_result_type_wrapperINS9_3SumENS9_22TransformInputIteratorIbN2at6native12_GLOBAL__N_19NonZeroOpIhEEPKhlEEiEEEE10hipError_tPvRmT1_T2_T3_mT4_P12ihipStream_tbEUlT_E1_NS1_11comp_targetILNS1_3genE9ELNS1_11target_archE1100ELNS1_3gpuE3ELNS1_3repE0EEENS1_30default_config_static_selectorELNS0_4arch9wavefront6targetE0EEEvSQ_
    .private_segment_fixed_size: 0
    .sgpr_count:     29
    .sgpr_spill_count: 0
    .symbol:         _ZN7rocprim17ROCPRIM_400000_NS6detail17trampoline_kernelINS0_14default_configENS1_22reduce_config_selectorIiEEZNS1_11reduce_implILb1ES3_PiS7_iN6hipcub16HIPCUB_304000_NS6detail34convert_binary_result_type_wrapperINS9_3SumENS9_22TransformInputIteratorIbN2at6native12_GLOBAL__N_19NonZeroOpIhEEPKhlEEiEEEE10hipError_tPvRmT1_T2_T3_mT4_P12ihipStream_tbEUlT_E1_NS1_11comp_targetILNS1_3genE9ELNS1_11target_archE1100ELNS1_3gpuE3ELNS1_3repE0EEENS1_30default_config_static_selectorELNS0_4arch9wavefront6targetE0EEEvSQ_.kd
    .uniform_work_group_size: 1
    .uses_dynamic_stack: false
    .vgpr_count:     34
    .vgpr_spill_count: 0
    .wavefront_size: 32
    .workgroup_processor_mode: 1
  - .args:
      - .offset:         0
        .size:           40
        .value_kind:     by_value
    .group_segment_fixed_size: 0
    .kernarg_segment_align: 8
    .kernarg_segment_size: 40
    .language:       OpenCL C
    .language_version:
      - 2
      - 0
    .max_flat_workgroup_size: 256
    .name:           _ZN7rocprim17ROCPRIM_400000_NS6detail17trampoline_kernelINS0_14default_configENS1_22reduce_config_selectorIiEEZNS1_11reduce_implILb1ES3_PiS7_iN6hipcub16HIPCUB_304000_NS6detail34convert_binary_result_type_wrapperINS9_3SumENS9_22TransformInputIteratorIbN2at6native12_GLOBAL__N_19NonZeroOpIhEEPKhlEEiEEEE10hipError_tPvRmT1_T2_T3_mT4_P12ihipStream_tbEUlT_E1_NS1_11comp_targetILNS1_3genE8ELNS1_11target_archE1030ELNS1_3gpuE2ELNS1_3repE0EEENS1_30default_config_static_selectorELNS0_4arch9wavefront6targetE0EEEvSQ_
    .private_segment_fixed_size: 0
    .sgpr_count:     0
    .sgpr_spill_count: 0
    .symbol:         _ZN7rocprim17ROCPRIM_400000_NS6detail17trampoline_kernelINS0_14default_configENS1_22reduce_config_selectorIiEEZNS1_11reduce_implILb1ES3_PiS7_iN6hipcub16HIPCUB_304000_NS6detail34convert_binary_result_type_wrapperINS9_3SumENS9_22TransformInputIteratorIbN2at6native12_GLOBAL__N_19NonZeroOpIhEEPKhlEEiEEEE10hipError_tPvRmT1_T2_T3_mT4_P12ihipStream_tbEUlT_E1_NS1_11comp_targetILNS1_3genE8ELNS1_11target_archE1030ELNS1_3gpuE2ELNS1_3repE0EEENS1_30default_config_static_selectorELNS0_4arch9wavefront6targetE0EEEvSQ_.kd
    .uniform_work_group_size: 1
    .uses_dynamic_stack: false
    .vgpr_count:     0
    .vgpr_spill_count: 0
    .wavefront_size: 32
    .workgroup_processor_mode: 1
  - .args:
      - .offset:         0
        .size:           64
        .value_kind:     by_value
    .group_segment_fixed_size: 0
    .kernarg_segment_align: 8
    .kernarg_segment_size: 64
    .language:       OpenCL C
    .language_version:
      - 2
      - 0
    .max_flat_workgroup_size: 256
    .name:           _ZN7rocprim17ROCPRIM_400000_NS6detail17trampoline_kernelINS0_14default_configENS1_22reduce_config_selectorIbEEZNS1_11reduce_implILb1ES3_N6hipcub16HIPCUB_304000_NS22TransformInputIteratorIbN2at6native12_GLOBAL__N_19NonZeroOpIhEEPKhlEEPiiNS8_6detail34convert_binary_result_type_wrapperINS8_3SumESH_iEEEE10hipError_tPvRmT1_T2_T3_mT4_P12ihipStream_tbEUlT_E0_NS1_11comp_targetILNS1_3genE0ELNS1_11target_archE4294967295ELNS1_3gpuE0ELNS1_3repE0EEENS1_30default_config_static_selectorELNS0_4arch9wavefront6targetE0EEEvSQ_
    .private_segment_fixed_size: 0
    .sgpr_count:     0
    .sgpr_spill_count: 0
    .symbol:         _ZN7rocprim17ROCPRIM_400000_NS6detail17trampoline_kernelINS0_14default_configENS1_22reduce_config_selectorIbEEZNS1_11reduce_implILb1ES3_N6hipcub16HIPCUB_304000_NS22TransformInputIteratorIbN2at6native12_GLOBAL__N_19NonZeroOpIhEEPKhlEEPiiNS8_6detail34convert_binary_result_type_wrapperINS8_3SumESH_iEEEE10hipError_tPvRmT1_T2_T3_mT4_P12ihipStream_tbEUlT_E0_NS1_11comp_targetILNS1_3genE0ELNS1_11target_archE4294967295ELNS1_3gpuE0ELNS1_3repE0EEENS1_30default_config_static_selectorELNS0_4arch9wavefront6targetE0EEEvSQ_.kd
    .uniform_work_group_size: 1
    .uses_dynamic_stack: false
    .vgpr_count:     0
    .vgpr_spill_count: 0
    .wavefront_size: 32
    .workgroup_processor_mode: 1
  - .args:
      - .offset:         0
        .size:           64
        .value_kind:     by_value
    .group_segment_fixed_size: 0
    .kernarg_segment_align: 8
    .kernarg_segment_size: 64
    .language:       OpenCL C
    .language_version:
      - 2
      - 0
    .max_flat_workgroup_size: 256
    .name:           _ZN7rocprim17ROCPRIM_400000_NS6detail17trampoline_kernelINS0_14default_configENS1_22reduce_config_selectorIbEEZNS1_11reduce_implILb1ES3_N6hipcub16HIPCUB_304000_NS22TransformInputIteratorIbN2at6native12_GLOBAL__N_19NonZeroOpIhEEPKhlEEPiiNS8_6detail34convert_binary_result_type_wrapperINS8_3SumESH_iEEEE10hipError_tPvRmT1_T2_T3_mT4_P12ihipStream_tbEUlT_E0_NS1_11comp_targetILNS1_3genE5ELNS1_11target_archE942ELNS1_3gpuE9ELNS1_3repE0EEENS1_30default_config_static_selectorELNS0_4arch9wavefront6targetE0EEEvSQ_
    .private_segment_fixed_size: 0
    .sgpr_count:     0
    .sgpr_spill_count: 0
    .symbol:         _ZN7rocprim17ROCPRIM_400000_NS6detail17trampoline_kernelINS0_14default_configENS1_22reduce_config_selectorIbEEZNS1_11reduce_implILb1ES3_N6hipcub16HIPCUB_304000_NS22TransformInputIteratorIbN2at6native12_GLOBAL__N_19NonZeroOpIhEEPKhlEEPiiNS8_6detail34convert_binary_result_type_wrapperINS8_3SumESH_iEEEE10hipError_tPvRmT1_T2_T3_mT4_P12ihipStream_tbEUlT_E0_NS1_11comp_targetILNS1_3genE5ELNS1_11target_archE942ELNS1_3gpuE9ELNS1_3repE0EEENS1_30default_config_static_selectorELNS0_4arch9wavefront6targetE0EEEvSQ_.kd
    .uniform_work_group_size: 1
    .uses_dynamic_stack: false
    .vgpr_count:     0
    .vgpr_spill_count: 0
    .wavefront_size: 32
    .workgroup_processor_mode: 1
  - .args:
      - .offset:         0
        .size:           64
        .value_kind:     by_value
    .group_segment_fixed_size: 0
    .kernarg_segment_align: 8
    .kernarg_segment_size: 64
    .language:       OpenCL C
    .language_version:
      - 2
      - 0
    .max_flat_workgroup_size: 128
    .name:           _ZN7rocprim17ROCPRIM_400000_NS6detail17trampoline_kernelINS0_14default_configENS1_22reduce_config_selectorIbEEZNS1_11reduce_implILb1ES3_N6hipcub16HIPCUB_304000_NS22TransformInputIteratorIbN2at6native12_GLOBAL__N_19NonZeroOpIhEEPKhlEEPiiNS8_6detail34convert_binary_result_type_wrapperINS8_3SumESH_iEEEE10hipError_tPvRmT1_T2_T3_mT4_P12ihipStream_tbEUlT_E0_NS1_11comp_targetILNS1_3genE4ELNS1_11target_archE910ELNS1_3gpuE8ELNS1_3repE0EEENS1_30default_config_static_selectorELNS0_4arch9wavefront6targetE0EEEvSQ_
    .private_segment_fixed_size: 0
    .sgpr_count:     0
    .sgpr_spill_count: 0
    .symbol:         _ZN7rocprim17ROCPRIM_400000_NS6detail17trampoline_kernelINS0_14default_configENS1_22reduce_config_selectorIbEEZNS1_11reduce_implILb1ES3_N6hipcub16HIPCUB_304000_NS22TransformInputIteratorIbN2at6native12_GLOBAL__N_19NonZeroOpIhEEPKhlEEPiiNS8_6detail34convert_binary_result_type_wrapperINS8_3SumESH_iEEEE10hipError_tPvRmT1_T2_T3_mT4_P12ihipStream_tbEUlT_E0_NS1_11comp_targetILNS1_3genE4ELNS1_11target_archE910ELNS1_3gpuE8ELNS1_3repE0EEENS1_30default_config_static_selectorELNS0_4arch9wavefront6targetE0EEEvSQ_.kd
    .uniform_work_group_size: 1
    .uses_dynamic_stack: false
    .vgpr_count:     0
    .vgpr_spill_count: 0
    .wavefront_size: 32
    .workgroup_processor_mode: 1
  - .args:
      - .offset:         0
        .size:           64
        .value_kind:     by_value
    .group_segment_fixed_size: 0
    .kernarg_segment_align: 8
    .kernarg_segment_size: 64
    .language:       OpenCL C
    .language_version:
      - 2
      - 0
    .max_flat_workgroup_size: 256
    .name:           _ZN7rocprim17ROCPRIM_400000_NS6detail17trampoline_kernelINS0_14default_configENS1_22reduce_config_selectorIbEEZNS1_11reduce_implILb1ES3_N6hipcub16HIPCUB_304000_NS22TransformInputIteratorIbN2at6native12_GLOBAL__N_19NonZeroOpIhEEPKhlEEPiiNS8_6detail34convert_binary_result_type_wrapperINS8_3SumESH_iEEEE10hipError_tPvRmT1_T2_T3_mT4_P12ihipStream_tbEUlT_E0_NS1_11comp_targetILNS1_3genE3ELNS1_11target_archE908ELNS1_3gpuE7ELNS1_3repE0EEENS1_30default_config_static_selectorELNS0_4arch9wavefront6targetE0EEEvSQ_
    .private_segment_fixed_size: 0
    .sgpr_count:     0
    .sgpr_spill_count: 0
    .symbol:         _ZN7rocprim17ROCPRIM_400000_NS6detail17trampoline_kernelINS0_14default_configENS1_22reduce_config_selectorIbEEZNS1_11reduce_implILb1ES3_N6hipcub16HIPCUB_304000_NS22TransformInputIteratorIbN2at6native12_GLOBAL__N_19NonZeroOpIhEEPKhlEEPiiNS8_6detail34convert_binary_result_type_wrapperINS8_3SumESH_iEEEE10hipError_tPvRmT1_T2_T3_mT4_P12ihipStream_tbEUlT_E0_NS1_11comp_targetILNS1_3genE3ELNS1_11target_archE908ELNS1_3gpuE7ELNS1_3repE0EEENS1_30default_config_static_selectorELNS0_4arch9wavefront6targetE0EEEvSQ_.kd
    .uniform_work_group_size: 1
    .uses_dynamic_stack: false
    .vgpr_count:     0
    .vgpr_spill_count: 0
    .wavefront_size: 32
    .workgroup_processor_mode: 1
  - .args:
      - .offset:         0
        .size:           64
        .value_kind:     by_value
    .group_segment_fixed_size: 0
    .kernarg_segment_align: 8
    .kernarg_segment_size: 64
    .language:       OpenCL C
    .language_version:
      - 2
      - 0
    .max_flat_workgroup_size: 128
    .name:           _ZN7rocprim17ROCPRIM_400000_NS6detail17trampoline_kernelINS0_14default_configENS1_22reduce_config_selectorIbEEZNS1_11reduce_implILb1ES3_N6hipcub16HIPCUB_304000_NS22TransformInputIteratorIbN2at6native12_GLOBAL__N_19NonZeroOpIhEEPKhlEEPiiNS8_6detail34convert_binary_result_type_wrapperINS8_3SumESH_iEEEE10hipError_tPvRmT1_T2_T3_mT4_P12ihipStream_tbEUlT_E0_NS1_11comp_targetILNS1_3genE2ELNS1_11target_archE906ELNS1_3gpuE6ELNS1_3repE0EEENS1_30default_config_static_selectorELNS0_4arch9wavefront6targetE0EEEvSQ_
    .private_segment_fixed_size: 0
    .sgpr_count:     0
    .sgpr_spill_count: 0
    .symbol:         _ZN7rocprim17ROCPRIM_400000_NS6detail17trampoline_kernelINS0_14default_configENS1_22reduce_config_selectorIbEEZNS1_11reduce_implILb1ES3_N6hipcub16HIPCUB_304000_NS22TransformInputIteratorIbN2at6native12_GLOBAL__N_19NonZeroOpIhEEPKhlEEPiiNS8_6detail34convert_binary_result_type_wrapperINS8_3SumESH_iEEEE10hipError_tPvRmT1_T2_T3_mT4_P12ihipStream_tbEUlT_E0_NS1_11comp_targetILNS1_3genE2ELNS1_11target_archE906ELNS1_3gpuE6ELNS1_3repE0EEENS1_30default_config_static_selectorELNS0_4arch9wavefront6targetE0EEEvSQ_.kd
    .uniform_work_group_size: 1
    .uses_dynamic_stack: false
    .vgpr_count:     0
    .vgpr_spill_count: 0
    .wavefront_size: 32
    .workgroup_processor_mode: 1
  - .args:
      - .offset:         0
        .size:           64
        .value_kind:     by_value
    .group_segment_fixed_size: 0
    .kernarg_segment_align: 8
    .kernarg_segment_size: 64
    .language:       OpenCL C
    .language_version:
      - 2
      - 0
    .max_flat_workgroup_size: 256
    .name:           _ZN7rocprim17ROCPRIM_400000_NS6detail17trampoline_kernelINS0_14default_configENS1_22reduce_config_selectorIbEEZNS1_11reduce_implILb1ES3_N6hipcub16HIPCUB_304000_NS22TransformInputIteratorIbN2at6native12_GLOBAL__N_19NonZeroOpIhEEPKhlEEPiiNS8_6detail34convert_binary_result_type_wrapperINS8_3SumESH_iEEEE10hipError_tPvRmT1_T2_T3_mT4_P12ihipStream_tbEUlT_E0_NS1_11comp_targetILNS1_3genE10ELNS1_11target_archE1201ELNS1_3gpuE5ELNS1_3repE0EEENS1_30default_config_static_selectorELNS0_4arch9wavefront6targetE0EEEvSQ_
    .private_segment_fixed_size: 0
    .sgpr_count:     0
    .sgpr_spill_count: 0
    .symbol:         _ZN7rocprim17ROCPRIM_400000_NS6detail17trampoline_kernelINS0_14default_configENS1_22reduce_config_selectorIbEEZNS1_11reduce_implILb1ES3_N6hipcub16HIPCUB_304000_NS22TransformInputIteratorIbN2at6native12_GLOBAL__N_19NonZeroOpIhEEPKhlEEPiiNS8_6detail34convert_binary_result_type_wrapperINS8_3SumESH_iEEEE10hipError_tPvRmT1_T2_T3_mT4_P12ihipStream_tbEUlT_E0_NS1_11comp_targetILNS1_3genE10ELNS1_11target_archE1201ELNS1_3gpuE5ELNS1_3repE0EEENS1_30default_config_static_selectorELNS0_4arch9wavefront6targetE0EEEvSQ_.kd
    .uniform_work_group_size: 1
    .uses_dynamic_stack: false
    .vgpr_count:     0
    .vgpr_spill_count: 0
    .wavefront_size: 32
    .workgroup_processor_mode: 1
  - .args:
      - .offset:         0
        .size:           64
        .value_kind:     by_value
    .group_segment_fixed_size: 0
    .kernarg_segment_align: 8
    .kernarg_segment_size: 64
    .language:       OpenCL C
    .language_version:
      - 2
      - 0
    .max_flat_workgroup_size: 256
    .name:           _ZN7rocprim17ROCPRIM_400000_NS6detail17trampoline_kernelINS0_14default_configENS1_22reduce_config_selectorIbEEZNS1_11reduce_implILb1ES3_N6hipcub16HIPCUB_304000_NS22TransformInputIteratorIbN2at6native12_GLOBAL__N_19NonZeroOpIhEEPKhlEEPiiNS8_6detail34convert_binary_result_type_wrapperINS8_3SumESH_iEEEE10hipError_tPvRmT1_T2_T3_mT4_P12ihipStream_tbEUlT_E0_NS1_11comp_targetILNS1_3genE10ELNS1_11target_archE1200ELNS1_3gpuE4ELNS1_3repE0EEENS1_30default_config_static_selectorELNS0_4arch9wavefront6targetE0EEEvSQ_
    .private_segment_fixed_size: 0
    .sgpr_count:     0
    .sgpr_spill_count: 0
    .symbol:         _ZN7rocprim17ROCPRIM_400000_NS6detail17trampoline_kernelINS0_14default_configENS1_22reduce_config_selectorIbEEZNS1_11reduce_implILb1ES3_N6hipcub16HIPCUB_304000_NS22TransformInputIteratorIbN2at6native12_GLOBAL__N_19NonZeroOpIhEEPKhlEEPiiNS8_6detail34convert_binary_result_type_wrapperINS8_3SumESH_iEEEE10hipError_tPvRmT1_T2_T3_mT4_P12ihipStream_tbEUlT_E0_NS1_11comp_targetILNS1_3genE10ELNS1_11target_archE1200ELNS1_3gpuE4ELNS1_3repE0EEENS1_30default_config_static_selectorELNS0_4arch9wavefront6targetE0EEEvSQ_.kd
    .uniform_work_group_size: 1
    .uses_dynamic_stack: false
    .vgpr_count:     0
    .vgpr_spill_count: 0
    .wavefront_size: 32
    .workgroup_processor_mode: 1
  - .args:
      - .offset:         0
        .size:           64
        .value_kind:     by_value
    .group_segment_fixed_size: 32
    .kernarg_segment_align: 8
    .kernarg_segment_size: 64
    .language:       OpenCL C
    .language_version:
      - 2
      - 0
    .max_flat_workgroup_size: 128
    .name:           _ZN7rocprim17ROCPRIM_400000_NS6detail17trampoline_kernelINS0_14default_configENS1_22reduce_config_selectorIbEEZNS1_11reduce_implILb1ES3_N6hipcub16HIPCUB_304000_NS22TransformInputIteratorIbN2at6native12_GLOBAL__N_19NonZeroOpIhEEPKhlEEPiiNS8_6detail34convert_binary_result_type_wrapperINS8_3SumESH_iEEEE10hipError_tPvRmT1_T2_T3_mT4_P12ihipStream_tbEUlT_E0_NS1_11comp_targetILNS1_3genE9ELNS1_11target_archE1100ELNS1_3gpuE3ELNS1_3repE0EEENS1_30default_config_static_selectorELNS0_4arch9wavefront6targetE0EEEvSQ_
    .private_segment_fixed_size: 0
    .sgpr_count:     32
    .sgpr_spill_count: 0
    .symbol:         _ZN7rocprim17ROCPRIM_400000_NS6detail17trampoline_kernelINS0_14default_configENS1_22reduce_config_selectorIbEEZNS1_11reduce_implILb1ES3_N6hipcub16HIPCUB_304000_NS22TransformInputIteratorIbN2at6native12_GLOBAL__N_19NonZeroOpIhEEPKhlEEPiiNS8_6detail34convert_binary_result_type_wrapperINS8_3SumESH_iEEEE10hipError_tPvRmT1_T2_T3_mT4_P12ihipStream_tbEUlT_E0_NS1_11comp_targetILNS1_3genE9ELNS1_11target_archE1100ELNS1_3gpuE3ELNS1_3repE0EEENS1_30default_config_static_selectorELNS0_4arch9wavefront6targetE0EEEvSQ_.kd
    .uniform_work_group_size: 1
    .uses_dynamic_stack: false
    .vgpr_count:     19
    .vgpr_spill_count: 0
    .wavefront_size: 32
    .workgroup_processor_mode: 1
  - .args:
      - .offset:         0
        .size:           64
        .value_kind:     by_value
    .group_segment_fixed_size: 0
    .kernarg_segment_align: 8
    .kernarg_segment_size: 64
    .language:       OpenCL C
    .language_version:
      - 2
      - 0
    .max_flat_workgroup_size: 256
    .name:           _ZN7rocprim17ROCPRIM_400000_NS6detail17trampoline_kernelINS0_14default_configENS1_22reduce_config_selectorIbEEZNS1_11reduce_implILb1ES3_N6hipcub16HIPCUB_304000_NS22TransformInputIteratorIbN2at6native12_GLOBAL__N_19NonZeroOpIhEEPKhlEEPiiNS8_6detail34convert_binary_result_type_wrapperINS8_3SumESH_iEEEE10hipError_tPvRmT1_T2_T3_mT4_P12ihipStream_tbEUlT_E0_NS1_11comp_targetILNS1_3genE8ELNS1_11target_archE1030ELNS1_3gpuE2ELNS1_3repE0EEENS1_30default_config_static_selectorELNS0_4arch9wavefront6targetE0EEEvSQ_
    .private_segment_fixed_size: 0
    .sgpr_count:     0
    .sgpr_spill_count: 0
    .symbol:         _ZN7rocprim17ROCPRIM_400000_NS6detail17trampoline_kernelINS0_14default_configENS1_22reduce_config_selectorIbEEZNS1_11reduce_implILb1ES3_N6hipcub16HIPCUB_304000_NS22TransformInputIteratorIbN2at6native12_GLOBAL__N_19NonZeroOpIhEEPKhlEEPiiNS8_6detail34convert_binary_result_type_wrapperINS8_3SumESH_iEEEE10hipError_tPvRmT1_T2_T3_mT4_P12ihipStream_tbEUlT_E0_NS1_11comp_targetILNS1_3genE8ELNS1_11target_archE1030ELNS1_3gpuE2ELNS1_3repE0EEENS1_30default_config_static_selectorELNS0_4arch9wavefront6targetE0EEEvSQ_.kd
    .uniform_work_group_size: 1
    .uses_dynamic_stack: false
    .vgpr_count:     0
    .vgpr_spill_count: 0
    .wavefront_size: 32
    .workgroup_processor_mode: 1
  - .args:
      - .offset:         0
        .size:           48
        .value_kind:     by_value
    .group_segment_fixed_size: 0
    .kernarg_segment_align: 8
    .kernarg_segment_size: 48
    .language:       OpenCL C
    .language_version:
      - 2
      - 0
    .max_flat_workgroup_size: 256
    .name:           _ZN7rocprim17ROCPRIM_400000_NS6detail17trampoline_kernelINS0_14default_configENS1_22reduce_config_selectorIbEEZNS1_11reduce_implILb1ES3_N6hipcub16HIPCUB_304000_NS22TransformInputIteratorIbN2at6native12_GLOBAL__N_19NonZeroOpIhEEPKhlEEPiiNS8_6detail34convert_binary_result_type_wrapperINS8_3SumESH_iEEEE10hipError_tPvRmT1_T2_T3_mT4_P12ihipStream_tbEUlT_E1_NS1_11comp_targetILNS1_3genE0ELNS1_11target_archE4294967295ELNS1_3gpuE0ELNS1_3repE0EEENS1_30default_config_static_selectorELNS0_4arch9wavefront6targetE0EEEvSQ_
    .private_segment_fixed_size: 0
    .sgpr_count:     0
    .sgpr_spill_count: 0
    .symbol:         _ZN7rocprim17ROCPRIM_400000_NS6detail17trampoline_kernelINS0_14default_configENS1_22reduce_config_selectorIbEEZNS1_11reduce_implILb1ES3_N6hipcub16HIPCUB_304000_NS22TransformInputIteratorIbN2at6native12_GLOBAL__N_19NonZeroOpIhEEPKhlEEPiiNS8_6detail34convert_binary_result_type_wrapperINS8_3SumESH_iEEEE10hipError_tPvRmT1_T2_T3_mT4_P12ihipStream_tbEUlT_E1_NS1_11comp_targetILNS1_3genE0ELNS1_11target_archE4294967295ELNS1_3gpuE0ELNS1_3repE0EEENS1_30default_config_static_selectorELNS0_4arch9wavefront6targetE0EEEvSQ_.kd
    .uniform_work_group_size: 1
    .uses_dynamic_stack: false
    .vgpr_count:     0
    .vgpr_spill_count: 0
    .wavefront_size: 32
    .workgroup_processor_mode: 1
  - .args:
      - .offset:         0
        .size:           48
        .value_kind:     by_value
    .group_segment_fixed_size: 0
    .kernarg_segment_align: 8
    .kernarg_segment_size: 48
    .language:       OpenCL C
    .language_version:
      - 2
      - 0
    .max_flat_workgroup_size: 256
    .name:           _ZN7rocprim17ROCPRIM_400000_NS6detail17trampoline_kernelINS0_14default_configENS1_22reduce_config_selectorIbEEZNS1_11reduce_implILb1ES3_N6hipcub16HIPCUB_304000_NS22TransformInputIteratorIbN2at6native12_GLOBAL__N_19NonZeroOpIhEEPKhlEEPiiNS8_6detail34convert_binary_result_type_wrapperINS8_3SumESH_iEEEE10hipError_tPvRmT1_T2_T3_mT4_P12ihipStream_tbEUlT_E1_NS1_11comp_targetILNS1_3genE5ELNS1_11target_archE942ELNS1_3gpuE9ELNS1_3repE0EEENS1_30default_config_static_selectorELNS0_4arch9wavefront6targetE0EEEvSQ_
    .private_segment_fixed_size: 0
    .sgpr_count:     0
    .sgpr_spill_count: 0
    .symbol:         _ZN7rocprim17ROCPRIM_400000_NS6detail17trampoline_kernelINS0_14default_configENS1_22reduce_config_selectorIbEEZNS1_11reduce_implILb1ES3_N6hipcub16HIPCUB_304000_NS22TransformInputIteratorIbN2at6native12_GLOBAL__N_19NonZeroOpIhEEPKhlEEPiiNS8_6detail34convert_binary_result_type_wrapperINS8_3SumESH_iEEEE10hipError_tPvRmT1_T2_T3_mT4_P12ihipStream_tbEUlT_E1_NS1_11comp_targetILNS1_3genE5ELNS1_11target_archE942ELNS1_3gpuE9ELNS1_3repE0EEENS1_30default_config_static_selectorELNS0_4arch9wavefront6targetE0EEEvSQ_.kd
    .uniform_work_group_size: 1
    .uses_dynamic_stack: false
    .vgpr_count:     0
    .vgpr_spill_count: 0
    .wavefront_size: 32
    .workgroup_processor_mode: 1
  - .args:
      - .offset:         0
        .size:           48
        .value_kind:     by_value
    .group_segment_fixed_size: 0
    .kernarg_segment_align: 8
    .kernarg_segment_size: 48
    .language:       OpenCL C
    .language_version:
      - 2
      - 0
    .max_flat_workgroup_size: 128
    .name:           _ZN7rocprim17ROCPRIM_400000_NS6detail17trampoline_kernelINS0_14default_configENS1_22reduce_config_selectorIbEEZNS1_11reduce_implILb1ES3_N6hipcub16HIPCUB_304000_NS22TransformInputIteratorIbN2at6native12_GLOBAL__N_19NonZeroOpIhEEPKhlEEPiiNS8_6detail34convert_binary_result_type_wrapperINS8_3SumESH_iEEEE10hipError_tPvRmT1_T2_T3_mT4_P12ihipStream_tbEUlT_E1_NS1_11comp_targetILNS1_3genE4ELNS1_11target_archE910ELNS1_3gpuE8ELNS1_3repE0EEENS1_30default_config_static_selectorELNS0_4arch9wavefront6targetE0EEEvSQ_
    .private_segment_fixed_size: 0
    .sgpr_count:     0
    .sgpr_spill_count: 0
    .symbol:         _ZN7rocprim17ROCPRIM_400000_NS6detail17trampoline_kernelINS0_14default_configENS1_22reduce_config_selectorIbEEZNS1_11reduce_implILb1ES3_N6hipcub16HIPCUB_304000_NS22TransformInputIteratorIbN2at6native12_GLOBAL__N_19NonZeroOpIhEEPKhlEEPiiNS8_6detail34convert_binary_result_type_wrapperINS8_3SumESH_iEEEE10hipError_tPvRmT1_T2_T3_mT4_P12ihipStream_tbEUlT_E1_NS1_11comp_targetILNS1_3genE4ELNS1_11target_archE910ELNS1_3gpuE8ELNS1_3repE0EEENS1_30default_config_static_selectorELNS0_4arch9wavefront6targetE0EEEvSQ_.kd
    .uniform_work_group_size: 1
    .uses_dynamic_stack: false
    .vgpr_count:     0
    .vgpr_spill_count: 0
    .wavefront_size: 32
    .workgroup_processor_mode: 1
  - .args:
      - .offset:         0
        .size:           48
        .value_kind:     by_value
    .group_segment_fixed_size: 0
    .kernarg_segment_align: 8
    .kernarg_segment_size: 48
    .language:       OpenCL C
    .language_version:
      - 2
      - 0
    .max_flat_workgroup_size: 256
    .name:           _ZN7rocprim17ROCPRIM_400000_NS6detail17trampoline_kernelINS0_14default_configENS1_22reduce_config_selectorIbEEZNS1_11reduce_implILb1ES3_N6hipcub16HIPCUB_304000_NS22TransformInputIteratorIbN2at6native12_GLOBAL__N_19NonZeroOpIhEEPKhlEEPiiNS8_6detail34convert_binary_result_type_wrapperINS8_3SumESH_iEEEE10hipError_tPvRmT1_T2_T3_mT4_P12ihipStream_tbEUlT_E1_NS1_11comp_targetILNS1_3genE3ELNS1_11target_archE908ELNS1_3gpuE7ELNS1_3repE0EEENS1_30default_config_static_selectorELNS0_4arch9wavefront6targetE0EEEvSQ_
    .private_segment_fixed_size: 0
    .sgpr_count:     0
    .sgpr_spill_count: 0
    .symbol:         _ZN7rocprim17ROCPRIM_400000_NS6detail17trampoline_kernelINS0_14default_configENS1_22reduce_config_selectorIbEEZNS1_11reduce_implILb1ES3_N6hipcub16HIPCUB_304000_NS22TransformInputIteratorIbN2at6native12_GLOBAL__N_19NonZeroOpIhEEPKhlEEPiiNS8_6detail34convert_binary_result_type_wrapperINS8_3SumESH_iEEEE10hipError_tPvRmT1_T2_T3_mT4_P12ihipStream_tbEUlT_E1_NS1_11comp_targetILNS1_3genE3ELNS1_11target_archE908ELNS1_3gpuE7ELNS1_3repE0EEENS1_30default_config_static_selectorELNS0_4arch9wavefront6targetE0EEEvSQ_.kd
    .uniform_work_group_size: 1
    .uses_dynamic_stack: false
    .vgpr_count:     0
    .vgpr_spill_count: 0
    .wavefront_size: 32
    .workgroup_processor_mode: 1
  - .args:
      - .offset:         0
        .size:           48
        .value_kind:     by_value
    .group_segment_fixed_size: 0
    .kernarg_segment_align: 8
    .kernarg_segment_size: 48
    .language:       OpenCL C
    .language_version:
      - 2
      - 0
    .max_flat_workgroup_size: 128
    .name:           _ZN7rocprim17ROCPRIM_400000_NS6detail17trampoline_kernelINS0_14default_configENS1_22reduce_config_selectorIbEEZNS1_11reduce_implILb1ES3_N6hipcub16HIPCUB_304000_NS22TransformInputIteratorIbN2at6native12_GLOBAL__N_19NonZeroOpIhEEPKhlEEPiiNS8_6detail34convert_binary_result_type_wrapperINS8_3SumESH_iEEEE10hipError_tPvRmT1_T2_T3_mT4_P12ihipStream_tbEUlT_E1_NS1_11comp_targetILNS1_3genE2ELNS1_11target_archE906ELNS1_3gpuE6ELNS1_3repE0EEENS1_30default_config_static_selectorELNS0_4arch9wavefront6targetE0EEEvSQ_
    .private_segment_fixed_size: 0
    .sgpr_count:     0
    .sgpr_spill_count: 0
    .symbol:         _ZN7rocprim17ROCPRIM_400000_NS6detail17trampoline_kernelINS0_14default_configENS1_22reduce_config_selectorIbEEZNS1_11reduce_implILb1ES3_N6hipcub16HIPCUB_304000_NS22TransformInputIteratorIbN2at6native12_GLOBAL__N_19NonZeroOpIhEEPKhlEEPiiNS8_6detail34convert_binary_result_type_wrapperINS8_3SumESH_iEEEE10hipError_tPvRmT1_T2_T3_mT4_P12ihipStream_tbEUlT_E1_NS1_11comp_targetILNS1_3genE2ELNS1_11target_archE906ELNS1_3gpuE6ELNS1_3repE0EEENS1_30default_config_static_selectorELNS0_4arch9wavefront6targetE0EEEvSQ_.kd
    .uniform_work_group_size: 1
    .uses_dynamic_stack: false
    .vgpr_count:     0
    .vgpr_spill_count: 0
    .wavefront_size: 32
    .workgroup_processor_mode: 1
  - .args:
      - .offset:         0
        .size:           48
        .value_kind:     by_value
    .group_segment_fixed_size: 0
    .kernarg_segment_align: 8
    .kernarg_segment_size: 48
    .language:       OpenCL C
    .language_version:
      - 2
      - 0
    .max_flat_workgroup_size: 256
    .name:           _ZN7rocprim17ROCPRIM_400000_NS6detail17trampoline_kernelINS0_14default_configENS1_22reduce_config_selectorIbEEZNS1_11reduce_implILb1ES3_N6hipcub16HIPCUB_304000_NS22TransformInputIteratorIbN2at6native12_GLOBAL__N_19NonZeroOpIhEEPKhlEEPiiNS8_6detail34convert_binary_result_type_wrapperINS8_3SumESH_iEEEE10hipError_tPvRmT1_T2_T3_mT4_P12ihipStream_tbEUlT_E1_NS1_11comp_targetILNS1_3genE10ELNS1_11target_archE1201ELNS1_3gpuE5ELNS1_3repE0EEENS1_30default_config_static_selectorELNS0_4arch9wavefront6targetE0EEEvSQ_
    .private_segment_fixed_size: 0
    .sgpr_count:     0
    .sgpr_spill_count: 0
    .symbol:         _ZN7rocprim17ROCPRIM_400000_NS6detail17trampoline_kernelINS0_14default_configENS1_22reduce_config_selectorIbEEZNS1_11reduce_implILb1ES3_N6hipcub16HIPCUB_304000_NS22TransformInputIteratorIbN2at6native12_GLOBAL__N_19NonZeroOpIhEEPKhlEEPiiNS8_6detail34convert_binary_result_type_wrapperINS8_3SumESH_iEEEE10hipError_tPvRmT1_T2_T3_mT4_P12ihipStream_tbEUlT_E1_NS1_11comp_targetILNS1_3genE10ELNS1_11target_archE1201ELNS1_3gpuE5ELNS1_3repE0EEENS1_30default_config_static_selectorELNS0_4arch9wavefront6targetE0EEEvSQ_.kd
    .uniform_work_group_size: 1
    .uses_dynamic_stack: false
    .vgpr_count:     0
    .vgpr_spill_count: 0
    .wavefront_size: 32
    .workgroup_processor_mode: 1
  - .args:
      - .offset:         0
        .size:           48
        .value_kind:     by_value
    .group_segment_fixed_size: 0
    .kernarg_segment_align: 8
    .kernarg_segment_size: 48
    .language:       OpenCL C
    .language_version:
      - 2
      - 0
    .max_flat_workgroup_size: 256
    .name:           _ZN7rocprim17ROCPRIM_400000_NS6detail17trampoline_kernelINS0_14default_configENS1_22reduce_config_selectorIbEEZNS1_11reduce_implILb1ES3_N6hipcub16HIPCUB_304000_NS22TransformInputIteratorIbN2at6native12_GLOBAL__N_19NonZeroOpIhEEPKhlEEPiiNS8_6detail34convert_binary_result_type_wrapperINS8_3SumESH_iEEEE10hipError_tPvRmT1_T2_T3_mT4_P12ihipStream_tbEUlT_E1_NS1_11comp_targetILNS1_3genE10ELNS1_11target_archE1200ELNS1_3gpuE4ELNS1_3repE0EEENS1_30default_config_static_selectorELNS0_4arch9wavefront6targetE0EEEvSQ_
    .private_segment_fixed_size: 0
    .sgpr_count:     0
    .sgpr_spill_count: 0
    .symbol:         _ZN7rocprim17ROCPRIM_400000_NS6detail17trampoline_kernelINS0_14default_configENS1_22reduce_config_selectorIbEEZNS1_11reduce_implILb1ES3_N6hipcub16HIPCUB_304000_NS22TransformInputIteratorIbN2at6native12_GLOBAL__N_19NonZeroOpIhEEPKhlEEPiiNS8_6detail34convert_binary_result_type_wrapperINS8_3SumESH_iEEEE10hipError_tPvRmT1_T2_T3_mT4_P12ihipStream_tbEUlT_E1_NS1_11comp_targetILNS1_3genE10ELNS1_11target_archE1200ELNS1_3gpuE4ELNS1_3repE0EEENS1_30default_config_static_selectorELNS0_4arch9wavefront6targetE0EEEvSQ_.kd
    .uniform_work_group_size: 1
    .uses_dynamic_stack: false
    .vgpr_count:     0
    .vgpr_spill_count: 0
    .wavefront_size: 32
    .workgroup_processor_mode: 1
  - .args:
      - .offset:         0
        .size:           48
        .value_kind:     by_value
    .group_segment_fixed_size: 144
    .kernarg_segment_align: 8
    .kernarg_segment_size: 48
    .language:       OpenCL C
    .language_version:
      - 2
      - 0
    .max_flat_workgroup_size: 128
    .name:           _ZN7rocprim17ROCPRIM_400000_NS6detail17trampoline_kernelINS0_14default_configENS1_22reduce_config_selectorIbEEZNS1_11reduce_implILb1ES3_N6hipcub16HIPCUB_304000_NS22TransformInputIteratorIbN2at6native12_GLOBAL__N_19NonZeroOpIhEEPKhlEEPiiNS8_6detail34convert_binary_result_type_wrapperINS8_3SumESH_iEEEE10hipError_tPvRmT1_T2_T3_mT4_P12ihipStream_tbEUlT_E1_NS1_11comp_targetILNS1_3genE9ELNS1_11target_archE1100ELNS1_3gpuE3ELNS1_3repE0EEENS1_30default_config_static_selectorELNS0_4arch9wavefront6targetE0EEEvSQ_
    .private_segment_fixed_size: 0
    .sgpr_count:     31
    .sgpr_spill_count: 0
    .symbol:         _ZN7rocprim17ROCPRIM_400000_NS6detail17trampoline_kernelINS0_14default_configENS1_22reduce_config_selectorIbEEZNS1_11reduce_implILb1ES3_N6hipcub16HIPCUB_304000_NS22TransformInputIteratorIbN2at6native12_GLOBAL__N_19NonZeroOpIhEEPKhlEEPiiNS8_6detail34convert_binary_result_type_wrapperINS8_3SumESH_iEEEE10hipError_tPvRmT1_T2_T3_mT4_P12ihipStream_tbEUlT_E1_NS1_11comp_targetILNS1_3genE9ELNS1_11target_archE1100ELNS1_3gpuE3ELNS1_3repE0EEENS1_30default_config_static_selectorELNS0_4arch9wavefront6targetE0EEEvSQ_.kd
    .uniform_work_group_size: 1
    .uses_dynamic_stack: false
    .vgpr_count:     130
    .vgpr_spill_count: 0
    .wavefront_size: 32
    .workgroup_processor_mode: 1
  - .args:
      - .offset:         0
        .size:           48
        .value_kind:     by_value
    .group_segment_fixed_size: 0
    .kernarg_segment_align: 8
    .kernarg_segment_size: 48
    .language:       OpenCL C
    .language_version:
      - 2
      - 0
    .max_flat_workgroup_size: 256
    .name:           _ZN7rocprim17ROCPRIM_400000_NS6detail17trampoline_kernelINS0_14default_configENS1_22reduce_config_selectorIbEEZNS1_11reduce_implILb1ES3_N6hipcub16HIPCUB_304000_NS22TransformInputIteratorIbN2at6native12_GLOBAL__N_19NonZeroOpIhEEPKhlEEPiiNS8_6detail34convert_binary_result_type_wrapperINS8_3SumESH_iEEEE10hipError_tPvRmT1_T2_T3_mT4_P12ihipStream_tbEUlT_E1_NS1_11comp_targetILNS1_3genE8ELNS1_11target_archE1030ELNS1_3gpuE2ELNS1_3repE0EEENS1_30default_config_static_selectorELNS0_4arch9wavefront6targetE0EEEvSQ_
    .private_segment_fixed_size: 0
    .sgpr_count:     0
    .sgpr_spill_count: 0
    .symbol:         _ZN7rocprim17ROCPRIM_400000_NS6detail17trampoline_kernelINS0_14default_configENS1_22reduce_config_selectorIbEEZNS1_11reduce_implILb1ES3_N6hipcub16HIPCUB_304000_NS22TransformInputIteratorIbN2at6native12_GLOBAL__N_19NonZeroOpIhEEPKhlEEPiiNS8_6detail34convert_binary_result_type_wrapperINS8_3SumESH_iEEEE10hipError_tPvRmT1_T2_T3_mT4_P12ihipStream_tbEUlT_E1_NS1_11comp_targetILNS1_3genE8ELNS1_11target_archE1030ELNS1_3gpuE2ELNS1_3repE0EEENS1_30default_config_static_selectorELNS0_4arch9wavefront6targetE0EEEvSQ_.kd
    .uniform_work_group_size: 1
    .uses_dynamic_stack: false
    .vgpr_count:     0
    .vgpr_spill_count: 0
    .wavefront_size: 32
    .workgroup_processor_mode: 1
  - .args:
      - .address_space:  global
        .offset:         0
        .size:           8
        .value_kind:     global_buffer
      - .offset:         8
        .size:           4
        .value_kind:     by_value
      - .offset:         12
        .size:           1
        .value_kind:     by_value
      - .offset:         16
        .size:           4
        .value_kind:     by_value
      - .address_space:  global
        .offset:         24
        .size:           8
        .value_kind:     global_buffer
      - .offset:         32
        .size:           4
        .value_kind:     hidden_block_count_x
      - .offset:         36
        .size:           4
        .value_kind:     hidden_block_count_y
      - .offset:         40
        .size:           4
        .value_kind:     hidden_block_count_z
      - .offset:         44
        .size:           2
        .value_kind:     hidden_group_size_x
      - .offset:         46
        .size:           2
        .value_kind:     hidden_group_size_y
      - .offset:         48
        .size:           2
        .value_kind:     hidden_group_size_z
      - .offset:         50
        .size:           2
        .value_kind:     hidden_remainder_x
      - .offset:         52
        .size:           2
        .value_kind:     hidden_remainder_y
      - .offset:         54
        .size:           2
        .value_kind:     hidden_remainder_z
      - .offset:         72
        .size:           8
        .value_kind:     hidden_global_offset_x
      - .offset:         80
        .size:           8
        .value_kind:     hidden_global_offset_y
      - .offset:         88
        .size:           8
        .value_kind:     hidden_global_offset_z
      - .offset:         96
        .size:           2
        .value_kind:     hidden_grid_dims
    .group_segment_fixed_size: 0
    .kernarg_segment_align: 8
    .kernarg_segment_size: 288
    .language:       OpenCL C
    .language_version:
      - 2
      - 0
    .max_flat_workgroup_size: 256
    .name:           _ZN7rocprim17ROCPRIM_400000_NS6detail31init_lookback_scan_state_kernelINS1_19lookback_scan_stateImLb0ELb1EEENS1_16block_id_wrapperIjLb0EEEEEvT_jT0_jPNS7_10value_typeE
    .private_segment_fixed_size: 0
    .sgpr_count:     18
    .sgpr_spill_count: 0
    .symbol:         _ZN7rocprim17ROCPRIM_400000_NS6detail31init_lookback_scan_state_kernelINS1_19lookback_scan_stateImLb0ELb1EEENS1_16block_id_wrapperIjLb0EEEEEvT_jT0_jPNS7_10value_typeE.kd
    .uniform_work_group_size: 1
    .uses_dynamic_stack: false
    .vgpr_count:     9
    .vgpr_spill_count: 0
    .wavefront_size: 32
    .workgroup_processor_mode: 1
  - .args:
      - .offset:         0
        .size:           120
        .value_kind:     by_value
    .group_segment_fixed_size: 0
    .kernarg_segment_align: 8
    .kernarg_segment_size: 120
    .language:       OpenCL C
    .language_version:
      - 2
      - 0
    .max_flat_workgroup_size: 128
    .name:           _ZN7rocprim17ROCPRIM_400000_NS6detail17trampoline_kernelINS0_14default_configENS1_25partition_config_selectorILNS1_17partition_subalgoE5ElNS0_10empty_typeEbEEZZNS1_14partition_implILS5_5ELb0ES3_mN6hipcub16HIPCUB_304000_NS21CountingInputIteratorIllEEPS6_NSA_22TransformInputIteratorIbN2at6native12_GLOBAL__N_19NonZeroOpIhEEPKhlEENS0_5tupleIJPlS6_EEENSN_IJSD_SD_EEES6_PiJS6_EEE10hipError_tPvRmT3_T4_T5_T6_T7_T9_mT8_P12ihipStream_tbDpT10_ENKUlT_T0_E_clISt17integral_constantIbLb0EES1B_EEDaS16_S17_EUlS16_E_NS1_11comp_targetILNS1_3genE0ELNS1_11target_archE4294967295ELNS1_3gpuE0ELNS1_3repE0EEENS1_30default_config_static_selectorELNS0_4arch9wavefront6targetE0EEEvT1_
    .private_segment_fixed_size: 0
    .sgpr_count:     0
    .sgpr_spill_count: 0
    .symbol:         _ZN7rocprim17ROCPRIM_400000_NS6detail17trampoline_kernelINS0_14default_configENS1_25partition_config_selectorILNS1_17partition_subalgoE5ElNS0_10empty_typeEbEEZZNS1_14partition_implILS5_5ELb0ES3_mN6hipcub16HIPCUB_304000_NS21CountingInputIteratorIllEEPS6_NSA_22TransformInputIteratorIbN2at6native12_GLOBAL__N_19NonZeroOpIhEEPKhlEENS0_5tupleIJPlS6_EEENSN_IJSD_SD_EEES6_PiJS6_EEE10hipError_tPvRmT3_T4_T5_T6_T7_T9_mT8_P12ihipStream_tbDpT10_ENKUlT_T0_E_clISt17integral_constantIbLb0EES1B_EEDaS16_S17_EUlS16_E_NS1_11comp_targetILNS1_3genE0ELNS1_11target_archE4294967295ELNS1_3gpuE0ELNS1_3repE0EEENS1_30default_config_static_selectorELNS0_4arch9wavefront6targetE0EEEvT1_.kd
    .uniform_work_group_size: 1
    .uses_dynamic_stack: false
    .vgpr_count:     0
    .vgpr_spill_count: 0
    .wavefront_size: 32
    .workgroup_processor_mode: 1
  - .args:
      - .offset:         0
        .size:           120
        .value_kind:     by_value
    .group_segment_fixed_size: 0
    .kernarg_segment_align: 8
    .kernarg_segment_size: 120
    .language:       OpenCL C
    .language_version:
      - 2
      - 0
    .max_flat_workgroup_size: 512
    .name:           _ZN7rocprim17ROCPRIM_400000_NS6detail17trampoline_kernelINS0_14default_configENS1_25partition_config_selectorILNS1_17partition_subalgoE5ElNS0_10empty_typeEbEEZZNS1_14partition_implILS5_5ELb0ES3_mN6hipcub16HIPCUB_304000_NS21CountingInputIteratorIllEEPS6_NSA_22TransformInputIteratorIbN2at6native12_GLOBAL__N_19NonZeroOpIhEEPKhlEENS0_5tupleIJPlS6_EEENSN_IJSD_SD_EEES6_PiJS6_EEE10hipError_tPvRmT3_T4_T5_T6_T7_T9_mT8_P12ihipStream_tbDpT10_ENKUlT_T0_E_clISt17integral_constantIbLb0EES1B_EEDaS16_S17_EUlS16_E_NS1_11comp_targetILNS1_3genE5ELNS1_11target_archE942ELNS1_3gpuE9ELNS1_3repE0EEENS1_30default_config_static_selectorELNS0_4arch9wavefront6targetE0EEEvT1_
    .private_segment_fixed_size: 0
    .sgpr_count:     0
    .sgpr_spill_count: 0
    .symbol:         _ZN7rocprim17ROCPRIM_400000_NS6detail17trampoline_kernelINS0_14default_configENS1_25partition_config_selectorILNS1_17partition_subalgoE5ElNS0_10empty_typeEbEEZZNS1_14partition_implILS5_5ELb0ES3_mN6hipcub16HIPCUB_304000_NS21CountingInputIteratorIllEEPS6_NSA_22TransformInputIteratorIbN2at6native12_GLOBAL__N_19NonZeroOpIhEEPKhlEENS0_5tupleIJPlS6_EEENSN_IJSD_SD_EEES6_PiJS6_EEE10hipError_tPvRmT3_T4_T5_T6_T7_T9_mT8_P12ihipStream_tbDpT10_ENKUlT_T0_E_clISt17integral_constantIbLb0EES1B_EEDaS16_S17_EUlS16_E_NS1_11comp_targetILNS1_3genE5ELNS1_11target_archE942ELNS1_3gpuE9ELNS1_3repE0EEENS1_30default_config_static_selectorELNS0_4arch9wavefront6targetE0EEEvT1_.kd
    .uniform_work_group_size: 1
    .uses_dynamic_stack: false
    .vgpr_count:     0
    .vgpr_spill_count: 0
    .wavefront_size: 32
    .workgroup_processor_mode: 1
  - .args:
      - .offset:         0
        .size:           120
        .value_kind:     by_value
    .group_segment_fixed_size: 0
    .kernarg_segment_align: 8
    .kernarg_segment_size: 120
    .language:       OpenCL C
    .language_version:
      - 2
      - 0
    .max_flat_workgroup_size: 192
    .name:           _ZN7rocprim17ROCPRIM_400000_NS6detail17trampoline_kernelINS0_14default_configENS1_25partition_config_selectorILNS1_17partition_subalgoE5ElNS0_10empty_typeEbEEZZNS1_14partition_implILS5_5ELb0ES3_mN6hipcub16HIPCUB_304000_NS21CountingInputIteratorIllEEPS6_NSA_22TransformInputIteratorIbN2at6native12_GLOBAL__N_19NonZeroOpIhEEPKhlEENS0_5tupleIJPlS6_EEENSN_IJSD_SD_EEES6_PiJS6_EEE10hipError_tPvRmT3_T4_T5_T6_T7_T9_mT8_P12ihipStream_tbDpT10_ENKUlT_T0_E_clISt17integral_constantIbLb0EES1B_EEDaS16_S17_EUlS16_E_NS1_11comp_targetILNS1_3genE4ELNS1_11target_archE910ELNS1_3gpuE8ELNS1_3repE0EEENS1_30default_config_static_selectorELNS0_4arch9wavefront6targetE0EEEvT1_
    .private_segment_fixed_size: 0
    .sgpr_count:     0
    .sgpr_spill_count: 0
    .symbol:         _ZN7rocprim17ROCPRIM_400000_NS6detail17trampoline_kernelINS0_14default_configENS1_25partition_config_selectorILNS1_17partition_subalgoE5ElNS0_10empty_typeEbEEZZNS1_14partition_implILS5_5ELb0ES3_mN6hipcub16HIPCUB_304000_NS21CountingInputIteratorIllEEPS6_NSA_22TransformInputIteratorIbN2at6native12_GLOBAL__N_19NonZeroOpIhEEPKhlEENS0_5tupleIJPlS6_EEENSN_IJSD_SD_EEES6_PiJS6_EEE10hipError_tPvRmT3_T4_T5_T6_T7_T9_mT8_P12ihipStream_tbDpT10_ENKUlT_T0_E_clISt17integral_constantIbLb0EES1B_EEDaS16_S17_EUlS16_E_NS1_11comp_targetILNS1_3genE4ELNS1_11target_archE910ELNS1_3gpuE8ELNS1_3repE0EEENS1_30default_config_static_selectorELNS0_4arch9wavefront6targetE0EEEvT1_.kd
    .uniform_work_group_size: 1
    .uses_dynamic_stack: false
    .vgpr_count:     0
    .vgpr_spill_count: 0
    .wavefront_size: 32
    .workgroup_processor_mode: 1
  - .args:
      - .offset:         0
        .size:           120
        .value_kind:     by_value
    .group_segment_fixed_size: 0
    .kernarg_segment_align: 8
    .kernarg_segment_size: 120
    .language:       OpenCL C
    .language_version:
      - 2
      - 0
    .max_flat_workgroup_size: 128
    .name:           _ZN7rocprim17ROCPRIM_400000_NS6detail17trampoline_kernelINS0_14default_configENS1_25partition_config_selectorILNS1_17partition_subalgoE5ElNS0_10empty_typeEbEEZZNS1_14partition_implILS5_5ELb0ES3_mN6hipcub16HIPCUB_304000_NS21CountingInputIteratorIllEEPS6_NSA_22TransformInputIteratorIbN2at6native12_GLOBAL__N_19NonZeroOpIhEEPKhlEENS0_5tupleIJPlS6_EEENSN_IJSD_SD_EEES6_PiJS6_EEE10hipError_tPvRmT3_T4_T5_T6_T7_T9_mT8_P12ihipStream_tbDpT10_ENKUlT_T0_E_clISt17integral_constantIbLb0EES1B_EEDaS16_S17_EUlS16_E_NS1_11comp_targetILNS1_3genE3ELNS1_11target_archE908ELNS1_3gpuE7ELNS1_3repE0EEENS1_30default_config_static_selectorELNS0_4arch9wavefront6targetE0EEEvT1_
    .private_segment_fixed_size: 0
    .sgpr_count:     0
    .sgpr_spill_count: 0
    .symbol:         _ZN7rocprim17ROCPRIM_400000_NS6detail17trampoline_kernelINS0_14default_configENS1_25partition_config_selectorILNS1_17partition_subalgoE5ElNS0_10empty_typeEbEEZZNS1_14partition_implILS5_5ELb0ES3_mN6hipcub16HIPCUB_304000_NS21CountingInputIteratorIllEEPS6_NSA_22TransformInputIteratorIbN2at6native12_GLOBAL__N_19NonZeroOpIhEEPKhlEENS0_5tupleIJPlS6_EEENSN_IJSD_SD_EEES6_PiJS6_EEE10hipError_tPvRmT3_T4_T5_T6_T7_T9_mT8_P12ihipStream_tbDpT10_ENKUlT_T0_E_clISt17integral_constantIbLb0EES1B_EEDaS16_S17_EUlS16_E_NS1_11comp_targetILNS1_3genE3ELNS1_11target_archE908ELNS1_3gpuE7ELNS1_3repE0EEENS1_30default_config_static_selectorELNS0_4arch9wavefront6targetE0EEEvT1_.kd
    .uniform_work_group_size: 1
    .uses_dynamic_stack: false
    .vgpr_count:     0
    .vgpr_spill_count: 0
    .wavefront_size: 32
    .workgroup_processor_mode: 1
  - .args:
      - .offset:         0
        .size:           120
        .value_kind:     by_value
    .group_segment_fixed_size: 0
    .kernarg_segment_align: 8
    .kernarg_segment_size: 120
    .language:       OpenCL C
    .language_version:
      - 2
      - 0
    .max_flat_workgroup_size: 256
    .name:           _ZN7rocprim17ROCPRIM_400000_NS6detail17trampoline_kernelINS0_14default_configENS1_25partition_config_selectorILNS1_17partition_subalgoE5ElNS0_10empty_typeEbEEZZNS1_14partition_implILS5_5ELb0ES3_mN6hipcub16HIPCUB_304000_NS21CountingInputIteratorIllEEPS6_NSA_22TransformInputIteratorIbN2at6native12_GLOBAL__N_19NonZeroOpIhEEPKhlEENS0_5tupleIJPlS6_EEENSN_IJSD_SD_EEES6_PiJS6_EEE10hipError_tPvRmT3_T4_T5_T6_T7_T9_mT8_P12ihipStream_tbDpT10_ENKUlT_T0_E_clISt17integral_constantIbLb0EES1B_EEDaS16_S17_EUlS16_E_NS1_11comp_targetILNS1_3genE2ELNS1_11target_archE906ELNS1_3gpuE6ELNS1_3repE0EEENS1_30default_config_static_selectorELNS0_4arch9wavefront6targetE0EEEvT1_
    .private_segment_fixed_size: 0
    .sgpr_count:     0
    .sgpr_spill_count: 0
    .symbol:         _ZN7rocprim17ROCPRIM_400000_NS6detail17trampoline_kernelINS0_14default_configENS1_25partition_config_selectorILNS1_17partition_subalgoE5ElNS0_10empty_typeEbEEZZNS1_14partition_implILS5_5ELb0ES3_mN6hipcub16HIPCUB_304000_NS21CountingInputIteratorIllEEPS6_NSA_22TransformInputIteratorIbN2at6native12_GLOBAL__N_19NonZeroOpIhEEPKhlEENS0_5tupleIJPlS6_EEENSN_IJSD_SD_EEES6_PiJS6_EEE10hipError_tPvRmT3_T4_T5_T6_T7_T9_mT8_P12ihipStream_tbDpT10_ENKUlT_T0_E_clISt17integral_constantIbLb0EES1B_EEDaS16_S17_EUlS16_E_NS1_11comp_targetILNS1_3genE2ELNS1_11target_archE906ELNS1_3gpuE6ELNS1_3repE0EEENS1_30default_config_static_selectorELNS0_4arch9wavefront6targetE0EEEvT1_.kd
    .uniform_work_group_size: 1
    .uses_dynamic_stack: false
    .vgpr_count:     0
    .vgpr_spill_count: 0
    .wavefront_size: 32
    .workgroup_processor_mode: 1
  - .args:
      - .offset:         0
        .size:           120
        .value_kind:     by_value
    .group_segment_fixed_size: 0
    .kernarg_segment_align: 8
    .kernarg_segment_size: 120
    .language:       OpenCL C
    .language_version:
      - 2
      - 0
    .max_flat_workgroup_size: 256
    .name:           _ZN7rocprim17ROCPRIM_400000_NS6detail17trampoline_kernelINS0_14default_configENS1_25partition_config_selectorILNS1_17partition_subalgoE5ElNS0_10empty_typeEbEEZZNS1_14partition_implILS5_5ELb0ES3_mN6hipcub16HIPCUB_304000_NS21CountingInputIteratorIllEEPS6_NSA_22TransformInputIteratorIbN2at6native12_GLOBAL__N_19NonZeroOpIhEEPKhlEENS0_5tupleIJPlS6_EEENSN_IJSD_SD_EEES6_PiJS6_EEE10hipError_tPvRmT3_T4_T5_T6_T7_T9_mT8_P12ihipStream_tbDpT10_ENKUlT_T0_E_clISt17integral_constantIbLb0EES1B_EEDaS16_S17_EUlS16_E_NS1_11comp_targetILNS1_3genE10ELNS1_11target_archE1200ELNS1_3gpuE4ELNS1_3repE0EEENS1_30default_config_static_selectorELNS0_4arch9wavefront6targetE0EEEvT1_
    .private_segment_fixed_size: 0
    .sgpr_count:     0
    .sgpr_spill_count: 0
    .symbol:         _ZN7rocprim17ROCPRIM_400000_NS6detail17trampoline_kernelINS0_14default_configENS1_25partition_config_selectorILNS1_17partition_subalgoE5ElNS0_10empty_typeEbEEZZNS1_14partition_implILS5_5ELb0ES3_mN6hipcub16HIPCUB_304000_NS21CountingInputIteratorIllEEPS6_NSA_22TransformInputIteratorIbN2at6native12_GLOBAL__N_19NonZeroOpIhEEPKhlEENS0_5tupleIJPlS6_EEENSN_IJSD_SD_EEES6_PiJS6_EEE10hipError_tPvRmT3_T4_T5_T6_T7_T9_mT8_P12ihipStream_tbDpT10_ENKUlT_T0_E_clISt17integral_constantIbLb0EES1B_EEDaS16_S17_EUlS16_E_NS1_11comp_targetILNS1_3genE10ELNS1_11target_archE1200ELNS1_3gpuE4ELNS1_3repE0EEENS1_30default_config_static_selectorELNS0_4arch9wavefront6targetE0EEEvT1_.kd
    .uniform_work_group_size: 1
    .uses_dynamic_stack: false
    .vgpr_count:     0
    .vgpr_spill_count: 0
    .wavefront_size: 32
    .workgroup_processor_mode: 1
  - .args:
      - .offset:         0
        .size:           120
        .value_kind:     by_value
    .group_segment_fixed_size: 6160
    .kernarg_segment_align: 8
    .kernarg_segment_size: 120
    .language:       OpenCL C
    .language_version:
      - 2
      - 0
    .max_flat_workgroup_size: 128
    .name:           _ZN7rocprim17ROCPRIM_400000_NS6detail17trampoline_kernelINS0_14default_configENS1_25partition_config_selectorILNS1_17partition_subalgoE5ElNS0_10empty_typeEbEEZZNS1_14partition_implILS5_5ELb0ES3_mN6hipcub16HIPCUB_304000_NS21CountingInputIteratorIllEEPS6_NSA_22TransformInputIteratorIbN2at6native12_GLOBAL__N_19NonZeroOpIhEEPKhlEENS0_5tupleIJPlS6_EEENSN_IJSD_SD_EEES6_PiJS6_EEE10hipError_tPvRmT3_T4_T5_T6_T7_T9_mT8_P12ihipStream_tbDpT10_ENKUlT_T0_E_clISt17integral_constantIbLb0EES1B_EEDaS16_S17_EUlS16_E_NS1_11comp_targetILNS1_3genE9ELNS1_11target_archE1100ELNS1_3gpuE3ELNS1_3repE0EEENS1_30default_config_static_selectorELNS0_4arch9wavefront6targetE0EEEvT1_
    .private_segment_fixed_size: 0
    .sgpr_count:     22
    .sgpr_spill_count: 0
    .symbol:         _ZN7rocprim17ROCPRIM_400000_NS6detail17trampoline_kernelINS0_14default_configENS1_25partition_config_selectorILNS1_17partition_subalgoE5ElNS0_10empty_typeEbEEZZNS1_14partition_implILS5_5ELb0ES3_mN6hipcub16HIPCUB_304000_NS21CountingInputIteratorIllEEPS6_NSA_22TransformInputIteratorIbN2at6native12_GLOBAL__N_19NonZeroOpIhEEPKhlEENS0_5tupleIJPlS6_EEENSN_IJSD_SD_EEES6_PiJS6_EEE10hipError_tPvRmT3_T4_T5_T6_T7_T9_mT8_P12ihipStream_tbDpT10_ENKUlT_T0_E_clISt17integral_constantIbLb0EES1B_EEDaS16_S17_EUlS16_E_NS1_11comp_targetILNS1_3genE9ELNS1_11target_archE1100ELNS1_3gpuE3ELNS1_3repE0EEENS1_30default_config_static_selectorELNS0_4arch9wavefront6targetE0EEEvT1_.kd
    .uniform_work_group_size: 1
    .uses_dynamic_stack: false
    .vgpr_count:     57
    .vgpr_spill_count: 0
    .wavefront_size: 32
    .workgroup_processor_mode: 1
  - .args:
      - .offset:         0
        .size:           120
        .value_kind:     by_value
    .group_segment_fixed_size: 0
    .kernarg_segment_align: 8
    .kernarg_segment_size: 120
    .language:       OpenCL C
    .language_version:
      - 2
      - 0
    .max_flat_workgroup_size: 512
    .name:           _ZN7rocprim17ROCPRIM_400000_NS6detail17trampoline_kernelINS0_14default_configENS1_25partition_config_selectorILNS1_17partition_subalgoE5ElNS0_10empty_typeEbEEZZNS1_14partition_implILS5_5ELb0ES3_mN6hipcub16HIPCUB_304000_NS21CountingInputIteratorIllEEPS6_NSA_22TransformInputIteratorIbN2at6native12_GLOBAL__N_19NonZeroOpIhEEPKhlEENS0_5tupleIJPlS6_EEENSN_IJSD_SD_EEES6_PiJS6_EEE10hipError_tPvRmT3_T4_T5_T6_T7_T9_mT8_P12ihipStream_tbDpT10_ENKUlT_T0_E_clISt17integral_constantIbLb0EES1B_EEDaS16_S17_EUlS16_E_NS1_11comp_targetILNS1_3genE8ELNS1_11target_archE1030ELNS1_3gpuE2ELNS1_3repE0EEENS1_30default_config_static_selectorELNS0_4arch9wavefront6targetE0EEEvT1_
    .private_segment_fixed_size: 0
    .sgpr_count:     0
    .sgpr_spill_count: 0
    .symbol:         _ZN7rocprim17ROCPRIM_400000_NS6detail17trampoline_kernelINS0_14default_configENS1_25partition_config_selectorILNS1_17partition_subalgoE5ElNS0_10empty_typeEbEEZZNS1_14partition_implILS5_5ELb0ES3_mN6hipcub16HIPCUB_304000_NS21CountingInputIteratorIllEEPS6_NSA_22TransformInputIteratorIbN2at6native12_GLOBAL__N_19NonZeroOpIhEEPKhlEENS0_5tupleIJPlS6_EEENSN_IJSD_SD_EEES6_PiJS6_EEE10hipError_tPvRmT3_T4_T5_T6_T7_T9_mT8_P12ihipStream_tbDpT10_ENKUlT_T0_E_clISt17integral_constantIbLb0EES1B_EEDaS16_S17_EUlS16_E_NS1_11comp_targetILNS1_3genE8ELNS1_11target_archE1030ELNS1_3gpuE2ELNS1_3repE0EEENS1_30default_config_static_selectorELNS0_4arch9wavefront6targetE0EEEvT1_.kd
    .uniform_work_group_size: 1
    .uses_dynamic_stack: false
    .vgpr_count:     0
    .vgpr_spill_count: 0
    .wavefront_size: 32
    .workgroup_processor_mode: 1
  - .args:
      - .offset:         0
        .size:           40
        .value_kind:     by_value
    .group_segment_fixed_size: 0
    .kernarg_segment_align: 8
    .kernarg_segment_size: 40
    .language:       OpenCL C
    .language_version:
      - 2
      - 0
    .max_flat_workgroup_size: 128
    .name:           _ZN7rocprim17ROCPRIM_400000_NS6detail17trampoline_kernelINS0_14default_configENS1_25transform_config_selectorImLb1EEEZNS1_14transform_implILb1ES3_S5_PmPiNS0_8identityIvEEEE10hipError_tT2_T3_mT4_P12ihipStream_tbEUlT_E_NS1_11comp_targetILNS1_3genE0ELNS1_11target_archE4294967295ELNS1_3gpuE0ELNS1_3repE0EEENS1_30default_config_static_selectorELNS0_4arch9wavefront6targetE0EEEvT1_
    .private_segment_fixed_size: 0
    .sgpr_count:     0
    .sgpr_spill_count: 0
    .symbol:         _ZN7rocprim17ROCPRIM_400000_NS6detail17trampoline_kernelINS0_14default_configENS1_25transform_config_selectorImLb1EEEZNS1_14transform_implILb1ES3_S5_PmPiNS0_8identityIvEEEE10hipError_tT2_T3_mT4_P12ihipStream_tbEUlT_E_NS1_11comp_targetILNS1_3genE0ELNS1_11target_archE4294967295ELNS1_3gpuE0ELNS1_3repE0EEENS1_30default_config_static_selectorELNS0_4arch9wavefront6targetE0EEEvT1_.kd
    .uniform_work_group_size: 1
    .uses_dynamic_stack: false
    .vgpr_count:     0
    .vgpr_spill_count: 0
    .wavefront_size: 32
    .workgroup_processor_mode: 1
  - .args:
      - .offset:         0
        .size:           40
        .value_kind:     by_value
    .group_segment_fixed_size: 0
    .kernarg_segment_align: 8
    .kernarg_segment_size: 40
    .language:       OpenCL C
    .language_version:
      - 2
      - 0
    .max_flat_workgroup_size: 1024
    .name:           _ZN7rocprim17ROCPRIM_400000_NS6detail17trampoline_kernelINS0_14default_configENS1_25transform_config_selectorImLb1EEEZNS1_14transform_implILb1ES3_S5_PmPiNS0_8identityIvEEEE10hipError_tT2_T3_mT4_P12ihipStream_tbEUlT_E_NS1_11comp_targetILNS1_3genE10ELNS1_11target_archE1201ELNS1_3gpuE5ELNS1_3repE0EEENS1_30default_config_static_selectorELNS0_4arch9wavefront6targetE0EEEvT1_
    .private_segment_fixed_size: 0
    .sgpr_count:     0
    .sgpr_spill_count: 0
    .symbol:         _ZN7rocprim17ROCPRIM_400000_NS6detail17trampoline_kernelINS0_14default_configENS1_25transform_config_selectorImLb1EEEZNS1_14transform_implILb1ES3_S5_PmPiNS0_8identityIvEEEE10hipError_tT2_T3_mT4_P12ihipStream_tbEUlT_E_NS1_11comp_targetILNS1_3genE10ELNS1_11target_archE1201ELNS1_3gpuE5ELNS1_3repE0EEENS1_30default_config_static_selectorELNS0_4arch9wavefront6targetE0EEEvT1_.kd
    .uniform_work_group_size: 1
    .uses_dynamic_stack: false
    .vgpr_count:     0
    .vgpr_spill_count: 0
    .wavefront_size: 32
    .workgroup_processor_mode: 1
  - .args:
      - .offset:         0
        .size:           40
        .value_kind:     by_value
    .group_segment_fixed_size: 0
    .kernarg_segment_align: 8
    .kernarg_segment_size: 40
    .language:       OpenCL C
    .language_version:
      - 2
      - 0
    .max_flat_workgroup_size: 512
    .name:           _ZN7rocprim17ROCPRIM_400000_NS6detail17trampoline_kernelINS0_14default_configENS1_25transform_config_selectorImLb1EEEZNS1_14transform_implILb1ES3_S5_PmPiNS0_8identityIvEEEE10hipError_tT2_T3_mT4_P12ihipStream_tbEUlT_E_NS1_11comp_targetILNS1_3genE5ELNS1_11target_archE942ELNS1_3gpuE9ELNS1_3repE0EEENS1_30default_config_static_selectorELNS0_4arch9wavefront6targetE0EEEvT1_
    .private_segment_fixed_size: 0
    .sgpr_count:     0
    .sgpr_spill_count: 0
    .symbol:         _ZN7rocprim17ROCPRIM_400000_NS6detail17trampoline_kernelINS0_14default_configENS1_25transform_config_selectorImLb1EEEZNS1_14transform_implILb1ES3_S5_PmPiNS0_8identityIvEEEE10hipError_tT2_T3_mT4_P12ihipStream_tbEUlT_E_NS1_11comp_targetILNS1_3genE5ELNS1_11target_archE942ELNS1_3gpuE9ELNS1_3repE0EEENS1_30default_config_static_selectorELNS0_4arch9wavefront6targetE0EEEvT1_.kd
    .uniform_work_group_size: 1
    .uses_dynamic_stack: false
    .vgpr_count:     0
    .vgpr_spill_count: 0
    .wavefront_size: 32
    .workgroup_processor_mode: 1
  - .args:
      - .offset:         0
        .size:           40
        .value_kind:     by_value
    .group_segment_fixed_size: 0
    .kernarg_segment_align: 8
    .kernarg_segment_size: 40
    .language:       OpenCL C
    .language_version:
      - 2
      - 0
    .max_flat_workgroup_size: 1024
    .name:           _ZN7rocprim17ROCPRIM_400000_NS6detail17trampoline_kernelINS0_14default_configENS1_25transform_config_selectorImLb1EEEZNS1_14transform_implILb1ES3_S5_PmPiNS0_8identityIvEEEE10hipError_tT2_T3_mT4_P12ihipStream_tbEUlT_E_NS1_11comp_targetILNS1_3genE4ELNS1_11target_archE910ELNS1_3gpuE8ELNS1_3repE0EEENS1_30default_config_static_selectorELNS0_4arch9wavefront6targetE0EEEvT1_
    .private_segment_fixed_size: 0
    .sgpr_count:     0
    .sgpr_spill_count: 0
    .symbol:         _ZN7rocprim17ROCPRIM_400000_NS6detail17trampoline_kernelINS0_14default_configENS1_25transform_config_selectorImLb1EEEZNS1_14transform_implILb1ES3_S5_PmPiNS0_8identityIvEEEE10hipError_tT2_T3_mT4_P12ihipStream_tbEUlT_E_NS1_11comp_targetILNS1_3genE4ELNS1_11target_archE910ELNS1_3gpuE8ELNS1_3repE0EEENS1_30default_config_static_selectorELNS0_4arch9wavefront6targetE0EEEvT1_.kd
    .uniform_work_group_size: 1
    .uses_dynamic_stack: false
    .vgpr_count:     0
    .vgpr_spill_count: 0
    .wavefront_size: 32
    .workgroup_processor_mode: 1
  - .args:
      - .offset:         0
        .size:           40
        .value_kind:     by_value
    .group_segment_fixed_size: 0
    .kernarg_segment_align: 8
    .kernarg_segment_size: 40
    .language:       OpenCL C
    .language_version:
      - 2
      - 0
    .max_flat_workgroup_size: 128
    .name:           _ZN7rocprim17ROCPRIM_400000_NS6detail17trampoline_kernelINS0_14default_configENS1_25transform_config_selectorImLb1EEEZNS1_14transform_implILb1ES3_S5_PmPiNS0_8identityIvEEEE10hipError_tT2_T3_mT4_P12ihipStream_tbEUlT_E_NS1_11comp_targetILNS1_3genE3ELNS1_11target_archE908ELNS1_3gpuE7ELNS1_3repE0EEENS1_30default_config_static_selectorELNS0_4arch9wavefront6targetE0EEEvT1_
    .private_segment_fixed_size: 0
    .sgpr_count:     0
    .sgpr_spill_count: 0
    .symbol:         _ZN7rocprim17ROCPRIM_400000_NS6detail17trampoline_kernelINS0_14default_configENS1_25transform_config_selectorImLb1EEEZNS1_14transform_implILb1ES3_S5_PmPiNS0_8identityIvEEEE10hipError_tT2_T3_mT4_P12ihipStream_tbEUlT_E_NS1_11comp_targetILNS1_3genE3ELNS1_11target_archE908ELNS1_3gpuE7ELNS1_3repE0EEENS1_30default_config_static_selectorELNS0_4arch9wavefront6targetE0EEEvT1_.kd
    .uniform_work_group_size: 1
    .uses_dynamic_stack: false
    .vgpr_count:     0
    .vgpr_spill_count: 0
    .wavefront_size: 32
    .workgroup_processor_mode: 1
  - .args:
      - .offset:         0
        .size:           40
        .value_kind:     by_value
    .group_segment_fixed_size: 0
    .kernarg_segment_align: 8
    .kernarg_segment_size: 40
    .language:       OpenCL C
    .language_version:
      - 2
      - 0
    .max_flat_workgroup_size: 512
    .name:           _ZN7rocprim17ROCPRIM_400000_NS6detail17trampoline_kernelINS0_14default_configENS1_25transform_config_selectorImLb1EEEZNS1_14transform_implILb1ES3_S5_PmPiNS0_8identityIvEEEE10hipError_tT2_T3_mT4_P12ihipStream_tbEUlT_E_NS1_11comp_targetILNS1_3genE2ELNS1_11target_archE906ELNS1_3gpuE6ELNS1_3repE0EEENS1_30default_config_static_selectorELNS0_4arch9wavefront6targetE0EEEvT1_
    .private_segment_fixed_size: 0
    .sgpr_count:     0
    .sgpr_spill_count: 0
    .symbol:         _ZN7rocprim17ROCPRIM_400000_NS6detail17trampoline_kernelINS0_14default_configENS1_25transform_config_selectorImLb1EEEZNS1_14transform_implILb1ES3_S5_PmPiNS0_8identityIvEEEE10hipError_tT2_T3_mT4_P12ihipStream_tbEUlT_E_NS1_11comp_targetILNS1_3genE2ELNS1_11target_archE906ELNS1_3gpuE6ELNS1_3repE0EEENS1_30default_config_static_selectorELNS0_4arch9wavefront6targetE0EEEvT1_.kd
    .uniform_work_group_size: 1
    .uses_dynamic_stack: false
    .vgpr_count:     0
    .vgpr_spill_count: 0
    .wavefront_size: 32
    .workgroup_processor_mode: 1
  - .args:
      - .offset:         0
        .size:           40
        .value_kind:     by_value
      - .offset:         40
        .size:           4
        .value_kind:     hidden_block_count_x
      - .offset:         44
        .size:           4
        .value_kind:     hidden_block_count_y
      - .offset:         48
        .size:           4
        .value_kind:     hidden_block_count_z
      - .offset:         52
        .size:           2
        .value_kind:     hidden_group_size_x
      - .offset:         54
        .size:           2
        .value_kind:     hidden_group_size_y
      - .offset:         56
        .size:           2
        .value_kind:     hidden_group_size_z
      - .offset:         58
        .size:           2
        .value_kind:     hidden_remainder_x
      - .offset:         60
        .size:           2
        .value_kind:     hidden_remainder_y
      - .offset:         62
        .size:           2
        .value_kind:     hidden_remainder_z
      - .offset:         80
        .size:           8
        .value_kind:     hidden_global_offset_x
      - .offset:         88
        .size:           8
        .value_kind:     hidden_global_offset_y
      - .offset:         96
        .size:           8
        .value_kind:     hidden_global_offset_z
      - .offset:         104
        .size:           2
        .value_kind:     hidden_grid_dims
    .group_segment_fixed_size: 0
    .kernarg_segment_align: 8
    .kernarg_segment_size: 296
    .language:       OpenCL C
    .language_version:
      - 2
      - 0
    .max_flat_workgroup_size: 1024
    .name:           _ZN7rocprim17ROCPRIM_400000_NS6detail17trampoline_kernelINS0_14default_configENS1_25transform_config_selectorImLb1EEEZNS1_14transform_implILb1ES3_S5_PmPiNS0_8identityIvEEEE10hipError_tT2_T3_mT4_P12ihipStream_tbEUlT_E_NS1_11comp_targetILNS1_3genE9ELNS1_11target_archE1100ELNS1_3gpuE3ELNS1_3repE0EEENS1_30default_config_static_selectorELNS0_4arch9wavefront6targetE0EEEvT1_
    .private_segment_fixed_size: 0
    .sgpr_count:     18
    .sgpr_spill_count: 0
    .symbol:         _ZN7rocprim17ROCPRIM_400000_NS6detail17trampoline_kernelINS0_14default_configENS1_25transform_config_selectorImLb1EEEZNS1_14transform_implILb1ES3_S5_PmPiNS0_8identityIvEEEE10hipError_tT2_T3_mT4_P12ihipStream_tbEUlT_E_NS1_11comp_targetILNS1_3genE9ELNS1_11target_archE1100ELNS1_3gpuE3ELNS1_3repE0EEENS1_30default_config_static_selectorELNS0_4arch9wavefront6targetE0EEEvT1_.kd
    .uniform_work_group_size: 1
    .uses_dynamic_stack: false
    .vgpr_count:     6
    .vgpr_spill_count: 0
    .wavefront_size: 32
    .workgroup_processor_mode: 1
  - .args:
      - .offset:         0
        .size:           40
        .value_kind:     by_value
    .group_segment_fixed_size: 0
    .kernarg_segment_align: 8
    .kernarg_segment_size: 40
    .language:       OpenCL C
    .language_version:
      - 2
      - 0
    .max_flat_workgroup_size: 1024
    .name:           _ZN7rocprim17ROCPRIM_400000_NS6detail17trampoline_kernelINS0_14default_configENS1_25transform_config_selectorImLb1EEEZNS1_14transform_implILb1ES3_S5_PmPiNS0_8identityIvEEEE10hipError_tT2_T3_mT4_P12ihipStream_tbEUlT_E_NS1_11comp_targetILNS1_3genE8ELNS1_11target_archE1030ELNS1_3gpuE2ELNS1_3repE0EEENS1_30default_config_static_selectorELNS0_4arch9wavefront6targetE0EEEvT1_
    .private_segment_fixed_size: 0
    .sgpr_count:     0
    .sgpr_spill_count: 0
    .symbol:         _ZN7rocprim17ROCPRIM_400000_NS6detail17trampoline_kernelINS0_14default_configENS1_25transform_config_selectorImLb1EEEZNS1_14transform_implILb1ES3_S5_PmPiNS0_8identityIvEEEE10hipError_tT2_T3_mT4_P12ihipStream_tbEUlT_E_NS1_11comp_targetILNS1_3genE8ELNS1_11target_archE1030ELNS1_3gpuE2ELNS1_3repE0EEENS1_30default_config_static_selectorELNS0_4arch9wavefront6targetE0EEEvT1_.kd
    .uniform_work_group_size: 1
    .uses_dynamic_stack: false
    .vgpr_count:     0
    .vgpr_spill_count: 0
    .wavefront_size: 32
    .workgroup_processor_mode: 1
  - .args:
      - .address_space:  global
        .offset:         0
        .size:           8
        .value_kind:     global_buffer
      - .offset:         8
        .size:           4
        .value_kind:     by_value
      - .address_space:  global
        .offset:         16
        .size:           8
        .value_kind:     global_buffer
      - .offset:         24
        .size:           4
        .value_kind:     by_value
      - .address_space:  global
        .offset:         32
        .size:           8
        .value_kind:     global_buffer
      - .offset:         40
        .size:           4
        .value_kind:     hidden_block_count_x
      - .offset:         44
        .size:           4
        .value_kind:     hidden_block_count_y
      - .offset:         48
        .size:           4
        .value_kind:     hidden_block_count_z
      - .offset:         52
        .size:           2
        .value_kind:     hidden_group_size_x
      - .offset:         54
        .size:           2
        .value_kind:     hidden_group_size_y
      - .offset:         56
        .size:           2
        .value_kind:     hidden_group_size_z
      - .offset:         58
        .size:           2
        .value_kind:     hidden_remainder_x
      - .offset:         60
        .size:           2
        .value_kind:     hidden_remainder_y
      - .offset:         62
        .size:           2
        .value_kind:     hidden_remainder_z
      - .offset:         80
        .size:           8
        .value_kind:     hidden_global_offset_x
      - .offset:         88
        .size:           8
        .value_kind:     hidden_global_offset_y
      - .offset:         96
        .size:           8
        .value_kind:     hidden_global_offset_z
      - .offset:         104
        .size:           2
        .value_kind:     hidden_grid_dims
    .group_segment_fixed_size: 0
    .kernarg_segment_align: 8
    .kernarg_segment_size: 296
    .language:       OpenCL C
    .language_version:
      - 2
      - 0
    .max_flat_workgroup_size: 256
    .name:           _ZN7rocprim17ROCPRIM_400000_NS6detail31init_lookback_scan_state_kernelINS1_19lookback_scan_stateImLb1ELb1EEENS1_16block_id_wrapperIjLb1EEEEEvT_jT0_jPNS7_10value_typeE
    .private_segment_fixed_size: 0
    .sgpr_count:     18
    .sgpr_spill_count: 0
    .symbol:         _ZN7rocprim17ROCPRIM_400000_NS6detail31init_lookback_scan_state_kernelINS1_19lookback_scan_stateImLb1ELb1EEENS1_16block_id_wrapperIjLb1EEEEEvT_jT0_jPNS7_10value_typeE.kd
    .uniform_work_group_size: 1
    .uses_dynamic_stack: false
    .vgpr_count:     9
    .vgpr_spill_count: 0
    .wavefront_size: 32
    .workgroup_processor_mode: 1
  - .args:
      - .offset:         0
        .size:           136
        .value_kind:     by_value
    .group_segment_fixed_size: 0
    .kernarg_segment_align: 8
    .kernarg_segment_size: 136
    .language:       OpenCL C
    .language_version:
      - 2
      - 0
    .max_flat_workgroup_size: 128
    .name:           _ZN7rocprim17ROCPRIM_400000_NS6detail17trampoline_kernelINS0_14default_configENS1_25partition_config_selectorILNS1_17partition_subalgoE5ElNS0_10empty_typeEbEEZZNS1_14partition_implILS5_5ELb0ES3_mN6hipcub16HIPCUB_304000_NS21CountingInputIteratorIllEEPS6_NSA_22TransformInputIteratorIbN2at6native12_GLOBAL__N_19NonZeroOpIhEEPKhlEENS0_5tupleIJPlS6_EEENSN_IJSD_SD_EEES6_PiJS6_EEE10hipError_tPvRmT3_T4_T5_T6_T7_T9_mT8_P12ihipStream_tbDpT10_ENKUlT_T0_E_clISt17integral_constantIbLb1EES1B_EEDaS16_S17_EUlS16_E_NS1_11comp_targetILNS1_3genE0ELNS1_11target_archE4294967295ELNS1_3gpuE0ELNS1_3repE0EEENS1_30default_config_static_selectorELNS0_4arch9wavefront6targetE0EEEvT1_
    .private_segment_fixed_size: 0
    .sgpr_count:     0
    .sgpr_spill_count: 0
    .symbol:         _ZN7rocprim17ROCPRIM_400000_NS6detail17trampoline_kernelINS0_14default_configENS1_25partition_config_selectorILNS1_17partition_subalgoE5ElNS0_10empty_typeEbEEZZNS1_14partition_implILS5_5ELb0ES3_mN6hipcub16HIPCUB_304000_NS21CountingInputIteratorIllEEPS6_NSA_22TransformInputIteratorIbN2at6native12_GLOBAL__N_19NonZeroOpIhEEPKhlEENS0_5tupleIJPlS6_EEENSN_IJSD_SD_EEES6_PiJS6_EEE10hipError_tPvRmT3_T4_T5_T6_T7_T9_mT8_P12ihipStream_tbDpT10_ENKUlT_T0_E_clISt17integral_constantIbLb1EES1B_EEDaS16_S17_EUlS16_E_NS1_11comp_targetILNS1_3genE0ELNS1_11target_archE4294967295ELNS1_3gpuE0ELNS1_3repE0EEENS1_30default_config_static_selectorELNS0_4arch9wavefront6targetE0EEEvT1_.kd
    .uniform_work_group_size: 1
    .uses_dynamic_stack: false
    .vgpr_count:     0
    .vgpr_spill_count: 0
    .wavefront_size: 32
    .workgroup_processor_mode: 1
  - .args:
      - .offset:         0
        .size:           136
        .value_kind:     by_value
    .group_segment_fixed_size: 0
    .kernarg_segment_align: 8
    .kernarg_segment_size: 136
    .language:       OpenCL C
    .language_version:
      - 2
      - 0
    .max_flat_workgroup_size: 512
    .name:           _ZN7rocprim17ROCPRIM_400000_NS6detail17trampoline_kernelINS0_14default_configENS1_25partition_config_selectorILNS1_17partition_subalgoE5ElNS0_10empty_typeEbEEZZNS1_14partition_implILS5_5ELb0ES3_mN6hipcub16HIPCUB_304000_NS21CountingInputIteratorIllEEPS6_NSA_22TransformInputIteratorIbN2at6native12_GLOBAL__N_19NonZeroOpIhEEPKhlEENS0_5tupleIJPlS6_EEENSN_IJSD_SD_EEES6_PiJS6_EEE10hipError_tPvRmT3_T4_T5_T6_T7_T9_mT8_P12ihipStream_tbDpT10_ENKUlT_T0_E_clISt17integral_constantIbLb1EES1B_EEDaS16_S17_EUlS16_E_NS1_11comp_targetILNS1_3genE5ELNS1_11target_archE942ELNS1_3gpuE9ELNS1_3repE0EEENS1_30default_config_static_selectorELNS0_4arch9wavefront6targetE0EEEvT1_
    .private_segment_fixed_size: 0
    .sgpr_count:     0
    .sgpr_spill_count: 0
    .symbol:         _ZN7rocprim17ROCPRIM_400000_NS6detail17trampoline_kernelINS0_14default_configENS1_25partition_config_selectorILNS1_17partition_subalgoE5ElNS0_10empty_typeEbEEZZNS1_14partition_implILS5_5ELb0ES3_mN6hipcub16HIPCUB_304000_NS21CountingInputIteratorIllEEPS6_NSA_22TransformInputIteratorIbN2at6native12_GLOBAL__N_19NonZeroOpIhEEPKhlEENS0_5tupleIJPlS6_EEENSN_IJSD_SD_EEES6_PiJS6_EEE10hipError_tPvRmT3_T4_T5_T6_T7_T9_mT8_P12ihipStream_tbDpT10_ENKUlT_T0_E_clISt17integral_constantIbLb1EES1B_EEDaS16_S17_EUlS16_E_NS1_11comp_targetILNS1_3genE5ELNS1_11target_archE942ELNS1_3gpuE9ELNS1_3repE0EEENS1_30default_config_static_selectorELNS0_4arch9wavefront6targetE0EEEvT1_.kd
    .uniform_work_group_size: 1
    .uses_dynamic_stack: false
    .vgpr_count:     0
    .vgpr_spill_count: 0
    .wavefront_size: 32
    .workgroup_processor_mode: 1
  - .args:
      - .offset:         0
        .size:           136
        .value_kind:     by_value
    .group_segment_fixed_size: 0
    .kernarg_segment_align: 8
    .kernarg_segment_size: 136
    .language:       OpenCL C
    .language_version:
      - 2
      - 0
    .max_flat_workgroup_size: 192
    .name:           _ZN7rocprim17ROCPRIM_400000_NS6detail17trampoline_kernelINS0_14default_configENS1_25partition_config_selectorILNS1_17partition_subalgoE5ElNS0_10empty_typeEbEEZZNS1_14partition_implILS5_5ELb0ES3_mN6hipcub16HIPCUB_304000_NS21CountingInputIteratorIllEEPS6_NSA_22TransformInputIteratorIbN2at6native12_GLOBAL__N_19NonZeroOpIhEEPKhlEENS0_5tupleIJPlS6_EEENSN_IJSD_SD_EEES6_PiJS6_EEE10hipError_tPvRmT3_T4_T5_T6_T7_T9_mT8_P12ihipStream_tbDpT10_ENKUlT_T0_E_clISt17integral_constantIbLb1EES1B_EEDaS16_S17_EUlS16_E_NS1_11comp_targetILNS1_3genE4ELNS1_11target_archE910ELNS1_3gpuE8ELNS1_3repE0EEENS1_30default_config_static_selectorELNS0_4arch9wavefront6targetE0EEEvT1_
    .private_segment_fixed_size: 0
    .sgpr_count:     0
    .sgpr_spill_count: 0
    .symbol:         _ZN7rocprim17ROCPRIM_400000_NS6detail17trampoline_kernelINS0_14default_configENS1_25partition_config_selectorILNS1_17partition_subalgoE5ElNS0_10empty_typeEbEEZZNS1_14partition_implILS5_5ELb0ES3_mN6hipcub16HIPCUB_304000_NS21CountingInputIteratorIllEEPS6_NSA_22TransformInputIteratorIbN2at6native12_GLOBAL__N_19NonZeroOpIhEEPKhlEENS0_5tupleIJPlS6_EEENSN_IJSD_SD_EEES6_PiJS6_EEE10hipError_tPvRmT3_T4_T5_T6_T7_T9_mT8_P12ihipStream_tbDpT10_ENKUlT_T0_E_clISt17integral_constantIbLb1EES1B_EEDaS16_S17_EUlS16_E_NS1_11comp_targetILNS1_3genE4ELNS1_11target_archE910ELNS1_3gpuE8ELNS1_3repE0EEENS1_30default_config_static_selectorELNS0_4arch9wavefront6targetE0EEEvT1_.kd
    .uniform_work_group_size: 1
    .uses_dynamic_stack: false
    .vgpr_count:     0
    .vgpr_spill_count: 0
    .wavefront_size: 32
    .workgroup_processor_mode: 1
  - .args:
      - .offset:         0
        .size:           136
        .value_kind:     by_value
    .group_segment_fixed_size: 0
    .kernarg_segment_align: 8
    .kernarg_segment_size: 136
    .language:       OpenCL C
    .language_version:
      - 2
      - 0
    .max_flat_workgroup_size: 128
    .name:           _ZN7rocprim17ROCPRIM_400000_NS6detail17trampoline_kernelINS0_14default_configENS1_25partition_config_selectorILNS1_17partition_subalgoE5ElNS0_10empty_typeEbEEZZNS1_14partition_implILS5_5ELb0ES3_mN6hipcub16HIPCUB_304000_NS21CountingInputIteratorIllEEPS6_NSA_22TransformInputIteratorIbN2at6native12_GLOBAL__N_19NonZeroOpIhEEPKhlEENS0_5tupleIJPlS6_EEENSN_IJSD_SD_EEES6_PiJS6_EEE10hipError_tPvRmT3_T4_T5_T6_T7_T9_mT8_P12ihipStream_tbDpT10_ENKUlT_T0_E_clISt17integral_constantIbLb1EES1B_EEDaS16_S17_EUlS16_E_NS1_11comp_targetILNS1_3genE3ELNS1_11target_archE908ELNS1_3gpuE7ELNS1_3repE0EEENS1_30default_config_static_selectorELNS0_4arch9wavefront6targetE0EEEvT1_
    .private_segment_fixed_size: 0
    .sgpr_count:     0
    .sgpr_spill_count: 0
    .symbol:         _ZN7rocprim17ROCPRIM_400000_NS6detail17trampoline_kernelINS0_14default_configENS1_25partition_config_selectorILNS1_17partition_subalgoE5ElNS0_10empty_typeEbEEZZNS1_14partition_implILS5_5ELb0ES3_mN6hipcub16HIPCUB_304000_NS21CountingInputIteratorIllEEPS6_NSA_22TransformInputIteratorIbN2at6native12_GLOBAL__N_19NonZeroOpIhEEPKhlEENS0_5tupleIJPlS6_EEENSN_IJSD_SD_EEES6_PiJS6_EEE10hipError_tPvRmT3_T4_T5_T6_T7_T9_mT8_P12ihipStream_tbDpT10_ENKUlT_T0_E_clISt17integral_constantIbLb1EES1B_EEDaS16_S17_EUlS16_E_NS1_11comp_targetILNS1_3genE3ELNS1_11target_archE908ELNS1_3gpuE7ELNS1_3repE0EEENS1_30default_config_static_selectorELNS0_4arch9wavefront6targetE0EEEvT1_.kd
    .uniform_work_group_size: 1
    .uses_dynamic_stack: false
    .vgpr_count:     0
    .vgpr_spill_count: 0
    .wavefront_size: 32
    .workgroup_processor_mode: 1
  - .args:
      - .offset:         0
        .size:           136
        .value_kind:     by_value
    .group_segment_fixed_size: 0
    .kernarg_segment_align: 8
    .kernarg_segment_size: 136
    .language:       OpenCL C
    .language_version:
      - 2
      - 0
    .max_flat_workgroup_size: 256
    .name:           _ZN7rocprim17ROCPRIM_400000_NS6detail17trampoline_kernelINS0_14default_configENS1_25partition_config_selectorILNS1_17partition_subalgoE5ElNS0_10empty_typeEbEEZZNS1_14partition_implILS5_5ELb0ES3_mN6hipcub16HIPCUB_304000_NS21CountingInputIteratorIllEEPS6_NSA_22TransformInputIteratorIbN2at6native12_GLOBAL__N_19NonZeroOpIhEEPKhlEENS0_5tupleIJPlS6_EEENSN_IJSD_SD_EEES6_PiJS6_EEE10hipError_tPvRmT3_T4_T5_T6_T7_T9_mT8_P12ihipStream_tbDpT10_ENKUlT_T0_E_clISt17integral_constantIbLb1EES1B_EEDaS16_S17_EUlS16_E_NS1_11comp_targetILNS1_3genE2ELNS1_11target_archE906ELNS1_3gpuE6ELNS1_3repE0EEENS1_30default_config_static_selectorELNS0_4arch9wavefront6targetE0EEEvT1_
    .private_segment_fixed_size: 0
    .sgpr_count:     0
    .sgpr_spill_count: 0
    .symbol:         _ZN7rocprim17ROCPRIM_400000_NS6detail17trampoline_kernelINS0_14default_configENS1_25partition_config_selectorILNS1_17partition_subalgoE5ElNS0_10empty_typeEbEEZZNS1_14partition_implILS5_5ELb0ES3_mN6hipcub16HIPCUB_304000_NS21CountingInputIteratorIllEEPS6_NSA_22TransformInputIteratorIbN2at6native12_GLOBAL__N_19NonZeroOpIhEEPKhlEENS0_5tupleIJPlS6_EEENSN_IJSD_SD_EEES6_PiJS6_EEE10hipError_tPvRmT3_T4_T5_T6_T7_T9_mT8_P12ihipStream_tbDpT10_ENKUlT_T0_E_clISt17integral_constantIbLb1EES1B_EEDaS16_S17_EUlS16_E_NS1_11comp_targetILNS1_3genE2ELNS1_11target_archE906ELNS1_3gpuE6ELNS1_3repE0EEENS1_30default_config_static_selectorELNS0_4arch9wavefront6targetE0EEEvT1_.kd
    .uniform_work_group_size: 1
    .uses_dynamic_stack: false
    .vgpr_count:     0
    .vgpr_spill_count: 0
    .wavefront_size: 32
    .workgroup_processor_mode: 1
  - .args:
      - .offset:         0
        .size:           136
        .value_kind:     by_value
    .group_segment_fixed_size: 0
    .kernarg_segment_align: 8
    .kernarg_segment_size: 136
    .language:       OpenCL C
    .language_version:
      - 2
      - 0
    .max_flat_workgroup_size: 256
    .name:           _ZN7rocprim17ROCPRIM_400000_NS6detail17trampoline_kernelINS0_14default_configENS1_25partition_config_selectorILNS1_17partition_subalgoE5ElNS0_10empty_typeEbEEZZNS1_14partition_implILS5_5ELb0ES3_mN6hipcub16HIPCUB_304000_NS21CountingInputIteratorIllEEPS6_NSA_22TransformInputIteratorIbN2at6native12_GLOBAL__N_19NonZeroOpIhEEPKhlEENS0_5tupleIJPlS6_EEENSN_IJSD_SD_EEES6_PiJS6_EEE10hipError_tPvRmT3_T4_T5_T6_T7_T9_mT8_P12ihipStream_tbDpT10_ENKUlT_T0_E_clISt17integral_constantIbLb1EES1B_EEDaS16_S17_EUlS16_E_NS1_11comp_targetILNS1_3genE10ELNS1_11target_archE1200ELNS1_3gpuE4ELNS1_3repE0EEENS1_30default_config_static_selectorELNS0_4arch9wavefront6targetE0EEEvT1_
    .private_segment_fixed_size: 0
    .sgpr_count:     0
    .sgpr_spill_count: 0
    .symbol:         _ZN7rocprim17ROCPRIM_400000_NS6detail17trampoline_kernelINS0_14default_configENS1_25partition_config_selectorILNS1_17partition_subalgoE5ElNS0_10empty_typeEbEEZZNS1_14partition_implILS5_5ELb0ES3_mN6hipcub16HIPCUB_304000_NS21CountingInputIteratorIllEEPS6_NSA_22TransformInputIteratorIbN2at6native12_GLOBAL__N_19NonZeroOpIhEEPKhlEENS0_5tupleIJPlS6_EEENSN_IJSD_SD_EEES6_PiJS6_EEE10hipError_tPvRmT3_T4_T5_T6_T7_T9_mT8_P12ihipStream_tbDpT10_ENKUlT_T0_E_clISt17integral_constantIbLb1EES1B_EEDaS16_S17_EUlS16_E_NS1_11comp_targetILNS1_3genE10ELNS1_11target_archE1200ELNS1_3gpuE4ELNS1_3repE0EEENS1_30default_config_static_selectorELNS0_4arch9wavefront6targetE0EEEvT1_.kd
    .uniform_work_group_size: 1
    .uses_dynamic_stack: false
    .vgpr_count:     0
    .vgpr_spill_count: 0
    .wavefront_size: 32
    .workgroup_processor_mode: 1
  - .args:
      - .offset:         0
        .size:           136
        .value_kind:     by_value
    .group_segment_fixed_size: 6160
    .kernarg_segment_align: 8
    .kernarg_segment_size: 136
    .language:       OpenCL C
    .language_version:
      - 2
      - 0
    .max_flat_workgroup_size: 128
    .name:           _ZN7rocprim17ROCPRIM_400000_NS6detail17trampoline_kernelINS0_14default_configENS1_25partition_config_selectorILNS1_17partition_subalgoE5ElNS0_10empty_typeEbEEZZNS1_14partition_implILS5_5ELb0ES3_mN6hipcub16HIPCUB_304000_NS21CountingInputIteratorIllEEPS6_NSA_22TransformInputIteratorIbN2at6native12_GLOBAL__N_19NonZeroOpIhEEPKhlEENS0_5tupleIJPlS6_EEENSN_IJSD_SD_EEES6_PiJS6_EEE10hipError_tPvRmT3_T4_T5_T6_T7_T9_mT8_P12ihipStream_tbDpT10_ENKUlT_T0_E_clISt17integral_constantIbLb1EES1B_EEDaS16_S17_EUlS16_E_NS1_11comp_targetILNS1_3genE9ELNS1_11target_archE1100ELNS1_3gpuE3ELNS1_3repE0EEENS1_30default_config_static_selectorELNS0_4arch9wavefront6targetE0EEEvT1_
    .private_segment_fixed_size: 0
    .sgpr_count:     25
    .sgpr_spill_count: 0
    .symbol:         _ZN7rocprim17ROCPRIM_400000_NS6detail17trampoline_kernelINS0_14default_configENS1_25partition_config_selectorILNS1_17partition_subalgoE5ElNS0_10empty_typeEbEEZZNS1_14partition_implILS5_5ELb0ES3_mN6hipcub16HIPCUB_304000_NS21CountingInputIteratorIllEEPS6_NSA_22TransformInputIteratorIbN2at6native12_GLOBAL__N_19NonZeroOpIhEEPKhlEENS0_5tupleIJPlS6_EEENSN_IJSD_SD_EEES6_PiJS6_EEE10hipError_tPvRmT3_T4_T5_T6_T7_T9_mT8_P12ihipStream_tbDpT10_ENKUlT_T0_E_clISt17integral_constantIbLb1EES1B_EEDaS16_S17_EUlS16_E_NS1_11comp_targetILNS1_3genE9ELNS1_11target_archE1100ELNS1_3gpuE3ELNS1_3repE0EEENS1_30default_config_static_selectorELNS0_4arch9wavefront6targetE0EEEvT1_.kd
    .uniform_work_group_size: 1
    .uses_dynamic_stack: false
    .vgpr_count:     57
    .vgpr_spill_count: 0
    .wavefront_size: 32
    .workgroup_processor_mode: 1
  - .args:
      - .offset:         0
        .size:           136
        .value_kind:     by_value
    .group_segment_fixed_size: 0
    .kernarg_segment_align: 8
    .kernarg_segment_size: 136
    .language:       OpenCL C
    .language_version:
      - 2
      - 0
    .max_flat_workgroup_size: 512
    .name:           _ZN7rocprim17ROCPRIM_400000_NS6detail17trampoline_kernelINS0_14default_configENS1_25partition_config_selectorILNS1_17partition_subalgoE5ElNS0_10empty_typeEbEEZZNS1_14partition_implILS5_5ELb0ES3_mN6hipcub16HIPCUB_304000_NS21CountingInputIteratorIllEEPS6_NSA_22TransformInputIteratorIbN2at6native12_GLOBAL__N_19NonZeroOpIhEEPKhlEENS0_5tupleIJPlS6_EEENSN_IJSD_SD_EEES6_PiJS6_EEE10hipError_tPvRmT3_T4_T5_T6_T7_T9_mT8_P12ihipStream_tbDpT10_ENKUlT_T0_E_clISt17integral_constantIbLb1EES1B_EEDaS16_S17_EUlS16_E_NS1_11comp_targetILNS1_3genE8ELNS1_11target_archE1030ELNS1_3gpuE2ELNS1_3repE0EEENS1_30default_config_static_selectorELNS0_4arch9wavefront6targetE0EEEvT1_
    .private_segment_fixed_size: 0
    .sgpr_count:     0
    .sgpr_spill_count: 0
    .symbol:         _ZN7rocprim17ROCPRIM_400000_NS6detail17trampoline_kernelINS0_14default_configENS1_25partition_config_selectorILNS1_17partition_subalgoE5ElNS0_10empty_typeEbEEZZNS1_14partition_implILS5_5ELb0ES3_mN6hipcub16HIPCUB_304000_NS21CountingInputIteratorIllEEPS6_NSA_22TransformInputIteratorIbN2at6native12_GLOBAL__N_19NonZeroOpIhEEPKhlEENS0_5tupleIJPlS6_EEENSN_IJSD_SD_EEES6_PiJS6_EEE10hipError_tPvRmT3_T4_T5_T6_T7_T9_mT8_P12ihipStream_tbDpT10_ENKUlT_T0_E_clISt17integral_constantIbLb1EES1B_EEDaS16_S17_EUlS16_E_NS1_11comp_targetILNS1_3genE8ELNS1_11target_archE1030ELNS1_3gpuE2ELNS1_3repE0EEENS1_30default_config_static_selectorELNS0_4arch9wavefront6targetE0EEEvT1_.kd
    .uniform_work_group_size: 1
    .uses_dynamic_stack: false
    .vgpr_count:     0
    .vgpr_spill_count: 0
    .wavefront_size: 32
    .workgroup_processor_mode: 1
  - .args:
      - .address_space:  global
        .offset:         0
        .size:           8
        .value_kind:     global_buffer
      - .offset:         8
        .size:           4
        .value_kind:     by_value
      - .offset:         12
        .size:           1
        .value_kind:     by_value
      - .offset:         16
        .size:           4
        .value_kind:     by_value
      - .address_space:  global
        .offset:         24
        .size:           8
        .value_kind:     global_buffer
      - .offset:         32
        .size:           4
        .value_kind:     hidden_block_count_x
      - .offset:         36
        .size:           4
        .value_kind:     hidden_block_count_y
      - .offset:         40
        .size:           4
        .value_kind:     hidden_block_count_z
      - .offset:         44
        .size:           2
        .value_kind:     hidden_group_size_x
      - .offset:         46
        .size:           2
        .value_kind:     hidden_group_size_y
      - .offset:         48
        .size:           2
        .value_kind:     hidden_group_size_z
      - .offset:         50
        .size:           2
        .value_kind:     hidden_remainder_x
      - .offset:         52
        .size:           2
        .value_kind:     hidden_remainder_y
      - .offset:         54
        .size:           2
        .value_kind:     hidden_remainder_z
      - .offset:         72
        .size:           8
        .value_kind:     hidden_global_offset_x
      - .offset:         80
        .size:           8
        .value_kind:     hidden_global_offset_y
      - .offset:         88
        .size:           8
        .value_kind:     hidden_global_offset_z
      - .offset:         96
        .size:           2
        .value_kind:     hidden_grid_dims
    .group_segment_fixed_size: 0
    .kernarg_segment_align: 8
    .kernarg_segment_size: 288
    .language:       OpenCL C
    .language_version:
      - 2
      - 0
    .max_flat_workgroup_size: 256
    .name:           _ZN7rocprim17ROCPRIM_400000_NS6detail31init_lookback_scan_state_kernelINS1_19lookback_scan_stateImLb1ELb1EEENS1_16block_id_wrapperIjLb0EEEEEvT_jT0_jPNS7_10value_typeE
    .private_segment_fixed_size: 0
    .sgpr_count:     18
    .sgpr_spill_count: 0
    .symbol:         _ZN7rocprim17ROCPRIM_400000_NS6detail31init_lookback_scan_state_kernelINS1_19lookback_scan_stateImLb1ELb1EEENS1_16block_id_wrapperIjLb0EEEEEvT_jT0_jPNS7_10value_typeE.kd
    .uniform_work_group_size: 1
    .uses_dynamic_stack: false
    .vgpr_count:     9
    .vgpr_spill_count: 0
    .wavefront_size: 32
    .workgroup_processor_mode: 1
  - .args:
      - .offset:         0
        .size:           120
        .value_kind:     by_value
    .group_segment_fixed_size: 0
    .kernarg_segment_align: 8
    .kernarg_segment_size: 120
    .language:       OpenCL C
    .language_version:
      - 2
      - 0
    .max_flat_workgroup_size: 128
    .name:           _ZN7rocprim17ROCPRIM_400000_NS6detail17trampoline_kernelINS0_14default_configENS1_25partition_config_selectorILNS1_17partition_subalgoE5ElNS0_10empty_typeEbEEZZNS1_14partition_implILS5_5ELb0ES3_mN6hipcub16HIPCUB_304000_NS21CountingInputIteratorIllEEPS6_NSA_22TransformInputIteratorIbN2at6native12_GLOBAL__N_19NonZeroOpIhEEPKhlEENS0_5tupleIJPlS6_EEENSN_IJSD_SD_EEES6_PiJS6_EEE10hipError_tPvRmT3_T4_T5_T6_T7_T9_mT8_P12ihipStream_tbDpT10_ENKUlT_T0_E_clISt17integral_constantIbLb1EES1A_IbLb0EEEEDaS16_S17_EUlS16_E_NS1_11comp_targetILNS1_3genE0ELNS1_11target_archE4294967295ELNS1_3gpuE0ELNS1_3repE0EEENS1_30default_config_static_selectorELNS0_4arch9wavefront6targetE0EEEvT1_
    .private_segment_fixed_size: 0
    .sgpr_count:     0
    .sgpr_spill_count: 0
    .symbol:         _ZN7rocprim17ROCPRIM_400000_NS6detail17trampoline_kernelINS0_14default_configENS1_25partition_config_selectorILNS1_17partition_subalgoE5ElNS0_10empty_typeEbEEZZNS1_14partition_implILS5_5ELb0ES3_mN6hipcub16HIPCUB_304000_NS21CountingInputIteratorIllEEPS6_NSA_22TransformInputIteratorIbN2at6native12_GLOBAL__N_19NonZeroOpIhEEPKhlEENS0_5tupleIJPlS6_EEENSN_IJSD_SD_EEES6_PiJS6_EEE10hipError_tPvRmT3_T4_T5_T6_T7_T9_mT8_P12ihipStream_tbDpT10_ENKUlT_T0_E_clISt17integral_constantIbLb1EES1A_IbLb0EEEEDaS16_S17_EUlS16_E_NS1_11comp_targetILNS1_3genE0ELNS1_11target_archE4294967295ELNS1_3gpuE0ELNS1_3repE0EEENS1_30default_config_static_selectorELNS0_4arch9wavefront6targetE0EEEvT1_.kd
    .uniform_work_group_size: 1
    .uses_dynamic_stack: false
    .vgpr_count:     0
    .vgpr_spill_count: 0
    .wavefront_size: 32
    .workgroup_processor_mode: 1
  - .args:
      - .offset:         0
        .size:           120
        .value_kind:     by_value
    .group_segment_fixed_size: 0
    .kernarg_segment_align: 8
    .kernarg_segment_size: 120
    .language:       OpenCL C
    .language_version:
      - 2
      - 0
    .max_flat_workgroup_size: 512
    .name:           _ZN7rocprim17ROCPRIM_400000_NS6detail17trampoline_kernelINS0_14default_configENS1_25partition_config_selectorILNS1_17partition_subalgoE5ElNS0_10empty_typeEbEEZZNS1_14partition_implILS5_5ELb0ES3_mN6hipcub16HIPCUB_304000_NS21CountingInputIteratorIllEEPS6_NSA_22TransformInputIteratorIbN2at6native12_GLOBAL__N_19NonZeroOpIhEEPKhlEENS0_5tupleIJPlS6_EEENSN_IJSD_SD_EEES6_PiJS6_EEE10hipError_tPvRmT3_T4_T5_T6_T7_T9_mT8_P12ihipStream_tbDpT10_ENKUlT_T0_E_clISt17integral_constantIbLb1EES1A_IbLb0EEEEDaS16_S17_EUlS16_E_NS1_11comp_targetILNS1_3genE5ELNS1_11target_archE942ELNS1_3gpuE9ELNS1_3repE0EEENS1_30default_config_static_selectorELNS0_4arch9wavefront6targetE0EEEvT1_
    .private_segment_fixed_size: 0
    .sgpr_count:     0
    .sgpr_spill_count: 0
    .symbol:         _ZN7rocprim17ROCPRIM_400000_NS6detail17trampoline_kernelINS0_14default_configENS1_25partition_config_selectorILNS1_17partition_subalgoE5ElNS0_10empty_typeEbEEZZNS1_14partition_implILS5_5ELb0ES3_mN6hipcub16HIPCUB_304000_NS21CountingInputIteratorIllEEPS6_NSA_22TransformInputIteratorIbN2at6native12_GLOBAL__N_19NonZeroOpIhEEPKhlEENS0_5tupleIJPlS6_EEENSN_IJSD_SD_EEES6_PiJS6_EEE10hipError_tPvRmT3_T4_T5_T6_T7_T9_mT8_P12ihipStream_tbDpT10_ENKUlT_T0_E_clISt17integral_constantIbLb1EES1A_IbLb0EEEEDaS16_S17_EUlS16_E_NS1_11comp_targetILNS1_3genE5ELNS1_11target_archE942ELNS1_3gpuE9ELNS1_3repE0EEENS1_30default_config_static_selectorELNS0_4arch9wavefront6targetE0EEEvT1_.kd
    .uniform_work_group_size: 1
    .uses_dynamic_stack: false
    .vgpr_count:     0
    .vgpr_spill_count: 0
    .wavefront_size: 32
    .workgroup_processor_mode: 1
  - .args:
      - .offset:         0
        .size:           120
        .value_kind:     by_value
    .group_segment_fixed_size: 0
    .kernarg_segment_align: 8
    .kernarg_segment_size: 120
    .language:       OpenCL C
    .language_version:
      - 2
      - 0
    .max_flat_workgroup_size: 192
    .name:           _ZN7rocprim17ROCPRIM_400000_NS6detail17trampoline_kernelINS0_14default_configENS1_25partition_config_selectorILNS1_17partition_subalgoE5ElNS0_10empty_typeEbEEZZNS1_14partition_implILS5_5ELb0ES3_mN6hipcub16HIPCUB_304000_NS21CountingInputIteratorIllEEPS6_NSA_22TransformInputIteratorIbN2at6native12_GLOBAL__N_19NonZeroOpIhEEPKhlEENS0_5tupleIJPlS6_EEENSN_IJSD_SD_EEES6_PiJS6_EEE10hipError_tPvRmT3_T4_T5_T6_T7_T9_mT8_P12ihipStream_tbDpT10_ENKUlT_T0_E_clISt17integral_constantIbLb1EES1A_IbLb0EEEEDaS16_S17_EUlS16_E_NS1_11comp_targetILNS1_3genE4ELNS1_11target_archE910ELNS1_3gpuE8ELNS1_3repE0EEENS1_30default_config_static_selectorELNS0_4arch9wavefront6targetE0EEEvT1_
    .private_segment_fixed_size: 0
    .sgpr_count:     0
    .sgpr_spill_count: 0
    .symbol:         _ZN7rocprim17ROCPRIM_400000_NS6detail17trampoline_kernelINS0_14default_configENS1_25partition_config_selectorILNS1_17partition_subalgoE5ElNS0_10empty_typeEbEEZZNS1_14partition_implILS5_5ELb0ES3_mN6hipcub16HIPCUB_304000_NS21CountingInputIteratorIllEEPS6_NSA_22TransformInputIteratorIbN2at6native12_GLOBAL__N_19NonZeroOpIhEEPKhlEENS0_5tupleIJPlS6_EEENSN_IJSD_SD_EEES6_PiJS6_EEE10hipError_tPvRmT3_T4_T5_T6_T7_T9_mT8_P12ihipStream_tbDpT10_ENKUlT_T0_E_clISt17integral_constantIbLb1EES1A_IbLb0EEEEDaS16_S17_EUlS16_E_NS1_11comp_targetILNS1_3genE4ELNS1_11target_archE910ELNS1_3gpuE8ELNS1_3repE0EEENS1_30default_config_static_selectorELNS0_4arch9wavefront6targetE0EEEvT1_.kd
    .uniform_work_group_size: 1
    .uses_dynamic_stack: false
    .vgpr_count:     0
    .vgpr_spill_count: 0
    .wavefront_size: 32
    .workgroup_processor_mode: 1
  - .args:
      - .offset:         0
        .size:           120
        .value_kind:     by_value
    .group_segment_fixed_size: 0
    .kernarg_segment_align: 8
    .kernarg_segment_size: 120
    .language:       OpenCL C
    .language_version:
      - 2
      - 0
    .max_flat_workgroup_size: 128
    .name:           _ZN7rocprim17ROCPRIM_400000_NS6detail17trampoline_kernelINS0_14default_configENS1_25partition_config_selectorILNS1_17partition_subalgoE5ElNS0_10empty_typeEbEEZZNS1_14partition_implILS5_5ELb0ES3_mN6hipcub16HIPCUB_304000_NS21CountingInputIteratorIllEEPS6_NSA_22TransformInputIteratorIbN2at6native12_GLOBAL__N_19NonZeroOpIhEEPKhlEENS0_5tupleIJPlS6_EEENSN_IJSD_SD_EEES6_PiJS6_EEE10hipError_tPvRmT3_T4_T5_T6_T7_T9_mT8_P12ihipStream_tbDpT10_ENKUlT_T0_E_clISt17integral_constantIbLb1EES1A_IbLb0EEEEDaS16_S17_EUlS16_E_NS1_11comp_targetILNS1_3genE3ELNS1_11target_archE908ELNS1_3gpuE7ELNS1_3repE0EEENS1_30default_config_static_selectorELNS0_4arch9wavefront6targetE0EEEvT1_
    .private_segment_fixed_size: 0
    .sgpr_count:     0
    .sgpr_spill_count: 0
    .symbol:         _ZN7rocprim17ROCPRIM_400000_NS6detail17trampoline_kernelINS0_14default_configENS1_25partition_config_selectorILNS1_17partition_subalgoE5ElNS0_10empty_typeEbEEZZNS1_14partition_implILS5_5ELb0ES3_mN6hipcub16HIPCUB_304000_NS21CountingInputIteratorIllEEPS6_NSA_22TransformInputIteratorIbN2at6native12_GLOBAL__N_19NonZeroOpIhEEPKhlEENS0_5tupleIJPlS6_EEENSN_IJSD_SD_EEES6_PiJS6_EEE10hipError_tPvRmT3_T4_T5_T6_T7_T9_mT8_P12ihipStream_tbDpT10_ENKUlT_T0_E_clISt17integral_constantIbLb1EES1A_IbLb0EEEEDaS16_S17_EUlS16_E_NS1_11comp_targetILNS1_3genE3ELNS1_11target_archE908ELNS1_3gpuE7ELNS1_3repE0EEENS1_30default_config_static_selectorELNS0_4arch9wavefront6targetE0EEEvT1_.kd
    .uniform_work_group_size: 1
    .uses_dynamic_stack: false
    .vgpr_count:     0
    .vgpr_spill_count: 0
    .wavefront_size: 32
    .workgroup_processor_mode: 1
  - .args:
      - .offset:         0
        .size:           120
        .value_kind:     by_value
    .group_segment_fixed_size: 0
    .kernarg_segment_align: 8
    .kernarg_segment_size: 120
    .language:       OpenCL C
    .language_version:
      - 2
      - 0
    .max_flat_workgroup_size: 256
    .name:           _ZN7rocprim17ROCPRIM_400000_NS6detail17trampoline_kernelINS0_14default_configENS1_25partition_config_selectorILNS1_17partition_subalgoE5ElNS0_10empty_typeEbEEZZNS1_14partition_implILS5_5ELb0ES3_mN6hipcub16HIPCUB_304000_NS21CountingInputIteratorIllEEPS6_NSA_22TransformInputIteratorIbN2at6native12_GLOBAL__N_19NonZeroOpIhEEPKhlEENS0_5tupleIJPlS6_EEENSN_IJSD_SD_EEES6_PiJS6_EEE10hipError_tPvRmT3_T4_T5_T6_T7_T9_mT8_P12ihipStream_tbDpT10_ENKUlT_T0_E_clISt17integral_constantIbLb1EES1A_IbLb0EEEEDaS16_S17_EUlS16_E_NS1_11comp_targetILNS1_3genE2ELNS1_11target_archE906ELNS1_3gpuE6ELNS1_3repE0EEENS1_30default_config_static_selectorELNS0_4arch9wavefront6targetE0EEEvT1_
    .private_segment_fixed_size: 0
    .sgpr_count:     0
    .sgpr_spill_count: 0
    .symbol:         _ZN7rocprim17ROCPRIM_400000_NS6detail17trampoline_kernelINS0_14default_configENS1_25partition_config_selectorILNS1_17partition_subalgoE5ElNS0_10empty_typeEbEEZZNS1_14partition_implILS5_5ELb0ES3_mN6hipcub16HIPCUB_304000_NS21CountingInputIteratorIllEEPS6_NSA_22TransformInputIteratorIbN2at6native12_GLOBAL__N_19NonZeroOpIhEEPKhlEENS0_5tupleIJPlS6_EEENSN_IJSD_SD_EEES6_PiJS6_EEE10hipError_tPvRmT3_T4_T5_T6_T7_T9_mT8_P12ihipStream_tbDpT10_ENKUlT_T0_E_clISt17integral_constantIbLb1EES1A_IbLb0EEEEDaS16_S17_EUlS16_E_NS1_11comp_targetILNS1_3genE2ELNS1_11target_archE906ELNS1_3gpuE6ELNS1_3repE0EEENS1_30default_config_static_selectorELNS0_4arch9wavefront6targetE0EEEvT1_.kd
    .uniform_work_group_size: 1
    .uses_dynamic_stack: false
    .vgpr_count:     0
    .vgpr_spill_count: 0
    .wavefront_size: 32
    .workgroup_processor_mode: 1
  - .args:
      - .offset:         0
        .size:           120
        .value_kind:     by_value
    .group_segment_fixed_size: 0
    .kernarg_segment_align: 8
    .kernarg_segment_size: 120
    .language:       OpenCL C
    .language_version:
      - 2
      - 0
    .max_flat_workgroup_size: 256
    .name:           _ZN7rocprim17ROCPRIM_400000_NS6detail17trampoline_kernelINS0_14default_configENS1_25partition_config_selectorILNS1_17partition_subalgoE5ElNS0_10empty_typeEbEEZZNS1_14partition_implILS5_5ELb0ES3_mN6hipcub16HIPCUB_304000_NS21CountingInputIteratorIllEEPS6_NSA_22TransformInputIteratorIbN2at6native12_GLOBAL__N_19NonZeroOpIhEEPKhlEENS0_5tupleIJPlS6_EEENSN_IJSD_SD_EEES6_PiJS6_EEE10hipError_tPvRmT3_T4_T5_T6_T7_T9_mT8_P12ihipStream_tbDpT10_ENKUlT_T0_E_clISt17integral_constantIbLb1EES1A_IbLb0EEEEDaS16_S17_EUlS16_E_NS1_11comp_targetILNS1_3genE10ELNS1_11target_archE1200ELNS1_3gpuE4ELNS1_3repE0EEENS1_30default_config_static_selectorELNS0_4arch9wavefront6targetE0EEEvT1_
    .private_segment_fixed_size: 0
    .sgpr_count:     0
    .sgpr_spill_count: 0
    .symbol:         _ZN7rocprim17ROCPRIM_400000_NS6detail17trampoline_kernelINS0_14default_configENS1_25partition_config_selectorILNS1_17partition_subalgoE5ElNS0_10empty_typeEbEEZZNS1_14partition_implILS5_5ELb0ES3_mN6hipcub16HIPCUB_304000_NS21CountingInputIteratorIllEEPS6_NSA_22TransformInputIteratorIbN2at6native12_GLOBAL__N_19NonZeroOpIhEEPKhlEENS0_5tupleIJPlS6_EEENSN_IJSD_SD_EEES6_PiJS6_EEE10hipError_tPvRmT3_T4_T5_T6_T7_T9_mT8_P12ihipStream_tbDpT10_ENKUlT_T0_E_clISt17integral_constantIbLb1EES1A_IbLb0EEEEDaS16_S17_EUlS16_E_NS1_11comp_targetILNS1_3genE10ELNS1_11target_archE1200ELNS1_3gpuE4ELNS1_3repE0EEENS1_30default_config_static_selectorELNS0_4arch9wavefront6targetE0EEEvT1_.kd
    .uniform_work_group_size: 1
    .uses_dynamic_stack: false
    .vgpr_count:     0
    .vgpr_spill_count: 0
    .wavefront_size: 32
    .workgroup_processor_mode: 1
  - .args:
      - .offset:         0
        .size:           120
        .value_kind:     by_value
    .group_segment_fixed_size: 6160
    .kernarg_segment_align: 8
    .kernarg_segment_size: 120
    .language:       OpenCL C
    .language_version:
      - 2
      - 0
    .max_flat_workgroup_size: 128
    .name:           _ZN7rocprim17ROCPRIM_400000_NS6detail17trampoline_kernelINS0_14default_configENS1_25partition_config_selectorILNS1_17partition_subalgoE5ElNS0_10empty_typeEbEEZZNS1_14partition_implILS5_5ELb0ES3_mN6hipcub16HIPCUB_304000_NS21CountingInputIteratorIllEEPS6_NSA_22TransformInputIteratorIbN2at6native12_GLOBAL__N_19NonZeroOpIhEEPKhlEENS0_5tupleIJPlS6_EEENSN_IJSD_SD_EEES6_PiJS6_EEE10hipError_tPvRmT3_T4_T5_T6_T7_T9_mT8_P12ihipStream_tbDpT10_ENKUlT_T0_E_clISt17integral_constantIbLb1EES1A_IbLb0EEEEDaS16_S17_EUlS16_E_NS1_11comp_targetILNS1_3genE9ELNS1_11target_archE1100ELNS1_3gpuE3ELNS1_3repE0EEENS1_30default_config_static_selectorELNS0_4arch9wavefront6targetE0EEEvT1_
    .private_segment_fixed_size: 0
    .sgpr_count:     22
    .sgpr_spill_count: 0
    .symbol:         _ZN7rocprim17ROCPRIM_400000_NS6detail17trampoline_kernelINS0_14default_configENS1_25partition_config_selectorILNS1_17partition_subalgoE5ElNS0_10empty_typeEbEEZZNS1_14partition_implILS5_5ELb0ES3_mN6hipcub16HIPCUB_304000_NS21CountingInputIteratorIllEEPS6_NSA_22TransformInputIteratorIbN2at6native12_GLOBAL__N_19NonZeroOpIhEEPKhlEENS0_5tupleIJPlS6_EEENSN_IJSD_SD_EEES6_PiJS6_EEE10hipError_tPvRmT3_T4_T5_T6_T7_T9_mT8_P12ihipStream_tbDpT10_ENKUlT_T0_E_clISt17integral_constantIbLb1EES1A_IbLb0EEEEDaS16_S17_EUlS16_E_NS1_11comp_targetILNS1_3genE9ELNS1_11target_archE1100ELNS1_3gpuE3ELNS1_3repE0EEENS1_30default_config_static_selectorELNS0_4arch9wavefront6targetE0EEEvT1_.kd
    .uniform_work_group_size: 1
    .uses_dynamic_stack: false
    .vgpr_count:     57
    .vgpr_spill_count: 0
    .wavefront_size: 32
    .workgroup_processor_mode: 1
  - .args:
      - .offset:         0
        .size:           120
        .value_kind:     by_value
    .group_segment_fixed_size: 0
    .kernarg_segment_align: 8
    .kernarg_segment_size: 120
    .language:       OpenCL C
    .language_version:
      - 2
      - 0
    .max_flat_workgroup_size: 512
    .name:           _ZN7rocprim17ROCPRIM_400000_NS6detail17trampoline_kernelINS0_14default_configENS1_25partition_config_selectorILNS1_17partition_subalgoE5ElNS0_10empty_typeEbEEZZNS1_14partition_implILS5_5ELb0ES3_mN6hipcub16HIPCUB_304000_NS21CountingInputIteratorIllEEPS6_NSA_22TransformInputIteratorIbN2at6native12_GLOBAL__N_19NonZeroOpIhEEPKhlEENS0_5tupleIJPlS6_EEENSN_IJSD_SD_EEES6_PiJS6_EEE10hipError_tPvRmT3_T4_T5_T6_T7_T9_mT8_P12ihipStream_tbDpT10_ENKUlT_T0_E_clISt17integral_constantIbLb1EES1A_IbLb0EEEEDaS16_S17_EUlS16_E_NS1_11comp_targetILNS1_3genE8ELNS1_11target_archE1030ELNS1_3gpuE2ELNS1_3repE0EEENS1_30default_config_static_selectorELNS0_4arch9wavefront6targetE0EEEvT1_
    .private_segment_fixed_size: 0
    .sgpr_count:     0
    .sgpr_spill_count: 0
    .symbol:         _ZN7rocprim17ROCPRIM_400000_NS6detail17trampoline_kernelINS0_14default_configENS1_25partition_config_selectorILNS1_17partition_subalgoE5ElNS0_10empty_typeEbEEZZNS1_14partition_implILS5_5ELb0ES3_mN6hipcub16HIPCUB_304000_NS21CountingInputIteratorIllEEPS6_NSA_22TransformInputIteratorIbN2at6native12_GLOBAL__N_19NonZeroOpIhEEPKhlEENS0_5tupleIJPlS6_EEENSN_IJSD_SD_EEES6_PiJS6_EEE10hipError_tPvRmT3_T4_T5_T6_T7_T9_mT8_P12ihipStream_tbDpT10_ENKUlT_T0_E_clISt17integral_constantIbLb1EES1A_IbLb0EEEEDaS16_S17_EUlS16_E_NS1_11comp_targetILNS1_3genE8ELNS1_11target_archE1030ELNS1_3gpuE2ELNS1_3repE0EEENS1_30default_config_static_selectorELNS0_4arch9wavefront6targetE0EEEvT1_.kd
    .uniform_work_group_size: 1
    .uses_dynamic_stack: false
    .vgpr_count:     0
    .vgpr_spill_count: 0
    .wavefront_size: 32
    .workgroup_processor_mode: 1
  - .args:
      - .address_space:  global
        .offset:         0
        .size:           8
        .value_kind:     global_buffer
      - .offset:         8
        .size:           4
        .value_kind:     by_value
      - .address_space:  global
        .offset:         16
        .size:           8
        .value_kind:     global_buffer
      - .offset:         24
        .size:           4
        .value_kind:     by_value
      - .address_space:  global
        .offset:         32
        .size:           8
        .value_kind:     global_buffer
      - .offset:         40
        .size:           4
        .value_kind:     hidden_block_count_x
      - .offset:         44
        .size:           4
        .value_kind:     hidden_block_count_y
      - .offset:         48
        .size:           4
        .value_kind:     hidden_block_count_z
      - .offset:         52
        .size:           2
        .value_kind:     hidden_group_size_x
      - .offset:         54
        .size:           2
        .value_kind:     hidden_group_size_y
      - .offset:         56
        .size:           2
        .value_kind:     hidden_group_size_z
      - .offset:         58
        .size:           2
        .value_kind:     hidden_remainder_x
      - .offset:         60
        .size:           2
        .value_kind:     hidden_remainder_y
      - .offset:         62
        .size:           2
        .value_kind:     hidden_remainder_z
      - .offset:         80
        .size:           8
        .value_kind:     hidden_global_offset_x
      - .offset:         88
        .size:           8
        .value_kind:     hidden_global_offset_y
      - .offset:         96
        .size:           8
        .value_kind:     hidden_global_offset_z
      - .offset:         104
        .size:           2
        .value_kind:     hidden_grid_dims
    .group_segment_fixed_size: 0
    .kernarg_segment_align: 8
    .kernarg_segment_size: 296
    .language:       OpenCL C
    .language_version:
      - 2
      - 0
    .max_flat_workgroup_size: 256
    .name:           _ZN7rocprim17ROCPRIM_400000_NS6detail31init_lookback_scan_state_kernelINS1_19lookback_scan_stateImLb0ELb1EEENS1_16block_id_wrapperIjLb1EEEEEvT_jT0_jPNS7_10value_typeE
    .private_segment_fixed_size: 0
    .sgpr_count:     18
    .sgpr_spill_count: 0
    .symbol:         _ZN7rocprim17ROCPRIM_400000_NS6detail31init_lookback_scan_state_kernelINS1_19lookback_scan_stateImLb0ELb1EEENS1_16block_id_wrapperIjLb1EEEEEvT_jT0_jPNS7_10value_typeE.kd
    .uniform_work_group_size: 1
    .uses_dynamic_stack: false
    .vgpr_count:     9
    .vgpr_spill_count: 0
    .wavefront_size: 32
    .workgroup_processor_mode: 1
  - .args:
      - .offset:         0
        .size:           136
        .value_kind:     by_value
    .group_segment_fixed_size: 0
    .kernarg_segment_align: 8
    .kernarg_segment_size: 136
    .language:       OpenCL C
    .language_version:
      - 2
      - 0
    .max_flat_workgroup_size: 128
    .name:           _ZN7rocprim17ROCPRIM_400000_NS6detail17trampoline_kernelINS0_14default_configENS1_25partition_config_selectorILNS1_17partition_subalgoE5ElNS0_10empty_typeEbEEZZNS1_14partition_implILS5_5ELb0ES3_mN6hipcub16HIPCUB_304000_NS21CountingInputIteratorIllEEPS6_NSA_22TransformInputIteratorIbN2at6native12_GLOBAL__N_19NonZeroOpIhEEPKhlEENS0_5tupleIJPlS6_EEENSN_IJSD_SD_EEES6_PiJS6_EEE10hipError_tPvRmT3_T4_T5_T6_T7_T9_mT8_P12ihipStream_tbDpT10_ENKUlT_T0_E_clISt17integral_constantIbLb0EES1A_IbLb1EEEEDaS16_S17_EUlS16_E_NS1_11comp_targetILNS1_3genE0ELNS1_11target_archE4294967295ELNS1_3gpuE0ELNS1_3repE0EEENS1_30default_config_static_selectorELNS0_4arch9wavefront6targetE0EEEvT1_
    .private_segment_fixed_size: 0
    .sgpr_count:     0
    .sgpr_spill_count: 0
    .symbol:         _ZN7rocprim17ROCPRIM_400000_NS6detail17trampoline_kernelINS0_14default_configENS1_25partition_config_selectorILNS1_17partition_subalgoE5ElNS0_10empty_typeEbEEZZNS1_14partition_implILS5_5ELb0ES3_mN6hipcub16HIPCUB_304000_NS21CountingInputIteratorIllEEPS6_NSA_22TransformInputIteratorIbN2at6native12_GLOBAL__N_19NonZeroOpIhEEPKhlEENS0_5tupleIJPlS6_EEENSN_IJSD_SD_EEES6_PiJS6_EEE10hipError_tPvRmT3_T4_T5_T6_T7_T9_mT8_P12ihipStream_tbDpT10_ENKUlT_T0_E_clISt17integral_constantIbLb0EES1A_IbLb1EEEEDaS16_S17_EUlS16_E_NS1_11comp_targetILNS1_3genE0ELNS1_11target_archE4294967295ELNS1_3gpuE0ELNS1_3repE0EEENS1_30default_config_static_selectorELNS0_4arch9wavefront6targetE0EEEvT1_.kd
    .uniform_work_group_size: 1
    .uses_dynamic_stack: false
    .vgpr_count:     0
    .vgpr_spill_count: 0
    .wavefront_size: 32
    .workgroup_processor_mode: 1
  - .args:
      - .offset:         0
        .size:           136
        .value_kind:     by_value
    .group_segment_fixed_size: 0
    .kernarg_segment_align: 8
    .kernarg_segment_size: 136
    .language:       OpenCL C
    .language_version:
      - 2
      - 0
    .max_flat_workgroup_size: 512
    .name:           _ZN7rocprim17ROCPRIM_400000_NS6detail17trampoline_kernelINS0_14default_configENS1_25partition_config_selectorILNS1_17partition_subalgoE5ElNS0_10empty_typeEbEEZZNS1_14partition_implILS5_5ELb0ES3_mN6hipcub16HIPCUB_304000_NS21CountingInputIteratorIllEEPS6_NSA_22TransformInputIteratorIbN2at6native12_GLOBAL__N_19NonZeroOpIhEEPKhlEENS0_5tupleIJPlS6_EEENSN_IJSD_SD_EEES6_PiJS6_EEE10hipError_tPvRmT3_T4_T5_T6_T7_T9_mT8_P12ihipStream_tbDpT10_ENKUlT_T0_E_clISt17integral_constantIbLb0EES1A_IbLb1EEEEDaS16_S17_EUlS16_E_NS1_11comp_targetILNS1_3genE5ELNS1_11target_archE942ELNS1_3gpuE9ELNS1_3repE0EEENS1_30default_config_static_selectorELNS0_4arch9wavefront6targetE0EEEvT1_
    .private_segment_fixed_size: 0
    .sgpr_count:     0
    .sgpr_spill_count: 0
    .symbol:         _ZN7rocprim17ROCPRIM_400000_NS6detail17trampoline_kernelINS0_14default_configENS1_25partition_config_selectorILNS1_17partition_subalgoE5ElNS0_10empty_typeEbEEZZNS1_14partition_implILS5_5ELb0ES3_mN6hipcub16HIPCUB_304000_NS21CountingInputIteratorIllEEPS6_NSA_22TransformInputIteratorIbN2at6native12_GLOBAL__N_19NonZeroOpIhEEPKhlEENS0_5tupleIJPlS6_EEENSN_IJSD_SD_EEES6_PiJS6_EEE10hipError_tPvRmT3_T4_T5_T6_T7_T9_mT8_P12ihipStream_tbDpT10_ENKUlT_T0_E_clISt17integral_constantIbLb0EES1A_IbLb1EEEEDaS16_S17_EUlS16_E_NS1_11comp_targetILNS1_3genE5ELNS1_11target_archE942ELNS1_3gpuE9ELNS1_3repE0EEENS1_30default_config_static_selectorELNS0_4arch9wavefront6targetE0EEEvT1_.kd
    .uniform_work_group_size: 1
    .uses_dynamic_stack: false
    .vgpr_count:     0
    .vgpr_spill_count: 0
    .wavefront_size: 32
    .workgroup_processor_mode: 1
  - .args:
      - .offset:         0
        .size:           136
        .value_kind:     by_value
    .group_segment_fixed_size: 0
    .kernarg_segment_align: 8
    .kernarg_segment_size: 136
    .language:       OpenCL C
    .language_version:
      - 2
      - 0
    .max_flat_workgroup_size: 192
    .name:           _ZN7rocprim17ROCPRIM_400000_NS6detail17trampoline_kernelINS0_14default_configENS1_25partition_config_selectorILNS1_17partition_subalgoE5ElNS0_10empty_typeEbEEZZNS1_14partition_implILS5_5ELb0ES3_mN6hipcub16HIPCUB_304000_NS21CountingInputIteratorIllEEPS6_NSA_22TransformInputIteratorIbN2at6native12_GLOBAL__N_19NonZeroOpIhEEPKhlEENS0_5tupleIJPlS6_EEENSN_IJSD_SD_EEES6_PiJS6_EEE10hipError_tPvRmT3_T4_T5_T6_T7_T9_mT8_P12ihipStream_tbDpT10_ENKUlT_T0_E_clISt17integral_constantIbLb0EES1A_IbLb1EEEEDaS16_S17_EUlS16_E_NS1_11comp_targetILNS1_3genE4ELNS1_11target_archE910ELNS1_3gpuE8ELNS1_3repE0EEENS1_30default_config_static_selectorELNS0_4arch9wavefront6targetE0EEEvT1_
    .private_segment_fixed_size: 0
    .sgpr_count:     0
    .sgpr_spill_count: 0
    .symbol:         _ZN7rocprim17ROCPRIM_400000_NS6detail17trampoline_kernelINS0_14default_configENS1_25partition_config_selectorILNS1_17partition_subalgoE5ElNS0_10empty_typeEbEEZZNS1_14partition_implILS5_5ELb0ES3_mN6hipcub16HIPCUB_304000_NS21CountingInputIteratorIllEEPS6_NSA_22TransformInputIteratorIbN2at6native12_GLOBAL__N_19NonZeroOpIhEEPKhlEENS0_5tupleIJPlS6_EEENSN_IJSD_SD_EEES6_PiJS6_EEE10hipError_tPvRmT3_T4_T5_T6_T7_T9_mT8_P12ihipStream_tbDpT10_ENKUlT_T0_E_clISt17integral_constantIbLb0EES1A_IbLb1EEEEDaS16_S17_EUlS16_E_NS1_11comp_targetILNS1_3genE4ELNS1_11target_archE910ELNS1_3gpuE8ELNS1_3repE0EEENS1_30default_config_static_selectorELNS0_4arch9wavefront6targetE0EEEvT1_.kd
    .uniform_work_group_size: 1
    .uses_dynamic_stack: false
    .vgpr_count:     0
    .vgpr_spill_count: 0
    .wavefront_size: 32
    .workgroup_processor_mode: 1
  - .args:
      - .offset:         0
        .size:           136
        .value_kind:     by_value
    .group_segment_fixed_size: 0
    .kernarg_segment_align: 8
    .kernarg_segment_size: 136
    .language:       OpenCL C
    .language_version:
      - 2
      - 0
    .max_flat_workgroup_size: 128
    .name:           _ZN7rocprim17ROCPRIM_400000_NS6detail17trampoline_kernelINS0_14default_configENS1_25partition_config_selectorILNS1_17partition_subalgoE5ElNS0_10empty_typeEbEEZZNS1_14partition_implILS5_5ELb0ES3_mN6hipcub16HIPCUB_304000_NS21CountingInputIteratorIllEEPS6_NSA_22TransformInputIteratorIbN2at6native12_GLOBAL__N_19NonZeroOpIhEEPKhlEENS0_5tupleIJPlS6_EEENSN_IJSD_SD_EEES6_PiJS6_EEE10hipError_tPvRmT3_T4_T5_T6_T7_T9_mT8_P12ihipStream_tbDpT10_ENKUlT_T0_E_clISt17integral_constantIbLb0EES1A_IbLb1EEEEDaS16_S17_EUlS16_E_NS1_11comp_targetILNS1_3genE3ELNS1_11target_archE908ELNS1_3gpuE7ELNS1_3repE0EEENS1_30default_config_static_selectorELNS0_4arch9wavefront6targetE0EEEvT1_
    .private_segment_fixed_size: 0
    .sgpr_count:     0
    .sgpr_spill_count: 0
    .symbol:         _ZN7rocprim17ROCPRIM_400000_NS6detail17trampoline_kernelINS0_14default_configENS1_25partition_config_selectorILNS1_17partition_subalgoE5ElNS0_10empty_typeEbEEZZNS1_14partition_implILS5_5ELb0ES3_mN6hipcub16HIPCUB_304000_NS21CountingInputIteratorIllEEPS6_NSA_22TransformInputIteratorIbN2at6native12_GLOBAL__N_19NonZeroOpIhEEPKhlEENS0_5tupleIJPlS6_EEENSN_IJSD_SD_EEES6_PiJS6_EEE10hipError_tPvRmT3_T4_T5_T6_T7_T9_mT8_P12ihipStream_tbDpT10_ENKUlT_T0_E_clISt17integral_constantIbLb0EES1A_IbLb1EEEEDaS16_S17_EUlS16_E_NS1_11comp_targetILNS1_3genE3ELNS1_11target_archE908ELNS1_3gpuE7ELNS1_3repE0EEENS1_30default_config_static_selectorELNS0_4arch9wavefront6targetE0EEEvT1_.kd
    .uniform_work_group_size: 1
    .uses_dynamic_stack: false
    .vgpr_count:     0
    .vgpr_spill_count: 0
    .wavefront_size: 32
    .workgroup_processor_mode: 1
  - .args:
      - .offset:         0
        .size:           136
        .value_kind:     by_value
    .group_segment_fixed_size: 0
    .kernarg_segment_align: 8
    .kernarg_segment_size: 136
    .language:       OpenCL C
    .language_version:
      - 2
      - 0
    .max_flat_workgroup_size: 256
    .name:           _ZN7rocprim17ROCPRIM_400000_NS6detail17trampoline_kernelINS0_14default_configENS1_25partition_config_selectorILNS1_17partition_subalgoE5ElNS0_10empty_typeEbEEZZNS1_14partition_implILS5_5ELb0ES3_mN6hipcub16HIPCUB_304000_NS21CountingInputIteratorIllEEPS6_NSA_22TransformInputIteratorIbN2at6native12_GLOBAL__N_19NonZeroOpIhEEPKhlEENS0_5tupleIJPlS6_EEENSN_IJSD_SD_EEES6_PiJS6_EEE10hipError_tPvRmT3_T4_T5_T6_T7_T9_mT8_P12ihipStream_tbDpT10_ENKUlT_T0_E_clISt17integral_constantIbLb0EES1A_IbLb1EEEEDaS16_S17_EUlS16_E_NS1_11comp_targetILNS1_3genE2ELNS1_11target_archE906ELNS1_3gpuE6ELNS1_3repE0EEENS1_30default_config_static_selectorELNS0_4arch9wavefront6targetE0EEEvT1_
    .private_segment_fixed_size: 0
    .sgpr_count:     0
    .sgpr_spill_count: 0
    .symbol:         _ZN7rocprim17ROCPRIM_400000_NS6detail17trampoline_kernelINS0_14default_configENS1_25partition_config_selectorILNS1_17partition_subalgoE5ElNS0_10empty_typeEbEEZZNS1_14partition_implILS5_5ELb0ES3_mN6hipcub16HIPCUB_304000_NS21CountingInputIteratorIllEEPS6_NSA_22TransformInputIteratorIbN2at6native12_GLOBAL__N_19NonZeroOpIhEEPKhlEENS0_5tupleIJPlS6_EEENSN_IJSD_SD_EEES6_PiJS6_EEE10hipError_tPvRmT3_T4_T5_T6_T7_T9_mT8_P12ihipStream_tbDpT10_ENKUlT_T0_E_clISt17integral_constantIbLb0EES1A_IbLb1EEEEDaS16_S17_EUlS16_E_NS1_11comp_targetILNS1_3genE2ELNS1_11target_archE906ELNS1_3gpuE6ELNS1_3repE0EEENS1_30default_config_static_selectorELNS0_4arch9wavefront6targetE0EEEvT1_.kd
    .uniform_work_group_size: 1
    .uses_dynamic_stack: false
    .vgpr_count:     0
    .vgpr_spill_count: 0
    .wavefront_size: 32
    .workgroup_processor_mode: 1
  - .args:
      - .offset:         0
        .size:           136
        .value_kind:     by_value
    .group_segment_fixed_size: 0
    .kernarg_segment_align: 8
    .kernarg_segment_size: 136
    .language:       OpenCL C
    .language_version:
      - 2
      - 0
    .max_flat_workgroup_size: 256
    .name:           _ZN7rocprim17ROCPRIM_400000_NS6detail17trampoline_kernelINS0_14default_configENS1_25partition_config_selectorILNS1_17partition_subalgoE5ElNS0_10empty_typeEbEEZZNS1_14partition_implILS5_5ELb0ES3_mN6hipcub16HIPCUB_304000_NS21CountingInputIteratorIllEEPS6_NSA_22TransformInputIteratorIbN2at6native12_GLOBAL__N_19NonZeroOpIhEEPKhlEENS0_5tupleIJPlS6_EEENSN_IJSD_SD_EEES6_PiJS6_EEE10hipError_tPvRmT3_T4_T5_T6_T7_T9_mT8_P12ihipStream_tbDpT10_ENKUlT_T0_E_clISt17integral_constantIbLb0EES1A_IbLb1EEEEDaS16_S17_EUlS16_E_NS1_11comp_targetILNS1_3genE10ELNS1_11target_archE1200ELNS1_3gpuE4ELNS1_3repE0EEENS1_30default_config_static_selectorELNS0_4arch9wavefront6targetE0EEEvT1_
    .private_segment_fixed_size: 0
    .sgpr_count:     0
    .sgpr_spill_count: 0
    .symbol:         _ZN7rocprim17ROCPRIM_400000_NS6detail17trampoline_kernelINS0_14default_configENS1_25partition_config_selectorILNS1_17partition_subalgoE5ElNS0_10empty_typeEbEEZZNS1_14partition_implILS5_5ELb0ES3_mN6hipcub16HIPCUB_304000_NS21CountingInputIteratorIllEEPS6_NSA_22TransformInputIteratorIbN2at6native12_GLOBAL__N_19NonZeroOpIhEEPKhlEENS0_5tupleIJPlS6_EEENSN_IJSD_SD_EEES6_PiJS6_EEE10hipError_tPvRmT3_T4_T5_T6_T7_T9_mT8_P12ihipStream_tbDpT10_ENKUlT_T0_E_clISt17integral_constantIbLb0EES1A_IbLb1EEEEDaS16_S17_EUlS16_E_NS1_11comp_targetILNS1_3genE10ELNS1_11target_archE1200ELNS1_3gpuE4ELNS1_3repE0EEENS1_30default_config_static_selectorELNS0_4arch9wavefront6targetE0EEEvT1_.kd
    .uniform_work_group_size: 1
    .uses_dynamic_stack: false
    .vgpr_count:     0
    .vgpr_spill_count: 0
    .wavefront_size: 32
    .workgroup_processor_mode: 1
  - .args:
      - .offset:         0
        .size:           136
        .value_kind:     by_value
    .group_segment_fixed_size: 6160
    .kernarg_segment_align: 8
    .kernarg_segment_size: 136
    .language:       OpenCL C
    .language_version:
      - 2
      - 0
    .max_flat_workgroup_size: 128
    .name:           _ZN7rocprim17ROCPRIM_400000_NS6detail17trampoline_kernelINS0_14default_configENS1_25partition_config_selectorILNS1_17partition_subalgoE5ElNS0_10empty_typeEbEEZZNS1_14partition_implILS5_5ELb0ES3_mN6hipcub16HIPCUB_304000_NS21CountingInputIteratorIllEEPS6_NSA_22TransformInputIteratorIbN2at6native12_GLOBAL__N_19NonZeroOpIhEEPKhlEENS0_5tupleIJPlS6_EEENSN_IJSD_SD_EEES6_PiJS6_EEE10hipError_tPvRmT3_T4_T5_T6_T7_T9_mT8_P12ihipStream_tbDpT10_ENKUlT_T0_E_clISt17integral_constantIbLb0EES1A_IbLb1EEEEDaS16_S17_EUlS16_E_NS1_11comp_targetILNS1_3genE9ELNS1_11target_archE1100ELNS1_3gpuE3ELNS1_3repE0EEENS1_30default_config_static_selectorELNS0_4arch9wavefront6targetE0EEEvT1_
    .private_segment_fixed_size: 0
    .sgpr_count:     25
    .sgpr_spill_count: 0
    .symbol:         _ZN7rocprim17ROCPRIM_400000_NS6detail17trampoline_kernelINS0_14default_configENS1_25partition_config_selectorILNS1_17partition_subalgoE5ElNS0_10empty_typeEbEEZZNS1_14partition_implILS5_5ELb0ES3_mN6hipcub16HIPCUB_304000_NS21CountingInputIteratorIllEEPS6_NSA_22TransformInputIteratorIbN2at6native12_GLOBAL__N_19NonZeroOpIhEEPKhlEENS0_5tupleIJPlS6_EEENSN_IJSD_SD_EEES6_PiJS6_EEE10hipError_tPvRmT3_T4_T5_T6_T7_T9_mT8_P12ihipStream_tbDpT10_ENKUlT_T0_E_clISt17integral_constantIbLb0EES1A_IbLb1EEEEDaS16_S17_EUlS16_E_NS1_11comp_targetILNS1_3genE9ELNS1_11target_archE1100ELNS1_3gpuE3ELNS1_3repE0EEENS1_30default_config_static_selectorELNS0_4arch9wavefront6targetE0EEEvT1_.kd
    .uniform_work_group_size: 1
    .uses_dynamic_stack: false
    .vgpr_count:     57
    .vgpr_spill_count: 0
    .wavefront_size: 32
    .workgroup_processor_mode: 1
  - .args:
      - .offset:         0
        .size:           136
        .value_kind:     by_value
    .group_segment_fixed_size: 0
    .kernarg_segment_align: 8
    .kernarg_segment_size: 136
    .language:       OpenCL C
    .language_version:
      - 2
      - 0
    .max_flat_workgroup_size: 512
    .name:           _ZN7rocprim17ROCPRIM_400000_NS6detail17trampoline_kernelINS0_14default_configENS1_25partition_config_selectorILNS1_17partition_subalgoE5ElNS0_10empty_typeEbEEZZNS1_14partition_implILS5_5ELb0ES3_mN6hipcub16HIPCUB_304000_NS21CountingInputIteratorIllEEPS6_NSA_22TransformInputIteratorIbN2at6native12_GLOBAL__N_19NonZeroOpIhEEPKhlEENS0_5tupleIJPlS6_EEENSN_IJSD_SD_EEES6_PiJS6_EEE10hipError_tPvRmT3_T4_T5_T6_T7_T9_mT8_P12ihipStream_tbDpT10_ENKUlT_T0_E_clISt17integral_constantIbLb0EES1A_IbLb1EEEEDaS16_S17_EUlS16_E_NS1_11comp_targetILNS1_3genE8ELNS1_11target_archE1030ELNS1_3gpuE2ELNS1_3repE0EEENS1_30default_config_static_selectorELNS0_4arch9wavefront6targetE0EEEvT1_
    .private_segment_fixed_size: 0
    .sgpr_count:     0
    .sgpr_spill_count: 0
    .symbol:         _ZN7rocprim17ROCPRIM_400000_NS6detail17trampoline_kernelINS0_14default_configENS1_25partition_config_selectorILNS1_17partition_subalgoE5ElNS0_10empty_typeEbEEZZNS1_14partition_implILS5_5ELb0ES3_mN6hipcub16HIPCUB_304000_NS21CountingInputIteratorIllEEPS6_NSA_22TransformInputIteratorIbN2at6native12_GLOBAL__N_19NonZeroOpIhEEPKhlEENS0_5tupleIJPlS6_EEENSN_IJSD_SD_EEES6_PiJS6_EEE10hipError_tPvRmT3_T4_T5_T6_T7_T9_mT8_P12ihipStream_tbDpT10_ENKUlT_T0_E_clISt17integral_constantIbLb0EES1A_IbLb1EEEEDaS16_S17_EUlS16_E_NS1_11comp_targetILNS1_3genE8ELNS1_11target_archE1030ELNS1_3gpuE2ELNS1_3repE0EEENS1_30default_config_static_selectorELNS0_4arch9wavefront6targetE0EEEvT1_.kd
    .uniform_work_group_size: 1
    .uses_dynamic_stack: false
    .vgpr_count:     0
    .vgpr_spill_count: 0
    .wavefront_size: 32
    .workgroup_processor_mode: 1
  - .args:
      - .address_space:  global
        .offset:         0
        .size:           8
        .value_kind:     global_buffer
      - .offset:         8
        .size:           128
        .value_kind:     by_value
      - .offset:         136
        .size:           4
        .value_kind:     by_value
      - .offset:         144
        .size:           8
        .value_kind:     by_value
      - .address_space:  global
        .offset:         152
        .size:           8
        .value_kind:     global_buffer
      - .offset:         160
        .size:           8
        .value_kind:     by_value
      - .offset:         168
        .size:           4
        .value_kind:     hidden_block_count_x
      - .offset:         172
        .size:           4
        .value_kind:     hidden_block_count_y
      - .offset:         176
        .size:           4
        .value_kind:     hidden_block_count_z
      - .offset:         180
        .size:           2
        .value_kind:     hidden_group_size_x
      - .offset:         182
        .size:           2
        .value_kind:     hidden_group_size_y
      - .offset:         184
        .size:           2
        .value_kind:     hidden_group_size_z
      - .offset:         186
        .size:           2
        .value_kind:     hidden_remainder_x
      - .offset:         188
        .size:           2
        .value_kind:     hidden_remainder_y
      - .offset:         190
        .size:           2
        .value_kind:     hidden_remainder_z
      - .offset:         208
        .size:           8
        .value_kind:     hidden_global_offset_x
      - .offset:         216
        .size:           8
        .value_kind:     hidden_global_offset_y
      - .offset:         224
        .size:           8
        .value_kind:     hidden_global_offset_z
      - .offset:         232
        .size:           2
        .value_kind:     hidden_grid_dims
    .group_segment_fixed_size: 0
    .kernarg_segment_align: 8
    .kernarg_segment_size: 424
    .language:       OpenCL C
    .language_version:
      - 2
      - 0
    .max_flat_workgroup_size: 1024
    .name:           _ZN2at6native12_GLOBAL__N_113write_indicesIlEEvPlNS1_10TensorDimsIT_EEiS5_S3_l
    .private_segment_fixed_size: 0
    .sgpr_count:     24
    .sgpr_spill_count: 0
    .symbol:         _ZN2at6native12_GLOBAL__N_113write_indicesIlEEvPlNS1_10TensorDimsIT_EEiS5_S3_l.kd
    .uniform_work_group_size: 1
    .uses_dynamic_stack: false
    .vgpr_count:     16
    .vgpr_spill_count: 0
    .wavefront_size: 32
    .workgroup_processor_mode: 1
  - .args:
      - .offset:         0
        .size:           56
        .value_kind:     by_value
    .group_segment_fixed_size: 0
    .kernarg_segment_align: 8
    .kernarg_segment_size: 56
    .language:       OpenCL C
    .language_version:
      - 2
      - 0
    .max_flat_workgroup_size: 256
    .name:           _ZN7rocprim17ROCPRIM_400000_NS6detail17trampoline_kernelINS0_14default_configENS1_22reduce_config_selectorIiEEZNS1_11reduce_implILb1ES3_PiS7_iN6hipcub16HIPCUB_304000_NS6detail34convert_binary_result_type_wrapperINS9_3SumENS9_22TransformInputIteratorIbN2at6native12_GLOBAL__N_19NonZeroOpIaEEPKalEEiEEEE10hipError_tPvRmT1_T2_T3_mT4_P12ihipStream_tbEUlT_E0_NS1_11comp_targetILNS1_3genE0ELNS1_11target_archE4294967295ELNS1_3gpuE0ELNS1_3repE0EEENS1_30default_config_static_selectorELNS0_4arch9wavefront6targetE0EEEvSQ_
    .private_segment_fixed_size: 0
    .sgpr_count:     0
    .sgpr_spill_count: 0
    .symbol:         _ZN7rocprim17ROCPRIM_400000_NS6detail17trampoline_kernelINS0_14default_configENS1_22reduce_config_selectorIiEEZNS1_11reduce_implILb1ES3_PiS7_iN6hipcub16HIPCUB_304000_NS6detail34convert_binary_result_type_wrapperINS9_3SumENS9_22TransformInputIteratorIbN2at6native12_GLOBAL__N_19NonZeroOpIaEEPKalEEiEEEE10hipError_tPvRmT1_T2_T3_mT4_P12ihipStream_tbEUlT_E0_NS1_11comp_targetILNS1_3genE0ELNS1_11target_archE4294967295ELNS1_3gpuE0ELNS1_3repE0EEENS1_30default_config_static_selectorELNS0_4arch9wavefront6targetE0EEEvSQ_.kd
    .uniform_work_group_size: 1
    .uses_dynamic_stack: false
    .vgpr_count:     0
    .vgpr_spill_count: 0
    .wavefront_size: 32
    .workgroup_processor_mode: 1
  - .args:
      - .offset:         0
        .size:           56
        .value_kind:     by_value
    .group_segment_fixed_size: 0
    .kernarg_segment_align: 8
    .kernarg_segment_size: 56
    .language:       OpenCL C
    .language_version:
      - 2
      - 0
    .max_flat_workgroup_size: 256
    .name:           _ZN7rocprim17ROCPRIM_400000_NS6detail17trampoline_kernelINS0_14default_configENS1_22reduce_config_selectorIiEEZNS1_11reduce_implILb1ES3_PiS7_iN6hipcub16HIPCUB_304000_NS6detail34convert_binary_result_type_wrapperINS9_3SumENS9_22TransformInputIteratorIbN2at6native12_GLOBAL__N_19NonZeroOpIaEEPKalEEiEEEE10hipError_tPvRmT1_T2_T3_mT4_P12ihipStream_tbEUlT_E0_NS1_11comp_targetILNS1_3genE5ELNS1_11target_archE942ELNS1_3gpuE9ELNS1_3repE0EEENS1_30default_config_static_selectorELNS0_4arch9wavefront6targetE0EEEvSQ_
    .private_segment_fixed_size: 0
    .sgpr_count:     0
    .sgpr_spill_count: 0
    .symbol:         _ZN7rocprim17ROCPRIM_400000_NS6detail17trampoline_kernelINS0_14default_configENS1_22reduce_config_selectorIiEEZNS1_11reduce_implILb1ES3_PiS7_iN6hipcub16HIPCUB_304000_NS6detail34convert_binary_result_type_wrapperINS9_3SumENS9_22TransformInputIteratorIbN2at6native12_GLOBAL__N_19NonZeroOpIaEEPKalEEiEEEE10hipError_tPvRmT1_T2_T3_mT4_P12ihipStream_tbEUlT_E0_NS1_11comp_targetILNS1_3genE5ELNS1_11target_archE942ELNS1_3gpuE9ELNS1_3repE0EEENS1_30default_config_static_selectorELNS0_4arch9wavefront6targetE0EEEvSQ_.kd
    .uniform_work_group_size: 1
    .uses_dynamic_stack: false
    .vgpr_count:     0
    .vgpr_spill_count: 0
    .wavefront_size: 32
    .workgroup_processor_mode: 1
  - .args:
      - .offset:         0
        .size:           56
        .value_kind:     by_value
    .group_segment_fixed_size: 0
    .kernarg_segment_align: 8
    .kernarg_segment_size: 56
    .language:       OpenCL C
    .language_version:
      - 2
      - 0
    .max_flat_workgroup_size: 128
    .name:           _ZN7rocprim17ROCPRIM_400000_NS6detail17trampoline_kernelINS0_14default_configENS1_22reduce_config_selectorIiEEZNS1_11reduce_implILb1ES3_PiS7_iN6hipcub16HIPCUB_304000_NS6detail34convert_binary_result_type_wrapperINS9_3SumENS9_22TransformInputIteratorIbN2at6native12_GLOBAL__N_19NonZeroOpIaEEPKalEEiEEEE10hipError_tPvRmT1_T2_T3_mT4_P12ihipStream_tbEUlT_E0_NS1_11comp_targetILNS1_3genE4ELNS1_11target_archE910ELNS1_3gpuE8ELNS1_3repE0EEENS1_30default_config_static_selectorELNS0_4arch9wavefront6targetE0EEEvSQ_
    .private_segment_fixed_size: 0
    .sgpr_count:     0
    .sgpr_spill_count: 0
    .symbol:         _ZN7rocprim17ROCPRIM_400000_NS6detail17trampoline_kernelINS0_14default_configENS1_22reduce_config_selectorIiEEZNS1_11reduce_implILb1ES3_PiS7_iN6hipcub16HIPCUB_304000_NS6detail34convert_binary_result_type_wrapperINS9_3SumENS9_22TransformInputIteratorIbN2at6native12_GLOBAL__N_19NonZeroOpIaEEPKalEEiEEEE10hipError_tPvRmT1_T2_T3_mT4_P12ihipStream_tbEUlT_E0_NS1_11comp_targetILNS1_3genE4ELNS1_11target_archE910ELNS1_3gpuE8ELNS1_3repE0EEENS1_30default_config_static_selectorELNS0_4arch9wavefront6targetE0EEEvSQ_.kd
    .uniform_work_group_size: 1
    .uses_dynamic_stack: false
    .vgpr_count:     0
    .vgpr_spill_count: 0
    .wavefront_size: 32
    .workgroup_processor_mode: 1
  - .args:
      - .offset:         0
        .size:           56
        .value_kind:     by_value
    .group_segment_fixed_size: 0
    .kernarg_segment_align: 8
    .kernarg_segment_size: 56
    .language:       OpenCL C
    .language_version:
      - 2
      - 0
    .max_flat_workgroup_size: 256
    .name:           _ZN7rocprim17ROCPRIM_400000_NS6detail17trampoline_kernelINS0_14default_configENS1_22reduce_config_selectorIiEEZNS1_11reduce_implILb1ES3_PiS7_iN6hipcub16HIPCUB_304000_NS6detail34convert_binary_result_type_wrapperINS9_3SumENS9_22TransformInputIteratorIbN2at6native12_GLOBAL__N_19NonZeroOpIaEEPKalEEiEEEE10hipError_tPvRmT1_T2_T3_mT4_P12ihipStream_tbEUlT_E0_NS1_11comp_targetILNS1_3genE3ELNS1_11target_archE908ELNS1_3gpuE7ELNS1_3repE0EEENS1_30default_config_static_selectorELNS0_4arch9wavefront6targetE0EEEvSQ_
    .private_segment_fixed_size: 0
    .sgpr_count:     0
    .sgpr_spill_count: 0
    .symbol:         _ZN7rocprim17ROCPRIM_400000_NS6detail17trampoline_kernelINS0_14default_configENS1_22reduce_config_selectorIiEEZNS1_11reduce_implILb1ES3_PiS7_iN6hipcub16HIPCUB_304000_NS6detail34convert_binary_result_type_wrapperINS9_3SumENS9_22TransformInputIteratorIbN2at6native12_GLOBAL__N_19NonZeroOpIaEEPKalEEiEEEE10hipError_tPvRmT1_T2_T3_mT4_P12ihipStream_tbEUlT_E0_NS1_11comp_targetILNS1_3genE3ELNS1_11target_archE908ELNS1_3gpuE7ELNS1_3repE0EEENS1_30default_config_static_selectorELNS0_4arch9wavefront6targetE0EEEvSQ_.kd
    .uniform_work_group_size: 1
    .uses_dynamic_stack: false
    .vgpr_count:     0
    .vgpr_spill_count: 0
    .wavefront_size: 32
    .workgroup_processor_mode: 1
  - .args:
      - .offset:         0
        .size:           56
        .value_kind:     by_value
    .group_segment_fixed_size: 0
    .kernarg_segment_align: 8
    .kernarg_segment_size: 56
    .language:       OpenCL C
    .language_version:
      - 2
      - 0
    .max_flat_workgroup_size: 256
    .name:           _ZN7rocprim17ROCPRIM_400000_NS6detail17trampoline_kernelINS0_14default_configENS1_22reduce_config_selectorIiEEZNS1_11reduce_implILb1ES3_PiS7_iN6hipcub16HIPCUB_304000_NS6detail34convert_binary_result_type_wrapperINS9_3SumENS9_22TransformInputIteratorIbN2at6native12_GLOBAL__N_19NonZeroOpIaEEPKalEEiEEEE10hipError_tPvRmT1_T2_T3_mT4_P12ihipStream_tbEUlT_E0_NS1_11comp_targetILNS1_3genE2ELNS1_11target_archE906ELNS1_3gpuE6ELNS1_3repE0EEENS1_30default_config_static_selectorELNS0_4arch9wavefront6targetE0EEEvSQ_
    .private_segment_fixed_size: 0
    .sgpr_count:     0
    .sgpr_spill_count: 0
    .symbol:         _ZN7rocprim17ROCPRIM_400000_NS6detail17trampoline_kernelINS0_14default_configENS1_22reduce_config_selectorIiEEZNS1_11reduce_implILb1ES3_PiS7_iN6hipcub16HIPCUB_304000_NS6detail34convert_binary_result_type_wrapperINS9_3SumENS9_22TransformInputIteratorIbN2at6native12_GLOBAL__N_19NonZeroOpIaEEPKalEEiEEEE10hipError_tPvRmT1_T2_T3_mT4_P12ihipStream_tbEUlT_E0_NS1_11comp_targetILNS1_3genE2ELNS1_11target_archE906ELNS1_3gpuE6ELNS1_3repE0EEENS1_30default_config_static_selectorELNS0_4arch9wavefront6targetE0EEEvSQ_.kd
    .uniform_work_group_size: 1
    .uses_dynamic_stack: false
    .vgpr_count:     0
    .vgpr_spill_count: 0
    .wavefront_size: 32
    .workgroup_processor_mode: 1
  - .args:
      - .offset:         0
        .size:           56
        .value_kind:     by_value
    .group_segment_fixed_size: 0
    .kernarg_segment_align: 8
    .kernarg_segment_size: 56
    .language:       OpenCL C
    .language_version:
      - 2
      - 0
    .max_flat_workgroup_size: 256
    .name:           _ZN7rocprim17ROCPRIM_400000_NS6detail17trampoline_kernelINS0_14default_configENS1_22reduce_config_selectorIiEEZNS1_11reduce_implILb1ES3_PiS7_iN6hipcub16HIPCUB_304000_NS6detail34convert_binary_result_type_wrapperINS9_3SumENS9_22TransformInputIteratorIbN2at6native12_GLOBAL__N_19NonZeroOpIaEEPKalEEiEEEE10hipError_tPvRmT1_T2_T3_mT4_P12ihipStream_tbEUlT_E0_NS1_11comp_targetILNS1_3genE10ELNS1_11target_archE1201ELNS1_3gpuE5ELNS1_3repE0EEENS1_30default_config_static_selectorELNS0_4arch9wavefront6targetE0EEEvSQ_
    .private_segment_fixed_size: 0
    .sgpr_count:     0
    .sgpr_spill_count: 0
    .symbol:         _ZN7rocprim17ROCPRIM_400000_NS6detail17trampoline_kernelINS0_14default_configENS1_22reduce_config_selectorIiEEZNS1_11reduce_implILb1ES3_PiS7_iN6hipcub16HIPCUB_304000_NS6detail34convert_binary_result_type_wrapperINS9_3SumENS9_22TransformInputIteratorIbN2at6native12_GLOBAL__N_19NonZeroOpIaEEPKalEEiEEEE10hipError_tPvRmT1_T2_T3_mT4_P12ihipStream_tbEUlT_E0_NS1_11comp_targetILNS1_3genE10ELNS1_11target_archE1201ELNS1_3gpuE5ELNS1_3repE0EEENS1_30default_config_static_selectorELNS0_4arch9wavefront6targetE0EEEvSQ_.kd
    .uniform_work_group_size: 1
    .uses_dynamic_stack: false
    .vgpr_count:     0
    .vgpr_spill_count: 0
    .wavefront_size: 32
    .workgroup_processor_mode: 1
  - .args:
      - .offset:         0
        .size:           56
        .value_kind:     by_value
    .group_segment_fixed_size: 0
    .kernarg_segment_align: 8
    .kernarg_segment_size: 56
    .language:       OpenCL C
    .language_version:
      - 2
      - 0
    .max_flat_workgroup_size: 256
    .name:           _ZN7rocprim17ROCPRIM_400000_NS6detail17trampoline_kernelINS0_14default_configENS1_22reduce_config_selectorIiEEZNS1_11reduce_implILb1ES3_PiS7_iN6hipcub16HIPCUB_304000_NS6detail34convert_binary_result_type_wrapperINS9_3SumENS9_22TransformInputIteratorIbN2at6native12_GLOBAL__N_19NonZeroOpIaEEPKalEEiEEEE10hipError_tPvRmT1_T2_T3_mT4_P12ihipStream_tbEUlT_E0_NS1_11comp_targetILNS1_3genE10ELNS1_11target_archE1200ELNS1_3gpuE4ELNS1_3repE0EEENS1_30default_config_static_selectorELNS0_4arch9wavefront6targetE0EEEvSQ_
    .private_segment_fixed_size: 0
    .sgpr_count:     0
    .sgpr_spill_count: 0
    .symbol:         _ZN7rocprim17ROCPRIM_400000_NS6detail17trampoline_kernelINS0_14default_configENS1_22reduce_config_selectorIiEEZNS1_11reduce_implILb1ES3_PiS7_iN6hipcub16HIPCUB_304000_NS6detail34convert_binary_result_type_wrapperINS9_3SumENS9_22TransformInputIteratorIbN2at6native12_GLOBAL__N_19NonZeroOpIaEEPKalEEiEEEE10hipError_tPvRmT1_T2_T3_mT4_P12ihipStream_tbEUlT_E0_NS1_11comp_targetILNS1_3genE10ELNS1_11target_archE1200ELNS1_3gpuE4ELNS1_3repE0EEENS1_30default_config_static_selectorELNS0_4arch9wavefront6targetE0EEEvSQ_.kd
    .uniform_work_group_size: 1
    .uses_dynamic_stack: false
    .vgpr_count:     0
    .vgpr_spill_count: 0
    .wavefront_size: 32
    .workgroup_processor_mode: 1
  - .args:
      - .offset:         0
        .size:           56
        .value_kind:     by_value
    .group_segment_fixed_size: 64
    .kernarg_segment_align: 8
    .kernarg_segment_size: 56
    .language:       OpenCL C
    .language_version:
      - 2
      - 0
    .max_flat_workgroup_size: 256
    .name:           _ZN7rocprim17ROCPRIM_400000_NS6detail17trampoline_kernelINS0_14default_configENS1_22reduce_config_selectorIiEEZNS1_11reduce_implILb1ES3_PiS7_iN6hipcub16HIPCUB_304000_NS6detail34convert_binary_result_type_wrapperINS9_3SumENS9_22TransformInputIteratorIbN2at6native12_GLOBAL__N_19NonZeroOpIaEEPKalEEiEEEE10hipError_tPvRmT1_T2_T3_mT4_P12ihipStream_tbEUlT_E0_NS1_11comp_targetILNS1_3genE9ELNS1_11target_archE1100ELNS1_3gpuE3ELNS1_3repE0EEENS1_30default_config_static_selectorELNS0_4arch9wavefront6targetE0EEEvSQ_
    .private_segment_fixed_size: 0
    .sgpr_count:     24
    .sgpr_spill_count: 0
    .symbol:         _ZN7rocprim17ROCPRIM_400000_NS6detail17trampoline_kernelINS0_14default_configENS1_22reduce_config_selectorIiEEZNS1_11reduce_implILb1ES3_PiS7_iN6hipcub16HIPCUB_304000_NS6detail34convert_binary_result_type_wrapperINS9_3SumENS9_22TransformInputIteratorIbN2at6native12_GLOBAL__N_19NonZeroOpIaEEPKalEEiEEEE10hipError_tPvRmT1_T2_T3_mT4_P12ihipStream_tbEUlT_E0_NS1_11comp_targetILNS1_3genE9ELNS1_11target_archE1100ELNS1_3gpuE3ELNS1_3repE0EEENS1_30default_config_static_selectorELNS0_4arch9wavefront6targetE0EEEvSQ_.kd
    .uniform_work_group_size: 1
    .uses_dynamic_stack: false
    .vgpr_count:     12
    .vgpr_spill_count: 0
    .wavefront_size: 32
    .workgroup_processor_mode: 1
  - .args:
      - .offset:         0
        .size:           56
        .value_kind:     by_value
    .group_segment_fixed_size: 0
    .kernarg_segment_align: 8
    .kernarg_segment_size: 56
    .language:       OpenCL C
    .language_version:
      - 2
      - 0
    .max_flat_workgroup_size: 256
    .name:           _ZN7rocprim17ROCPRIM_400000_NS6detail17trampoline_kernelINS0_14default_configENS1_22reduce_config_selectorIiEEZNS1_11reduce_implILb1ES3_PiS7_iN6hipcub16HIPCUB_304000_NS6detail34convert_binary_result_type_wrapperINS9_3SumENS9_22TransformInputIteratorIbN2at6native12_GLOBAL__N_19NonZeroOpIaEEPKalEEiEEEE10hipError_tPvRmT1_T2_T3_mT4_P12ihipStream_tbEUlT_E0_NS1_11comp_targetILNS1_3genE8ELNS1_11target_archE1030ELNS1_3gpuE2ELNS1_3repE0EEENS1_30default_config_static_selectorELNS0_4arch9wavefront6targetE0EEEvSQ_
    .private_segment_fixed_size: 0
    .sgpr_count:     0
    .sgpr_spill_count: 0
    .symbol:         _ZN7rocprim17ROCPRIM_400000_NS6detail17trampoline_kernelINS0_14default_configENS1_22reduce_config_selectorIiEEZNS1_11reduce_implILb1ES3_PiS7_iN6hipcub16HIPCUB_304000_NS6detail34convert_binary_result_type_wrapperINS9_3SumENS9_22TransformInputIteratorIbN2at6native12_GLOBAL__N_19NonZeroOpIaEEPKalEEiEEEE10hipError_tPvRmT1_T2_T3_mT4_P12ihipStream_tbEUlT_E0_NS1_11comp_targetILNS1_3genE8ELNS1_11target_archE1030ELNS1_3gpuE2ELNS1_3repE0EEENS1_30default_config_static_selectorELNS0_4arch9wavefront6targetE0EEEvSQ_.kd
    .uniform_work_group_size: 1
    .uses_dynamic_stack: false
    .vgpr_count:     0
    .vgpr_spill_count: 0
    .wavefront_size: 32
    .workgroup_processor_mode: 1
  - .args:
      - .offset:         0
        .size:           40
        .value_kind:     by_value
    .group_segment_fixed_size: 0
    .kernarg_segment_align: 8
    .kernarg_segment_size: 40
    .language:       OpenCL C
    .language_version:
      - 2
      - 0
    .max_flat_workgroup_size: 256
    .name:           _ZN7rocprim17ROCPRIM_400000_NS6detail17trampoline_kernelINS0_14default_configENS1_22reduce_config_selectorIiEEZNS1_11reduce_implILb1ES3_PiS7_iN6hipcub16HIPCUB_304000_NS6detail34convert_binary_result_type_wrapperINS9_3SumENS9_22TransformInputIteratorIbN2at6native12_GLOBAL__N_19NonZeroOpIaEEPKalEEiEEEE10hipError_tPvRmT1_T2_T3_mT4_P12ihipStream_tbEUlT_E1_NS1_11comp_targetILNS1_3genE0ELNS1_11target_archE4294967295ELNS1_3gpuE0ELNS1_3repE0EEENS1_30default_config_static_selectorELNS0_4arch9wavefront6targetE0EEEvSQ_
    .private_segment_fixed_size: 0
    .sgpr_count:     0
    .sgpr_spill_count: 0
    .symbol:         _ZN7rocprim17ROCPRIM_400000_NS6detail17trampoline_kernelINS0_14default_configENS1_22reduce_config_selectorIiEEZNS1_11reduce_implILb1ES3_PiS7_iN6hipcub16HIPCUB_304000_NS6detail34convert_binary_result_type_wrapperINS9_3SumENS9_22TransformInputIteratorIbN2at6native12_GLOBAL__N_19NonZeroOpIaEEPKalEEiEEEE10hipError_tPvRmT1_T2_T3_mT4_P12ihipStream_tbEUlT_E1_NS1_11comp_targetILNS1_3genE0ELNS1_11target_archE4294967295ELNS1_3gpuE0ELNS1_3repE0EEENS1_30default_config_static_selectorELNS0_4arch9wavefront6targetE0EEEvSQ_.kd
    .uniform_work_group_size: 1
    .uses_dynamic_stack: false
    .vgpr_count:     0
    .vgpr_spill_count: 0
    .wavefront_size: 32
    .workgroup_processor_mode: 1
  - .args:
      - .offset:         0
        .size:           40
        .value_kind:     by_value
    .group_segment_fixed_size: 0
    .kernarg_segment_align: 8
    .kernarg_segment_size: 40
    .language:       OpenCL C
    .language_version:
      - 2
      - 0
    .max_flat_workgroup_size: 256
    .name:           _ZN7rocprim17ROCPRIM_400000_NS6detail17trampoline_kernelINS0_14default_configENS1_22reduce_config_selectorIiEEZNS1_11reduce_implILb1ES3_PiS7_iN6hipcub16HIPCUB_304000_NS6detail34convert_binary_result_type_wrapperINS9_3SumENS9_22TransformInputIteratorIbN2at6native12_GLOBAL__N_19NonZeroOpIaEEPKalEEiEEEE10hipError_tPvRmT1_T2_T3_mT4_P12ihipStream_tbEUlT_E1_NS1_11comp_targetILNS1_3genE5ELNS1_11target_archE942ELNS1_3gpuE9ELNS1_3repE0EEENS1_30default_config_static_selectorELNS0_4arch9wavefront6targetE0EEEvSQ_
    .private_segment_fixed_size: 0
    .sgpr_count:     0
    .sgpr_spill_count: 0
    .symbol:         _ZN7rocprim17ROCPRIM_400000_NS6detail17trampoline_kernelINS0_14default_configENS1_22reduce_config_selectorIiEEZNS1_11reduce_implILb1ES3_PiS7_iN6hipcub16HIPCUB_304000_NS6detail34convert_binary_result_type_wrapperINS9_3SumENS9_22TransformInputIteratorIbN2at6native12_GLOBAL__N_19NonZeroOpIaEEPKalEEiEEEE10hipError_tPvRmT1_T2_T3_mT4_P12ihipStream_tbEUlT_E1_NS1_11comp_targetILNS1_3genE5ELNS1_11target_archE942ELNS1_3gpuE9ELNS1_3repE0EEENS1_30default_config_static_selectorELNS0_4arch9wavefront6targetE0EEEvSQ_.kd
    .uniform_work_group_size: 1
    .uses_dynamic_stack: false
    .vgpr_count:     0
    .vgpr_spill_count: 0
    .wavefront_size: 32
    .workgroup_processor_mode: 1
  - .args:
      - .offset:         0
        .size:           40
        .value_kind:     by_value
    .group_segment_fixed_size: 0
    .kernarg_segment_align: 8
    .kernarg_segment_size: 40
    .language:       OpenCL C
    .language_version:
      - 2
      - 0
    .max_flat_workgroup_size: 128
    .name:           _ZN7rocprim17ROCPRIM_400000_NS6detail17trampoline_kernelINS0_14default_configENS1_22reduce_config_selectorIiEEZNS1_11reduce_implILb1ES3_PiS7_iN6hipcub16HIPCUB_304000_NS6detail34convert_binary_result_type_wrapperINS9_3SumENS9_22TransformInputIteratorIbN2at6native12_GLOBAL__N_19NonZeroOpIaEEPKalEEiEEEE10hipError_tPvRmT1_T2_T3_mT4_P12ihipStream_tbEUlT_E1_NS1_11comp_targetILNS1_3genE4ELNS1_11target_archE910ELNS1_3gpuE8ELNS1_3repE0EEENS1_30default_config_static_selectorELNS0_4arch9wavefront6targetE0EEEvSQ_
    .private_segment_fixed_size: 0
    .sgpr_count:     0
    .sgpr_spill_count: 0
    .symbol:         _ZN7rocprim17ROCPRIM_400000_NS6detail17trampoline_kernelINS0_14default_configENS1_22reduce_config_selectorIiEEZNS1_11reduce_implILb1ES3_PiS7_iN6hipcub16HIPCUB_304000_NS6detail34convert_binary_result_type_wrapperINS9_3SumENS9_22TransformInputIteratorIbN2at6native12_GLOBAL__N_19NonZeroOpIaEEPKalEEiEEEE10hipError_tPvRmT1_T2_T3_mT4_P12ihipStream_tbEUlT_E1_NS1_11comp_targetILNS1_3genE4ELNS1_11target_archE910ELNS1_3gpuE8ELNS1_3repE0EEENS1_30default_config_static_selectorELNS0_4arch9wavefront6targetE0EEEvSQ_.kd
    .uniform_work_group_size: 1
    .uses_dynamic_stack: false
    .vgpr_count:     0
    .vgpr_spill_count: 0
    .wavefront_size: 32
    .workgroup_processor_mode: 1
  - .args:
      - .offset:         0
        .size:           40
        .value_kind:     by_value
    .group_segment_fixed_size: 0
    .kernarg_segment_align: 8
    .kernarg_segment_size: 40
    .language:       OpenCL C
    .language_version:
      - 2
      - 0
    .max_flat_workgroup_size: 256
    .name:           _ZN7rocprim17ROCPRIM_400000_NS6detail17trampoline_kernelINS0_14default_configENS1_22reduce_config_selectorIiEEZNS1_11reduce_implILb1ES3_PiS7_iN6hipcub16HIPCUB_304000_NS6detail34convert_binary_result_type_wrapperINS9_3SumENS9_22TransformInputIteratorIbN2at6native12_GLOBAL__N_19NonZeroOpIaEEPKalEEiEEEE10hipError_tPvRmT1_T2_T3_mT4_P12ihipStream_tbEUlT_E1_NS1_11comp_targetILNS1_3genE3ELNS1_11target_archE908ELNS1_3gpuE7ELNS1_3repE0EEENS1_30default_config_static_selectorELNS0_4arch9wavefront6targetE0EEEvSQ_
    .private_segment_fixed_size: 0
    .sgpr_count:     0
    .sgpr_spill_count: 0
    .symbol:         _ZN7rocprim17ROCPRIM_400000_NS6detail17trampoline_kernelINS0_14default_configENS1_22reduce_config_selectorIiEEZNS1_11reduce_implILb1ES3_PiS7_iN6hipcub16HIPCUB_304000_NS6detail34convert_binary_result_type_wrapperINS9_3SumENS9_22TransformInputIteratorIbN2at6native12_GLOBAL__N_19NonZeroOpIaEEPKalEEiEEEE10hipError_tPvRmT1_T2_T3_mT4_P12ihipStream_tbEUlT_E1_NS1_11comp_targetILNS1_3genE3ELNS1_11target_archE908ELNS1_3gpuE7ELNS1_3repE0EEENS1_30default_config_static_selectorELNS0_4arch9wavefront6targetE0EEEvSQ_.kd
    .uniform_work_group_size: 1
    .uses_dynamic_stack: false
    .vgpr_count:     0
    .vgpr_spill_count: 0
    .wavefront_size: 32
    .workgroup_processor_mode: 1
  - .args:
      - .offset:         0
        .size:           40
        .value_kind:     by_value
    .group_segment_fixed_size: 0
    .kernarg_segment_align: 8
    .kernarg_segment_size: 40
    .language:       OpenCL C
    .language_version:
      - 2
      - 0
    .max_flat_workgroup_size: 256
    .name:           _ZN7rocprim17ROCPRIM_400000_NS6detail17trampoline_kernelINS0_14default_configENS1_22reduce_config_selectorIiEEZNS1_11reduce_implILb1ES3_PiS7_iN6hipcub16HIPCUB_304000_NS6detail34convert_binary_result_type_wrapperINS9_3SumENS9_22TransformInputIteratorIbN2at6native12_GLOBAL__N_19NonZeroOpIaEEPKalEEiEEEE10hipError_tPvRmT1_T2_T3_mT4_P12ihipStream_tbEUlT_E1_NS1_11comp_targetILNS1_3genE2ELNS1_11target_archE906ELNS1_3gpuE6ELNS1_3repE0EEENS1_30default_config_static_selectorELNS0_4arch9wavefront6targetE0EEEvSQ_
    .private_segment_fixed_size: 0
    .sgpr_count:     0
    .sgpr_spill_count: 0
    .symbol:         _ZN7rocprim17ROCPRIM_400000_NS6detail17trampoline_kernelINS0_14default_configENS1_22reduce_config_selectorIiEEZNS1_11reduce_implILb1ES3_PiS7_iN6hipcub16HIPCUB_304000_NS6detail34convert_binary_result_type_wrapperINS9_3SumENS9_22TransformInputIteratorIbN2at6native12_GLOBAL__N_19NonZeroOpIaEEPKalEEiEEEE10hipError_tPvRmT1_T2_T3_mT4_P12ihipStream_tbEUlT_E1_NS1_11comp_targetILNS1_3genE2ELNS1_11target_archE906ELNS1_3gpuE6ELNS1_3repE0EEENS1_30default_config_static_selectorELNS0_4arch9wavefront6targetE0EEEvSQ_.kd
    .uniform_work_group_size: 1
    .uses_dynamic_stack: false
    .vgpr_count:     0
    .vgpr_spill_count: 0
    .wavefront_size: 32
    .workgroup_processor_mode: 1
  - .args:
      - .offset:         0
        .size:           40
        .value_kind:     by_value
    .group_segment_fixed_size: 0
    .kernarg_segment_align: 8
    .kernarg_segment_size: 40
    .language:       OpenCL C
    .language_version:
      - 2
      - 0
    .max_flat_workgroup_size: 256
    .name:           _ZN7rocprim17ROCPRIM_400000_NS6detail17trampoline_kernelINS0_14default_configENS1_22reduce_config_selectorIiEEZNS1_11reduce_implILb1ES3_PiS7_iN6hipcub16HIPCUB_304000_NS6detail34convert_binary_result_type_wrapperINS9_3SumENS9_22TransformInputIteratorIbN2at6native12_GLOBAL__N_19NonZeroOpIaEEPKalEEiEEEE10hipError_tPvRmT1_T2_T3_mT4_P12ihipStream_tbEUlT_E1_NS1_11comp_targetILNS1_3genE10ELNS1_11target_archE1201ELNS1_3gpuE5ELNS1_3repE0EEENS1_30default_config_static_selectorELNS0_4arch9wavefront6targetE0EEEvSQ_
    .private_segment_fixed_size: 0
    .sgpr_count:     0
    .sgpr_spill_count: 0
    .symbol:         _ZN7rocprim17ROCPRIM_400000_NS6detail17trampoline_kernelINS0_14default_configENS1_22reduce_config_selectorIiEEZNS1_11reduce_implILb1ES3_PiS7_iN6hipcub16HIPCUB_304000_NS6detail34convert_binary_result_type_wrapperINS9_3SumENS9_22TransformInputIteratorIbN2at6native12_GLOBAL__N_19NonZeroOpIaEEPKalEEiEEEE10hipError_tPvRmT1_T2_T3_mT4_P12ihipStream_tbEUlT_E1_NS1_11comp_targetILNS1_3genE10ELNS1_11target_archE1201ELNS1_3gpuE5ELNS1_3repE0EEENS1_30default_config_static_selectorELNS0_4arch9wavefront6targetE0EEEvSQ_.kd
    .uniform_work_group_size: 1
    .uses_dynamic_stack: false
    .vgpr_count:     0
    .vgpr_spill_count: 0
    .wavefront_size: 32
    .workgroup_processor_mode: 1
  - .args:
      - .offset:         0
        .size:           40
        .value_kind:     by_value
    .group_segment_fixed_size: 0
    .kernarg_segment_align: 8
    .kernarg_segment_size: 40
    .language:       OpenCL C
    .language_version:
      - 2
      - 0
    .max_flat_workgroup_size: 256
    .name:           _ZN7rocprim17ROCPRIM_400000_NS6detail17trampoline_kernelINS0_14default_configENS1_22reduce_config_selectorIiEEZNS1_11reduce_implILb1ES3_PiS7_iN6hipcub16HIPCUB_304000_NS6detail34convert_binary_result_type_wrapperINS9_3SumENS9_22TransformInputIteratorIbN2at6native12_GLOBAL__N_19NonZeroOpIaEEPKalEEiEEEE10hipError_tPvRmT1_T2_T3_mT4_P12ihipStream_tbEUlT_E1_NS1_11comp_targetILNS1_3genE10ELNS1_11target_archE1200ELNS1_3gpuE4ELNS1_3repE0EEENS1_30default_config_static_selectorELNS0_4arch9wavefront6targetE0EEEvSQ_
    .private_segment_fixed_size: 0
    .sgpr_count:     0
    .sgpr_spill_count: 0
    .symbol:         _ZN7rocprim17ROCPRIM_400000_NS6detail17trampoline_kernelINS0_14default_configENS1_22reduce_config_selectorIiEEZNS1_11reduce_implILb1ES3_PiS7_iN6hipcub16HIPCUB_304000_NS6detail34convert_binary_result_type_wrapperINS9_3SumENS9_22TransformInputIteratorIbN2at6native12_GLOBAL__N_19NonZeroOpIaEEPKalEEiEEEE10hipError_tPvRmT1_T2_T3_mT4_P12ihipStream_tbEUlT_E1_NS1_11comp_targetILNS1_3genE10ELNS1_11target_archE1200ELNS1_3gpuE4ELNS1_3repE0EEENS1_30default_config_static_selectorELNS0_4arch9wavefront6targetE0EEEvSQ_.kd
    .uniform_work_group_size: 1
    .uses_dynamic_stack: false
    .vgpr_count:     0
    .vgpr_spill_count: 0
    .wavefront_size: 32
    .workgroup_processor_mode: 1
  - .args:
      - .offset:         0
        .size:           40
        .value_kind:     by_value
    .group_segment_fixed_size: 224
    .kernarg_segment_align: 8
    .kernarg_segment_size: 40
    .language:       OpenCL C
    .language_version:
      - 2
      - 0
    .max_flat_workgroup_size: 256
    .name:           _ZN7rocprim17ROCPRIM_400000_NS6detail17trampoline_kernelINS0_14default_configENS1_22reduce_config_selectorIiEEZNS1_11reduce_implILb1ES3_PiS7_iN6hipcub16HIPCUB_304000_NS6detail34convert_binary_result_type_wrapperINS9_3SumENS9_22TransformInputIteratorIbN2at6native12_GLOBAL__N_19NonZeroOpIaEEPKalEEiEEEE10hipError_tPvRmT1_T2_T3_mT4_P12ihipStream_tbEUlT_E1_NS1_11comp_targetILNS1_3genE9ELNS1_11target_archE1100ELNS1_3gpuE3ELNS1_3repE0EEENS1_30default_config_static_selectorELNS0_4arch9wavefront6targetE0EEEvSQ_
    .private_segment_fixed_size: 0
    .sgpr_count:     29
    .sgpr_spill_count: 0
    .symbol:         _ZN7rocprim17ROCPRIM_400000_NS6detail17trampoline_kernelINS0_14default_configENS1_22reduce_config_selectorIiEEZNS1_11reduce_implILb1ES3_PiS7_iN6hipcub16HIPCUB_304000_NS6detail34convert_binary_result_type_wrapperINS9_3SumENS9_22TransformInputIteratorIbN2at6native12_GLOBAL__N_19NonZeroOpIaEEPKalEEiEEEE10hipError_tPvRmT1_T2_T3_mT4_P12ihipStream_tbEUlT_E1_NS1_11comp_targetILNS1_3genE9ELNS1_11target_archE1100ELNS1_3gpuE3ELNS1_3repE0EEENS1_30default_config_static_selectorELNS0_4arch9wavefront6targetE0EEEvSQ_.kd
    .uniform_work_group_size: 1
    .uses_dynamic_stack: false
    .vgpr_count:     34
    .vgpr_spill_count: 0
    .wavefront_size: 32
    .workgroup_processor_mode: 1
  - .args:
      - .offset:         0
        .size:           40
        .value_kind:     by_value
    .group_segment_fixed_size: 0
    .kernarg_segment_align: 8
    .kernarg_segment_size: 40
    .language:       OpenCL C
    .language_version:
      - 2
      - 0
    .max_flat_workgroup_size: 256
    .name:           _ZN7rocprim17ROCPRIM_400000_NS6detail17trampoline_kernelINS0_14default_configENS1_22reduce_config_selectorIiEEZNS1_11reduce_implILb1ES3_PiS7_iN6hipcub16HIPCUB_304000_NS6detail34convert_binary_result_type_wrapperINS9_3SumENS9_22TransformInputIteratorIbN2at6native12_GLOBAL__N_19NonZeroOpIaEEPKalEEiEEEE10hipError_tPvRmT1_T2_T3_mT4_P12ihipStream_tbEUlT_E1_NS1_11comp_targetILNS1_3genE8ELNS1_11target_archE1030ELNS1_3gpuE2ELNS1_3repE0EEENS1_30default_config_static_selectorELNS0_4arch9wavefront6targetE0EEEvSQ_
    .private_segment_fixed_size: 0
    .sgpr_count:     0
    .sgpr_spill_count: 0
    .symbol:         _ZN7rocprim17ROCPRIM_400000_NS6detail17trampoline_kernelINS0_14default_configENS1_22reduce_config_selectorIiEEZNS1_11reduce_implILb1ES3_PiS7_iN6hipcub16HIPCUB_304000_NS6detail34convert_binary_result_type_wrapperINS9_3SumENS9_22TransformInputIteratorIbN2at6native12_GLOBAL__N_19NonZeroOpIaEEPKalEEiEEEE10hipError_tPvRmT1_T2_T3_mT4_P12ihipStream_tbEUlT_E1_NS1_11comp_targetILNS1_3genE8ELNS1_11target_archE1030ELNS1_3gpuE2ELNS1_3repE0EEENS1_30default_config_static_selectorELNS0_4arch9wavefront6targetE0EEEvSQ_.kd
    .uniform_work_group_size: 1
    .uses_dynamic_stack: false
    .vgpr_count:     0
    .vgpr_spill_count: 0
    .wavefront_size: 32
    .workgroup_processor_mode: 1
  - .args:
      - .offset:         0
        .size:           64
        .value_kind:     by_value
    .group_segment_fixed_size: 0
    .kernarg_segment_align: 8
    .kernarg_segment_size: 64
    .language:       OpenCL C
    .language_version:
      - 2
      - 0
    .max_flat_workgroup_size: 256
    .name:           _ZN7rocprim17ROCPRIM_400000_NS6detail17trampoline_kernelINS0_14default_configENS1_22reduce_config_selectorIbEEZNS1_11reduce_implILb1ES3_N6hipcub16HIPCUB_304000_NS22TransformInputIteratorIbN2at6native12_GLOBAL__N_19NonZeroOpIaEEPKalEEPiiNS8_6detail34convert_binary_result_type_wrapperINS8_3SumESH_iEEEE10hipError_tPvRmT1_T2_T3_mT4_P12ihipStream_tbEUlT_E0_NS1_11comp_targetILNS1_3genE0ELNS1_11target_archE4294967295ELNS1_3gpuE0ELNS1_3repE0EEENS1_30default_config_static_selectorELNS0_4arch9wavefront6targetE0EEEvSQ_
    .private_segment_fixed_size: 0
    .sgpr_count:     0
    .sgpr_spill_count: 0
    .symbol:         _ZN7rocprim17ROCPRIM_400000_NS6detail17trampoline_kernelINS0_14default_configENS1_22reduce_config_selectorIbEEZNS1_11reduce_implILb1ES3_N6hipcub16HIPCUB_304000_NS22TransformInputIteratorIbN2at6native12_GLOBAL__N_19NonZeroOpIaEEPKalEEPiiNS8_6detail34convert_binary_result_type_wrapperINS8_3SumESH_iEEEE10hipError_tPvRmT1_T2_T3_mT4_P12ihipStream_tbEUlT_E0_NS1_11comp_targetILNS1_3genE0ELNS1_11target_archE4294967295ELNS1_3gpuE0ELNS1_3repE0EEENS1_30default_config_static_selectorELNS0_4arch9wavefront6targetE0EEEvSQ_.kd
    .uniform_work_group_size: 1
    .uses_dynamic_stack: false
    .vgpr_count:     0
    .vgpr_spill_count: 0
    .wavefront_size: 32
    .workgroup_processor_mode: 1
  - .args:
      - .offset:         0
        .size:           64
        .value_kind:     by_value
    .group_segment_fixed_size: 0
    .kernarg_segment_align: 8
    .kernarg_segment_size: 64
    .language:       OpenCL C
    .language_version:
      - 2
      - 0
    .max_flat_workgroup_size: 256
    .name:           _ZN7rocprim17ROCPRIM_400000_NS6detail17trampoline_kernelINS0_14default_configENS1_22reduce_config_selectorIbEEZNS1_11reduce_implILb1ES3_N6hipcub16HIPCUB_304000_NS22TransformInputIteratorIbN2at6native12_GLOBAL__N_19NonZeroOpIaEEPKalEEPiiNS8_6detail34convert_binary_result_type_wrapperINS8_3SumESH_iEEEE10hipError_tPvRmT1_T2_T3_mT4_P12ihipStream_tbEUlT_E0_NS1_11comp_targetILNS1_3genE5ELNS1_11target_archE942ELNS1_3gpuE9ELNS1_3repE0EEENS1_30default_config_static_selectorELNS0_4arch9wavefront6targetE0EEEvSQ_
    .private_segment_fixed_size: 0
    .sgpr_count:     0
    .sgpr_spill_count: 0
    .symbol:         _ZN7rocprim17ROCPRIM_400000_NS6detail17trampoline_kernelINS0_14default_configENS1_22reduce_config_selectorIbEEZNS1_11reduce_implILb1ES3_N6hipcub16HIPCUB_304000_NS22TransformInputIteratorIbN2at6native12_GLOBAL__N_19NonZeroOpIaEEPKalEEPiiNS8_6detail34convert_binary_result_type_wrapperINS8_3SumESH_iEEEE10hipError_tPvRmT1_T2_T3_mT4_P12ihipStream_tbEUlT_E0_NS1_11comp_targetILNS1_3genE5ELNS1_11target_archE942ELNS1_3gpuE9ELNS1_3repE0EEENS1_30default_config_static_selectorELNS0_4arch9wavefront6targetE0EEEvSQ_.kd
    .uniform_work_group_size: 1
    .uses_dynamic_stack: false
    .vgpr_count:     0
    .vgpr_spill_count: 0
    .wavefront_size: 32
    .workgroup_processor_mode: 1
  - .args:
      - .offset:         0
        .size:           64
        .value_kind:     by_value
    .group_segment_fixed_size: 0
    .kernarg_segment_align: 8
    .kernarg_segment_size: 64
    .language:       OpenCL C
    .language_version:
      - 2
      - 0
    .max_flat_workgroup_size: 128
    .name:           _ZN7rocprim17ROCPRIM_400000_NS6detail17trampoline_kernelINS0_14default_configENS1_22reduce_config_selectorIbEEZNS1_11reduce_implILb1ES3_N6hipcub16HIPCUB_304000_NS22TransformInputIteratorIbN2at6native12_GLOBAL__N_19NonZeroOpIaEEPKalEEPiiNS8_6detail34convert_binary_result_type_wrapperINS8_3SumESH_iEEEE10hipError_tPvRmT1_T2_T3_mT4_P12ihipStream_tbEUlT_E0_NS1_11comp_targetILNS1_3genE4ELNS1_11target_archE910ELNS1_3gpuE8ELNS1_3repE0EEENS1_30default_config_static_selectorELNS0_4arch9wavefront6targetE0EEEvSQ_
    .private_segment_fixed_size: 0
    .sgpr_count:     0
    .sgpr_spill_count: 0
    .symbol:         _ZN7rocprim17ROCPRIM_400000_NS6detail17trampoline_kernelINS0_14default_configENS1_22reduce_config_selectorIbEEZNS1_11reduce_implILb1ES3_N6hipcub16HIPCUB_304000_NS22TransformInputIteratorIbN2at6native12_GLOBAL__N_19NonZeroOpIaEEPKalEEPiiNS8_6detail34convert_binary_result_type_wrapperINS8_3SumESH_iEEEE10hipError_tPvRmT1_T2_T3_mT4_P12ihipStream_tbEUlT_E0_NS1_11comp_targetILNS1_3genE4ELNS1_11target_archE910ELNS1_3gpuE8ELNS1_3repE0EEENS1_30default_config_static_selectorELNS0_4arch9wavefront6targetE0EEEvSQ_.kd
    .uniform_work_group_size: 1
    .uses_dynamic_stack: false
    .vgpr_count:     0
    .vgpr_spill_count: 0
    .wavefront_size: 32
    .workgroup_processor_mode: 1
  - .args:
      - .offset:         0
        .size:           64
        .value_kind:     by_value
    .group_segment_fixed_size: 0
    .kernarg_segment_align: 8
    .kernarg_segment_size: 64
    .language:       OpenCL C
    .language_version:
      - 2
      - 0
    .max_flat_workgroup_size: 256
    .name:           _ZN7rocprim17ROCPRIM_400000_NS6detail17trampoline_kernelINS0_14default_configENS1_22reduce_config_selectorIbEEZNS1_11reduce_implILb1ES3_N6hipcub16HIPCUB_304000_NS22TransformInputIteratorIbN2at6native12_GLOBAL__N_19NonZeroOpIaEEPKalEEPiiNS8_6detail34convert_binary_result_type_wrapperINS8_3SumESH_iEEEE10hipError_tPvRmT1_T2_T3_mT4_P12ihipStream_tbEUlT_E0_NS1_11comp_targetILNS1_3genE3ELNS1_11target_archE908ELNS1_3gpuE7ELNS1_3repE0EEENS1_30default_config_static_selectorELNS0_4arch9wavefront6targetE0EEEvSQ_
    .private_segment_fixed_size: 0
    .sgpr_count:     0
    .sgpr_spill_count: 0
    .symbol:         _ZN7rocprim17ROCPRIM_400000_NS6detail17trampoline_kernelINS0_14default_configENS1_22reduce_config_selectorIbEEZNS1_11reduce_implILb1ES3_N6hipcub16HIPCUB_304000_NS22TransformInputIteratorIbN2at6native12_GLOBAL__N_19NonZeroOpIaEEPKalEEPiiNS8_6detail34convert_binary_result_type_wrapperINS8_3SumESH_iEEEE10hipError_tPvRmT1_T2_T3_mT4_P12ihipStream_tbEUlT_E0_NS1_11comp_targetILNS1_3genE3ELNS1_11target_archE908ELNS1_3gpuE7ELNS1_3repE0EEENS1_30default_config_static_selectorELNS0_4arch9wavefront6targetE0EEEvSQ_.kd
    .uniform_work_group_size: 1
    .uses_dynamic_stack: false
    .vgpr_count:     0
    .vgpr_spill_count: 0
    .wavefront_size: 32
    .workgroup_processor_mode: 1
  - .args:
      - .offset:         0
        .size:           64
        .value_kind:     by_value
    .group_segment_fixed_size: 0
    .kernarg_segment_align: 8
    .kernarg_segment_size: 64
    .language:       OpenCL C
    .language_version:
      - 2
      - 0
    .max_flat_workgroup_size: 128
    .name:           _ZN7rocprim17ROCPRIM_400000_NS6detail17trampoline_kernelINS0_14default_configENS1_22reduce_config_selectorIbEEZNS1_11reduce_implILb1ES3_N6hipcub16HIPCUB_304000_NS22TransformInputIteratorIbN2at6native12_GLOBAL__N_19NonZeroOpIaEEPKalEEPiiNS8_6detail34convert_binary_result_type_wrapperINS8_3SumESH_iEEEE10hipError_tPvRmT1_T2_T3_mT4_P12ihipStream_tbEUlT_E0_NS1_11comp_targetILNS1_3genE2ELNS1_11target_archE906ELNS1_3gpuE6ELNS1_3repE0EEENS1_30default_config_static_selectorELNS0_4arch9wavefront6targetE0EEEvSQ_
    .private_segment_fixed_size: 0
    .sgpr_count:     0
    .sgpr_spill_count: 0
    .symbol:         _ZN7rocprim17ROCPRIM_400000_NS6detail17trampoline_kernelINS0_14default_configENS1_22reduce_config_selectorIbEEZNS1_11reduce_implILb1ES3_N6hipcub16HIPCUB_304000_NS22TransformInputIteratorIbN2at6native12_GLOBAL__N_19NonZeroOpIaEEPKalEEPiiNS8_6detail34convert_binary_result_type_wrapperINS8_3SumESH_iEEEE10hipError_tPvRmT1_T2_T3_mT4_P12ihipStream_tbEUlT_E0_NS1_11comp_targetILNS1_3genE2ELNS1_11target_archE906ELNS1_3gpuE6ELNS1_3repE0EEENS1_30default_config_static_selectorELNS0_4arch9wavefront6targetE0EEEvSQ_.kd
    .uniform_work_group_size: 1
    .uses_dynamic_stack: false
    .vgpr_count:     0
    .vgpr_spill_count: 0
    .wavefront_size: 32
    .workgroup_processor_mode: 1
  - .args:
      - .offset:         0
        .size:           64
        .value_kind:     by_value
    .group_segment_fixed_size: 0
    .kernarg_segment_align: 8
    .kernarg_segment_size: 64
    .language:       OpenCL C
    .language_version:
      - 2
      - 0
    .max_flat_workgroup_size: 256
    .name:           _ZN7rocprim17ROCPRIM_400000_NS6detail17trampoline_kernelINS0_14default_configENS1_22reduce_config_selectorIbEEZNS1_11reduce_implILb1ES3_N6hipcub16HIPCUB_304000_NS22TransformInputIteratorIbN2at6native12_GLOBAL__N_19NonZeroOpIaEEPKalEEPiiNS8_6detail34convert_binary_result_type_wrapperINS8_3SumESH_iEEEE10hipError_tPvRmT1_T2_T3_mT4_P12ihipStream_tbEUlT_E0_NS1_11comp_targetILNS1_3genE10ELNS1_11target_archE1201ELNS1_3gpuE5ELNS1_3repE0EEENS1_30default_config_static_selectorELNS0_4arch9wavefront6targetE0EEEvSQ_
    .private_segment_fixed_size: 0
    .sgpr_count:     0
    .sgpr_spill_count: 0
    .symbol:         _ZN7rocprim17ROCPRIM_400000_NS6detail17trampoline_kernelINS0_14default_configENS1_22reduce_config_selectorIbEEZNS1_11reduce_implILb1ES3_N6hipcub16HIPCUB_304000_NS22TransformInputIteratorIbN2at6native12_GLOBAL__N_19NonZeroOpIaEEPKalEEPiiNS8_6detail34convert_binary_result_type_wrapperINS8_3SumESH_iEEEE10hipError_tPvRmT1_T2_T3_mT4_P12ihipStream_tbEUlT_E0_NS1_11comp_targetILNS1_3genE10ELNS1_11target_archE1201ELNS1_3gpuE5ELNS1_3repE0EEENS1_30default_config_static_selectorELNS0_4arch9wavefront6targetE0EEEvSQ_.kd
    .uniform_work_group_size: 1
    .uses_dynamic_stack: false
    .vgpr_count:     0
    .vgpr_spill_count: 0
    .wavefront_size: 32
    .workgroup_processor_mode: 1
  - .args:
      - .offset:         0
        .size:           64
        .value_kind:     by_value
    .group_segment_fixed_size: 0
    .kernarg_segment_align: 8
    .kernarg_segment_size: 64
    .language:       OpenCL C
    .language_version:
      - 2
      - 0
    .max_flat_workgroup_size: 256
    .name:           _ZN7rocprim17ROCPRIM_400000_NS6detail17trampoline_kernelINS0_14default_configENS1_22reduce_config_selectorIbEEZNS1_11reduce_implILb1ES3_N6hipcub16HIPCUB_304000_NS22TransformInputIteratorIbN2at6native12_GLOBAL__N_19NonZeroOpIaEEPKalEEPiiNS8_6detail34convert_binary_result_type_wrapperINS8_3SumESH_iEEEE10hipError_tPvRmT1_T2_T3_mT4_P12ihipStream_tbEUlT_E0_NS1_11comp_targetILNS1_3genE10ELNS1_11target_archE1200ELNS1_3gpuE4ELNS1_3repE0EEENS1_30default_config_static_selectorELNS0_4arch9wavefront6targetE0EEEvSQ_
    .private_segment_fixed_size: 0
    .sgpr_count:     0
    .sgpr_spill_count: 0
    .symbol:         _ZN7rocprim17ROCPRIM_400000_NS6detail17trampoline_kernelINS0_14default_configENS1_22reduce_config_selectorIbEEZNS1_11reduce_implILb1ES3_N6hipcub16HIPCUB_304000_NS22TransformInputIteratorIbN2at6native12_GLOBAL__N_19NonZeroOpIaEEPKalEEPiiNS8_6detail34convert_binary_result_type_wrapperINS8_3SumESH_iEEEE10hipError_tPvRmT1_T2_T3_mT4_P12ihipStream_tbEUlT_E0_NS1_11comp_targetILNS1_3genE10ELNS1_11target_archE1200ELNS1_3gpuE4ELNS1_3repE0EEENS1_30default_config_static_selectorELNS0_4arch9wavefront6targetE0EEEvSQ_.kd
    .uniform_work_group_size: 1
    .uses_dynamic_stack: false
    .vgpr_count:     0
    .vgpr_spill_count: 0
    .wavefront_size: 32
    .workgroup_processor_mode: 1
  - .args:
      - .offset:         0
        .size:           64
        .value_kind:     by_value
    .group_segment_fixed_size: 32
    .kernarg_segment_align: 8
    .kernarg_segment_size: 64
    .language:       OpenCL C
    .language_version:
      - 2
      - 0
    .max_flat_workgroup_size: 128
    .name:           _ZN7rocprim17ROCPRIM_400000_NS6detail17trampoline_kernelINS0_14default_configENS1_22reduce_config_selectorIbEEZNS1_11reduce_implILb1ES3_N6hipcub16HIPCUB_304000_NS22TransformInputIteratorIbN2at6native12_GLOBAL__N_19NonZeroOpIaEEPKalEEPiiNS8_6detail34convert_binary_result_type_wrapperINS8_3SumESH_iEEEE10hipError_tPvRmT1_T2_T3_mT4_P12ihipStream_tbEUlT_E0_NS1_11comp_targetILNS1_3genE9ELNS1_11target_archE1100ELNS1_3gpuE3ELNS1_3repE0EEENS1_30default_config_static_selectorELNS0_4arch9wavefront6targetE0EEEvSQ_
    .private_segment_fixed_size: 0
    .sgpr_count:     32
    .sgpr_spill_count: 0
    .symbol:         _ZN7rocprim17ROCPRIM_400000_NS6detail17trampoline_kernelINS0_14default_configENS1_22reduce_config_selectorIbEEZNS1_11reduce_implILb1ES3_N6hipcub16HIPCUB_304000_NS22TransformInputIteratorIbN2at6native12_GLOBAL__N_19NonZeroOpIaEEPKalEEPiiNS8_6detail34convert_binary_result_type_wrapperINS8_3SumESH_iEEEE10hipError_tPvRmT1_T2_T3_mT4_P12ihipStream_tbEUlT_E0_NS1_11comp_targetILNS1_3genE9ELNS1_11target_archE1100ELNS1_3gpuE3ELNS1_3repE0EEENS1_30default_config_static_selectorELNS0_4arch9wavefront6targetE0EEEvSQ_.kd
    .uniform_work_group_size: 1
    .uses_dynamic_stack: false
    .vgpr_count:     19
    .vgpr_spill_count: 0
    .wavefront_size: 32
    .workgroup_processor_mode: 1
  - .args:
      - .offset:         0
        .size:           64
        .value_kind:     by_value
    .group_segment_fixed_size: 0
    .kernarg_segment_align: 8
    .kernarg_segment_size: 64
    .language:       OpenCL C
    .language_version:
      - 2
      - 0
    .max_flat_workgroup_size: 256
    .name:           _ZN7rocprim17ROCPRIM_400000_NS6detail17trampoline_kernelINS0_14default_configENS1_22reduce_config_selectorIbEEZNS1_11reduce_implILb1ES3_N6hipcub16HIPCUB_304000_NS22TransformInputIteratorIbN2at6native12_GLOBAL__N_19NonZeroOpIaEEPKalEEPiiNS8_6detail34convert_binary_result_type_wrapperINS8_3SumESH_iEEEE10hipError_tPvRmT1_T2_T3_mT4_P12ihipStream_tbEUlT_E0_NS1_11comp_targetILNS1_3genE8ELNS1_11target_archE1030ELNS1_3gpuE2ELNS1_3repE0EEENS1_30default_config_static_selectorELNS0_4arch9wavefront6targetE0EEEvSQ_
    .private_segment_fixed_size: 0
    .sgpr_count:     0
    .sgpr_spill_count: 0
    .symbol:         _ZN7rocprim17ROCPRIM_400000_NS6detail17trampoline_kernelINS0_14default_configENS1_22reduce_config_selectorIbEEZNS1_11reduce_implILb1ES3_N6hipcub16HIPCUB_304000_NS22TransformInputIteratorIbN2at6native12_GLOBAL__N_19NonZeroOpIaEEPKalEEPiiNS8_6detail34convert_binary_result_type_wrapperINS8_3SumESH_iEEEE10hipError_tPvRmT1_T2_T3_mT4_P12ihipStream_tbEUlT_E0_NS1_11comp_targetILNS1_3genE8ELNS1_11target_archE1030ELNS1_3gpuE2ELNS1_3repE0EEENS1_30default_config_static_selectorELNS0_4arch9wavefront6targetE0EEEvSQ_.kd
    .uniform_work_group_size: 1
    .uses_dynamic_stack: false
    .vgpr_count:     0
    .vgpr_spill_count: 0
    .wavefront_size: 32
    .workgroup_processor_mode: 1
  - .args:
      - .offset:         0
        .size:           48
        .value_kind:     by_value
    .group_segment_fixed_size: 0
    .kernarg_segment_align: 8
    .kernarg_segment_size: 48
    .language:       OpenCL C
    .language_version:
      - 2
      - 0
    .max_flat_workgroup_size: 256
    .name:           _ZN7rocprim17ROCPRIM_400000_NS6detail17trampoline_kernelINS0_14default_configENS1_22reduce_config_selectorIbEEZNS1_11reduce_implILb1ES3_N6hipcub16HIPCUB_304000_NS22TransformInputIteratorIbN2at6native12_GLOBAL__N_19NonZeroOpIaEEPKalEEPiiNS8_6detail34convert_binary_result_type_wrapperINS8_3SumESH_iEEEE10hipError_tPvRmT1_T2_T3_mT4_P12ihipStream_tbEUlT_E1_NS1_11comp_targetILNS1_3genE0ELNS1_11target_archE4294967295ELNS1_3gpuE0ELNS1_3repE0EEENS1_30default_config_static_selectorELNS0_4arch9wavefront6targetE0EEEvSQ_
    .private_segment_fixed_size: 0
    .sgpr_count:     0
    .sgpr_spill_count: 0
    .symbol:         _ZN7rocprim17ROCPRIM_400000_NS6detail17trampoline_kernelINS0_14default_configENS1_22reduce_config_selectorIbEEZNS1_11reduce_implILb1ES3_N6hipcub16HIPCUB_304000_NS22TransformInputIteratorIbN2at6native12_GLOBAL__N_19NonZeroOpIaEEPKalEEPiiNS8_6detail34convert_binary_result_type_wrapperINS8_3SumESH_iEEEE10hipError_tPvRmT1_T2_T3_mT4_P12ihipStream_tbEUlT_E1_NS1_11comp_targetILNS1_3genE0ELNS1_11target_archE4294967295ELNS1_3gpuE0ELNS1_3repE0EEENS1_30default_config_static_selectorELNS0_4arch9wavefront6targetE0EEEvSQ_.kd
    .uniform_work_group_size: 1
    .uses_dynamic_stack: false
    .vgpr_count:     0
    .vgpr_spill_count: 0
    .wavefront_size: 32
    .workgroup_processor_mode: 1
  - .args:
      - .offset:         0
        .size:           48
        .value_kind:     by_value
    .group_segment_fixed_size: 0
    .kernarg_segment_align: 8
    .kernarg_segment_size: 48
    .language:       OpenCL C
    .language_version:
      - 2
      - 0
    .max_flat_workgroup_size: 256
    .name:           _ZN7rocprim17ROCPRIM_400000_NS6detail17trampoline_kernelINS0_14default_configENS1_22reduce_config_selectorIbEEZNS1_11reduce_implILb1ES3_N6hipcub16HIPCUB_304000_NS22TransformInputIteratorIbN2at6native12_GLOBAL__N_19NonZeroOpIaEEPKalEEPiiNS8_6detail34convert_binary_result_type_wrapperINS8_3SumESH_iEEEE10hipError_tPvRmT1_T2_T3_mT4_P12ihipStream_tbEUlT_E1_NS1_11comp_targetILNS1_3genE5ELNS1_11target_archE942ELNS1_3gpuE9ELNS1_3repE0EEENS1_30default_config_static_selectorELNS0_4arch9wavefront6targetE0EEEvSQ_
    .private_segment_fixed_size: 0
    .sgpr_count:     0
    .sgpr_spill_count: 0
    .symbol:         _ZN7rocprim17ROCPRIM_400000_NS6detail17trampoline_kernelINS0_14default_configENS1_22reduce_config_selectorIbEEZNS1_11reduce_implILb1ES3_N6hipcub16HIPCUB_304000_NS22TransformInputIteratorIbN2at6native12_GLOBAL__N_19NonZeroOpIaEEPKalEEPiiNS8_6detail34convert_binary_result_type_wrapperINS8_3SumESH_iEEEE10hipError_tPvRmT1_T2_T3_mT4_P12ihipStream_tbEUlT_E1_NS1_11comp_targetILNS1_3genE5ELNS1_11target_archE942ELNS1_3gpuE9ELNS1_3repE0EEENS1_30default_config_static_selectorELNS0_4arch9wavefront6targetE0EEEvSQ_.kd
    .uniform_work_group_size: 1
    .uses_dynamic_stack: false
    .vgpr_count:     0
    .vgpr_spill_count: 0
    .wavefront_size: 32
    .workgroup_processor_mode: 1
  - .args:
      - .offset:         0
        .size:           48
        .value_kind:     by_value
    .group_segment_fixed_size: 0
    .kernarg_segment_align: 8
    .kernarg_segment_size: 48
    .language:       OpenCL C
    .language_version:
      - 2
      - 0
    .max_flat_workgroup_size: 128
    .name:           _ZN7rocprim17ROCPRIM_400000_NS6detail17trampoline_kernelINS0_14default_configENS1_22reduce_config_selectorIbEEZNS1_11reduce_implILb1ES3_N6hipcub16HIPCUB_304000_NS22TransformInputIteratorIbN2at6native12_GLOBAL__N_19NonZeroOpIaEEPKalEEPiiNS8_6detail34convert_binary_result_type_wrapperINS8_3SumESH_iEEEE10hipError_tPvRmT1_T2_T3_mT4_P12ihipStream_tbEUlT_E1_NS1_11comp_targetILNS1_3genE4ELNS1_11target_archE910ELNS1_3gpuE8ELNS1_3repE0EEENS1_30default_config_static_selectorELNS0_4arch9wavefront6targetE0EEEvSQ_
    .private_segment_fixed_size: 0
    .sgpr_count:     0
    .sgpr_spill_count: 0
    .symbol:         _ZN7rocprim17ROCPRIM_400000_NS6detail17trampoline_kernelINS0_14default_configENS1_22reduce_config_selectorIbEEZNS1_11reduce_implILb1ES3_N6hipcub16HIPCUB_304000_NS22TransformInputIteratorIbN2at6native12_GLOBAL__N_19NonZeroOpIaEEPKalEEPiiNS8_6detail34convert_binary_result_type_wrapperINS8_3SumESH_iEEEE10hipError_tPvRmT1_T2_T3_mT4_P12ihipStream_tbEUlT_E1_NS1_11comp_targetILNS1_3genE4ELNS1_11target_archE910ELNS1_3gpuE8ELNS1_3repE0EEENS1_30default_config_static_selectorELNS0_4arch9wavefront6targetE0EEEvSQ_.kd
    .uniform_work_group_size: 1
    .uses_dynamic_stack: false
    .vgpr_count:     0
    .vgpr_spill_count: 0
    .wavefront_size: 32
    .workgroup_processor_mode: 1
  - .args:
      - .offset:         0
        .size:           48
        .value_kind:     by_value
    .group_segment_fixed_size: 0
    .kernarg_segment_align: 8
    .kernarg_segment_size: 48
    .language:       OpenCL C
    .language_version:
      - 2
      - 0
    .max_flat_workgroup_size: 256
    .name:           _ZN7rocprim17ROCPRIM_400000_NS6detail17trampoline_kernelINS0_14default_configENS1_22reduce_config_selectorIbEEZNS1_11reduce_implILb1ES3_N6hipcub16HIPCUB_304000_NS22TransformInputIteratorIbN2at6native12_GLOBAL__N_19NonZeroOpIaEEPKalEEPiiNS8_6detail34convert_binary_result_type_wrapperINS8_3SumESH_iEEEE10hipError_tPvRmT1_T2_T3_mT4_P12ihipStream_tbEUlT_E1_NS1_11comp_targetILNS1_3genE3ELNS1_11target_archE908ELNS1_3gpuE7ELNS1_3repE0EEENS1_30default_config_static_selectorELNS0_4arch9wavefront6targetE0EEEvSQ_
    .private_segment_fixed_size: 0
    .sgpr_count:     0
    .sgpr_spill_count: 0
    .symbol:         _ZN7rocprim17ROCPRIM_400000_NS6detail17trampoline_kernelINS0_14default_configENS1_22reduce_config_selectorIbEEZNS1_11reduce_implILb1ES3_N6hipcub16HIPCUB_304000_NS22TransformInputIteratorIbN2at6native12_GLOBAL__N_19NonZeroOpIaEEPKalEEPiiNS8_6detail34convert_binary_result_type_wrapperINS8_3SumESH_iEEEE10hipError_tPvRmT1_T2_T3_mT4_P12ihipStream_tbEUlT_E1_NS1_11comp_targetILNS1_3genE3ELNS1_11target_archE908ELNS1_3gpuE7ELNS1_3repE0EEENS1_30default_config_static_selectorELNS0_4arch9wavefront6targetE0EEEvSQ_.kd
    .uniform_work_group_size: 1
    .uses_dynamic_stack: false
    .vgpr_count:     0
    .vgpr_spill_count: 0
    .wavefront_size: 32
    .workgroup_processor_mode: 1
  - .args:
      - .offset:         0
        .size:           48
        .value_kind:     by_value
    .group_segment_fixed_size: 0
    .kernarg_segment_align: 8
    .kernarg_segment_size: 48
    .language:       OpenCL C
    .language_version:
      - 2
      - 0
    .max_flat_workgroup_size: 128
    .name:           _ZN7rocprim17ROCPRIM_400000_NS6detail17trampoline_kernelINS0_14default_configENS1_22reduce_config_selectorIbEEZNS1_11reduce_implILb1ES3_N6hipcub16HIPCUB_304000_NS22TransformInputIteratorIbN2at6native12_GLOBAL__N_19NonZeroOpIaEEPKalEEPiiNS8_6detail34convert_binary_result_type_wrapperINS8_3SumESH_iEEEE10hipError_tPvRmT1_T2_T3_mT4_P12ihipStream_tbEUlT_E1_NS1_11comp_targetILNS1_3genE2ELNS1_11target_archE906ELNS1_3gpuE6ELNS1_3repE0EEENS1_30default_config_static_selectorELNS0_4arch9wavefront6targetE0EEEvSQ_
    .private_segment_fixed_size: 0
    .sgpr_count:     0
    .sgpr_spill_count: 0
    .symbol:         _ZN7rocprim17ROCPRIM_400000_NS6detail17trampoline_kernelINS0_14default_configENS1_22reduce_config_selectorIbEEZNS1_11reduce_implILb1ES3_N6hipcub16HIPCUB_304000_NS22TransformInputIteratorIbN2at6native12_GLOBAL__N_19NonZeroOpIaEEPKalEEPiiNS8_6detail34convert_binary_result_type_wrapperINS8_3SumESH_iEEEE10hipError_tPvRmT1_T2_T3_mT4_P12ihipStream_tbEUlT_E1_NS1_11comp_targetILNS1_3genE2ELNS1_11target_archE906ELNS1_3gpuE6ELNS1_3repE0EEENS1_30default_config_static_selectorELNS0_4arch9wavefront6targetE0EEEvSQ_.kd
    .uniform_work_group_size: 1
    .uses_dynamic_stack: false
    .vgpr_count:     0
    .vgpr_spill_count: 0
    .wavefront_size: 32
    .workgroup_processor_mode: 1
  - .args:
      - .offset:         0
        .size:           48
        .value_kind:     by_value
    .group_segment_fixed_size: 0
    .kernarg_segment_align: 8
    .kernarg_segment_size: 48
    .language:       OpenCL C
    .language_version:
      - 2
      - 0
    .max_flat_workgroup_size: 256
    .name:           _ZN7rocprim17ROCPRIM_400000_NS6detail17trampoline_kernelINS0_14default_configENS1_22reduce_config_selectorIbEEZNS1_11reduce_implILb1ES3_N6hipcub16HIPCUB_304000_NS22TransformInputIteratorIbN2at6native12_GLOBAL__N_19NonZeroOpIaEEPKalEEPiiNS8_6detail34convert_binary_result_type_wrapperINS8_3SumESH_iEEEE10hipError_tPvRmT1_T2_T3_mT4_P12ihipStream_tbEUlT_E1_NS1_11comp_targetILNS1_3genE10ELNS1_11target_archE1201ELNS1_3gpuE5ELNS1_3repE0EEENS1_30default_config_static_selectorELNS0_4arch9wavefront6targetE0EEEvSQ_
    .private_segment_fixed_size: 0
    .sgpr_count:     0
    .sgpr_spill_count: 0
    .symbol:         _ZN7rocprim17ROCPRIM_400000_NS6detail17trampoline_kernelINS0_14default_configENS1_22reduce_config_selectorIbEEZNS1_11reduce_implILb1ES3_N6hipcub16HIPCUB_304000_NS22TransformInputIteratorIbN2at6native12_GLOBAL__N_19NonZeroOpIaEEPKalEEPiiNS8_6detail34convert_binary_result_type_wrapperINS8_3SumESH_iEEEE10hipError_tPvRmT1_T2_T3_mT4_P12ihipStream_tbEUlT_E1_NS1_11comp_targetILNS1_3genE10ELNS1_11target_archE1201ELNS1_3gpuE5ELNS1_3repE0EEENS1_30default_config_static_selectorELNS0_4arch9wavefront6targetE0EEEvSQ_.kd
    .uniform_work_group_size: 1
    .uses_dynamic_stack: false
    .vgpr_count:     0
    .vgpr_spill_count: 0
    .wavefront_size: 32
    .workgroup_processor_mode: 1
  - .args:
      - .offset:         0
        .size:           48
        .value_kind:     by_value
    .group_segment_fixed_size: 0
    .kernarg_segment_align: 8
    .kernarg_segment_size: 48
    .language:       OpenCL C
    .language_version:
      - 2
      - 0
    .max_flat_workgroup_size: 256
    .name:           _ZN7rocprim17ROCPRIM_400000_NS6detail17trampoline_kernelINS0_14default_configENS1_22reduce_config_selectorIbEEZNS1_11reduce_implILb1ES3_N6hipcub16HIPCUB_304000_NS22TransformInputIteratorIbN2at6native12_GLOBAL__N_19NonZeroOpIaEEPKalEEPiiNS8_6detail34convert_binary_result_type_wrapperINS8_3SumESH_iEEEE10hipError_tPvRmT1_T2_T3_mT4_P12ihipStream_tbEUlT_E1_NS1_11comp_targetILNS1_3genE10ELNS1_11target_archE1200ELNS1_3gpuE4ELNS1_3repE0EEENS1_30default_config_static_selectorELNS0_4arch9wavefront6targetE0EEEvSQ_
    .private_segment_fixed_size: 0
    .sgpr_count:     0
    .sgpr_spill_count: 0
    .symbol:         _ZN7rocprim17ROCPRIM_400000_NS6detail17trampoline_kernelINS0_14default_configENS1_22reduce_config_selectorIbEEZNS1_11reduce_implILb1ES3_N6hipcub16HIPCUB_304000_NS22TransformInputIteratorIbN2at6native12_GLOBAL__N_19NonZeroOpIaEEPKalEEPiiNS8_6detail34convert_binary_result_type_wrapperINS8_3SumESH_iEEEE10hipError_tPvRmT1_T2_T3_mT4_P12ihipStream_tbEUlT_E1_NS1_11comp_targetILNS1_3genE10ELNS1_11target_archE1200ELNS1_3gpuE4ELNS1_3repE0EEENS1_30default_config_static_selectorELNS0_4arch9wavefront6targetE0EEEvSQ_.kd
    .uniform_work_group_size: 1
    .uses_dynamic_stack: false
    .vgpr_count:     0
    .vgpr_spill_count: 0
    .wavefront_size: 32
    .workgroup_processor_mode: 1
  - .args:
      - .offset:         0
        .size:           48
        .value_kind:     by_value
    .group_segment_fixed_size: 144
    .kernarg_segment_align: 8
    .kernarg_segment_size: 48
    .language:       OpenCL C
    .language_version:
      - 2
      - 0
    .max_flat_workgroup_size: 128
    .name:           _ZN7rocprim17ROCPRIM_400000_NS6detail17trampoline_kernelINS0_14default_configENS1_22reduce_config_selectorIbEEZNS1_11reduce_implILb1ES3_N6hipcub16HIPCUB_304000_NS22TransformInputIteratorIbN2at6native12_GLOBAL__N_19NonZeroOpIaEEPKalEEPiiNS8_6detail34convert_binary_result_type_wrapperINS8_3SumESH_iEEEE10hipError_tPvRmT1_T2_T3_mT4_P12ihipStream_tbEUlT_E1_NS1_11comp_targetILNS1_3genE9ELNS1_11target_archE1100ELNS1_3gpuE3ELNS1_3repE0EEENS1_30default_config_static_selectorELNS0_4arch9wavefront6targetE0EEEvSQ_
    .private_segment_fixed_size: 0
    .sgpr_count:     31
    .sgpr_spill_count: 0
    .symbol:         _ZN7rocprim17ROCPRIM_400000_NS6detail17trampoline_kernelINS0_14default_configENS1_22reduce_config_selectorIbEEZNS1_11reduce_implILb1ES3_N6hipcub16HIPCUB_304000_NS22TransformInputIteratorIbN2at6native12_GLOBAL__N_19NonZeroOpIaEEPKalEEPiiNS8_6detail34convert_binary_result_type_wrapperINS8_3SumESH_iEEEE10hipError_tPvRmT1_T2_T3_mT4_P12ihipStream_tbEUlT_E1_NS1_11comp_targetILNS1_3genE9ELNS1_11target_archE1100ELNS1_3gpuE3ELNS1_3repE0EEENS1_30default_config_static_selectorELNS0_4arch9wavefront6targetE0EEEvSQ_.kd
    .uniform_work_group_size: 1
    .uses_dynamic_stack: false
    .vgpr_count:     130
    .vgpr_spill_count: 0
    .wavefront_size: 32
    .workgroup_processor_mode: 1
  - .args:
      - .offset:         0
        .size:           48
        .value_kind:     by_value
    .group_segment_fixed_size: 0
    .kernarg_segment_align: 8
    .kernarg_segment_size: 48
    .language:       OpenCL C
    .language_version:
      - 2
      - 0
    .max_flat_workgroup_size: 256
    .name:           _ZN7rocprim17ROCPRIM_400000_NS6detail17trampoline_kernelINS0_14default_configENS1_22reduce_config_selectorIbEEZNS1_11reduce_implILb1ES3_N6hipcub16HIPCUB_304000_NS22TransformInputIteratorIbN2at6native12_GLOBAL__N_19NonZeroOpIaEEPKalEEPiiNS8_6detail34convert_binary_result_type_wrapperINS8_3SumESH_iEEEE10hipError_tPvRmT1_T2_T3_mT4_P12ihipStream_tbEUlT_E1_NS1_11comp_targetILNS1_3genE8ELNS1_11target_archE1030ELNS1_3gpuE2ELNS1_3repE0EEENS1_30default_config_static_selectorELNS0_4arch9wavefront6targetE0EEEvSQ_
    .private_segment_fixed_size: 0
    .sgpr_count:     0
    .sgpr_spill_count: 0
    .symbol:         _ZN7rocprim17ROCPRIM_400000_NS6detail17trampoline_kernelINS0_14default_configENS1_22reduce_config_selectorIbEEZNS1_11reduce_implILb1ES3_N6hipcub16HIPCUB_304000_NS22TransformInputIteratorIbN2at6native12_GLOBAL__N_19NonZeroOpIaEEPKalEEPiiNS8_6detail34convert_binary_result_type_wrapperINS8_3SumESH_iEEEE10hipError_tPvRmT1_T2_T3_mT4_P12ihipStream_tbEUlT_E1_NS1_11comp_targetILNS1_3genE8ELNS1_11target_archE1030ELNS1_3gpuE2ELNS1_3repE0EEENS1_30default_config_static_selectorELNS0_4arch9wavefront6targetE0EEEvSQ_.kd
    .uniform_work_group_size: 1
    .uses_dynamic_stack: false
    .vgpr_count:     0
    .vgpr_spill_count: 0
    .wavefront_size: 32
    .workgroup_processor_mode: 1
  - .args:
      - .offset:         0
        .size:           120
        .value_kind:     by_value
    .group_segment_fixed_size: 0
    .kernarg_segment_align: 8
    .kernarg_segment_size: 120
    .language:       OpenCL C
    .language_version:
      - 2
      - 0
    .max_flat_workgroup_size: 128
    .name:           _ZN7rocprim17ROCPRIM_400000_NS6detail17trampoline_kernelINS0_14default_configENS1_25partition_config_selectorILNS1_17partition_subalgoE5ElNS0_10empty_typeEbEEZZNS1_14partition_implILS5_5ELb0ES3_mN6hipcub16HIPCUB_304000_NS21CountingInputIteratorIllEEPS6_NSA_22TransformInputIteratorIbN2at6native12_GLOBAL__N_19NonZeroOpIaEEPKalEENS0_5tupleIJPlS6_EEENSN_IJSD_SD_EEES6_PiJS6_EEE10hipError_tPvRmT3_T4_T5_T6_T7_T9_mT8_P12ihipStream_tbDpT10_ENKUlT_T0_E_clISt17integral_constantIbLb0EES1B_EEDaS16_S17_EUlS16_E_NS1_11comp_targetILNS1_3genE0ELNS1_11target_archE4294967295ELNS1_3gpuE0ELNS1_3repE0EEENS1_30default_config_static_selectorELNS0_4arch9wavefront6targetE0EEEvT1_
    .private_segment_fixed_size: 0
    .sgpr_count:     0
    .sgpr_spill_count: 0
    .symbol:         _ZN7rocprim17ROCPRIM_400000_NS6detail17trampoline_kernelINS0_14default_configENS1_25partition_config_selectorILNS1_17partition_subalgoE5ElNS0_10empty_typeEbEEZZNS1_14partition_implILS5_5ELb0ES3_mN6hipcub16HIPCUB_304000_NS21CountingInputIteratorIllEEPS6_NSA_22TransformInputIteratorIbN2at6native12_GLOBAL__N_19NonZeroOpIaEEPKalEENS0_5tupleIJPlS6_EEENSN_IJSD_SD_EEES6_PiJS6_EEE10hipError_tPvRmT3_T4_T5_T6_T7_T9_mT8_P12ihipStream_tbDpT10_ENKUlT_T0_E_clISt17integral_constantIbLb0EES1B_EEDaS16_S17_EUlS16_E_NS1_11comp_targetILNS1_3genE0ELNS1_11target_archE4294967295ELNS1_3gpuE0ELNS1_3repE0EEENS1_30default_config_static_selectorELNS0_4arch9wavefront6targetE0EEEvT1_.kd
    .uniform_work_group_size: 1
    .uses_dynamic_stack: false
    .vgpr_count:     0
    .vgpr_spill_count: 0
    .wavefront_size: 32
    .workgroup_processor_mode: 1
  - .args:
      - .offset:         0
        .size:           120
        .value_kind:     by_value
    .group_segment_fixed_size: 0
    .kernarg_segment_align: 8
    .kernarg_segment_size: 120
    .language:       OpenCL C
    .language_version:
      - 2
      - 0
    .max_flat_workgroup_size: 512
    .name:           _ZN7rocprim17ROCPRIM_400000_NS6detail17trampoline_kernelINS0_14default_configENS1_25partition_config_selectorILNS1_17partition_subalgoE5ElNS0_10empty_typeEbEEZZNS1_14partition_implILS5_5ELb0ES3_mN6hipcub16HIPCUB_304000_NS21CountingInputIteratorIllEEPS6_NSA_22TransformInputIteratorIbN2at6native12_GLOBAL__N_19NonZeroOpIaEEPKalEENS0_5tupleIJPlS6_EEENSN_IJSD_SD_EEES6_PiJS6_EEE10hipError_tPvRmT3_T4_T5_T6_T7_T9_mT8_P12ihipStream_tbDpT10_ENKUlT_T0_E_clISt17integral_constantIbLb0EES1B_EEDaS16_S17_EUlS16_E_NS1_11comp_targetILNS1_3genE5ELNS1_11target_archE942ELNS1_3gpuE9ELNS1_3repE0EEENS1_30default_config_static_selectorELNS0_4arch9wavefront6targetE0EEEvT1_
    .private_segment_fixed_size: 0
    .sgpr_count:     0
    .sgpr_spill_count: 0
    .symbol:         _ZN7rocprim17ROCPRIM_400000_NS6detail17trampoline_kernelINS0_14default_configENS1_25partition_config_selectorILNS1_17partition_subalgoE5ElNS0_10empty_typeEbEEZZNS1_14partition_implILS5_5ELb0ES3_mN6hipcub16HIPCUB_304000_NS21CountingInputIteratorIllEEPS6_NSA_22TransformInputIteratorIbN2at6native12_GLOBAL__N_19NonZeroOpIaEEPKalEENS0_5tupleIJPlS6_EEENSN_IJSD_SD_EEES6_PiJS6_EEE10hipError_tPvRmT3_T4_T5_T6_T7_T9_mT8_P12ihipStream_tbDpT10_ENKUlT_T0_E_clISt17integral_constantIbLb0EES1B_EEDaS16_S17_EUlS16_E_NS1_11comp_targetILNS1_3genE5ELNS1_11target_archE942ELNS1_3gpuE9ELNS1_3repE0EEENS1_30default_config_static_selectorELNS0_4arch9wavefront6targetE0EEEvT1_.kd
    .uniform_work_group_size: 1
    .uses_dynamic_stack: false
    .vgpr_count:     0
    .vgpr_spill_count: 0
    .wavefront_size: 32
    .workgroup_processor_mode: 1
  - .args:
      - .offset:         0
        .size:           120
        .value_kind:     by_value
    .group_segment_fixed_size: 0
    .kernarg_segment_align: 8
    .kernarg_segment_size: 120
    .language:       OpenCL C
    .language_version:
      - 2
      - 0
    .max_flat_workgroup_size: 192
    .name:           _ZN7rocprim17ROCPRIM_400000_NS6detail17trampoline_kernelINS0_14default_configENS1_25partition_config_selectorILNS1_17partition_subalgoE5ElNS0_10empty_typeEbEEZZNS1_14partition_implILS5_5ELb0ES3_mN6hipcub16HIPCUB_304000_NS21CountingInputIteratorIllEEPS6_NSA_22TransformInputIteratorIbN2at6native12_GLOBAL__N_19NonZeroOpIaEEPKalEENS0_5tupleIJPlS6_EEENSN_IJSD_SD_EEES6_PiJS6_EEE10hipError_tPvRmT3_T4_T5_T6_T7_T9_mT8_P12ihipStream_tbDpT10_ENKUlT_T0_E_clISt17integral_constantIbLb0EES1B_EEDaS16_S17_EUlS16_E_NS1_11comp_targetILNS1_3genE4ELNS1_11target_archE910ELNS1_3gpuE8ELNS1_3repE0EEENS1_30default_config_static_selectorELNS0_4arch9wavefront6targetE0EEEvT1_
    .private_segment_fixed_size: 0
    .sgpr_count:     0
    .sgpr_spill_count: 0
    .symbol:         _ZN7rocprim17ROCPRIM_400000_NS6detail17trampoline_kernelINS0_14default_configENS1_25partition_config_selectorILNS1_17partition_subalgoE5ElNS0_10empty_typeEbEEZZNS1_14partition_implILS5_5ELb0ES3_mN6hipcub16HIPCUB_304000_NS21CountingInputIteratorIllEEPS6_NSA_22TransformInputIteratorIbN2at6native12_GLOBAL__N_19NonZeroOpIaEEPKalEENS0_5tupleIJPlS6_EEENSN_IJSD_SD_EEES6_PiJS6_EEE10hipError_tPvRmT3_T4_T5_T6_T7_T9_mT8_P12ihipStream_tbDpT10_ENKUlT_T0_E_clISt17integral_constantIbLb0EES1B_EEDaS16_S17_EUlS16_E_NS1_11comp_targetILNS1_3genE4ELNS1_11target_archE910ELNS1_3gpuE8ELNS1_3repE0EEENS1_30default_config_static_selectorELNS0_4arch9wavefront6targetE0EEEvT1_.kd
    .uniform_work_group_size: 1
    .uses_dynamic_stack: false
    .vgpr_count:     0
    .vgpr_spill_count: 0
    .wavefront_size: 32
    .workgroup_processor_mode: 1
  - .args:
      - .offset:         0
        .size:           120
        .value_kind:     by_value
    .group_segment_fixed_size: 0
    .kernarg_segment_align: 8
    .kernarg_segment_size: 120
    .language:       OpenCL C
    .language_version:
      - 2
      - 0
    .max_flat_workgroup_size: 128
    .name:           _ZN7rocprim17ROCPRIM_400000_NS6detail17trampoline_kernelINS0_14default_configENS1_25partition_config_selectorILNS1_17partition_subalgoE5ElNS0_10empty_typeEbEEZZNS1_14partition_implILS5_5ELb0ES3_mN6hipcub16HIPCUB_304000_NS21CountingInputIteratorIllEEPS6_NSA_22TransformInputIteratorIbN2at6native12_GLOBAL__N_19NonZeroOpIaEEPKalEENS0_5tupleIJPlS6_EEENSN_IJSD_SD_EEES6_PiJS6_EEE10hipError_tPvRmT3_T4_T5_T6_T7_T9_mT8_P12ihipStream_tbDpT10_ENKUlT_T0_E_clISt17integral_constantIbLb0EES1B_EEDaS16_S17_EUlS16_E_NS1_11comp_targetILNS1_3genE3ELNS1_11target_archE908ELNS1_3gpuE7ELNS1_3repE0EEENS1_30default_config_static_selectorELNS0_4arch9wavefront6targetE0EEEvT1_
    .private_segment_fixed_size: 0
    .sgpr_count:     0
    .sgpr_spill_count: 0
    .symbol:         _ZN7rocprim17ROCPRIM_400000_NS6detail17trampoline_kernelINS0_14default_configENS1_25partition_config_selectorILNS1_17partition_subalgoE5ElNS0_10empty_typeEbEEZZNS1_14partition_implILS5_5ELb0ES3_mN6hipcub16HIPCUB_304000_NS21CountingInputIteratorIllEEPS6_NSA_22TransformInputIteratorIbN2at6native12_GLOBAL__N_19NonZeroOpIaEEPKalEENS0_5tupleIJPlS6_EEENSN_IJSD_SD_EEES6_PiJS6_EEE10hipError_tPvRmT3_T4_T5_T6_T7_T9_mT8_P12ihipStream_tbDpT10_ENKUlT_T0_E_clISt17integral_constantIbLb0EES1B_EEDaS16_S17_EUlS16_E_NS1_11comp_targetILNS1_3genE3ELNS1_11target_archE908ELNS1_3gpuE7ELNS1_3repE0EEENS1_30default_config_static_selectorELNS0_4arch9wavefront6targetE0EEEvT1_.kd
    .uniform_work_group_size: 1
    .uses_dynamic_stack: false
    .vgpr_count:     0
    .vgpr_spill_count: 0
    .wavefront_size: 32
    .workgroup_processor_mode: 1
  - .args:
      - .offset:         0
        .size:           120
        .value_kind:     by_value
    .group_segment_fixed_size: 0
    .kernarg_segment_align: 8
    .kernarg_segment_size: 120
    .language:       OpenCL C
    .language_version:
      - 2
      - 0
    .max_flat_workgroup_size: 256
    .name:           _ZN7rocprim17ROCPRIM_400000_NS6detail17trampoline_kernelINS0_14default_configENS1_25partition_config_selectorILNS1_17partition_subalgoE5ElNS0_10empty_typeEbEEZZNS1_14partition_implILS5_5ELb0ES3_mN6hipcub16HIPCUB_304000_NS21CountingInputIteratorIllEEPS6_NSA_22TransformInputIteratorIbN2at6native12_GLOBAL__N_19NonZeroOpIaEEPKalEENS0_5tupleIJPlS6_EEENSN_IJSD_SD_EEES6_PiJS6_EEE10hipError_tPvRmT3_T4_T5_T6_T7_T9_mT8_P12ihipStream_tbDpT10_ENKUlT_T0_E_clISt17integral_constantIbLb0EES1B_EEDaS16_S17_EUlS16_E_NS1_11comp_targetILNS1_3genE2ELNS1_11target_archE906ELNS1_3gpuE6ELNS1_3repE0EEENS1_30default_config_static_selectorELNS0_4arch9wavefront6targetE0EEEvT1_
    .private_segment_fixed_size: 0
    .sgpr_count:     0
    .sgpr_spill_count: 0
    .symbol:         _ZN7rocprim17ROCPRIM_400000_NS6detail17trampoline_kernelINS0_14default_configENS1_25partition_config_selectorILNS1_17partition_subalgoE5ElNS0_10empty_typeEbEEZZNS1_14partition_implILS5_5ELb0ES3_mN6hipcub16HIPCUB_304000_NS21CountingInputIteratorIllEEPS6_NSA_22TransformInputIteratorIbN2at6native12_GLOBAL__N_19NonZeroOpIaEEPKalEENS0_5tupleIJPlS6_EEENSN_IJSD_SD_EEES6_PiJS6_EEE10hipError_tPvRmT3_T4_T5_T6_T7_T9_mT8_P12ihipStream_tbDpT10_ENKUlT_T0_E_clISt17integral_constantIbLb0EES1B_EEDaS16_S17_EUlS16_E_NS1_11comp_targetILNS1_3genE2ELNS1_11target_archE906ELNS1_3gpuE6ELNS1_3repE0EEENS1_30default_config_static_selectorELNS0_4arch9wavefront6targetE0EEEvT1_.kd
    .uniform_work_group_size: 1
    .uses_dynamic_stack: false
    .vgpr_count:     0
    .vgpr_spill_count: 0
    .wavefront_size: 32
    .workgroup_processor_mode: 1
  - .args:
      - .offset:         0
        .size:           120
        .value_kind:     by_value
    .group_segment_fixed_size: 0
    .kernarg_segment_align: 8
    .kernarg_segment_size: 120
    .language:       OpenCL C
    .language_version:
      - 2
      - 0
    .max_flat_workgroup_size: 256
    .name:           _ZN7rocprim17ROCPRIM_400000_NS6detail17trampoline_kernelINS0_14default_configENS1_25partition_config_selectorILNS1_17partition_subalgoE5ElNS0_10empty_typeEbEEZZNS1_14partition_implILS5_5ELb0ES3_mN6hipcub16HIPCUB_304000_NS21CountingInputIteratorIllEEPS6_NSA_22TransformInputIteratorIbN2at6native12_GLOBAL__N_19NonZeroOpIaEEPKalEENS0_5tupleIJPlS6_EEENSN_IJSD_SD_EEES6_PiJS6_EEE10hipError_tPvRmT3_T4_T5_T6_T7_T9_mT8_P12ihipStream_tbDpT10_ENKUlT_T0_E_clISt17integral_constantIbLb0EES1B_EEDaS16_S17_EUlS16_E_NS1_11comp_targetILNS1_3genE10ELNS1_11target_archE1200ELNS1_3gpuE4ELNS1_3repE0EEENS1_30default_config_static_selectorELNS0_4arch9wavefront6targetE0EEEvT1_
    .private_segment_fixed_size: 0
    .sgpr_count:     0
    .sgpr_spill_count: 0
    .symbol:         _ZN7rocprim17ROCPRIM_400000_NS6detail17trampoline_kernelINS0_14default_configENS1_25partition_config_selectorILNS1_17partition_subalgoE5ElNS0_10empty_typeEbEEZZNS1_14partition_implILS5_5ELb0ES3_mN6hipcub16HIPCUB_304000_NS21CountingInputIteratorIllEEPS6_NSA_22TransformInputIteratorIbN2at6native12_GLOBAL__N_19NonZeroOpIaEEPKalEENS0_5tupleIJPlS6_EEENSN_IJSD_SD_EEES6_PiJS6_EEE10hipError_tPvRmT3_T4_T5_T6_T7_T9_mT8_P12ihipStream_tbDpT10_ENKUlT_T0_E_clISt17integral_constantIbLb0EES1B_EEDaS16_S17_EUlS16_E_NS1_11comp_targetILNS1_3genE10ELNS1_11target_archE1200ELNS1_3gpuE4ELNS1_3repE0EEENS1_30default_config_static_selectorELNS0_4arch9wavefront6targetE0EEEvT1_.kd
    .uniform_work_group_size: 1
    .uses_dynamic_stack: false
    .vgpr_count:     0
    .vgpr_spill_count: 0
    .wavefront_size: 32
    .workgroup_processor_mode: 1
  - .args:
      - .offset:         0
        .size:           120
        .value_kind:     by_value
    .group_segment_fixed_size: 6160
    .kernarg_segment_align: 8
    .kernarg_segment_size: 120
    .language:       OpenCL C
    .language_version:
      - 2
      - 0
    .max_flat_workgroup_size: 128
    .name:           _ZN7rocprim17ROCPRIM_400000_NS6detail17trampoline_kernelINS0_14default_configENS1_25partition_config_selectorILNS1_17partition_subalgoE5ElNS0_10empty_typeEbEEZZNS1_14partition_implILS5_5ELb0ES3_mN6hipcub16HIPCUB_304000_NS21CountingInputIteratorIllEEPS6_NSA_22TransformInputIteratorIbN2at6native12_GLOBAL__N_19NonZeroOpIaEEPKalEENS0_5tupleIJPlS6_EEENSN_IJSD_SD_EEES6_PiJS6_EEE10hipError_tPvRmT3_T4_T5_T6_T7_T9_mT8_P12ihipStream_tbDpT10_ENKUlT_T0_E_clISt17integral_constantIbLb0EES1B_EEDaS16_S17_EUlS16_E_NS1_11comp_targetILNS1_3genE9ELNS1_11target_archE1100ELNS1_3gpuE3ELNS1_3repE0EEENS1_30default_config_static_selectorELNS0_4arch9wavefront6targetE0EEEvT1_
    .private_segment_fixed_size: 0
    .sgpr_count:     22
    .sgpr_spill_count: 0
    .symbol:         _ZN7rocprim17ROCPRIM_400000_NS6detail17trampoline_kernelINS0_14default_configENS1_25partition_config_selectorILNS1_17partition_subalgoE5ElNS0_10empty_typeEbEEZZNS1_14partition_implILS5_5ELb0ES3_mN6hipcub16HIPCUB_304000_NS21CountingInputIteratorIllEEPS6_NSA_22TransformInputIteratorIbN2at6native12_GLOBAL__N_19NonZeroOpIaEEPKalEENS0_5tupleIJPlS6_EEENSN_IJSD_SD_EEES6_PiJS6_EEE10hipError_tPvRmT3_T4_T5_T6_T7_T9_mT8_P12ihipStream_tbDpT10_ENKUlT_T0_E_clISt17integral_constantIbLb0EES1B_EEDaS16_S17_EUlS16_E_NS1_11comp_targetILNS1_3genE9ELNS1_11target_archE1100ELNS1_3gpuE3ELNS1_3repE0EEENS1_30default_config_static_selectorELNS0_4arch9wavefront6targetE0EEEvT1_.kd
    .uniform_work_group_size: 1
    .uses_dynamic_stack: false
    .vgpr_count:     57
    .vgpr_spill_count: 0
    .wavefront_size: 32
    .workgroup_processor_mode: 1
  - .args:
      - .offset:         0
        .size:           120
        .value_kind:     by_value
    .group_segment_fixed_size: 0
    .kernarg_segment_align: 8
    .kernarg_segment_size: 120
    .language:       OpenCL C
    .language_version:
      - 2
      - 0
    .max_flat_workgroup_size: 512
    .name:           _ZN7rocprim17ROCPRIM_400000_NS6detail17trampoline_kernelINS0_14default_configENS1_25partition_config_selectorILNS1_17partition_subalgoE5ElNS0_10empty_typeEbEEZZNS1_14partition_implILS5_5ELb0ES3_mN6hipcub16HIPCUB_304000_NS21CountingInputIteratorIllEEPS6_NSA_22TransformInputIteratorIbN2at6native12_GLOBAL__N_19NonZeroOpIaEEPKalEENS0_5tupleIJPlS6_EEENSN_IJSD_SD_EEES6_PiJS6_EEE10hipError_tPvRmT3_T4_T5_T6_T7_T9_mT8_P12ihipStream_tbDpT10_ENKUlT_T0_E_clISt17integral_constantIbLb0EES1B_EEDaS16_S17_EUlS16_E_NS1_11comp_targetILNS1_3genE8ELNS1_11target_archE1030ELNS1_3gpuE2ELNS1_3repE0EEENS1_30default_config_static_selectorELNS0_4arch9wavefront6targetE0EEEvT1_
    .private_segment_fixed_size: 0
    .sgpr_count:     0
    .sgpr_spill_count: 0
    .symbol:         _ZN7rocprim17ROCPRIM_400000_NS6detail17trampoline_kernelINS0_14default_configENS1_25partition_config_selectorILNS1_17partition_subalgoE5ElNS0_10empty_typeEbEEZZNS1_14partition_implILS5_5ELb0ES3_mN6hipcub16HIPCUB_304000_NS21CountingInputIteratorIllEEPS6_NSA_22TransformInputIteratorIbN2at6native12_GLOBAL__N_19NonZeroOpIaEEPKalEENS0_5tupleIJPlS6_EEENSN_IJSD_SD_EEES6_PiJS6_EEE10hipError_tPvRmT3_T4_T5_T6_T7_T9_mT8_P12ihipStream_tbDpT10_ENKUlT_T0_E_clISt17integral_constantIbLb0EES1B_EEDaS16_S17_EUlS16_E_NS1_11comp_targetILNS1_3genE8ELNS1_11target_archE1030ELNS1_3gpuE2ELNS1_3repE0EEENS1_30default_config_static_selectorELNS0_4arch9wavefront6targetE0EEEvT1_.kd
    .uniform_work_group_size: 1
    .uses_dynamic_stack: false
    .vgpr_count:     0
    .vgpr_spill_count: 0
    .wavefront_size: 32
    .workgroup_processor_mode: 1
  - .args:
      - .offset:         0
        .size:           136
        .value_kind:     by_value
    .group_segment_fixed_size: 0
    .kernarg_segment_align: 8
    .kernarg_segment_size: 136
    .language:       OpenCL C
    .language_version:
      - 2
      - 0
    .max_flat_workgroup_size: 128
    .name:           _ZN7rocprim17ROCPRIM_400000_NS6detail17trampoline_kernelINS0_14default_configENS1_25partition_config_selectorILNS1_17partition_subalgoE5ElNS0_10empty_typeEbEEZZNS1_14partition_implILS5_5ELb0ES3_mN6hipcub16HIPCUB_304000_NS21CountingInputIteratorIllEEPS6_NSA_22TransformInputIteratorIbN2at6native12_GLOBAL__N_19NonZeroOpIaEEPKalEENS0_5tupleIJPlS6_EEENSN_IJSD_SD_EEES6_PiJS6_EEE10hipError_tPvRmT3_T4_T5_T6_T7_T9_mT8_P12ihipStream_tbDpT10_ENKUlT_T0_E_clISt17integral_constantIbLb1EES1B_EEDaS16_S17_EUlS16_E_NS1_11comp_targetILNS1_3genE0ELNS1_11target_archE4294967295ELNS1_3gpuE0ELNS1_3repE0EEENS1_30default_config_static_selectorELNS0_4arch9wavefront6targetE0EEEvT1_
    .private_segment_fixed_size: 0
    .sgpr_count:     0
    .sgpr_spill_count: 0
    .symbol:         _ZN7rocprim17ROCPRIM_400000_NS6detail17trampoline_kernelINS0_14default_configENS1_25partition_config_selectorILNS1_17partition_subalgoE5ElNS0_10empty_typeEbEEZZNS1_14partition_implILS5_5ELb0ES3_mN6hipcub16HIPCUB_304000_NS21CountingInputIteratorIllEEPS6_NSA_22TransformInputIteratorIbN2at6native12_GLOBAL__N_19NonZeroOpIaEEPKalEENS0_5tupleIJPlS6_EEENSN_IJSD_SD_EEES6_PiJS6_EEE10hipError_tPvRmT3_T4_T5_T6_T7_T9_mT8_P12ihipStream_tbDpT10_ENKUlT_T0_E_clISt17integral_constantIbLb1EES1B_EEDaS16_S17_EUlS16_E_NS1_11comp_targetILNS1_3genE0ELNS1_11target_archE4294967295ELNS1_3gpuE0ELNS1_3repE0EEENS1_30default_config_static_selectorELNS0_4arch9wavefront6targetE0EEEvT1_.kd
    .uniform_work_group_size: 1
    .uses_dynamic_stack: false
    .vgpr_count:     0
    .vgpr_spill_count: 0
    .wavefront_size: 32
    .workgroup_processor_mode: 1
  - .args:
      - .offset:         0
        .size:           136
        .value_kind:     by_value
    .group_segment_fixed_size: 0
    .kernarg_segment_align: 8
    .kernarg_segment_size: 136
    .language:       OpenCL C
    .language_version:
      - 2
      - 0
    .max_flat_workgroup_size: 512
    .name:           _ZN7rocprim17ROCPRIM_400000_NS6detail17trampoline_kernelINS0_14default_configENS1_25partition_config_selectorILNS1_17partition_subalgoE5ElNS0_10empty_typeEbEEZZNS1_14partition_implILS5_5ELb0ES3_mN6hipcub16HIPCUB_304000_NS21CountingInputIteratorIllEEPS6_NSA_22TransformInputIteratorIbN2at6native12_GLOBAL__N_19NonZeroOpIaEEPKalEENS0_5tupleIJPlS6_EEENSN_IJSD_SD_EEES6_PiJS6_EEE10hipError_tPvRmT3_T4_T5_T6_T7_T9_mT8_P12ihipStream_tbDpT10_ENKUlT_T0_E_clISt17integral_constantIbLb1EES1B_EEDaS16_S17_EUlS16_E_NS1_11comp_targetILNS1_3genE5ELNS1_11target_archE942ELNS1_3gpuE9ELNS1_3repE0EEENS1_30default_config_static_selectorELNS0_4arch9wavefront6targetE0EEEvT1_
    .private_segment_fixed_size: 0
    .sgpr_count:     0
    .sgpr_spill_count: 0
    .symbol:         _ZN7rocprim17ROCPRIM_400000_NS6detail17trampoline_kernelINS0_14default_configENS1_25partition_config_selectorILNS1_17partition_subalgoE5ElNS0_10empty_typeEbEEZZNS1_14partition_implILS5_5ELb0ES3_mN6hipcub16HIPCUB_304000_NS21CountingInputIteratorIllEEPS6_NSA_22TransformInputIteratorIbN2at6native12_GLOBAL__N_19NonZeroOpIaEEPKalEENS0_5tupleIJPlS6_EEENSN_IJSD_SD_EEES6_PiJS6_EEE10hipError_tPvRmT3_T4_T5_T6_T7_T9_mT8_P12ihipStream_tbDpT10_ENKUlT_T0_E_clISt17integral_constantIbLb1EES1B_EEDaS16_S17_EUlS16_E_NS1_11comp_targetILNS1_3genE5ELNS1_11target_archE942ELNS1_3gpuE9ELNS1_3repE0EEENS1_30default_config_static_selectorELNS0_4arch9wavefront6targetE0EEEvT1_.kd
    .uniform_work_group_size: 1
    .uses_dynamic_stack: false
    .vgpr_count:     0
    .vgpr_spill_count: 0
    .wavefront_size: 32
    .workgroup_processor_mode: 1
  - .args:
      - .offset:         0
        .size:           136
        .value_kind:     by_value
    .group_segment_fixed_size: 0
    .kernarg_segment_align: 8
    .kernarg_segment_size: 136
    .language:       OpenCL C
    .language_version:
      - 2
      - 0
    .max_flat_workgroup_size: 192
    .name:           _ZN7rocprim17ROCPRIM_400000_NS6detail17trampoline_kernelINS0_14default_configENS1_25partition_config_selectorILNS1_17partition_subalgoE5ElNS0_10empty_typeEbEEZZNS1_14partition_implILS5_5ELb0ES3_mN6hipcub16HIPCUB_304000_NS21CountingInputIteratorIllEEPS6_NSA_22TransformInputIteratorIbN2at6native12_GLOBAL__N_19NonZeroOpIaEEPKalEENS0_5tupleIJPlS6_EEENSN_IJSD_SD_EEES6_PiJS6_EEE10hipError_tPvRmT3_T4_T5_T6_T7_T9_mT8_P12ihipStream_tbDpT10_ENKUlT_T0_E_clISt17integral_constantIbLb1EES1B_EEDaS16_S17_EUlS16_E_NS1_11comp_targetILNS1_3genE4ELNS1_11target_archE910ELNS1_3gpuE8ELNS1_3repE0EEENS1_30default_config_static_selectorELNS0_4arch9wavefront6targetE0EEEvT1_
    .private_segment_fixed_size: 0
    .sgpr_count:     0
    .sgpr_spill_count: 0
    .symbol:         _ZN7rocprim17ROCPRIM_400000_NS6detail17trampoline_kernelINS0_14default_configENS1_25partition_config_selectorILNS1_17partition_subalgoE5ElNS0_10empty_typeEbEEZZNS1_14partition_implILS5_5ELb0ES3_mN6hipcub16HIPCUB_304000_NS21CountingInputIteratorIllEEPS6_NSA_22TransformInputIteratorIbN2at6native12_GLOBAL__N_19NonZeroOpIaEEPKalEENS0_5tupleIJPlS6_EEENSN_IJSD_SD_EEES6_PiJS6_EEE10hipError_tPvRmT3_T4_T5_T6_T7_T9_mT8_P12ihipStream_tbDpT10_ENKUlT_T0_E_clISt17integral_constantIbLb1EES1B_EEDaS16_S17_EUlS16_E_NS1_11comp_targetILNS1_3genE4ELNS1_11target_archE910ELNS1_3gpuE8ELNS1_3repE0EEENS1_30default_config_static_selectorELNS0_4arch9wavefront6targetE0EEEvT1_.kd
    .uniform_work_group_size: 1
    .uses_dynamic_stack: false
    .vgpr_count:     0
    .vgpr_spill_count: 0
    .wavefront_size: 32
    .workgroup_processor_mode: 1
  - .args:
      - .offset:         0
        .size:           136
        .value_kind:     by_value
    .group_segment_fixed_size: 0
    .kernarg_segment_align: 8
    .kernarg_segment_size: 136
    .language:       OpenCL C
    .language_version:
      - 2
      - 0
    .max_flat_workgroup_size: 128
    .name:           _ZN7rocprim17ROCPRIM_400000_NS6detail17trampoline_kernelINS0_14default_configENS1_25partition_config_selectorILNS1_17partition_subalgoE5ElNS0_10empty_typeEbEEZZNS1_14partition_implILS5_5ELb0ES3_mN6hipcub16HIPCUB_304000_NS21CountingInputIteratorIllEEPS6_NSA_22TransformInputIteratorIbN2at6native12_GLOBAL__N_19NonZeroOpIaEEPKalEENS0_5tupleIJPlS6_EEENSN_IJSD_SD_EEES6_PiJS6_EEE10hipError_tPvRmT3_T4_T5_T6_T7_T9_mT8_P12ihipStream_tbDpT10_ENKUlT_T0_E_clISt17integral_constantIbLb1EES1B_EEDaS16_S17_EUlS16_E_NS1_11comp_targetILNS1_3genE3ELNS1_11target_archE908ELNS1_3gpuE7ELNS1_3repE0EEENS1_30default_config_static_selectorELNS0_4arch9wavefront6targetE0EEEvT1_
    .private_segment_fixed_size: 0
    .sgpr_count:     0
    .sgpr_spill_count: 0
    .symbol:         _ZN7rocprim17ROCPRIM_400000_NS6detail17trampoline_kernelINS0_14default_configENS1_25partition_config_selectorILNS1_17partition_subalgoE5ElNS0_10empty_typeEbEEZZNS1_14partition_implILS5_5ELb0ES3_mN6hipcub16HIPCUB_304000_NS21CountingInputIteratorIllEEPS6_NSA_22TransformInputIteratorIbN2at6native12_GLOBAL__N_19NonZeroOpIaEEPKalEENS0_5tupleIJPlS6_EEENSN_IJSD_SD_EEES6_PiJS6_EEE10hipError_tPvRmT3_T4_T5_T6_T7_T9_mT8_P12ihipStream_tbDpT10_ENKUlT_T0_E_clISt17integral_constantIbLb1EES1B_EEDaS16_S17_EUlS16_E_NS1_11comp_targetILNS1_3genE3ELNS1_11target_archE908ELNS1_3gpuE7ELNS1_3repE0EEENS1_30default_config_static_selectorELNS0_4arch9wavefront6targetE0EEEvT1_.kd
    .uniform_work_group_size: 1
    .uses_dynamic_stack: false
    .vgpr_count:     0
    .vgpr_spill_count: 0
    .wavefront_size: 32
    .workgroup_processor_mode: 1
  - .args:
      - .offset:         0
        .size:           136
        .value_kind:     by_value
    .group_segment_fixed_size: 0
    .kernarg_segment_align: 8
    .kernarg_segment_size: 136
    .language:       OpenCL C
    .language_version:
      - 2
      - 0
    .max_flat_workgroup_size: 256
    .name:           _ZN7rocprim17ROCPRIM_400000_NS6detail17trampoline_kernelINS0_14default_configENS1_25partition_config_selectorILNS1_17partition_subalgoE5ElNS0_10empty_typeEbEEZZNS1_14partition_implILS5_5ELb0ES3_mN6hipcub16HIPCUB_304000_NS21CountingInputIteratorIllEEPS6_NSA_22TransformInputIteratorIbN2at6native12_GLOBAL__N_19NonZeroOpIaEEPKalEENS0_5tupleIJPlS6_EEENSN_IJSD_SD_EEES6_PiJS6_EEE10hipError_tPvRmT3_T4_T5_T6_T7_T9_mT8_P12ihipStream_tbDpT10_ENKUlT_T0_E_clISt17integral_constantIbLb1EES1B_EEDaS16_S17_EUlS16_E_NS1_11comp_targetILNS1_3genE2ELNS1_11target_archE906ELNS1_3gpuE6ELNS1_3repE0EEENS1_30default_config_static_selectorELNS0_4arch9wavefront6targetE0EEEvT1_
    .private_segment_fixed_size: 0
    .sgpr_count:     0
    .sgpr_spill_count: 0
    .symbol:         _ZN7rocprim17ROCPRIM_400000_NS6detail17trampoline_kernelINS0_14default_configENS1_25partition_config_selectorILNS1_17partition_subalgoE5ElNS0_10empty_typeEbEEZZNS1_14partition_implILS5_5ELb0ES3_mN6hipcub16HIPCUB_304000_NS21CountingInputIteratorIllEEPS6_NSA_22TransformInputIteratorIbN2at6native12_GLOBAL__N_19NonZeroOpIaEEPKalEENS0_5tupleIJPlS6_EEENSN_IJSD_SD_EEES6_PiJS6_EEE10hipError_tPvRmT3_T4_T5_T6_T7_T9_mT8_P12ihipStream_tbDpT10_ENKUlT_T0_E_clISt17integral_constantIbLb1EES1B_EEDaS16_S17_EUlS16_E_NS1_11comp_targetILNS1_3genE2ELNS1_11target_archE906ELNS1_3gpuE6ELNS1_3repE0EEENS1_30default_config_static_selectorELNS0_4arch9wavefront6targetE0EEEvT1_.kd
    .uniform_work_group_size: 1
    .uses_dynamic_stack: false
    .vgpr_count:     0
    .vgpr_spill_count: 0
    .wavefront_size: 32
    .workgroup_processor_mode: 1
  - .args:
      - .offset:         0
        .size:           136
        .value_kind:     by_value
    .group_segment_fixed_size: 0
    .kernarg_segment_align: 8
    .kernarg_segment_size: 136
    .language:       OpenCL C
    .language_version:
      - 2
      - 0
    .max_flat_workgroup_size: 256
    .name:           _ZN7rocprim17ROCPRIM_400000_NS6detail17trampoline_kernelINS0_14default_configENS1_25partition_config_selectorILNS1_17partition_subalgoE5ElNS0_10empty_typeEbEEZZNS1_14partition_implILS5_5ELb0ES3_mN6hipcub16HIPCUB_304000_NS21CountingInputIteratorIllEEPS6_NSA_22TransformInputIteratorIbN2at6native12_GLOBAL__N_19NonZeroOpIaEEPKalEENS0_5tupleIJPlS6_EEENSN_IJSD_SD_EEES6_PiJS6_EEE10hipError_tPvRmT3_T4_T5_T6_T7_T9_mT8_P12ihipStream_tbDpT10_ENKUlT_T0_E_clISt17integral_constantIbLb1EES1B_EEDaS16_S17_EUlS16_E_NS1_11comp_targetILNS1_3genE10ELNS1_11target_archE1200ELNS1_3gpuE4ELNS1_3repE0EEENS1_30default_config_static_selectorELNS0_4arch9wavefront6targetE0EEEvT1_
    .private_segment_fixed_size: 0
    .sgpr_count:     0
    .sgpr_spill_count: 0
    .symbol:         _ZN7rocprim17ROCPRIM_400000_NS6detail17trampoline_kernelINS0_14default_configENS1_25partition_config_selectorILNS1_17partition_subalgoE5ElNS0_10empty_typeEbEEZZNS1_14partition_implILS5_5ELb0ES3_mN6hipcub16HIPCUB_304000_NS21CountingInputIteratorIllEEPS6_NSA_22TransformInputIteratorIbN2at6native12_GLOBAL__N_19NonZeroOpIaEEPKalEENS0_5tupleIJPlS6_EEENSN_IJSD_SD_EEES6_PiJS6_EEE10hipError_tPvRmT3_T4_T5_T6_T7_T9_mT8_P12ihipStream_tbDpT10_ENKUlT_T0_E_clISt17integral_constantIbLb1EES1B_EEDaS16_S17_EUlS16_E_NS1_11comp_targetILNS1_3genE10ELNS1_11target_archE1200ELNS1_3gpuE4ELNS1_3repE0EEENS1_30default_config_static_selectorELNS0_4arch9wavefront6targetE0EEEvT1_.kd
    .uniform_work_group_size: 1
    .uses_dynamic_stack: false
    .vgpr_count:     0
    .vgpr_spill_count: 0
    .wavefront_size: 32
    .workgroup_processor_mode: 1
  - .args:
      - .offset:         0
        .size:           136
        .value_kind:     by_value
    .group_segment_fixed_size: 6160
    .kernarg_segment_align: 8
    .kernarg_segment_size: 136
    .language:       OpenCL C
    .language_version:
      - 2
      - 0
    .max_flat_workgroup_size: 128
    .name:           _ZN7rocprim17ROCPRIM_400000_NS6detail17trampoline_kernelINS0_14default_configENS1_25partition_config_selectorILNS1_17partition_subalgoE5ElNS0_10empty_typeEbEEZZNS1_14partition_implILS5_5ELb0ES3_mN6hipcub16HIPCUB_304000_NS21CountingInputIteratorIllEEPS6_NSA_22TransformInputIteratorIbN2at6native12_GLOBAL__N_19NonZeroOpIaEEPKalEENS0_5tupleIJPlS6_EEENSN_IJSD_SD_EEES6_PiJS6_EEE10hipError_tPvRmT3_T4_T5_T6_T7_T9_mT8_P12ihipStream_tbDpT10_ENKUlT_T0_E_clISt17integral_constantIbLb1EES1B_EEDaS16_S17_EUlS16_E_NS1_11comp_targetILNS1_3genE9ELNS1_11target_archE1100ELNS1_3gpuE3ELNS1_3repE0EEENS1_30default_config_static_selectorELNS0_4arch9wavefront6targetE0EEEvT1_
    .private_segment_fixed_size: 0
    .sgpr_count:     25
    .sgpr_spill_count: 0
    .symbol:         _ZN7rocprim17ROCPRIM_400000_NS6detail17trampoline_kernelINS0_14default_configENS1_25partition_config_selectorILNS1_17partition_subalgoE5ElNS0_10empty_typeEbEEZZNS1_14partition_implILS5_5ELb0ES3_mN6hipcub16HIPCUB_304000_NS21CountingInputIteratorIllEEPS6_NSA_22TransformInputIteratorIbN2at6native12_GLOBAL__N_19NonZeroOpIaEEPKalEENS0_5tupleIJPlS6_EEENSN_IJSD_SD_EEES6_PiJS6_EEE10hipError_tPvRmT3_T4_T5_T6_T7_T9_mT8_P12ihipStream_tbDpT10_ENKUlT_T0_E_clISt17integral_constantIbLb1EES1B_EEDaS16_S17_EUlS16_E_NS1_11comp_targetILNS1_3genE9ELNS1_11target_archE1100ELNS1_3gpuE3ELNS1_3repE0EEENS1_30default_config_static_selectorELNS0_4arch9wavefront6targetE0EEEvT1_.kd
    .uniform_work_group_size: 1
    .uses_dynamic_stack: false
    .vgpr_count:     57
    .vgpr_spill_count: 0
    .wavefront_size: 32
    .workgroup_processor_mode: 1
  - .args:
      - .offset:         0
        .size:           136
        .value_kind:     by_value
    .group_segment_fixed_size: 0
    .kernarg_segment_align: 8
    .kernarg_segment_size: 136
    .language:       OpenCL C
    .language_version:
      - 2
      - 0
    .max_flat_workgroup_size: 512
    .name:           _ZN7rocprim17ROCPRIM_400000_NS6detail17trampoline_kernelINS0_14default_configENS1_25partition_config_selectorILNS1_17partition_subalgoE5ElNS0_10empty_typeEbEEZZNS1_14partition_implILS5_5ELb0ES3_mN6hipcub16HIPCUB_304000_NS21CountingInputIteratorIllEEPS6_NSA_22TransformInputIteratorIbN2at6native12_GLOBAL__N_19NonZeroOpIaEEPKalEENS0_5tupleIJPlS6_EEENSN_IJSD_SD_EEES6_PiJS6_EEE10hipError_tPvRmT3_T4_T5_T6_T7_T9_mT8_P12ihipStream_tbDpT10_ENKUlT_T0_E_clISt17integral_constantIbLb1EES1B_EEDaS16_S17_EUlS16_E_NS1_11comp_targetILNS1_3genE8ELNS1_11target_archE1030ELNS1_3gpuE2ELNS1_3repE0EEENS1_30default_config_static_selectorELNS0_4arch9wavefront6targetE0EEEvT1_
    .private_segment_fixed_size: 0
    .sgpr_count:     0
    .sgpr_spill_count: 0
    .symbol:         _ZN7rocprim17ROCPRIM_400000_NS6detail17trampoline_kernelINS0_14default_configENS1_25partition_config_selectorILNS1_17partition_subalgoE5ElNS0_10empty_typeEbEEZZNS1_14partition_implILS5_5ELb0ES3_mN6hipcub16HIPCUB_304000_NS21CountingInputIteratorIllEEPS6_NSA_22TransformInputIteratorIbN2at6native12_GLOBAL__N_19NonZeroOpIaEEPKalEENS0_5tupleIJPlS6_EEENSN_IJSD_SD_EEES6_PiJS6_EEE10hipError_tPvRmT3_T4_T5_T6_T7_T9_mT8_P12ihipStream_tbDpT10_ENKUlT_T0_E_clISt17integral_constantIbLb1EES1B_EEDaS16_S17_EUlS16_E_NS1_11comp_targetILNS1_3genE8ELNS1_11target_archE1030ELNS1_3gpuE2ELNS1_3repE0EEENS1_30default_config_static_selectorELNS0_4arch9wavefront6targetE0EEEvT1_.kd
    .uniform_work_group_size: 1
    .uses_dynamic_stack: false
    .vgpr_count:     0
    .vgpr_spill_count: 0
    .wavefront_size: 32
    .workgroup_processor_mode: 1
  - .args:
      - .offset:         0
        .size:           120
        .value_kind:     by_value
    .group_segment_fixed_size: 0
    .kernarg_segment_align: 8
    .kernarg_segment_size: 120
    .language:       OpenCL C
    .language_version:
      - 2
      - 0
    .max_flat_workgroup_size: 128
    .name:           _ZN7rocprim17ROCPRIM_400000_NS6detail17trampoline_kernelINS0_14default_configENS1_25partition_config_selectorILNS1_17partition_subalgoE5ElNS0_10empty_typeEbEEZZNS1_14partition_implILS5_5ELb0ES3_mN6hipcub16HIPCUB_304000_NS21CountingInputIteratorIllEEPS6_NSA_22TransformInputIteratorIbN2at6native12_GLOBAL__N_19NonZeroOpIaEEPKalEENS0_5tupleIJPlS6_EEENSN_IJSD_SD_EEES6_PiJS6_EEE10hipError_tPvRmT3_T4_T5_T6_T7_T9_mT8_P12ihipStream_tbDpT10_ENKUlT_T0_E_clISt17integral_constantIbLb1EES1A_IbLb0EEEEDaS16_S17_EUlS16_E_NS1_11comp_targetILNS1_3genE0ELNS1_11target_archE4294967295ELNS1_3gpuE0ELNS1_3repE0EEENS1_30default_config_static_selectorELNS0_4arch9wavefront6targetE0EEEvT1_
    .private_segment_fixed_size: 0
    .sgpr_count:     0
    .sgpr_spill_count: 0
    .symbol:         _ZN7rocprim17ROCPRIM_400000_NS6detail17trampoline_kernelINS0_14default_configENS1_25partition_config_selectorILNS1_17partition_subalgoE5ElNS0_10empty_typeEbEEZZNS1_14partition_implILS5_5ELb0ES3_mN6hipcub16HIPCUB_304000_NS21CountingInputIteratorIllEEPS6_NSA_22TransformInputIteratorIbN2at6native12_GLOBAL__N_19NonZeroOpIaEEPKalEENS0_5tupleIJPlS6_EEENSN_IJSD_SD_EEES6_PiJS6_EEE10hipError_tPvRmT3_T4_T5_T6_T7_T9_mT8_P12ihipStream_tbDpT10_ENKUlT_T0_E_clISt17integral_constantIbLb1EES1A_IbLb0EEEEDaS16_S17_EUlS16_E_NS1_11comp_targetILNS1_3genE0ELNS1_11target_archE4294967295ELNS1_3gpuE0ELNS1_3repE0EEENS1_30default_config_static_selectorELNS0_4arch9wavefront6targetE0EEEvT1_.kd
    .uniform_work_group_size: 1
    .uses_dynamic_stack: false
    .vgpr_count:     0
    .vgpr_spill_count: 0
    .wavefront_size: 32
    .workgroup_processor_mode: 1
  - .args:
      - .offset:         0
        .size:           120
        .value_kind:     by_value
    .group_segment_fixed_size: 0
    .kernarg_segment_align: 8
    .kernarg_segment_size: 120
    .language:       OpenCL C
    .language_version:
      - 2
      - 0
    .max_flat_workgroup_size: 512
    .name:           _ZN7rocprim17ROCPRIM_400000_NS6detail17trampoline_kernelINS0_14default_configENS1_25partition_config_selectorILNS1_17partition_subalgoE5ElNS0_10empty_typeEbEEZZNS1_14partition_implILS5_5ELb0ES3_mN6hipcub16HIPCUB_304000_NS21CountingInputIteratorIllEEPS6_NSA_22TransformInputIteratorIbN2at6native12_GLOBAL__N_19NonZeroOpIaEEPKalEENS0_5tupleIJPlS6_EEENSN_IJSD_SD_EEES6_PiJS6_EEE10hipError_tPvRmT3_T4_T5_T6_T7_T9_mT8_P12ihipStream_tbDpT10_ENKUlT_T0_E_clISt17integral_constantIbLb1EES1A_IbLb0EEEEDaS16_S17_EUlS16_E_NS1_11comp_targetILNS1_3genE5ELNS1_11target_archE942ELNS1_3gpuE9ELNS1_3repE0EEENS1_30default_config_static_selectorELNS0_4arch9wavefront6targetE0EEEvT1_
    .private_segment_fixed_size: 0
    .sgpr_count:     0
    .sgpr_spill_count: 0
    .symbol:         _ZN7rocprim17ROCPRIM_400000_NS6detail17trampoline_kernelINS0_14default_configENS1_25partition_config_selectorILNS1_17partition_subalgoE5ElNS0_10empty_typeEbEEZZNS1_14partition_implILS5_5ELb0ES3_mN6hipcub16HIPCUB_304000_NS21CountingInputIteratorIllEEPS6_NSA_22TransformInputIteratorIbN2at6native12_GLOBAL__N_19NonZeroOpIaEEPKalEENS0_5tupleIJPlS6_EEENSN_IJSD_SD_EEES6_PiJS6_EEE10hipError_tPvRmT3_T4_T5_T6_T7_T9_mT8_P12ihipStream_tbDpT10_ENKUlT_T0_E_clISt17integral_constantIbLb1EES1A_IbLb0EEEEDaS16_S17_EUlS16_E_NS1_11comp_targetILNS1_3genE5ELNS1_11target_archE942ELNS1_3gpuE9ELNS1_3repE0EEENS1_30default_config_static_selectorELNS0_4arch9wavefront6targetE0EEEvT1_.kd
    .uniform_work_group_size: 1
    .uses_dynamic_stack: false
    .vgpr_count:     0
    .vgpr_spill_count: 0
    .wavefront_size: 32
    .workgroup_processor_mode: 1
  - .args:
      - .offset:         0
        .size:           120
        .value_kind:     by_value
    .group_segment_fixed_size: 0
    .kernarg_segment_align: 8
    .kernarg_segment_size: 120
    .language:       OpenCL C
    .language_version:
      - 2
      - 0
    .max_flat_workgroup_size: 192
    .name:           _ZN7rocprim17ROCPRIM_400000_NS6detail17trampoline_kernelINS0_14default_configENS1_25partition_config_selectorILNS1_17partition_subalgoE5ElNS0_10empty_typeEbEEZZNS1_14partition_implILS5_5ELb0ES3_mN6hipcub16HIPCUB_304000_NS21CountingInputIteratorIllEEPS6_NSA_22TransformInputIteratorIbN2at6native12_GLOBAL__N_19NonZeroOpIaEEPKalEENS0_5tupleIJPlS6_EEENSN_IJSD_SD_EEES6_PiJS6_EEE10hipError_tPvRmT3_T4_T5_T6_T7_T9_mT8_P12ihipStream_tbDpT10_ENKUlT_T0_E_clISt17integral_constantIbLb1EES1A_IbLb0EEEEDaS16_S17_EUlS16_E_NS1_11comp_targetILNS1_3genE4ELNS1_11target_archE910ELNS1_3gpuE8ELNS1_3repE0EEENS1_30default_config_static_selectorELNS0_4arch9wavefront6targetE0EEEvT1_
    .private_segment_fixed_size: 0
    .sgpr_count:     0
    .sgpr_spill_count: 0
    .symbol:         _ZN7rocprim17ROCPRIM_400000_NS6detail17trampoline_kernelINS0_14default_configENS1_25partition_config_selectorILNS1_17partition_subalgoE5ElNS0_10empty_typeEbEEZZNS1_14partition_implILS5_5ELb0ES3_mN6hipcub16HIPCUB_304000_NS21CountingInputIteratorIllEEPS6_NSA_22TransformInputIteratorIbN2at6native12_GLOBAL__N_19NonZeroOpIaEEPKalEENS0_5tupleIJPlS6_EEENSN_IJSD_SD_EEES6_PiJS6_EEE10hipError_tPvRmT3_T4_T5_T6_T7_T9_mT8_P12ihipStream_tbDpT10_ENKUlT_T0_E_clISt17integral_constantIbLb1EES1A_IbLb0EEEEDaS16_S17_EUlS16_E_NS1_11comp_targetILNS1_3genE4ELNS1_11target_archE910ELNS1_3gpuE8ELNS1_3repE0EEENS1_30default_config_static_selectorELNS0_4arch9wavefront6targetE0EEEvT1_.kd
    .uniform_work_group_size: 1
    .uses_dynamic_stack: false
    .vgpr_count:     0
    .vgpr_spill_count: 0
    .wavefront_size: 32
    .workgroup_processor_mode: 1
  - .args:
      - .offset:         0
        .size:           120
        .value_kind:     by_value
    .group_segment_fixed_size: 0
    .kernarg_segment_align: 8
    .kernarg_segment_size: 120
    .language:       OpenCL C
    .language_version:
      - 2
      - 0
    .max_flat_workgroup_size: 128
    .name:           _ZN7rocprim17ROCPRIM_400000_NS6detail17trampoline_kernelINS0_14default_configENS1_25partition_config_selectorILNS1_17partition_subalgoE5ElNS0_10empty_typeEbEEZZNS1_14partition_implILS5_5ELb0ES3_mN6hipcub16HIPCUB_304000_NS21CountingInputIteratorIllEEPS6_NSA_22TransformInputIteratorIbN2at6native12_GLOBAL__N_19NonZeroOpIaEEPKalEENS0_5tupleIJPlS6_EEENSN_IJSD_SD_EEES6_PiJS6_EEE10hipError_tPvRmT3_T4_T5_T6_T7_T9_mT8_P12ihipStream_tbDpT10_ENKUlT_T0_E_clISt17integral_constantIbLb1EES1A_IbLb0EEEEDaS16_S17_EUlS16_E_NS1_11comp_targetILNS1_3genE3ELNS1_11target_archE908ELNS1_3gpuE7ELNS1_3repE0EEENS1_30default_config_static_selectorELNS0_4arch9wavefront6targetE0EEEvT1_
    .private_segment_fixed_size: 0
    .sgpr_count:     0
    .sgpr_spill_count: 0
    .symbol:         _ZN7rocprim17ROCPRIM_400000_NS6detail17trampoline_kernelINS0_14default_configENS1_25partition_config_selectorILNS1_17partition_subalgoE5ElNS0_10empty_typeEbEEZZNS1_14partition_implILS5_5ELb0ES3_mN6hipcub16HIPCUB_304000_NS21CountingInputIteratorIllEEPS6_NSA_22TransformInputIteratorIbN2at6native12_GLOBAL__N_19NonZeroOpIaEEPKalEENS0_5tupleIJPlS6_EEENSN_IJSD_SD_EEES6_PiJS6_EEE10hipError_tPvRmT3_T4_T5_T6_T7_T9_mT8_P12ihipStream_tbDpT10_ENKUlT_T0_E_clISt17integral_constantIbLb1EES1A_IbLb0EEEEDaS16_S17_EUlS16_E_NS1_11comp_targetILNS1_3genE3ELNS1_11target_archE908ELNS1_3gpuE7ELNS1_3repE0EEENS1_30default_config_static_selectorELNS0_4arch9wavefront6targetE0EEEvT1_.kd
    .uniform_work_group_size: 1
    .uses_dynamic_stack: false
    .vgpr_count:     0
    .vgpr_spill_count: 0
    .wavefront_size: 32
    .workgroup_processor_mode: 1
  - .args:
      - .offset:         0
        .size:           120
        .value_kind:     by_value
    .group_segment_fixed_size: 0
    .kernarg_segment_align: 8
    .kernarg_segment_size: 120
    .language:       OpenCL C
    .language_version:
      - 2
      - 0
    .max_flat_workgroup_size: 256
    .name:           _ZN7rocprim17ROCPRIM_400000_NS6detail17trampoline_kernelINS0_14default_configENS1_25partition_config_selectorILNS1_17partition_subalgoE5ElNS0_10empty_typeEbEEZZNS1_14partition_implILS5_5ELb0ES3_mN6hipcub16HIPCUB_304000_NS21CountingInputIteratorIllEEPS6_NSA_22TransformInputIteratorIbN2at6native12_GLOBAL__N_19NonZeroOpIaEEPKalEENS0_5tupleIJPlS6_EEENSN_IJSD_SD_EEES6_PiJS6_EEE10hipError_tPvRmT3_T4_T5_T6_T7_T9_mT8_P12ihipStream_tbDpT10_ENKUlT_T0_E_clISt17integral_constantIbLb1EES1A_IbLb0EEEEDaS16_S17_EUlS16_E_NS1_11comp_targetILNS1_3genE2ELNS1_11target_archE906ELNS1_3gpuE6ELNS1_3repE0EEENS1_30default_config_static_selectorELNS0_4arch9wavefront6targetE0EEEvT1_
    .private_segment_fixed_size: 0
    .sgpr_count:     0
    .sgpr_spill_count: 0
    .symbol:         _ZN7rocprim17ROCPRIM_400000_NS6detail17trampoline_kernelINS0_14default_configENS1_25partition_config_selectorILNS1_17partition_subalgoE5ElNS0_10empty_typeEbEEZZNS1_14partition_implILS5_5ELb0ES3_mN6hipcub16HIPCUB_304000_NS21CountingInputIteratorIllEEPS6_NSA_22TransformInputIteratorIbN2at6native12_GLOBAL__N_19NonZeroOpIaEEPKalEENS0_5tupleIJPlS6_EEENSN_IJSD_SD_EEES6_PiJS6_EEE10hipError_tPvRmT3_T4_T5_T6_T7_T9_mT8_P12ihipStream_tbDpT10_ENKUlT_T0_E_clISt17integral_constantIbLb1EES1A_IbLb0EEEEDaS16_S17_EUlS16_E_NS1_11comp_targetILNS1_3genE2ELNS1_11target_archE906ELNS1_3gpuE6ELNS1_3repE0EEENS1_30default_config_static_selectorELNS0_4arch9wavefront6targetE0EEEvT1_.kd
    .uniform_work_group_size: 1
    .uses_dynamic_stack: false
    .vgpr_count:     0
    .vgpr_spill_count: 0
    .wavefront_size: 32
    .workgroup_processor_mode: 1
  - .args:
      - .offset:         0
        .size:           120
        .value_kind:     by_value
    .group_segment_fixed_size: 0
    .kernarg_segment_align: 8
    .kernarg_segment_size: 120
    .language:       OpenCL C
    .language_version:
      - 2
      - 0
    .max_flat_workgroup_size: 256
    .name:           _ZN7rocprim17ROCPRIM_400000_NS6detail17trampoline_kernelINS0_14default_configENS1_25partition_config_selectorILNS1_17partition_subalgoE5ElNS0_10empty_typeEbEEZZNS1_14partition_implILS5_5ELb0ES3_mN6hipcub16HIPCUB_304000_NS21CountingInputIteratorIllEEPS6_NSA_22TransformInputIteratorIbN2at6native12_GLOBAL__N_19NonZeroOpIaEEPKalEENS0_5tupleIJPlS6_EEENSN_IJSD_SD_EEES6_PiJS6_EEE10hipError_tPvRmT3_T4_T5_T6_T7_T9_mT8_P12ihipStream_tbDpT10_ENKUlT_T0_E_clISt17integral_constantIbLb1EES1A_IbLb0EEEEDaS16_S17_EUlS16_E_NS1_11comp_targetILNS1_3genE10ELNS1_11target_archE1200ELNS1_3gpuE4ELNS1_3repE0EEENS1_30default_config_static_selectorELNS0_4arch9wavefront6targetE0EEEvT1_
    .private_segment_fixed_size: 0
    .sgpr_count:     0
    .sgpr_spill_count: 0
    .symbol:         _ZN7rocprim17ROCPRIM_400000_NS6detail17trampoline_kernelINS0_14default_configENS1_25partition_config_selectorILNS1_17partition_subalgoE5ElNS0_10empty_typeEbEEZZNS1_14partition_implILS5_5ELb0ES3_mN6hipcub16HIPCUB_304000_NS21CountingInputIteratorIllEEPS6_NSA_22TransformInputIteratorIbN2at6native12_GLOBAL__N_19NonZeroOpIaEEPKalEENS0_5tupleIJPlS6_EEENSN_IJSD_SD_EEES6_PiJS6_EEE10hipError_tPvRmT3_T4_T5_T6_T7_T9_mT8_P12ihipStream_tbDpT10_ENKUlT_T0_E_clISt17integral_constantIbLb1EES1A_IbLb0EEEEDaS16_S17_EUlS16_E_NS1_11comp_targetILNS1_3genE10ELNS1_11target_archE1200ELNS1_3gpuE4ELNS1_3repE0EEENS1_30default_config_static_selectorELNS0_4arch9wavefront6targetE0EEEvT1_.kd
    .uniform_work_group_size: 1
    .uses_dynamic_stack: false
    .vgpr_count:     0
    .vgpr_spill_count: 0
    .wavefront_size: 32
    .workgroup_processor_mode: 1
  - .args:
      - .offset:         0
        .size:           120
        .value_kind:     by_value
    .group_segment_fixed_size: 6160
    .kernarg_segment_align: 8
    .kernarg_segment_size: 120
    .language:       OpenCL C
    .language_version:
      - 2
      - 0
    .max_flat_workgroup_size: 128
    .name:           _ZN7rocprim17ROCPRIM_400000_NS6detail17trampoline_kernelINS0_14default_configENS1_25partition_config_selectorILNS1_17partition_subalgoE5ElNS0_10empty_typeEbEEZZNS1_14partition_implILS5_5ELb0ES3_mN6hipcub16HIPCUB_304000_NS21CountingInputIteratorIllEEPS6_NSA_22TransformInputIteratorIbN2at6native12_GLOBAL__N_19NonZeroOpIaEEPKalEENS0_5tupleIJPlS6_EEENSN_IJSD_SD_EEES6_PiJS6_EEE10hipError_tPvRmT3_T4_T5_T6_T7_T9_mT8_P12ihipStream_tbDpT10_ENKUlT_T0_E_clISt17integral_constantIbLb1EES1A_IbLb0EEEEDaS16_S17_EUlS16_E_NS1_11comp_targetILNS1_3genE9ELNS1_11target_archE1100ELNS1_3gpuE3ELNS1_3repE0EEENS1_30default_config_static_selectorELNS0_4arch9wavefront6targetE0EEEvT1_
    .private_segment_fixed_size: 0
    .sgpr_count:     22
    .sgpr_spill_count: 0
    .symbol:         _ZN7rocprim17ROCPRIM_400000_NS6detail17trampoline_kernelINS0_14default_configENS1_25partition_config_selectorILNS1_17partition_subalgoE5ElNS0_10empty_typeEbEEZZNS1_14partition_implILS5_5ELb0ES3_mN6hipcub16HIPCUB_304000_NS21CountingInputIteratorIllEEPS6_NSA_22TransformInputIteratorIbN2at6native12_GLOBAL__N_19NonZeroOpIaEEPKalEENS0_5tupleIJPlS6_EEENSN_IJSD_SD_EEES6_PiJS6_EEE10hipError_tPvRmT3_T4_T5_T6_T7_T9_mT8_P12ihipStream_tbDpT10_ENKUlT_T0_E_clISt17integral_constantIbLb1EES1A_IbLb0EEEEDaS16_S17_EUlS16_E_NS1_11comp_targetILNS1_3genE9ELNS1_11target_archE1100ELNS1_3gpuE3ELNS1_3repE0EEENS1_30default_config_static_selectorELNS0_4arch9wavefront6targetE0EEEvT1_.kd
    .uniform_work_group_size: 1
    .uses_dynamic_stack: false
    .vgpr_count:     57
    .vgpr_spill_count: 0
    .wavefront_size: 32
    .workgroup_processor_mode: 1
  - .args:
      - .offset:         0
        .size:           120
        .value_kind:     by_value
    .group_segment_fixed_size: 0
    .kernarg_segment_align: 8
    .kernarg_segment_size: 120
    .language:       OpenCL C
    .language_version:
      - 2
      - 0
    .max_flat_workgroup_size: 512
    .name:           _ZN7rocprim17ROCPRIM_400000_NS6detail17trampoline_kernelINS0_14default_configENS1_25partition_config_selectorILNS1_17partition_subalgoE5ElNS0_10empty_typeEbEEZZNS1_14partition_implILS5_5ELb0ES3_mN6hipcub16HIPCUB_304000_NS21CountingInputIteratorIllEEPS6_NSA_22TransformInputIteratorIbN2at6native12_GLOBAL__N_19NonZeroOpIaEEPKalEENS0_5tupleIJPlS6_EEENSN_IJSD_SD_EEES6_PiJS6_EEE10hipError_tPvRmT3_T4_T5_T6_T7_T9_mT8_P12ihipStream_tbDpT10_ENKUlT_T0_E_clISt17integral_constantIbLb1EES1A_IbLb0EEEEDaS16_S17_EUlS16_E_NS1_11comp_targetILNS1_3genE8ELNS1_11target_archE1030ELNS1_3gpuE2ELNS1_3repE0EEENS1_30default_config_static_selectorELNS0_4arch9wavefront6targetE0EEEvT1_
    .private_segment_fixed_size: 0
    .sgpr_count:     0
    .sgpr_spill_count: 0
    .symbol:         _ZN7rocprim17ROCPRIM_400000_NS6detail17trampoline_kernelINS0_14default_configENS1_25partition_config_selectorILNS1_17partition_subalgoE5ElNS0_10empty_typeEbEEZZNS1_14partition_implILS5_5ELb0ES3_mN6hipcub16HIPCUB_304000_NS21CountingInputIteratorIllEEPS6_NSA_22TransformInputIteratorIbN2at6native12_GLOBAL__N_19NonZeroOpIaEEPKalEENS0_5tupleIJPlS6_EEENSN_IJSD_SD_EEES6_PiJS6_EEE10hipError_tPvRmT3_T4_T5_T6_T7_T9_mT8_P12ihipStream_tbDpT10_ENKUlT_T0_E_clISt17integral_constantIbLb1EES1A_IbLb0EEEEDaS16_S17_EUlS16_E_NS1_11comp_targetILNS1_3genE8ELNS1_11target_archE1030ELNS1_3gpuE2ELNS1_3repE0EEENS1_30default_config_static_selectorELNS0_4arch9wavefront6targetE0EEEvT1_.kd
    .uniform_work_group_size: 1
    .uses_dynamic_stack: false
    .vgpr_count:     0
    .vgpr_spill_count: 0
    .wavefront_size: 32
    .workgroup_processor_mode: 1
  - .args:
      - .offset:         0
        .size:           136
        .value_kind:     by_value
    .group_segment_fixed_size: 0
    .kernarg_segment_align: 8
    .kernarg_segment_size: 136
    .language:       OpenCL C
    .language_version:
      - 2
      - 0
    .max_flat_workgroup_size: 128
    .name:           _ZN7rocprim17ROCPRIM_400000_NS6detail17trampoline_kernelINS0_14default_configENS1_25partition_config_selectorILNS1_17partition_subalgoE5ElNS0_10empty_typeEbEEZZNS1_14partition_implILS5_5ELb0ES3_mN6hipcub16HIPCUB_304000_NS21CountingInputIteratorIllEEPS6_NSA_22TransformInputIteratorIbN2at6native12_GLOBAL__N_19NonZeroOpIaEEPKalEENS0_5tupleIJPlS6_EEENSN_IJSD_SD_EEES6_PiJS6_EEE10hipError_tPvRmT3_T4_T5_T6_T7_T9_mT8_P12ihipStream_tbDpT10_ENKUlT_T0_E_clISt17integral_constantIbLb0EES1A_IbLb1EEEEDaS16_S17_EUlS16_E_NS1_11comp_targetILNS1_3genE0ELNS1_11target_archE4294967295ELNS1_3gpuE0ELNS1_3repE0EEENS1_30default_config_static_selectorELNS0_4arch9wavefront6targetE0EEEvT1_
    .private_segment_fixed_size: 0
    .sgpr_count:     0
    .sgpr_spill_count: 0
    .symbol:         _ZN7rocprim17ROCPRIM_400000_NS6detail17trampoline_kernelINS0_14default_configENS1_25partition_config_selectorILNS1_17partition_subalgoE5ElNS0_10empty_typeEbEEZZNS1_14partition_implILS5_5ELb0ES3_mN6hipcub16HIPCUB_304000_NS21CountingInputIteratorIllEEPS6_NSA_22TransformInputIteratorIbN2at6native12_GLOBAL__N_19NonZeroOpIaEEPKalEENS0_5tupleIJPlS6_EEENSN_IJSD_SD_EEES6_PiJS6_EEE10hipError_tPvRmT3_T4_T5_T6_T7_T9_mT8_P12ihipStream_tbDpT10_ENKUlT_T0_E_clISt17integral_constantIbLb0EES1A_IbLb1EEEEDaS16_S17_EUlS16_E_NS1_11comp_targetILNS1_3genE0ELNS1_11target_archE4294967295ELNS1_3gpuE0ELNS1_3repE0EEENS1_30default_config_static_selectorELNS0_4arch9wavefront6targetE0EEEvT1_.kd
    .uniform_work_group_size: 1
    .uses_dynamic_stack: false
    .vgpr_count:     0
    .vgpr_spill_count: 0
    .wavefront_size: 32
    .workgroup_processor_mode: 1
  - .args:
      - .offset:         0
        .size:           136
        .value_kind:     by_value
    .group_segment_fixed_size: 0
    .kernarg_segment_align: 8
    .kernarg_segment_size: 136
    .language:       OpenCL C
    .language_version:
      - 2
      - 0
    .max_flat_workgroup_size: 512
    .name:           _ZN7rocprim17ROCPRIM_400000_NS6detail17trampoline_kernelINS0_14default_configENS1_25partition_config_selectorILNS1_17partition_subalgoE5ElNS0_10empty_typeEbEEZZNS1_14partition_implILS5_5ELb0ES3_mN6hipcub16HIPCUB_304000_NS21CountingInputIteratorIllEEPS6_NSA_22TransformInputIteratorIbN2at6native12_GLOBAL__N_19NonZeroOpIaEEPKalEENS0_5tupleIJPlS6_EEENSN_IJSD_SD_EEES6_PiJS6_EEE10hipError_tPvRmT3_T4_T5_T6_T7_T9_mT8_P12ihipStream_tbDpT10_ENKUlT_T0_E_clISt17integral_constantIbLb0EES1A_IbLb1EEEEDaS16_S17_EUlS16_E_NS1_11comp_targetILNS1_3genE5ELNS1_11target_archE942ELNS1_3gpuE9ELNS1_3repE0EEENS1_30default_config_static_selectorELNS0_4arch9wavefront6targetE0EEEvT1_
    .private_segment_fixed_size: 0
    .sgpr_count:     0
    .sgpr_spill_count: 0
    .symbol:         _ZN7rocprim17ROCPRIM_400000_NS6detail17trampoline_kernelINS0_14default_configENS1_25partition_config_selectorILNS1_17partition_subalgoE5ElNS0_10empty_typeEbEEZZNS1_14partition_implILS5_5ELb0ES3_mN6hipcub16HIPCUB_304000_NS21CountingInputIteratorIllEEPS6_NSA_22TransformInputIteratorIbN2at6native12_GLOBAL__N_19NonZeroOpIaEEPKalEENS0_5tupleIJPlS6_EEENSN_IJSD_SD_EEES6_PiJS6_EEE10hipError_tPvRmT3_T4_T5_T6_T7_T9_mT8_P12ihipStream_tbDpT10_ENKUlT_T0_E_clISt17integral_constantIbLb0EES1A_IbLb1EEEEDaS16_S17_EUlS16_E_NS1_11comp_targetILNS1_3genE5ELNS1_11target_archE942ELNS1_3gpuE9ELNS1_3repE0EEENS1_30default_config_static_selectorELNS0_4arch9wavefront6targetE0EEEvT1_.kd
    .uniform_work_group_size: 1
    .uses_dynamic_stack: false
    .vgpr_count:     0
    .vgpr_spill_count: 0
    .wavefront_size: 32
    .workgroup_processor_mode: 1
  - .args:
      - .offset:         0
        .size:           136
        .value_kind:     by_value
    .group_segment_fixed_size: 0
    .kernarg_segment_align: 8
    .kernarg_segment_size: 136
    .language:       OpenCL C
    .language_version:
      - 2
      - 0
    .max_flat_workgroup_size: 192
    .name:           _ZN7rocprim17ROCPRIM_400000_NS6detail17trampoline_kernelINS0_14default_configENS1_25partition_config_selectorILNS1_17partition_subalgoE5ElNS0_10empty_typeEbEEZZNS1_14partition_implILS5_5ELb0ES3_mN6hipcub16HIPCUB_304000_NS21CountingInputIteratorIllEEPS6_NSA_22TransformInputIteratorIbN2at6native12_GLOBAL__N_19NonZeroOpIaEEPKalEENS0_5tupleIJPlS6_EEENSN_IJSD_SD_EEES6_PiJS6_EEE10hipError_tPvRmT3_T4_T5_T6_T7_T9_mT8_P12ihipStream_tbDpT10_ENKUlT_T0_E_clISt17integral_constantIbLb0EES1A_IbLb1EEEEDaS16_S17_EUlS16_E_NS1_11comp_targetILNS1_3genE4ELNS1_11target_archE910ELNS1_3gpuE8ELNS1_3repE0EEENS1_30default_config_static_selectorELNS0_4arch9wavefront6targetE0EEEvT1_
    .private_segment_fixed_size: 0
    .sgpr_count:     0
    .sgpr_spill_count: 0
    .symbol:         _ZN7rocprim17ROCPRIM_400000_NS6detail17trampoline_kernelINS0_14default_configENS1_25partition_config_selectorILNS1_17partition_subalgoE5ElNS0_10empty_typeEbEEZZNS1_14partition_implILS5_5ELb0ES3_mN6hipcub16HIPCUB_304000_NS21CountingInputIteratorIllEEPS6_NSA_22TransformInputIteratorIbN2at6native12_GLOBAL__N_19NonZeroOpIaEEPKalEENS0_5tupleIJPlS6_EEENSN_IJSD_SD_EEES6_PiJS6_EEE10hipError_tPvRmT3_T4_T5_T6_T7_T9_mT8_P12ihipStream_tbDpT10_ENKUlT_T0_E_clISt17integral_constantIbLb0EES1A_IbLb1EEEEDaS16_S17_EUlS16_E_NS1_11comp_targetILNS1_3genE4ELNS1_11target_archE910ELNS1_3gpuE8ELNS1_3repE0EEENS1_30default_config_static_selectorELNS0_4arch9wavefront6targetE0EEEvT1_.kd
    .uniform_work_group_size: 1
    .uses_dynamic_stack: false
    .vgpr_count:     0
    .vgpr_spill_count: 0
    .wavefront_size: 32
    .workgroup_processor_mode: 1
  - .args:
      - .offset:         0
        .size:           136
        .value_kind:     by_value
    .group_segment_fixed_size: 0
    .kernarg_segment_align: 8
    .kernarg_segment_size: 136
    .language:       OpenCL C
    .language_version:
      - 2
      - 0
    .max_flat_workgroup_size: 128
    .name:           _ZN7rocprim17ROCPRIM_400000_NS6detail17trampoline_kernelINS0_14default_configENS1_25partition_config_selectorILNS1_17partition_subalgoE5ElNS0_10empty_typeEbEEZZNS1_14partition_implILS5_5ELb0ES3_mN6hipcub16HIPCUB_304000_NS21CountingInputIteratorIllEEPS6_NSA_22TransformInputIteratorIbN2at6native12_GLOBAL__N_19NonZeroOpIaEEPKalEENS0_5tupleIJPlS6_EEENSN_IJSD_SD_EEES6_PiJS6_EEE10hipError_tPvRmT3_T4_T5_T6_T7_T9_mT8_P12ihipStream_tbDpT10_ENKUlT_T0_E_clISt17integral_constantIbLb0EES1A_IbLb1EEEEDaS16_S17_EUlS16_E_NS1_11comp_targetILNS1_3genE3ELNS1_11target_archE908ELNS1_3gpuE7ELNS1_3repE0EEENS1_30default_config_static_selectorELNS0_4arch9wavefront6targetE0EEEvT1_
    .private_segment_fixed_size: 0
    .sgpr_count:     0
    .sgpr_spill_count: 0
    .symbol:         _ZN7rocprim17ROCPRIM_400000_NS6detail17trampoline_kernelINS0_14default_configENS1_25partition_config_selectorILNS1_17partition_subalgoE5ElNS0_10empty_typeEbEEZZNS1_14partition_implILS5_5ELb0ES3_mN6hipcub16HIPCUB_304000_NS21CountingInputIteratorIllEEPS6_NSA_22TransformInputIteratorIbN2at6native12_GLOBAL__N_19NonZeroOpIaEEPKalEENS0_5tupleIJPlS6_EEENSN_IJSD_SD_EEES6_PiJS6_EEE10hipError_tPvRmT3_T4_T5_T6_T7_T9_mT8_P12ihipStream_tbDpT10_ENKUlT_T0_E_clISt17integral_constantIbLb0EES1A_IbLb1EEEEDaS16_S17_EUlS16_E_NS1_11comp_targetILNS1_3genE3ELNS1_11target_archE908ELNS1_3gpuE7ELNS1_3repE0EEENS1_30default_config_static_selectorELNS0_4arch9wavefront6targetE0EEEvT1_.kd
    .uniform_work_group_size: 1
    .uses_dynamic_stack: false
    .vgpr_count:     0
    .vgpr_spill_count: 0
    .wavefront_size: 32
    .workgroup_processor_mode: 1
  - .args:
      - .offset:         0
        .size:           136
        .value_kind:     by_value
    .group_segment_fixed_size: 0
    .kernarg_segment_align: 8
    .kernarg_segment_size: 136
    .language:       OpenCL C
    .language_version:
      - 2
      - 0
    .max_flat_workgroup_size: 256
    .name:           _ZN7rocprim17ROCPRIM_400000_NS6detail17trampoline_kernelINS0_14default_configENS1_25partition_config_selectorILNS1_17partition_subalgoE5ElNS0_10empty_typeEbEEZZNS1_14partition_implILS5_5ELb0ES3_mN6hipcub16HIPCUB_304000_NS21CountingInputIteratorIllEEPS6_NSA_22TransformInputIteratorIbN2at6native12_GLOBAL__N_19NonZeroOpIaEEPKalEENS0_5tupleIJPlS6_EEENSN_IJSD_SD_EEES6_PiJS6_EEE10hipError_tPvRmT3_T4_T5_T6_T7_T9_mT8_P12ihipStream_tbDpT10_ENKUlT_T0_E_clISt17integral_constantIbLb0EES1A_IbLb1EEEEDaS16_S17_EUlS16_E_NS1_11comp_targetILNS1_3genE2ELNS1_11target_archE906ELNS1_3gpuE6ELNS1_3repE0EEENS1_30default_config_static_selectorELNS0_4arch9wavefront6targetE0EEEvT1_
    .private_segment_fixed_size: 0
    .sgpr_count:     0
    .sgpr_spill_count: 0
    .symbol:         _ZN7rocprim17ROCPRIM_400000_NS6detail17trampoline_kernelINS0_14default_configENS1_25partition_config_selectorILNS1_17partition_subalgoE5ElNS0_10empty_typeEbEEZZNS1_14partition_implILS5_5ELb0ES3_mN6hipcub16HIPCUB_304000_NS21CountingInputIteratorIllEEPS6_NSA_22TransformInputIteratorIbN2at6native12_GLOBAL__N_19NonZeroOpIaEEPKalEENS0_5tupleIJPlS6_EEENSN_IJSD_SD_EEES6_PiJS6_EEE10hipError_tPvRmT3_T4_T5_T6_T7_T9_mT8_P12ihipStream_tbDpT10_ENKUlT_T0_E_clISt17integral_constantIbLb0EES1A_IbLb1EEEEDaS16_S17_EUlS16_E_NS1_11comp_targetILNS1_3genE2ELNS1_11target_archE906ELNS1_3gpuE6ELNS1_3repE0EEENS1_30default_config_static_selectorELNS0_4arch9wavefront6targetE0EEEvT1_.kd
    .uniform_work_group_size: 1
    .uses_dynamic_stack: false
    .vgpr_count:     0
    .vgpr_spill_count: 0
    .wavefront_size: 32
    .workgroup_processor_mode: 1
  - .args:
      - .offset:         0
        .size:           136
        .value_kind:     by_value
    .group_segment_fixed_size: 0
    .kernarg_segment_align: 8
    .kernarg_segment_size: 136
    .language:       OpenCL C
    .language_version:
      - 2
      - 0
    .max_flat_workgroup_size: 256
    .name:           _ZN7rocprim17ROCPRIM_400000_NS6detail17trampoline_kernelINS0_14default_configENS1_25partition_config_selectorILNS1_17partition_subalgoE5ElNS0_10empty_typeEbEEZZNS1_14partition_implILS5_5ELb0ES3_mN6hipcub16HIPCUB_304000_NS21CountingInputIteratorIllEEPS6_NSA_22TransformInputIteratorIbN2at6native12_GLOBAL__N_19NonZeroOpIaEEPKalEENS0_5tupleIJPlS6_EEENSN_IJSD_SD_EEES6_PiJS6_EEE10hipError_tPvRmT3_T4_T5_T6_T7_T9_mT8_P12ihipStream_tbDpT10_ENKUlT_T0_E_clISt17integral_constantIbLb0EES1A_IbLb1EEEEDaS16_S17_EUlS16_E_NS1_11comp_targetILNS1_3genE10ELNS1_11target_archE1200ELNS1_3gpuE4ELNS1_3repE0EEENS1_30default_config_static_selectorELNS0_4arch9wavefront6targetE0EEEvT1_
    .private_segment_fixed_size: 0
    .sgpr_count:     0
    .sgpr_spill_count: 0
    .symbol:         _ZN7rocprim17ROCPRIM_400000_NS6detail17trampoline_kernelINS0_14default_configENS1_25partition_config_selectorILNS1_17partition_subalgoE5ElNS0_10empty_typeEbEEZZNS1_14partition_implILS5_5ELb0ES3_mN6hipcub16HIPCUB_304000_NS21CountingInputIteratorIllEEPS6_NSA_22TransformInputIteratorIbN2at6native12_GLOBAL__N_19NonZeroOpIaEEPKalEENS0_5tupleIJPlS6_EEENSN_IJSD_SD_EEES6_PiJS6_EEE10hipError_tPvRmT3_T4_T5_T6_T7_T9_mT8_P12ihipStream_tbDpT10_ENKUlT_T0_E_clISt17integral_constantIbLb0EES1A_IbLb1EEEEDaS16_S17_EUlS16_E_NS1_11comp_targetILNS1_3genE10ELNS1_11target_archE1200ELNS1_3gpuE4ELNS1_3repE0EEENS1_30default_config_static_selectorELNS0_4arch9wavefront6targetE0EEEvT1_.kd
    .uniform_work_group_size: 1
    .uses_dynamic_stack: false
    .vgpr_count:     0
    .vgpr_spill_count: 0
    .wavefront_size: 32
    .workgroup_processor_mode: 1
  - .args:
      - .offset:         0
        .size:           136
        .value_kind:     by_value
    .group_segment_fixed_size: 6160
    .kernarg_segment_align: 8
    .kernarg_segment_size: 136
    .language:       OpenCL C
    .language_version:
      - 2
      - 0
    .max_flat_workgroup_size: 128
    .name:           _ZN7rocprim17ROCPRIM_400000_NS6detail17trampoline_kernelINS0_14default_configENS1_25partition_config_selectorILNS1_17partition_subalgoE5ElNS0_10empty_typeEbEEZZNS1_14partition_implILS5_5ELb0ES3_mN6hipcub16HIPCUB_304000_NS21CountingInputIteratorIllEEPS6_NSA_22TransformInputIteratorIbN2at6native12_GLOBAL__N_19NonZeroOpIaEEPKalEENS0_5tupleIJPlS6_EEENSN_IJSD_SD_EEES6_PiJS6_EEE10hipError_tPvRmT3_T4_T5_T6_T7_T9_mT8_P12ihipStream_tbDpT10_ENKUlT_T0_E_clISt17integral_constantIbLb0EES1A_IbLb1EEEEDaS16_S17_EUlS16_E_NS1_11comp_targetILNS1_3genE9ELNS1_11target_archE1100ELNS1_3gpuE3ELNS1_3repE0EEENS1_30default_config_static_selectorELNS0_4arch9wavefront6targetE0EEEvT1_
    .private_segment_fixed_size: 0
    .sgpr_count:     25
    .sgpr_spill_count: 0
    .symbol:         _ZN7rocprim17ROCPRIM_400000_NS6detail17trampoline_kernelINS0_14default_configENS1_25partition_config_selectorILNS1_17partition_subalgoE5ElNS0_10empty_typeEbEEZZNS1_14partition_implILS5_5ELb0ES3_mN6hipcub16HIPCUB_304000_NS21CountingInputIteratorIllEEPS6_NSA_22TransformInputIteratorIbN2at6native12_GLOBAL__N_19NonZeroOpIaEEPKalEENS0_5tupleIJPlS6_EEENSN_IJSD_SD_EEES6_PiJS6_EEE10hipError_tPvRmT3_T4_T5_T6_T7_T9_mT8_P12ihipStream_tbDpT10_ENKUlT_T0_E_clISt17integral_constantIbLb0EES1A_IbLb1EEEEDaS16_S17_EUlS16_E_NS1_11comp_targetILNS1_3genE9ELNS1_11target_archE1100ELNS1_3gpuE3ELNS1_3repE0EEENS1_30default_config_static_selectorELNS0_4arch9wavefront6targetE0EEEvT1_.kd
    .uniform_work_group_size: 1
    .uses_dynamic_stack: false
    .vgpr_count:     57
    .vgpr_spill_count: 0
    .wavefront_size: 32
    .workgroup_processor_mode: 1
  - .args:
      - .offset:         0
        .size:           136
        .value_kind:     by_value
    .group_segment_fixed_size: 0
    .kernarg_segment_align: 8
    .kernarg_segment_size: 136
    .language:       OpenCL C
    .language_version:
      - 2
      - 0
    .max_flat_workgroup_size: 512
    .name:           _ZN7rocprim17ROCPRIM_400000_NS6detail17trampoline_kernelINS0_14default_configENS1_25partition_config_selectorILNS1_17partition_subalgoE5ElNS0_10empty_typeEbEEZZNS1_14partition_implILS5_5ELb0ES3_mN6hipcub16HIPCUB_304000_NS21CountingInputIteratorIllEEPS6_NSA_22TransformInputIteratorIbN2at6native12_GLOBAL__N_19NonZeroOpIaEEPKalEENS0_5tupleIJPlS6_EEENSN_IJSD_SD_EEES6_PiJS6_EEE10hipError_tPvRmT3_T4_T5_T6_T7_T9_mT8_P12ihipStream_tbDpT10_ENKUlT_T0_E_clISt17integral_constantIbLb0EES1A_IbLb1EEEEDaS16_S17_EUlS16_E_NS1_11comp_targetILNS1_3genE8ELNS1_11target_archE1030ELNS1_3gpuE2ELNS1_3repE0EEENS1_30default_config_static_selectorELNS0_4arch9wavefront6targetE0EEEvT1_
    .private_segment_fixed_size: 0
    .sgpr_count:     0
    .sgpr_spill_count: 0
    .symbol:         _ZN7rocprim17ROCPRIM_400000_NS6detail17trampoline_kernelINS0_14default_configENS1_25partition_config_selectorILNS1_17partition_subalgoE5ElNS0_10empty_typeEbEEZZNS1_14partition_implILS5_5ELb0ES3_mN6hipcub16HIPCUB_304000_NS21CountingInputIteratorIllEEPS6_NSA_22TransformInputIteratorIbN2at6native12_GLOBAL__N_19NonZeroOpIaEEPKalEENS0_5tupleIJPlS6_EEENSN_IJSD_SD_EEES6_PiJS6_EEE10hipError_tPvRmT3_T4_T5_T6_T7_T9_mT8_P12ihipStream_tbDpT10_ENKUlT_T0_E_clISt17integral_constantIbLb0EES1A_IbLb1EEEEDaS16_S17_EUlS16_E_NS1_11comp_targetILNS1_3genE8ELNS1_11target_archE1030ELNS1_3gpuE2ELNS1_3repE0EEENS1_30default_config_static_selectorELNS0_4arch9wavefront6targetE0EEEvT1_.kd
    .uniform_work_group_size: 1
    .uses_dynamic_stack: false
    .vgpr_count:     0
    .vgpr_spill_count: 0
    .wavefront_size: 32
    .workgroup_processor_mode: 1
  - .args:
      - .offset:         0
        .size:           56
        .value_kind:     by_value
    .group_segment_fixed_size: 0
    .kernarg_segment_align: 8
    .kernarg_segment_size: 56
    .language:       OpenCL C
    .language_version:
      - 2
      - 0
    .max_flat_workgroup_size: 256
    .name:           _ZN7rocprim17ROCPRIM_400000_NS6detail17trampoline_kernelINS0_14default_configENS1_22reduce_config_selectorIiEEZNS1_11reduce_implILb1ES3_PiS7_iN6hipcub16HIPCUB_304000_NS6detail34convert_binary_result_type_wrapperINS9_3SumENS9_22TransformInputIteratorIbN2at6native12_GLOBAL__N_19NonZeroOpIiEEPKilEEiEEEE10hipError_tPvRmT1_T2_T3_mT4_P12ihipStream_tbEUlT_E0_NS1_11comp_targetILNS1_3genE0ELNS1_11target_archE4294967295ELNS1_3gpuE0ELNS1_3repE0EEENS1_30default_config_static_selectorELNS0_4arch9wavefront6targetE0EEEvSQ_
    .private_segment_fixed_size: 0
    .sgpr_count:     0
    .sgpr_spill_count: 0
    .symbol:         _ZN7rocprim17ROCPRIM_400000_NS6detail17trampoline_kernelINS0_14default_configENS1_22reduce_config_selectorIiEEZNS1_11reduce_implILb1ES3_PiS7_iN6hipcub16HIPCUB_304000_NS6detail34convert_binary_result_type_wrapperINS9_3SumENS9_22TransformInputIteratorIbN2at6native12_GLOBAL__N_19NonZeroOpIiEEPKilEEiEEEE10hipError_tPvRmT1_T2_T3_mT4_P12ihipStream_tbEUlT_E0_NS1_11comp_targetILNS1_3genE0ELNS1_11target_archE4294967295ELNS1_3gpuE0ELNS1_3repE0EEENS1_30default_config_static_selectorELNS0_4arch9wavefront6targetE0EEEvSQ_.kd
    .uniform_work_group_size: 1
    .uses_dynamic_stack: false
    .vgpr_count:     0
    .vgpr_spill_count: 0
    .wavefront_size: 32
    .workgroup_processor_mode: 1
  - .args:
      - .offset:         0
        .size:           56
        .value_kind:     by_value
    .group_segment_fixed_size: 0
    .kernarg_segment_align: 8
    .kernarg_segment_size: 56
    .language:       OpenCL C
    .language_version:
      - 2
      - 0
    .max_flat_workgroup_size: 256
    .name:           _ZN7rocprim17ROCPRIM_400000_NS6detail17trampoline_kernelINS0_14default_configENS1_22reduce_config_selectorIiEEZNS1_11reduce_implILb1ES3_PiS7_iN6hipcub16HIPCUB_304000_NS6detail34convert_binary_result_type_wrapperINS9_3SumENS9_22TransformInputIteratorIbN2at6native12_GLOBAL__N_19NonZeroOpIiEEPKilEEiEEEE10hipError_tPvRmT1_T2_T3_mT4_P12ihipStream_tbEUlT_E0_NS1_11comp_targetILNS1_3genE5ELNS1_11target_archE942ELNS1_3gpuE9ELNS1_3repE0EEENS1_30default_config_static_selectorELNS0_4arch9wavefront6targetE0EEEvSQ_
    .private_segment_fixed_size: 0
    .sgpr_count:     0
    .sgpr_spill_count: 0
    .symbol:         _ZN7rocprim17ROCPRIM_400000_NS6detail17trampoline_kernelINS0_14default_configENS1_22reduce_config_selectorIiEEZNS1_11reduce_implILb1ES3_PiS7_iN6hipcub16HIPCUB_304000_NS6detail34convert_binary_result_type_wrapperINS9_3SumENS9_22TransformInputIteratorIbN2at6native12_GLOBAL__N_19NonZeroOpIiEEPKilEEiEEEE10hipError_tPvRmT1_T2_T3_mT4_P12ihipStream_tbEUlT_E0_NS1_11comp_targetILNS1_3genE5ELNS1_11target_archE942ELNS1_3gpuE9ELNS1_3repE0EEENS1_30default_config_static_selectorELNS0_4arch9wavefront6targetE0EEEvSQ_.kd
    .uniform_work_group_size: 1
    .uses_dynamic_stack: false
    .vgpr_count:     0
    .vgpr_spill_count: 0
    .wavefront_size: 32
    .workgroup_processor_mode: 1
  - .args:
      - .offset:         0
        .size:           56
        .value_kind:     by_value
    .group_segment_fixed_size: 0
    .kernarg_segment_align: 8
    .kernarg_segment_size: 56
    .language:       OpenCL C
    .language_version:
      - 2
      - 0
    .max_flat_workgroup_size: 128
    .name:           _ZN7rocprim17ROCPRIM_400000_NS6detail17trampoline_kernelINS0_14default_configENS1_22reduce_config_selectorIiEEZNS1_11reduce_implILb1ES3_PiS7_iN6hipcub16HIPCUB_304000_NS6detail34convert_binary_result_type_wrapperINS9_3SumENS9_22TransformInputIteratorIbN2at6native12_GLOBAL__N_19NonZeroOpIiEEPKilEEiEEEE10hipError_tPvRmT1_T2_T3_mT4_P12ihipStream_tbEUlT_E0_NS1_11comp_targetILNS1_3genE4ELNS1_11target_archE910ELNS1_3gpuE8ELNS1_3repE0EEENS1_30default_config_static_selectorELNS0_4arch9wavefront6targetE0EEEvSQ_
    .private_segment_fixed_size: 0
    .sgpr_count:     0
    .sgpr_spill_count: 0
    .symbol:         _ZN7rocprim17ROCPRIM_400000_NS6detail17trampoline_kernelINS0_14default_configENS1_22reduce_config_selectorIiEEZNS1_11reduce_implILb1ES3_PiS7_iN6hipcub16HIPCUB_304000_NS6detail34convert_binary_result_type_wrapperINS9_3SumENS9_22TransformInputIteratorIbN2at6native12_GLOBAL__N_19NonZeroOpIiEEPKilEEiEEEE10hipError_tPvRmT1_T2_T3_mT4_P12ihipStream_tbEUlT_E0_NS1_11comp_targetILNS1_3genE4ELNS1_11target_archE910ELNS1_3gpuE8ELNS1_3repE0EEENS1_30default_config_static_selectorELNS0_4arch9wavefront6targetE0EEEvSQ_.kd
    .uniform_work_group_size: 1
    .uses_dynamic_stack: false
    .vgpr_count:     0
    .vgpr_spill_count: 0
    .wavefront_size: 32
    .workgroup_processor_mode: 1
  - .args:
      - .offset:         0
        .size:           56
        .value_kind:     by_value
    .group_segment_fixed_size: 0
    .kernarg_segment_align: 8
    .kernarg_segment_size: 56
    .language:       OpenCL C
    .language_version:
      - 2
      - 0
    .max_flat_workgroup_size: 256
    .name:           _ZN7rocprim17ROCPRIM_400000_NS6detail17trampoline_kernelINS0_14default_configENS1_22reduce_config_selectorIiEEZNS1_11reduce_implILb1ES3_PiS7_iN6hipcub16HIPCUB_304000_NS6detail34convert_binary_result_type_wrapperINS9_3SumENS9_22TransformInputIteratorIbN2at6native12_GLOBAL__N_19NonZeroOpIiEEPKilEEiEEEE10hipError_tPvRmT1_T2_T3_mT4_P12ihipStream_tbEUlT_E0_NS1_11comp_targetILNS1_3genE3ELNS1_11target_archE908ELNS1_3gpuE7ELNS1_3repE0EEENS1_30default_config_static_selectorELNS0_4arch9wavefront6targetE0EEEvSQ_
    .private_segment_fixed_size: 0
    .sgpr_count:     0
    .sgpr_spill_count: 0
    .symbol:         _ZN7rocprim17ROCPRIM_400000_NS6detail17trampoline_kernelINS0_14default_configENS1_22reduce_config_selectorIiEEZNS1_11reduce_implILb1ES3_PiS7_iN6hipcub16HIPCUB_304000_NS6detail34convert_binary_result_type_wrapperINS9_3SumENS9_22TransformInputIteratorIbN2at6native12_GLOBAL__N_19NonZeroOpIiEEPKilEEiEEEE10hipError_tPvRmT1_T2_T3_mT4_P12ihipStream_tbEUlT_E0_NS1_11comp_targetILNS1_3genE3ELNS1_11target_archE908ELNS1_3gpuE7ELNS1_3repE0EEENS1_30default_config_static_selectorELNS0_4arch9wavefront6targetE0EEEvSQ_.kd
    .uniform_work_group_size: 1
    .uses_dynamic_stack: false
    .vgpr_count:     0
    .vgpr_spill_count: 0
    .wavefront_size: 32
    .workgroup_processor_mode: 1
  - .args:
      - .offset:         0
        .size:           56
        .value_kind:     by_value
    .group_segment_fixed_size: 0
    .kernarg_segment_align: 8
    .kernarg_segment_size: 56
    .language:       OpenCL C
    .language_version:
      - 2
      - 0
    .max_flat_workgroup_size: 256
    .name:           _ZN7rocprim17ROCPRIM_400000_NS6detail17trampoline_kernelINS0_14default_configENS1_22reduce_config_selectorIiEEZNS1_11reduce_implILb1ES3_PiS7_iN6hipcub16HIPCUB_304000_NS6detail34convert_binary_result_type_wrapperINS9_3SumENS9_22TransformInputIteratorIbN2at6native12_GLOBAL__N_19NonZeroOpIiEEPKilEEiEEEE10hipError_tPvRmT1_T2_T3_mT4_P12ihipStream_tbEUlT_E0_NS1_11comp_targetILNS1_3genE2ELNS1_11target_archE906ELNS1_3gpuE6ELNS1_3repE0EEENS1_30default_config_static_selectorELNS0_4arch9wavefront6targetE0EEEvSQ_
    .private_segment_fixed_size: 0
    .sgpr_count:     0
    .sgpr_spill_count: 0
    .symbol:         _ZN7rocprim17ROCPRIM_400000_NS6detail17trampoline_kernelINS0_14default_configENS1_22reduce_config_selectorIiEEZNS1_11reduce_implILb1ES3_PiS7_iN6hipcub16HIPCUB_304000_NS6detail34convert_binary_result_type_wrapperINS9_3SumENS9_22TransformInputIteratorIbN2at6native12_GLOBAL__N_19NonZeroOpIiEEPKilEEiEEEE10hipError_tPvRmT1_T2_T3_mT4_P12ihipStream_tbEUlT_E0_NS1_11comp_targetILNS1_3genE2ELNS1_11target_archE906ELNS1_3gpuE6ELNS1_3repE0EEENS1_30default_config_static_selectorELNS0_4arch9wavefront6targetE0EEEvSQ_.kd
    .uniform_work_group_size: 1
    .uses_dynamic_stack: false
    .vgpr_count:     0
    .vgpr_spill_count: 0
    .wavefront_size: 32
    .workgroup_processor_mode: 1
  - .args:
      - .offset:         0
        .size:           56
        .value_kind:     by_value
    .group_segment_fixed_size: 0
    .kernarg_segment_align: 8
    .kernarg_segment_size: 56
    .language:       OpenCL C
    .language_version:
      - 2
      - 0
    .max_flat_workgroup_size: 256
    .name:           _ZN7rocprim17ROCPRIM_400000_NS6detail17trampoline_kernelINS0_14default_configENS1_22reduce_config_selectorIiEEZNS1_11reduce_implILb1ES3_PiS7_iN6hipcub16HIPCUB_304000_NS6detail34convert_binary_result_type_wrapperINS9_3SumENS9_22TransformInputIteratorIbN2at6native12_GLOBAL__N_19NonZeroOpIiEEPKilEEiEEEE10hipError_tPvRmT1_T2_T3_mT4_P12ihipStream_tbEUlT_E0_NS1_11comp_targetILNS1_3genE10ELNS1_11target_archE1201ELNS1_3gpuE5ELNS1_3repE0EEENS1_30default_config_static_selectorELNS0_4arch9wavefront6targetE0EEEvSQ_
    .private_segment_fixed_size: 0
    .sgpr_count:     0
    .sgpr_spill_count: 0
    .symbol:         _ZN7rocprim17ROCPRIM_400000_NS6detail17trampoline_kernelINS0_14default_configENS1_22reduce_config_selectorIiEEZNS1_11reduce_implILb1ES3_PiS7_iN6hipcub16HIPCUB_304000_NS6detail34convert_binary_result_type_wrapperINS9_3SumENS9_22TransformInputIteratorIbN2at6native12_GLOBAL__N_19NonZeroOpIiEEPKilEEiEEEE10hipError_tPvRmT1_T2_T3_mT4_P12ihipStream_tbEUlT_E0_NS1_11comp_targetILNS1_3genE10ELNS1_11target_archE1201ELNS1_3gpuE5ELNS1_3repE0EEENS1_30default_config_static_selectorELNS0_4arch9wavefront6targetE0EEEvSQ_.kd
    .uniform_work_group_size: 1
    .uses_dynamic_stack: false
    .vgpr_count:     0
    .vgpr_spill_count: 0
    .wavefront_size: 32
    .workgroup_processor_mode: 1
  - .args:
      - .offset:         0
        .size:           56
        .value_kind:     by_value
    .group_segment_fixed_size: 0
    .kernarg_segment_align: 8
    .kernarg_segment_size: 56
    .language:       OpenCL C
    .language_version:
      - 2
      - 0
    .max_flat_workgroup_size: 256
    .name:           _ZN7rocprim17ROCPRIM_400000_NS6detail17trampoline_kernelINS0_14default_configENS1_22reduce_config_selectorIiEEZNS1_11reduce_implILb1ES3_PiS7_iN6hipcub16HIPCUB_304000_NS6detail34convert_binary_result_type_wrapperINS9_3SumENS9_22TransformInputIteratorIbN2at6native12_GLOBAL__N_19NonZeroOpIiEEPKilEEiEEEE10hipError_tPvRmT1_T2_T3_mT4_P12ihipStream_tbEUlT_E0_NS1_11comp_targetILNS1_3genE10ELNS1_11target_archE1200ELNS1_3gpuE4ELNS1_3repE0EEENS1_30default_config_static_selectorELNS0_4arch9wavefront6targetE0EEEvSQ_
    .private_segment_fixed_size: 0
    .sgpr_count:     0
    .sgpr_spill_count: 0
    .symbol:         _ZN7rocprim17ROCPRIM_400000_NS6detail17trampoline_kernelINS0_14default_configENS1_22reduce_config_selectorIiEEZNS1_11reduce_implILb1ES3_PiS7_iN6hipcub16HIPCUB_304000_NS6detail34convert_binary_result_type_wrapperINS9_3SumENS9_22TransformInputIteratorIbN2at6native12_GLOBAL__N_19NonZeroOpIiEEPKilEEiEEEE10hipError_tPvRmT1_T2_T3_mT4_P12ihipStream_tbEUlT_E0_NS1_11comp_targetILNS1_3genE10ELNS1_11target_archE1200ELNS1_3gpuE4ELNS1_3repE0EEENS1_30default_config_static_selectorELNS0_4arch9wavefront6targetE0EEEvSQ_.kd
    .uniform_work_group_size: 1
    .uses_dynamic_stack: false
    .vgpr_count:     0
    .vgpr_spill_count: 0
    .wavefront_size: 32
    .workgroup_processor_mode: 1
  - .args:
      - .offset:         0
        .size:           56
        .value_kind:     by_value
    .group_segment_fixed_size: 64
    .kernarg_segment_align: 8
    .kernarg_segment_size: 56
    .language:       OpenCL C
    .language_version:
      - 2
      - 0
    .max_flat_workgroup_size: 256
    .name:           _ZN7rocprim17ROCPRIM_400000_NS6detail17trampoline_kernelINS0_14default_configENS1_22reduce_config_selectorIiEEZNS1_11reduce_implILb1ES3_PiS7_iN6hipcub16HIPCUB_304000_NS6detail34convert_binary_result_type_wrapperINS9_3SumENS9_22TransformInputIteratorIbN2at6native12_GLOBAL__N_19NonZeroOpIiEEPKilEEiEEEE10hipError_tPvRmT1_T2_T3_mT4_P12ihipStream_tbEUlT_E0_NS1_11comp_targetILNS1_3genE9ELNS1_11target_archE1100ELNS1_3gpuE3ELNS1_3repE0EEENS1_30default_config_static_selectorELNS0_4arch9wavefront6targetE0EEEvSQ_
    .private_segment_fixed_size: 0
    .sgpr_count:     24
    .sgpr_spill_count: 0
    .symbol:         _ZN7rocprim17ROCPRIM_400000_NS6detail17trampoline_kernelINS0_14default_configENS1_22reduce_config_selectorIiEEZNS1_11reduce_implILb1ES3_PiS7_iN6hipcub16HIPCUB_304000_NS6detail34convert_binary_result_type_wrapperINS9_3SumENS9_22TransformInputIteratorIbN2at6native12_GLOBAL__N_19NonZeroOpIiEEPKilEEiEEEE10hipError_tPvRmT1_T2_T3_mT4_P12ihipStream_tbEUlT_E0_NS1_11comp_targetILNS1_3genE9ELNS1_11target_archE1100ELNS1_3gpuE3ELNS1_3repE0EEENS1_30default_config_static_selectorELNS0_4arch9wavefront6targetE0EEEvSQ_.kd
    .uniform_work_group_size: 1
    .uses_dynamic_stack: false
    .vgpr_count:     12
    .vgpr_spill_count: 0
    .wavefront_size: 32
    .workgroup_processor_mode: 1
  - .args:
      - .offset:         0
        .size:           56
        .value_kind:     by_value
    .group_segment_fixed_size: 0
    .kernarg_segment_align: 8
    .kernarg_segment_size: 56
    .language:       OpenCL C
    .language_version:
      - 2
      - 0
    .max_flat_workgroup_size: 256
    .name:           _ZN7rocprim17ROCPRIM_400000_NS6detail17trampoline_kernelINS0_14default_configENS1_22reduce_config_selectorIiEEZNS1_11reduce_implILb1ES3_PiS7_iN6hipcub16HIPCUB_304000_NS6detail34convert_binary_result_type_wrapperINS9_3SumENS9_22TransformInputIteratorIbN2at6native12_GLOBAL__N_19NonZeroOpIiEEPKilEEiEEEE10hipError_tPvRmT1_T2_T3_mT4_P12ihipStream_tbEUlT_E0_NS1_11comp_targetILNS1_3genE8ELNS1_11target_archE1030ELNS1_3gpuE2ELNS1_3repE0EEENS1_30default_config_static_selectorELNS0_4arch9wavefront6targetE0EEEvSQ_
    .private_segment_fixed_size: 0
    .sgpr_count:     0
    .sgpr_spill_count: 0
    .symbol:         _ZN7rocprim17ROCPRIM_400000_NS6detail17trampoline_kernelINS0_14default_configENS1_22reduce_config_selectorIiEEZNS1_11reduce_implILb1ES3_PiS7_iN6hipcub16HIPCUB_304000_NS6detail34convert_binary_result_type_wrapperINS9_3SumENS9_22TransformInputIteratorIbN2at6native12_GLOBAL__N_19NonZeroOpIiEEPKilEEiEEEE10hipError_tPvRmT1_T2_T3_mT4_P12ihipStream_tbEUlT_E0_NS1_11comp_targetILNS1_3genE8ELNS1_11target_archE1030ELNS1_3gpuE2ELNS1_3repE0EEENS1_30default_config_static_selectorELNS0_4arch9wavefront6targetE0EEEvSQ_.kd
    .uniform_work_group_size: 1
    .uses_dynamic_stack: false
    .vgpr_count:     0
    .vgpr_spill_count: 0
    .wavefront_size: 32
    .workgroup_processor_mode: 1
  - .args:
      - .offset:         0
        .size:           40
        .value_kind:     by_value
    .group_segment_fixed_size: 0
    .kernarg_segment_align: 8
    .kernarg_segment_size: 40
    .language:       OpenCL C
    .language_version:
      - 2
      - 0
    .max_flat_workgroup_size: 256
    .name:           _ZN7rocprim17ROCPRIM_400000_NS6detail17trampoline_kernelINS0_14default_configENS1_22reduce_config_selectorIiEEZNS1_11reduce_implILb1ES3_PiS7_iN6hipcub16HIPCUB_304000_NS6detail34convert_binary_result_type_wrapperINS9_3SumENS9_22TransformInputIteratorIbN2at6native12_GLOBAL__N_19NonZeroOpIiEEPKilEEiEEEE10hipError_tPvRmT1_T2_T3_mT4_P12ihipStream_tbEUlT_E1_NS1_11comp_targetILNS1_3genE0ELNS1_11target_archE4294967295ELNS1_3gpuE0ELNS1_3repE0EEENS1_30default_config_static_selectorELNS0_4arch9wavefront6targetE0EEEvSQ_
    .private_segment_fixed_size: 0
    .sgpr_count:     0
    .sgpr_spill_count: 0
    .symbol:         _ZN7rocprim17ROCPRIM_400000_NS6detail17trampoline_kernelINS0_14default_configENS1_22reduce_config_selectorIiEEZNS1_11reduce_implILb1ES3_PiS7_iN6hipcub16HIPCUB_304000_NS6detail34convert_binary_result_type_wrapperINS9_3SumENS9_22TransformInputIteratorIbN2at6native12_GLOBAL__N_19NonZeroOpIiEEPKilEEiEEEE10hipError_tPvRmT1_T2_T3_mT4_P12ihipStream_tbEUlT_E1_NS1_11comp_targetILNS1_3genE0ELNS1_11target_archE4294967295ELNS1_3gpuE0ELNS1_3repE0EEENS1_30default_config_static_selectorELNS0_4arch9wavefront6targetE0EEEvSQ_.kd
    .uniform_work_group_size: 1
    .uses_dynamic_stack: false
    .vgpr_count:     0
    .vgpr_spill_count: 0
    .wavefront_size: 32
    .workgroup_processor_mode: 1
  - .args:
      - .offset:         0
        .size:           40
        .value_kind:     by_value
    .group_segment_fixed_size: 0
    .kernarg_segment_align: 8
    .kernarg_segment_size: 40
    .language:       OpenCL C
    .language_version:
      - 2
      - 0
    .max_flat_workgroup_size: 256
    .name:           _ZN7rocprim17ROCPRIM_400000_NS6detail17trampoline_kernelINS0_14default_configENS1_22reduce_config_selectorIiEEZNS1_11reduce_implILb1ES3_PiS7_iN6hipcub16HIPCUB_304000_NS6detail34convert_binary_result_type_wrapperINS9_3SumENS9_22TransformInputIteratorIbN2at6native12_GLOBAL__N_19NonZeroOpIiEEPKilEEiEEEE10hipError_tPvRmT1_T2_T3_mT4_P12ihipStream_tbEUlT_E1_NS1_11comp_targetILNS1_3genE5ELNS1_11target_archE942ELNS1_3gpuE9ELNS1_3repE0EEENS1_30default_config_static_selectorELNS0_4arch9wavefront6targetE0EEEvSQ_
    .private_segment_fixed_size: 0
    .sgpr_count:     0
    .sgpr_spill_count: 0
    .symbol:         _ZN7rocprim17ROCPRIM_400000_NS6detail17trampoline_kernelINS0_14default_configENS1_22reduce_config_selectorIiEEZNS1_11reduce_implILb1ES3_PiS7_iN6hipcub16HIPCUB_304000_NS6detail34convert_binary_result_type_wrapperINS9_3SumENS9_22TransformInputIteratorIbN2at6native12_GLOBAL__N_19NonZeroOpIiEEPKilEEiEEEE10hipError_tPvRmT1_T2_T3_mT4_P12ihipStream_tbEUlT_E1_NS1_11comp_targetILNS1_3genE5ELNS1_11target_archE942ELNS1_3gpuE9ELNS1_3repE0EEENS1_30default_config_static_selectorELNS0_4arch9wavefront6targetE0EEEvSQ_.kd
    .uniform_work_group_size: 1
    .uses_dynamic_stack: false
    .vgpr_count:     0
    .vgpr_spill_count: 0
    .wavefront_size: 32
    .workgroup_processor_mode: 1
  - .args:
      - .offset:         0
        .size:           40
        .value_kind:     by_value
    .group_segment_fixed_size: 0
    .kernarg_segment_align: 8
    .kernarg_segment_size: 40
    .language:       OpenCL C
    .language_version:
      - 2
      - 0
    .max_flat_workgroup_size: 128
    .name:           _ZN7rocprim17ROCPRIM_400000_NS6detail17trampoline_kernelINS0_14default_configENS1_22reduce_config_selectorIiEEZNS1_11reduce_implILb1ES3_PiS7_iN6hipcub16HIPCUB_304000_NS6detail34convert_binary_result_type_wrapperINS9_3SumENS9_22TransformInputIteratorIbN2at6native12_GLOBAL__N_19NonZeroOpIiEEPKilEEiEEEE10hipError_tPvRmT1_T2_T3_mT4_P12ihipStream_tbEUlT_E1_NS1_11comp_targetILNS1_3genE4ELNS1_11target_archE910ELNS1_3gpuE8ELNS1_3repE0EEENS1_30default_config_static_selectorELNS0_4arch9wavefront6targetE0EEEvSQ_
    .private_segment_fixed_size: 0
    .sgpr_count:     0
    .sgpr_spill_count: 0
    .symbol:         _ZN7rocprim17ROCPRIM_400000_NS6detail17trampoline_kernelINS0_14default_configENS1_22reduce_config_selectorIiEEZNS1_11reduce_implILb1ES3_PiS7_iN6hipcub16HIPCUB_304000_NS6detail34convert_binary_result_type_wrapperINS9_3SumENS9_22TransformInputIteratorIbN2at6native12_GLOBAL__N_19NonZeroOpIiEEPKilEEiEEEE10hipError_tPvRmT1_T2_T3_mT4_P12ihipStream_tbEUlT_E1_NS1_11comp_targetILNS1_3genE4ELNS1_11target_archE910ELNS1_3gpuE8ELNS1_3repE0EEENS1_30default_config_static_selectorELNS0_4arch9wavefront6targetE0EEEvSQ_.kd
    .uniform_work_group_size: 1
    .uses_dynamic_stack: false
    .vgpr_count:     0
    .vgpr_spill_count: 0
    .wavefront_size: 32
    .workgroup_processor_mode: 1
  - .args:
      - .offset:         0
        .size:           40
        .value_kind:     by_value
    .group_segment_fixed_size: 0
    .kernarg_segment_align: 8
    .kernarg_segment_size: 40
    .language:       OpenCL C
    .language_version:
      - 2
      - 0
    .max_flat_workgroup_size: 256
    .name:           _ZN7rocprim17ROCPRIM_400000_NS6detail17trampoline_kernelINS0_14default_configENS1_22reduce_config_selectorIiEEZNS1_11reduce_implILb1ES3_PiS7_iN6hipcub16HIPCUB_304000_NS6detail34convert_binary_result_type_wrapperINS9_3SumENS9_22TransformInputIteratorIbN2at6native12_GLOBAL__N_19NonZeroOpIiEEPKilEEiEEEE10hipError_tPvRmT1_T2_T3_mT4_P12ihipStream_tbEUlT_E1_NS1_11comp_targetILNS1_3genE3ELNS1_11target_archE908ELNS1_3gpuE7ELNS1_3repE0EEENS1_30default_config_static_selectorELNS0_4arch9wavefront6targetE0EEEvSQ_
    .private_segment_fixed_size: 0
    .sgpr_count:     0
    .sgpr_spill_count: 0
    .symbol:         _ZN7rocprim17ROCPRIM_400000_NS6detail17trampoline_kernelINS0_14default_configENS1_22reduce_config_selectorIiEEZNS1_11reduce_implILb1ES3_PiS7_iN6hipcub16HIPCUB_304000_NS6detail34convert_binary_result_type_wrapperINS9_3SumENS9_22TransformInputIteratorIbN2at6native12_GLOBAL__N_19NonZeroOpIiEEPKilEEiEEEE10hipError_tPvRmT1_T2_T3_mT4_P12ihipStream_tbEUlT_E1_NS1_11comp_targetILNS1_3genE3ELNS1_11target_archE908ELNS1_3gpuE7ELNS1_3repE0EEENS1_30default_config_static_selectorELNS0_4arch9wavefront6targetE0EEEvSQ_.kd
    .uniform_work_group_size: 1
    .uses_dynamic_stack: false
    .vgpr_count:     0
    .vgpr_spill_count: 0
    .wavefront_size: 32
    .workgroup_processor_mode: 1
  - .args:
      - .offset:         0
        .size:           40
        .value_kind:     by_value
    .group_segment_fixed_size: 0
    .kernarg_segment_align: 8
    .kernarg_segment_size: 40
    .language:       OpenCL C
    .language_version:
      - 2
      - 0
    .max_flat_workgroup_size: 256
    .name:           _ZN7rocprim17ROCPRIM_400000_NS6detail17trampoline_kernelINS0_14default_configENS1_22reduce_config_selectorIiEEZNS1_11reduce_implILb1ES3_PiS7_iN6hipcub16HIPCUB_304000_NS6detail34convert_binary_result_type_wrapperINS9_3SumENS9_22TransformInputIteratorIbN2at6native12_GLOBAL__N_19NonZeroOpIiEEPKilEEiEEEE10hipError_tPvRmT1_T2_T3_mT4_P12ihipStream_tbEUlT_E1_NS1_11comp_targetILNS1_3genE2ELNS1_11target_archE906ELNS1_3gpuE6ELNS1_3repE0EEENS1_30default_config_static_selectorELNS0_4arch9wavefront6targetE0EEEvSQ_
    .private_segment_fixed_size: 0
    .sgpr_count:     0
    .sgpr_spill_count: 0
    .symbol:         _ZN7rocprim17ROCPRIM_400000_NS6detail17trampoline_kernelINS0_14default_configENS1_22reduce_config_selectorIiEEZNS1_11reduce_implILb1ES3_PiS7_iN6hipcub16HIPCUB_304000_NS6detail34convert_binary_result_type_wrapperINS9_3SumENS9_22TransformInputIteratorIbN2at6native12_GLOBAL__N_19NonZeroOpIiEEPKilEEiEEEE10hipError_tPvRmT1_T2_T3_mT4_P12ihipStream_tbEUlT_E1_NS1_11comp_targetILNS1_3genE2ELNS1_11target_archE906ELNS1_3gpuE6ELNS1_3repE0EEENS1_30default_config_static_selectorELNS0_4arch9wavefront6targetE0EEEvSQ_.kd
    .uniform_work_group_size: 1
    .uses_dynamic_stack: false
    .vgpr_count:     0
    .vgpr_spill_count: 0
    .wavefront_size: 32
    .workgroup_processor_mode: 1
  - .args:
      - .offset:         0
        .size:           40
        .value_kind:     by_value
    .group_segment_fixed_size: 0
    .kernarg_segment_align: 8
    .kernarg_segment_size: 40
    .language:       OpenCL C
    .language_version:
      - 2
      - 0
    .max_flat_workgroup_size: 256
    .name:           _ZN7rocprim17ROCPRIM_400000_NS6detail17trampoline_kernelINS0_14default_configENS1_22reduce_config_selectorIiEEZNS1_11reduce_implILb1ES3_PiS7_iN6hipcub16HIPCUB_304000_NS6detail34convert_binary_result_type_wrapperINS9_3SumENS9_22TransformInputIteratorIbN2at6native12_GLOBAL__N_19NonZeroOpIiEEPKilEEiEEEE10hipError_tPvRmT1_T2_T3_mT4_P12ihipStream_tbEUlT_E1_NS1_11comp_targetILNS1_3genE10ELNS1_11target_archE1201ELNS1_3gpuE5ELNS1_3repE0EEENS1_30default_config_static_selectorELNS0_4arch9wavefront6targetE0EEEvSQ_
    .private_segment_fixed_size: 0
    .sgpr_count:     0
    .sgpr_spill_count: 0
    .symbol:         _ZN7rocprim17ROCPRIM_400000_NS6detail17trampoline_kernelINS0_14default_configENS1_22reduce_config_selectorIiEEZNS1_11reduce_implILb1ES3_PiS7_iN6hipcub16HIPCUB_304000_NS6detail34convert_binary_result_type_wrapperINS9_3SumENS9_22TransformInputIteratorIbN2at6native12_GLOBAL__N_19NonZeroOpIiEEPKilEEiEEEE10hipError_tPvRmT1_T2_T3_mT4_P12ihipStream_tbEUlT_E1_NS1_11comp_targetILNS1_3genE10ELNS1_11target_archE1201ELNS1_3gpuE5ELNS1_3repE0EEENS1_30default_config_static_selectorELNS0_4arch9wavefront6targetE0EEEvSQ_.kd
    .uniform_work_group_size: 1
    .uses_dynamic_stack: false
    .vgpr_count:     0
    .vgpr_spill_count: 0
    .wavefront_size: 32
    .workgroup_processor_mode: 1
  - .args:
      - .offset:         0
        .size:           40
        .value_kind:     by_value
    .group_segment_fixed_size: 0
    .kernarg_segment_align: 8
    .kernarg_segment_size: 40
    .language:       OpenCL C
    .language_version:
      - 2
      - 0
    .max_flat_workgroup_size: 256
    .name:           _ZN7rocprim17ROCPRIM_400000_NS6detail17trampoline_kernelINS0_14default_configENS1_22reduce_config_selectorIiEEZNS1_11reduce_implILb1ES3_PiS7_iN6hipcub16HIPCUB_304000_NS6detail34convert_binary_result_type_wrapperINS9_3SumENS9_22TransformInputIteratorIbN2at6native12_GLOBAL__N_19NonZeroOpIiEEPKilEEiEEEE10hipError_tPvRmT1_T2_T3_mT4_P12ihipStream_tbEUlT_E1_NS1_11comp_targetILNS1_3genE10ELNS1_11target_archE1200ELNS1_3gpuE4ELNS1_3repE0EEENS1_30default_config_static_selectorELNS0_4arch9wavefront6targetE0EEEvSQ_
    .private_segment_fixed_size: 0
    .sgpr_count:     0
    .sgpr_spill_count: 0
    .symbol:         _ZN7rocprim17ROCPRIM_400000_NS6detail17trampoline_kernelINS0_14default_configENS1_22reduce_config_selectorIiEEZNS1_11reduce_implILb1ES3_PiS7_iN6hipcub16HIPCUB_304000_NS6detail34convert_binary_result_type_wrapperINS9_3SumENS9_22TransformInputIteratorIbN2at6native12_GLOBAL__N_19NonZeroOpIiEEPKilEEiEEEE10hipError_tPvRmT1_T2_T3_mT4_P12ihipStream_tbEUlT_E1_NS1_11comp_targetILNS1_3genE10ELNS1_11target_archE1200ELNS1_3gpuE4ELNS1_3repE0EEENS1_30default_config_static_selectorELNS0_4arch9wavefront6targetE0EEEvSQ_.kd
    .uniform_work_group_size: 1
    .uses_dynamic_stack: false
    .vgpr_count:     0
    .vgpr_spill_count: 0
    .wavefront_size: 32
    .workgroup_processor_mode: 1
  - .args:
      - .offset:         0
        .size:           40
        .value_kind:     by_value
    .group_segment_fixed_size: 224
    .kernarg_segment_align: 8
    .kernarg_segment_size: 40
    .language:       OpenCL C
    .language_version:
      - 2
      - 0
    .max_flat_workgroup_size: 256
    .name:           _ZN7rocprim17ROCPRIM_400000_NS6detail17trampoline_kernelINS0_14default_configENS1_22reduce_config_selectorIiEEZNS1_11reduce_implILb1ES3_PiS7_iN6hipcub16HIPCUB_304000_NS6detail34convert_binary_result_type_wrapperINS9_3SumENS9_22TransformInputIteratorIbN2at6native12_GLOBAL__N_19NonZeroOpIiEEPKilEEiEEEE10hipError_tPvRmT1_T2_T3_mT4_P12ihipStream_tbEUlT_E1_NS1_11comp_targetILNS1_3genE9ELNS1_11target_archE1100ELNS1_3gpuE3ELNS1_3repE0EEENS1_30default_config_static_selectorELNS0_4arch9wavefront6targetE0EEEvSQ_
    .private_segment_fixed_size: 0
    .sgpr_count:     29
    .sgpr_spill_count: 0
    .symbol:         _ZN7rocprim17ROCPRIM_400000_NS6detail17trampoline_kernelINS0_14default_configENS1_22reduce_config_selectorIiEEZNS1_11reduce_implILb1ES3_PiS7_iN6hipcub16HIPCUB_304000_NS6detail34convert_binary_result_type_wrapperINS9_3SumENS9_22TransformInputIteratorIbN2at6native12_GLOBAL__N_19NonZeroOpIiEEPKilEEiEEEE10hipError_tPvRmT1_T2_T3_mT4_P12ihipStream_tbEUlT_E1_NS1_11comp_targetILNS1_3genE9ELNS1_11target_archE1100ELNS1_3gpuE3ELNS1_3repE0EEENS1_30default_config_static_selectorELNS0_4arch9wavefront6targetE0EEEvSQ_.kd
    .uniform_work_group_size: 1
    .uses_dynamic_stack: false
    .vgpr_count:     34
    .vgpr_spill_count: 0
    .wavefront_size: 32
    .workgroup_processor_mode: 1
  - .args:
      - .offset:         0
        .size:           40
        .value_kind:     by_value
    .group_segment_fixed_size: 0
    .kernarg_segment_align: 8
    .kernarg_segment_size: 40
    .language:       OpenCL C
    .language_version:
      - 2
      - 0
    .max_flat_workgroup_size: 256
    .name:           _ZN7rocprim17ROCPRIM_400000_NS6detail17trampoline_kernelINS0_14default_configENS1_22reduce_config_selectorIiEEZNS1_11reduce_implILb1ES3_PiS7_iN6hipcub16HIPCUB_304000_NS6detail34convert_binary_result_type_wrapperINS9_3SumENS9_22TransformInputIteratorIbN2at6native12_GLOBAL__N_19NonZeroOpIiEEPKilEEiEEEE10hipError_tPvRmT1_T2_T3_mT4_P12ihipStream_tbEUlT_E1_NS1_11comp_targetILNS1_3genE8ELNS1_11target_archE1030ELNS1_3gpuE2ELNS1_3repE0EEENS1_30default_config_static_selectorELNS0_4arch9wavefront6targetE0EEEvSQ_
    .private_segment_fixed_size: 0
    .sgpr_count:     0
    .sgpr_spill_count: 0
    .symbol:         _ZN7rocprim17ROCPRIM_400000_NS6detail17trampoline_kernelINS0_14default_configENS1_22reduce_config_selectorIiEEZNS1_11reduce_implILb1ES3_PiS7_iN6hipcub16HIPCUB_304000_NS6detail34convert_binary_result_type_wrapperINS9_3SumENS9_22TransformInputIteratorIbN2at6native12_GLOBAL__N_19NonZeroOpIiEEPKilEEiEEEE10hipError_tPvRmT1_T2_T3_mT4_P12ihipStream_tbEUlT_E1_NS1_11comp_targetILNS1_3genE8ELNS1_11target_archE1030ELNS1_3gpuE2ELNS1_3repE0EEENS1_30default_config_static_selectorELNS0_4arch9wavefront6targetE0EEEvSQ_.kd
    .uniform_work_group_size: 1
    .uses_dynamic_stack: false
    .vgpr_count:     0
    .vgpr_spill_count: 0
    .wavefront_size: 32
    .workgroup_processor_mode: 1
  - .args:
      - .offset:         0
        .size:           64
        .value_kind:     by_value
    .group_segment_fixed_size: 0
    .kernarg_segment_align: 8
    .kernarg_segment_size: 64
    .language:       OpenCL C
    .language_version:
      - 2
      - 0
    .max_flat_workgroup_size: 256
    .name:           _ZN7rocprim17ROCPRIM_400000_NS6detail17trampoline_kernelINS0_14default_configENS1_22reduce_config_selectorIbEEZNS1_11reduce_implILb1ES3_N6hipcub16HIPCUB_304000_NS22TransformInputIteratorIbN2at6native12_GLOBAL__N_19NonZeroOpIiEEPKilEEPiiNS8_6detail34convert_binary_result_type_wrapperINS8_3SumESH_iEEEE10hipError_tPvRmT1_T2_T3_mT4_P12ihipStream_tbEUlT_E0_NS1_11comp_targetILNS1_3genE0ELNS1_11target_archE4294967295ELNS1_3gpuE0ELNS1_3repE0EEENS1_30default_config_static_selectorELNS0_4arch9wavefront6targetE0EEEvSQ_
    .private_segment_fixed_size: 0
    .sgpr_count:     0
    .sgpr_spill_count: 0
    .symbol:         _ZN7rocprim17ROCPRIM_400000_NS6detail17trampoline_kernelINS0_14default_configENS1_22reduce_config_selectorIbEEZNS1_11reduce_implILb1ES3_N6hipcub16HIPCUB_304000_NS22TransformInputIteratorIbN2at6native12_GLOBAL__N_19NonZeroOpIiEEPKilEEPiiNS8_6detail34convert_binary_result_type_wrapperINS8_3SumESH_iEEEE10hipError_tPvRmT1_T2_T3_mT4_P12ihipStream_tbEUlT_E0_NS1_11comp_targetILNS1_3genE0ELNS1_11target_archE4294967295ELNS1_3gpuE0ELNS1_3repE0EEENS1_30default_config_static_selectorELNS0_4arch9wavefront6targetE0EEEvSQ_.kd
    .uniform_work_group_size: 1
    .uses_dynamic_stack: false
    .vgpr_count:     0
    .vgpr_spill_count: 0
    .wavefront_size: 32
    .workgroup_processor_mode: 1
  - .args:
      - .offset:         0
        .size:           64
        .value_kind:     by_value
    .group_segment_fixed_size: 0
    .kernarg_segment_align: 8
    .kernarg_segment_size: 64
    .language:       OpenCL C
    .language_version:
      - 2
      - 0
    .max_flat_workgroup_size: 256
    .name:           _ZN7rocprim17ROCPRIM_400000_NS6detail17trampoline_kernelINS0_14default_configENS1_22reduce_config_selectorIbEEZNS1_11reduce_implILb1ES3_N6hipcub16HIPCUB_304000_NS22TransformInputIteratorIbN2at6native12_GLOBAL__N_19NonZeroOpIiEEPKilEEPiiNS8_6detail34convert_binary_result_type_wrapperINS8_3SumESH_iEEEE10hipError_tPvRmT1_T2_T3_mT4_P12ihipStream_tbEUlT_E0_NS1_11comp_targetILNS1_3genE5ELNS1_11target_archE942ELNS1_3gpuE9ELNS1_3repE0EEENS1_30default_config_static_selectorELNS0_4arch9wavefront6targetE0EEEvSQ_
    .private_segment_fixed_size: 0
    .sgpr_count:     0
    .sgpr_spill_count: 0
    .symbol:         _ZN7rocprim17ROCPRIM_400000_NS6detail17trampoline_kernelINS0_14default_configENS1_22reduce_config_selectorIbEEZNS1_11reduce_implILb1ES3_N6hipcub16HIPCUB_304000_NS22TransformInputIteratorIbN2at6native12_GLOBAL__N_19NonZeroOpIiEEPKilEEPiiNS8_6detail34convert_binary_result_type_wrapperINS8_3SumESH_iEEEE10hipError_tPvRmT1_T2_T3_mT4_P12ihipStream_tbEUlT_E0_NS1_11comp_targetILNS1_3genE5ELNS1_11target_archE942ELNS1_3gpuE9ELNS1_3repE0EEENS1_30default_config_static_selectorELNS0_4arch9wavefront6targetE0EEEvSQ_.kd
    .uniform_work_group_size: 1
    .uses_dynamic_stack: false
    .vgpr_count:     0
    .vgpr_spill_count: 0
    .wavefront_size: 32
    .workgroup_processor_mode: 1
  - .args:
      - .offset:         0
        .size:           64
        .value_kind:     by_value
    .group_segment_fixed_size: 0
    .kernarg_segment_align: 8
    .kernarg_segment_size: 64
    .language:       OpenCL C
    .language_version:
      - 2
      - 0
    .max_flat_workgroup_size: 128
    .name:           _ZN7rocprim17ROCPRIM_400000_NS6detail17trampoline_kernelINS0_14default_configENS1_22reduce_config_selectorIbEEZNS1_11reduce_implILb1ES3_N6hipcub16HIPCUB_304000_NS22TransformInputIteratorIbN2at6native12_GLOBAL__N_19NonZeroOpIiEEPKilEEPiiNS8_6detail34convert_binary_result_type_wrapperINS8_3SumESH_iEEEE10hipError_tPvRmT1_T2_T3_mT4_P12ihipStream_tbEUlT_E0_NS1_11comp_targetILNS1_3genE4ELNS1_11target_archE910ELNS1_3gpuE8ELNS1_3repE0EEENS1_30default_config_static_selectorELNS0_4arch9wavefront6targetE0EEEvSQ_
    .private_segment_fixed_size: 0
    .sgpr_count:     0
    .sgpr_spill_count: 0
    .symbol:         _ZN7rocprim17ROCPRIM_400000_NS6detail17trampoline_kernelINS0_14default_configENS1_22reduce_config_selectorIbEEZNS1_11reduce_implILb1ES3_N6hipcub16HIPCUB_304000_NS22TransformInputIteratorIbN2at6native12_GLOBAL__N_19NonZeroOpIiEEPKilEEPiiNS8_6detail34convert_binary_result_type_wrapperINS8_3SumESH_iEEEE10hipError_tPvRmT1_T2_T3_mT4_P12ihipStream_tbEUlT_E0_NS1_11comp_targetILNS1_3genE4ELNS1_11target_archE910ELNS1_3gpuE8ELNS1_3repE0EEENS1_30default_config_static_selectorELNS0_4arch9wavefront6targetE0EEEvSQ_.kd
    .uniform_work_group_size: 1
    .uses_dynamic_stack: false
    .vgpr_count:     0
    .vgpr_spill_count: 0
    .wavefront_size: 32
    .workgroup_processor_mode: 1
  - .args:
      - .offset:         0
        .size:           64
        .value_kind:     by_value
    .group_segment_fixed_size: 0
    .kernarg_segment_align: 8
    .kernarg_segment_size: 64
    .language:       OpenCL C
    .language_version:
      - 2
      - 0
    .max_flat_workgroup_size: 256
    .name:           _ZN7rocprim17ROCPRIM_400000_NS6detail17trampoline_kernelINS0_14default_configENS1_22reduce_config_selectorIbEEZNS1_11reduce_implILb1ES3_N6hipcub16HIPCUB_304000_NS22TransformInputIteratorIbN2at6native12_GLOBAL__N_19NonZeroOpIiEEPKilEEPiiNS8_6detail34convert_binary_result_type_wrapperINS8_3SumESH_iEEEE10hipError_tPvRmT1_T2_T3_mT4_P12ihipStream_tbEUlT_E0_NS1_11comp_targetILNS1_3genE3ELNS1_11target_archE908ELNS1_3gpuE7ELNS1_3repE0EEENS1_30default_config_static_selectorELNS0_4arch9wavefront6targetE0EEEvSQ_
    .private_segment_fixed_size: 0
    .sgpr_count:     0
    .sgpr_spill_count: 0
    .symbol:         _ZN7rocprim17ROCPRIM_400000_NS6detail17trampoline_kernelINS0_14default_configENS1_22reduce_config_selectorIbEEZNS1_11reduce_implILb1ES3_N6hipcub16HIPCUB_304000_NS22TransformInputIteratorIbN2at6native12_GLOBAL__N_19NonZeroOpIiEEPKilEEPiiNS8_6detail34convert_binary_result_type_wrapperINS8_3SumESH_iEEEE10hipError_tPvRmT1_T2_T3_mT4_P12ihipStream_tbEUlT_E0_NS1_11comp_targetILNS1_3genE3ELNS1_11target_archE908ELNS1_3gpuE7ELNS1_3repE0EEENS1_30default_config_static_selectorELNS0_4arch9wavefront6targetE0EEEvSQ_.kd
    .uniform_work_group_size: 1
    .uses_dynamic_stack: false
    .vgpr_count:     0
    .vgpr_spill_count: 0
    .wavefront_size: 32
    .workgroup_processor_mode: 1
  - .args:
      - .offset:         0
        .size:           64
        .value_kind:     by_value
    .group_segment_fixed_size: 0
    .kernarg_segment_align: 8
    .kernarg_segment_size: 64
    .language:       OpenCL C
    .language_version:
      - 2
      - 0
    .max_flat_workgroup_size: 128
    .name:           _ZN7rocprim17ROCPRIM_400000_NS6detail17trampoline_kernelINS0_14default_configENS1_22reduce_config_selectorIbEEZNS1_11reduce_implILb1ES3_N6hipcub16HIPCUB_304000_NS22TransformInputIteratorIbN2at6native12_GLOBAL__N_19NonZeroOpIiEEPKilEEPiiNS8_6detail34convert_binary_result_type_wrapperINS8_3SumESH_iEEEE10hipError_tPvRmT1_T2_T3_mT4_P12ihipStream_tbEUlT_E0_NS1_11comp_targetILNS1_3genE2ELNS1_11target_archE906ELNS1_3gpuE6ELNS1_3repE0EEENS1_30default_config_static_selectorELNS0_4arch9wavefront6targetE0EEEvSQ_
    .private_segment_fixed_size: 0
    .sgpr_count:     0
    .sgpr_spill_count: 0
    .symbol:         _ZN7rocprim17ROCPRIM_400000_NS6detail17trampoline_kernelINS0_14default_configENS1_22reduce_config_selectorIbEEZNS1_11reduce_implILb1ES3_N6hipcub16HIPCUB_304000_NS22TransformInputIteratorIbN2at6native12_GLOBAL__N_19NonZeroOpIiEEPKilEEPiiNS8_6detail34convert_binary_result_type_wrapperINS8_3SumESH_iEEEE10hipError_tPvRmT1_T2_T3_mT4_P12ihipStream_tbEUlT_E0_NS1_11comp_targetILNS1_3genE2ELNS1_11target_archE906ELNS1_3gpuE6ELNS1_3repE0EEENS1_30default_config_static_selectorELNS0_4arch9wavefront6targetE0EEEvSQ_.kd
    .uniform_work_group_size: 1
    .uses_dynamic_stack: false
    .vgpr_count:     0
    .vgpr_spill_count: 0
    .wavefront_size: 32
    .workgroup_processor_mode: 1
  - .args:
      - .offset:         0
        .size:           64
        .value_kind:     by_value
    .group_segment_fixed_size: 0
    .kernarg_segment_align: 8
    .kernarg_segment_size: 64
    .language:       OpenCL C
    .language_version:
      - 2
      - 0
    .max_flat_workgroup_size: 256
    .name:           _ZN7rocprim17ROCPRIM_400000_NS6detail17trampoline_kernelINS0_14default_configENS1_22reduce_config_selectorIbEEZNS1_11reduce_implILb1ES3_N6hipcub16HIPCUB_304000_NS22TransformInputIteratorIbN2at6native12_GLOBAL__N_19NonZeroOpIiEEPKilEEPiiNS8_6detail34convert_binary_result_type_wrapperINS8_3SumESH_iEEEE10hipError_tPvRmT1_T2_T3_mT4_P12ihipStream_tbEUlT_E0_NS1_11comp_targetILNS1_3genE10ELNS1_11target_archE1201ELNS1_3gpuE5ELNS1_3repE0EEENS1_30default_config_static_selectorELNS0_4arch9wavefront6targetE0EEEvSQ_
    .private_segment_fixed_size: 0
    .sgpr_count:     0
    .sgpr_spill_count: 0
    .symbol:         _ZN7rocprim17ROCPRIM_400000_NS6detail17trampoline_kernelINS0_14default_configENS1_22reduce_config_selectorIbEEZNS1_11reduce_implILb1ES3_N6hipcub16HIPCUB_304000_NS22TransformInputIteratorIbN2at6native12_GLOBAL__N_19NonZeroOpIiEEPKilEEPiiNS8_6detail34convert_binary_result_type_wrapperINS8_3SumESH_iEEEE10hipError_tPvRmT1_T2_T3_mT4_P12ihipStream_tbEUlT_E0_NS1_11comp_targetILNS1_3genE10ELNS1_11target_archE1201ELNS1_3gpuE5ELNS1_3repE0EEENS1_30default_config_static_selectorELNS0_4arch9wavefront6targetE0EEEvSQ_.kd
    .uniform_work_group_size: 1
    .uses_dynamic_stack: false
    .vgpr_count:     0
    .vgpr_spill_count: 0
    .wavefront_size: 32
    .workgroup_processor_mode: 1
  - .args:
      - .offset:         0
        .size:           64
        .value_kind:     by_value
    .group_segment_fixed_size: 0
    .kernarg_segment_align: 8
    .kernarg_segment_size: 64
    .language:       OpenCL C
    .language_version:
      - 2
      - 0
    .max_flat_workgroup_size: 256
    .name:           _ZN7rocprim17ROCPRIM_400000_NS6detail17trampoline_kernelINS0_14default_configENS1_22reduce_config_selectorIbEEZNS1_11reduce_implILb1ES3_N6hipcub16HIPCUB_304000_NS22TransformInputIteratorIbN2at6native12_GLOBAL__N_19NonZeroOpIiEEPKilEEPiiNS8_6detail34convert_binary_result_type_wrapperINS8_3SumESH_iEEEE10hipError_tPvRmT1_T2_T3_mT4_P12ihipStream_tbEUlT_E0_NS1_11comp_targetILNS1_3genE10ELNS1_11target_archE1200ELNS1_3gpuE4ELNS1_3repE0EEENS1_30default_config_static_selectorELNS0_4arch9wavefront6targetE0EEEvSQ_
    .private_segment_fixed_size: 0
    .sgpr_count:     0
    .sgpr_spill_count: 0
    .symbol:         _ZN7rocprim17ROCPRIM_400000_NS6detail17trampoline_kernelINS0_14default_configENS1_22reduce_config_selectorIbEEZNS1_11reduce_implILb1ES3_N6hipcub16HIPCUB_304000_NS22TransformInputIteratorIbN2at6native12_GLOBAL__N_19NonZeroOpIiEEPKilEEPiiNS8_6detail34convert_binary_result_type_wrapperINS8_3SumESH_iEEEE10hipError_tPvRmT1_T2_T3_mT4_P12ihipStream_tbEUlT_E0_NS1_11comp_targetILNS1_3genE10ELNS1_11target_archE1200ELNS1_3gpuE4ELNS1_3repE0EEENS1_30default_config_static_selectorELNS0_4arch9wavefront6targetE0EEEvSQ_.kd
    .uniform_work_group_size: 1
    .uses_dynamic_stack: false
    .vgpr_count:     0
    .vgpr_spill_count: 0
    .wavefront_size: 32
    .workgroup_processor_mode: 1
  - .args:
      - .offset:         0
        .size:           64
        .value_kind:     by_value
    .group_segment_fixed_size: 32
    .kernarg_segment_align: 8
    .kernarg_segment_size: 64
    .language:       OpenCL C
    .language_version:
      - 2
      - 0
    .max_flat_workgroup_size: 128
    .name:           _ZN7rocprim17ROCPRIM_400000_NS6detail17trampoline_kernelINS0_14default_configENS1_22reduce_config_selectorIbEEZNS1_11reduce_implILb1ES3_N6hipcub16HIPCUB_304000_NS22TransformInputIteratorIbN2at6native12_GLOBAL__N_19NonZeroOpIiEEPKilEEPiiNS8_6detail34convert_binary_result_type_wrapperINS8_3SumESH_iEEEE10hipError_tPvRmT1_T2_T3_mT4_P12ihipStream_tbEUlT_E0_NS1_11comp_targetILNS1_3genE9ELNS1_11target_archE1100ELNS1_3gpuE3ELNS1_3repE0EEENS1_30default_config_static_selectorELNS0_4arch9wavefront6targetE0EEEvSQ_
    .private_segment_fixed_size: 0
    .sgpr_count:     32
    .sgpr_spill_count: 0
    .symbol:         _ZN7rocprim17ROCPRIM_400000_NS6detail17trampoline_kernelINS0_14default_configENS1_22reduce_config_selectorIbEEZNS1_11reduce_implILb1ES3_N6hipcub16HIPCUB_304000_NS22TransformInputIteratorIbN2at6native12_GLOBAL__N_19NonZeroOpIiEEPKilEEPiiNS8_6detail34convert_binary_result_type_wrapperINS8_3SumESH_iEEEE10hipError_tPvRmT1_T2_T3_mT4_P12ihipStream_tbEUlT_E0_NS1_11comp_targetILNS1_3genE9ELNS1_11target_archE1100ELNS1_3gpuE3ELNS1_3repE0EEENS1_30default_config_static_selectorELNS0_4arch9wavefront6targetE0EEEvSQ_.kd
    .uniform_work_group_size: 1
    .uses_dynamic_stack: false
    .vgpr_count:     20
    .vgpr_spill_count: 0
    .wavefront_size: 32
    .workgroup_processor_mode: 1
  - .args:
      - .offset:         0
        .size:           64
        .value_kind:     by_value
    .group_segment_fixed_size: 0
    .kernarg_segment_align: 8
    .kernarg_segment_size: 64
    .language:       OpenCL C
    .language_version:
      - 2
      - 0
    .max_flat_workgroup_size: 256
    .name:           _ZN7rocprim17ROCPRIM_400000_NS6detail17trampoline_kernelINS0_14default_configENS1_22reduce_config_selectorIbEEZNS1_11reduce_implILb1ES3_N6hipcub16HIPCUB_304000_NS22TransformInputIteratorIbN2at6native12_GLOBAL__N_19NonZeroOpIiEEPKilEEPiiNS8_6detail34convert_binary_result_type_wrapperINS8_3SumESH_iEEEE10hipError_tPvRmT1_T2_T3_mT4_P12ihipStream_tbEUlT_E0_NS1_11comp_targetILNS1_3genE8ELNS1_11target_archE1030ELNS1_3gpuE2ELNS1_3repE0EEENS1_30default_config_static_selectorELNS0_4arch9wavefront6targetE0EEEvSQ_
    .private_segment_fixed_size: 0
    .sgpr_count:     0
    .sgpr_spill_count: 0
    .symbol:         _ZN7rocprim17ROCPRIM_400000_NS6detail17trampoline_kernelINS0_14default_configENS1_22reduce_config_selectorIbEEZNS1_11reduce_implILb1ES3_N6hipcub16HIPCUB_304000_NS22TransformInputIteratorIbN2at6native12_GLOBAL__N_19NonZeroOpIiEEPKilEEPiiNS8_6detail34convert_binary_result_type_wrapperINS8_3SumESH_iEEEE10hipError_tPvRmT1_T2_T3_mT4_P12ihipStream_tbEUlT_E0_NS1_11comp_targetILNS1_3genE8ELNS1_11target_archE1030ELNS1_3gpuE2ELNS1_3repE0EEENS1_30default_config_static_selectorELNS0_4arch9wavefront6targetE0EEEvSQ_.kd
    .uniform_work_group_size: 1
    .uses_dynamic_stack: false
    .vgpr_count:     0
    .vgpr_spill_count: 0
    .wavefront_size: 32
    .workgroup_processor_mode: 1
  - .args:
      - .offset:         0
        .size:           48
        .value_kind:     by_value
    .group_segment_fixed_size: 0
    .kernarg_segment_align: 8
    .kernarg_segment_size: 48
    .language:       OpenCL C
    .language_version:
      - 2
      - 0
    .max_flat_workgroup_size: 256
    .name:           _ZN7rocprim17ROCPRIM_400000_NS6detail17trampoline_kernelINS0_14default_configENS1_22reduce_config_selectorIbEEZNS1_11reduce_implILb1ES3_N6hipcub16HIPCUB_304000_NS22TransformInputIteratorIbN2at6native12_GLOBAL__N_19NonZeroOpIiEEPKilEEPiiNS8_6detail34convert_binary_result_type_wrapperINS8_3SumESH_iEEEE10hipError_tPvRmT1_T2_T3_mT4_P12ihipStream_tbEUlT_E1_NS1_11comp_targetILNS1_3genE0ELNS1_11target_archE4294967295ELNS1_3gpuE0ELNS1_3repE0EEENS1_30default_config_static_selectorELNS0_4arch9wavefront6targetE0EEEvSQ_
    .private_segment_fixed_size: 0
    .sgpr_count:     0
    .sgpr_spill_count: 0
    .symbol:         _ZN7rocprim17ROCPRIM_400000_NS6detail17trampoline_kernelINS0_14default_configENS1_22reduce_config_selectorIbEEZNS1_11reduce_implILb1ES3_N6hipcub16HIPCUB_304000_NS22TransformInputIteratorIbN2at6native12_GLOBAL__N_19NonZeroOpIiEEPKilEEPiiNS8_6detail34convert_binary_result_type_wrapperINS8_3SumESH_iEEEE10hipError_tPvRmT1_T2_T3_mT4_P12ihipStream_tbEUlT_E1_NS1_11comp_targetILNS1_3genE0ELNS1_11target_archE4294967295ELNS1_3gpuE0ELNS1_3repE0EEENS1_30default_config_static_selectorELNS0_4arch9wavefront6targetE0EEEvSQ_.kd
    .uniform_work_group_size: 1
    .uses_dynamic_stack: false
    .vgpr_count:     0
    .vgpr_spill_count: 0
    .wavefront_size: 32
    .workgroup_processor_mode: 1
  - .args:
      - .offset:         0
        .size:           48
        .value_kind:     by_value
    .group_segment_fixed_size: 0
    .kernarg_segment_align: 8
    .kernarg_segment_size: 48
    .language:       OpenCL C
    .language_version:
      - 2
      - 0
    .max_flat_workgroup_size: 256
    .name:           _ZN7rocprim17ROCPRIM_400000_NS6detail17trampoline_kernelINS0_14default_configENS1_22reduce_config_selectorIbEEZNS1_11reduce_implILb1ES3_N6hipcub16HIPCUB_304000_NS22TransformInputIteratorIbN2at6native12_GLOBAL__N_19NonZeroOpIiEEPKilEEPiiNS8_6detail34convert_binary_result_type_wrapperINS8_3SumESH_iEEEE10hipError_tPvRmT1_T2_T3_mT4_P12ihipStream_tbEUlT_E1_NS1_11comp_targetILNS1_3genE5ELNS1_11target_archE942ELNS1_3gpuE9ELNS1_3repE0EEENS1_30default_config_static_selectorELNS0_4arch9wavefront6targetE0EEEvSQ_
    .private_segment_fixed_size: 0
    .sgpr_count:     0
    .sgpr_spill_count: 0
    .symbol:         _ZN7rocprim17ROCPRIM_400000_NS6detail17trampoline_kernelINS0_14default_configENS1_22reduce_config_selectorIbEEZNS1_11reduce_implILb1ES3_N6hipcub16HIPCUB_304000_NS22TransformInputIteratorIbN2at6native12_GLOBAL__N_19NonZeroOpIiEEPKilEEPiiNS8_6detail34convert_binary_result_type_wrapperINS8_3SumESH_iEEEE10hipError_tPvRmT1_T2_T3_mT4_P12ihipStream_tbEUlT_E1_NS1_11comp_targetILNS1_3genE5ELNS1_11target_archE942ELNS1_3gpuE9ELNS1_3repE0EEENS1_30default_config_static_selectorELNS0_4arch9wavefront6targetE0EEEvSQ_.kd
    .uniform_work_group_size: 1
    .uses_dynamic_stack: false
    .vgpr_count:     0
    .vgpr_spill_count: 0
    .wavefront_size: 32
    .workgroup_processor_mode: 1
  - .args:
      - .offset:         0
        .size:           48
        .value_kind:     by_value
    .group_segment_fixed_size: 0
    .kernarg_segment_align: 8
    .kernarg_segment_size: 48
    .language:       OpenCL C
    .language_version:
      - 2
      - 0
    .max_flat_workgroup_size: 128
    .name:           _ZN7rocprim17ROCPRIM_400000_NS6detail17trampoline_kernelINS0_14default_configENS1_22reduce_config_selectorIbEEZNS1_11reduce_implILb1ES3_N6hipcub16HIPCUB_304000_NS22TransformInputIteratorIbN2at6native12_GLOBAL__N_19NonZeroOpIiEEPKilEEPiiNS8_6detail34convert_binary_result_type_wrapperINS8_3SumESH_iEEEE10hipError_tPvRmT1_T2_T3_mT4_P12ihipStream_tbEUlT_E1_NS1_11comp_targetILNS1_3genE4ELNS1_11target_archE910ELNS1_3gpuE8ELNS1_3repE0EEENS1_30default_config_static_selectorELNS0_4arch9wavefront6targetE0EEEvSQ_
    .private_segment_fixed_size: 0
    .sgpr_count:     0
    .sgpr_spill_count: 0
    .symbol:         _ZN7rocprim17ROCPRIM_400000_NS6detail17trampoline_kernelINS0_14default_configENS1_22reduce_config_selectorIbEEZNS1_11reduce_implILb1ES3_N6hipcub16HIPCUB_304000_NS22TransformInputIteratorIbN2at6native12_GLOBAL__N_19NonZeroOpIiEEPKilEEPiiNS8_6detail34convert_binary_result_type_wrapperINS8_3SumESH_iEEEE10hipError_tPvRmT1_T2_T3_mT4_P12ihipStream_tbEUlT_E1_NS1_11comp_targetILNS1_3genE4ELNS1_11target_archE910ELNS1_3gpuE8ELNS1_3repE0EEENS1_30default_config_static_selectorELNS0_4arch9wavefront6targetE0EEEvSQ_.kd
    .uniform_work_group_size: 1
    .uses_dynamic_stack: false
    .vgpr_count:     0
    .vgpr_spill_count: 0
    .wavefront_size: 32
    .workgroup_processor_mode: 1
  - .args:
      - .offset:         0
        .size:           48
        .value_kind:     by_value
    .group_segment_fixed_size: 0
    .kernarg_segment_align: 8
    .kernarg_segment_size: 48
    .language:       OpenCL C
    .language_version:
      - 2
      - 0
    .max_flat_workgroup_size: 256
    .name:           _ZN7rocprim17ROCPRIM_400000_NS6detail17trampoline_kernelINS0_14default_configENS1_22reduce_config_selectorIbEEZNS1_11reduce_implILb1ES3_N6hipcub16HIPCUB_304000_NS22TransformInputIteratorIbN2at6native12_GLOBAL__N_19NonZeroOpIiEEPKilEEPiiNS8_6detail34convert_binary_result_type_wrapperINS8_3SumESH_iEEEE10hipError_tPvRmT1_T2_T3_mT4_P12ihipStream_tbEUlT_E1_NS1_11comp_targetILNS1_3genE3ELNS1_11target_archE908ELNS1_3gpuE7ELNS1_3repE0EEENS1_30default_config_static_selectorELNS0_4arch9wavefront6targetE0EEEvSQ_
    .private_segment_fixed_size: 0
    .sgpr_count:     0
    .sgpr_spill_count: 0
    .symbol:         _ZN7rocprim17ROCPRIM_400000_NS6detail17trampoline_kernelINS0_14default_configENS1_22reduce_config_selectorIbEEZNS1_11reduce_implILb1ES3_N6hipcub16HIPCUB_304000_NS22TransformInputIteratorIbN2at6native12_GLOBAL__N_19NonZeroOpIiEEPKilEEPiiNS8_6detail34convert_binary_result_type_wrapperINS8_3SumESH_iEEEE10hipError_tPvRmT1_T2_T3_mT4_P12ihipStream_tbEUlT_E1_NS1_11comp_targetILNS1_3genE3ELNS1_11target_archE908ELNS1_3gpuE7ELNS1_3repE0EEENS1_30default_config_static_selectorELNS0_4arch9wavefront6targetE0EEEvSQ_.kd
    .uniform_work_group_size: 1
    .uses_dynamic_stack: false
    .vgpr_count:     0
    .vgpr_spill_count: 0
    .wavefront_size: 32
    .workgroup_processor_mode: 1
  - .args:
      - .offset:         0
        .size:           48
        .value_kind:     by_value
    .group_segment_fixed_size: 0
    .kernarg_segment_align: 8
    .kernarg_segment_size: 48
    .language:       OpenCL C
    .language_version:
      - 2
      - 0
    .max_flat_workgroup_size: 128
    .name:           _ZN7rocprim17ROCPRIM_400000_NS6detail17trampoline_kernelINS0_14default_configENS1_22reduce_config_selectorIbEEZNS1_11reduce_implILb1ES3_N6hipcub16HIPCUB_304000_NS22TransformInputIteratorIbN2at6native12_GLOBAL__N_19NonZeroOpIiEEPKilEEPiiNS8_6detail34convert_binary_result_type_wrapperINS8_3SumESH_iEEEE10hipError_tPvRmT1_T2_T3_mT4_P12ihipStream_tbEUlT_E1_NS1_11comp_targetILNS1_3genE2ELNS1_11target_archE906ELNS1_3gpuE6ELNS1_3repE0EEENS1_30default_config_static_selectorELNS0_4arch9wavefront6targetE0EEEvSQ_
    .private_segment_fixed_size: 0
    .sgpr_count:     0
    .sgpr_spill_count: 0
    .symbol:         _ZN7rocprim17ROCPRIM_400000_NS6detail17trampoline_kernelINS0_14default_configENS1_22reduce_config_selectorIbEEZNS1_11reduce_implILb1ES3_N6hipcub16HIPCUB_304000_NS22TransformInputIteratorIbN2at6native12_GLOBAL__N_19NonZeroOpIiEEPKilEEPiiNS8_6detail34convert_binary_result_type_wrapperINS8_3SumESH_iEEEE10hipError_tPvRmT1_T2_T3_mT4_P12ihipStream_tbEUlT_E1_NS1_11comp_targetILNS1_3genE2ELNS1_11target_archE906ELNS1_3gpuE6ELNS1_3repE0EEENS1_30default_config_static_selectorELNS0_4arch9wavefront6targetE0EEEvSQ_.kd
    .uniform_work_group_size: 1
    .uses_dynamic_stack: false
    .vgpr_count:     0
    .vgpr_spill_count: 0
    .wavefront_size: 32
    .workgroup_processor_mode: 1
  - .args:
      - .offset:         0
        .size:           48
        .value_kind:     by_value
    .group_segment_fixed_size: 0
    .kernarg_segment_align: 8
    .kernarg_segment_size: 48
    .language:       OpenCL C
    .language_version:
      - 2
      - 0
    .max_flat_workgroup_size: 256
    .name:           _ZN7rocprim17ROCPRIM_400000_NS6detail17trampoline_kernelINS0_14default_configENS1_22reduce_config_selectorIbEEZNS1_11reduce_implILb1ES3_N6hipcub16HIPCUB_304000_NS22TransformInputIteratorIbN2at6native12_GLOBAL__N_19NonZeroOpIiEEPKilEEPiiNS8_6detail34convert_binary_result_type_wrapperINS8_3SumESH_iEEEE10hipError_tPvRmT1_T2_T3_mT4_P12ihipStream_tbEUlT_E1_NS1_11comp_targetILNS1_3genE10ELNS1_11target_archE1201ELNS1_3gpuE5ELNS1_3repE0EEENS1_30default_config_static_selectorELNS0_4arch9wavefront6targetE0EEEvSQ_
    .private_segment_fixed_size: 0
    .sgpr_count:     0
    .sgpr_spill_count: 0
    .symbol:         _ZN7rocprim17ROCPRIM_400000_NS6detail17trampoline_kernelINS0_14default_configENS1_22reduce_config_selectorIbEEZNS1_11reduce_implILb1ES3_N6hipcub16HIPCUB_304000_NS22TransformInputIteratorIbN2at6native12_GLOBAL__N_19NonZeroOpIiEEPKilEEPiiNS8_6detail34convert_binary_result_type_wrapperINS8_3SumESH_iEEEE10hipError_tPvRmT1_T2_T3_mT4_P12ihipStream_tbEUlT_E1_NS1_11comp_targetILNS1_3genE10ELNS1_11target_archE1201ELNS1_3gpuE5ELNS1_3repE0EEENS1_30default_config_static_selectorELNS0_4arch9wavefront6targetE0EEEvSQ_.kd
    .uniform_work_group_size: 1
    .uses_dynamic_stack: false
    .vgpr_count:     0
    .vgpr_spill_count: 0
    .wavefront_size: 32
    .workgroup_processor_mode: 1
  - .args:
      - .offset:         0
        .size:           48
        .value_kind:     by_value
    .group_segment_fixed_size: 0
    .kernarg_segment_align: 8
    .kernarg_segment_size: 48
    .language:       OpenCL C
    .language_version:
      - 2
      - 0
    .max_flat_workgroup_size: 256
    .name:           _ZN7rocprim17ROCPRIM_400000_NS6detail17trampoline_kernelINS0_14default_configENS1_22reduce_config_selectorIbEEZNS1_11reduce_implILb1ES3_N6hipcub16HIPCUB_304000_NS22TransformInputIteratorIbN2at6native12_GLOBAL__N_19NonZeroOpIiEEPKilEEPiiNS8_6detail34convert_binary_result_type_wrapperINS8_3SumESH_iEEEE10hipError_tPvRmT1_T2_T3_mT4_P12ihipStream_tbEUlT_E1_NS1_11comp_targetILNS1_3genE10ELNS1_11target_archE1200ELNS1_3gpuE4ELNS1_3repE0EEENS1_30default_config_static_selectorELNS0_4arch9wavefront6targetE0EEEvSQ_
    .private_segment_fixed_size: 0
    .sgpr_count:     0
    .sgpr_spill_count: 0
    .symbol:         _ZN7rocprim17ROCPRIM_400000_NS6detail17trampoline_kernelINS0_14default_configENS1_22reduce_config_selectorIbEEZNS1_11reduce_implILb1ES3_N6hipcub16HIPCUB_304000_NS22TransformInputIteratorIbN2at6native12_GLOBAL__N_19NonZeroOpIiEEPKilEEPiiNS8_6detail34convert_binary_result_type_wrapperINS8_3SumESH_iEEEE10hipError_tPvRmT1_T2_T3_mT4_P12ihipStream_tbEUlT_E1_NS1_11comp_targetILNS1_3genE10ELNS1_11target_archE1200ELNS1_3gpuE4ELNS1_3repE0EEENS1_30default_config_static_selectorELNS0_4arch9wavefront6targetE0EEEvSQ_.kd
    .uniform_work_group_size: 1
    .uses_dynamic_stack: false
    .vgpr_count:     0
    .vgpr_spill_count: 0
    .wavefront_size: 32
    .workgroup_processor_mode: 1
  - .args:
      - .offset:         0
        .size:           48
        .value_kind:     by_value
    .group_segment_fixed_size: 144
    .kernarg_segment_align: 8
    .kernarg_segment_size: 48
    .language:       OpenCL C
    .language_version:
      - 2
      - 0
    .max_flat_workgroup_size: 128
    .name:           _ZN7rocprim17ROCPRIM_400000_NS6detail17trampoline_kernelINS0_14default_configENS1_22reduce_config_selectorIbEEZNS1_11reduce_implILb1ES3_N6hipcub16HIPCUB_304000_NS22TransformInputIteratorIbN2at6native12_GLOBAL__N_19NonZeroOpIiEEPKilEEPiiNS8_6detail34convert_binary_result_type_wrapperINS8_3SumESH_iEEEE10hipError_tPvRmT1_T2_T3_mT4_P12ihipStream_tbEUlT_E1_NS1_11comp_targetILNS1_3genE9ELNS1_11target_archE1100ELNS1_3gpuE3ELNS1_3repE0EEENS1_30default_config_static_selectorELNS0_4arch9wavefront6targetE0EEEvSQ_
    .private_segment_fixed_size: 0
    .sgpr_count:     31
    .sgpr_spill_count: 0
    .symbol:         _ZN7rocprim17ROCPRIM_400000_NS6detail17trampoline_kernelINS0_14default_configENS1_22reduce_config_selectorIbEEZNS1_11reduce_implILb1ES3_N6hipcub16HIPCUB_304000_NS22TransformInputIteratorIbN2at6native12_GLOBAL__N_19NonZeroOpIiEEPKilEEPiiNS8_6detail34convert_binary_result_type_wrapperINS8_3SumESH_iEEEE10hipError_tPvRmT1_T2_T3_mT4_P12ihipStream_tbEUlT_E1_NS1_11comp_targetILNS1_3genE9ELNS1_11target_archE1100ELNS1_3gpuE3ELNS1_3repE0EEENS1_30default_config_static_selectorELNS0_4arch9wavefront6targetE0EEEvSQ_.kd
    .uniform_work_group_size: 1
    .uses_dynamic_stack: false
    .vgpr_count:     130
    .vgpr_spill_count: 0
    .wavefront_size: 32
    .workgroup_processor_mode: 1
  - .args:
      - .offset:         0
        .size:           48
        .value_kind:     by_value
    .group_segment_fixed_size: 0
    .kernarg_segment_align: 8
    .kernarg_segment_size: 48
    .language:       OpenCL C
    .language_version:
      - 2
      - 0
    .max_flat_workgroup_size: 256
    .name:           _ZN7rocprim17ROCPRIM_400000_NS6detail17trampoline_kernelINS0_14default_configENS1_22reduce_config_selectorIbEEZNS1_11reduce_implILb1ES3_N6hipcub16HIPCUB_304000_NS22TransformInputIteratorIbN2at6native12_GLOBAL__N_19NonZeroOpIiEEPKilEEPiiNS8_6detail34convert_binary_result_type_wrapperINS8_3SumESH_iEEEE10hipError_tPvRmT1_T2_T3_mT4_P12ihipStream_tbEUlT_E1_NS1_11comp_targetILNS1_3genE8ELNS1_11target_archE1030ELNS1_3gpuE2ELNS1_3repE0EEENS1_30default_config_static_selectorELNS0_4arch9wavefront6targetE0EEEvSQ_
    .private_segment_fixed_size: 0
    .sgpr_count:     0
    .sgpr_spill_count: 0
    .symbol:         _ZN7rocprim17ROCPRIM_400000_NS6detail17trampoline_kernelINS0_14default_configENS1_22reduce_config_selectorIbEEZNS1_11reduce_implILb1ES3_N6hipcub16HIPCUB_304000_NS22TransformInputIteratorIbN2at6native12_GLOBAL__N_19NonZeroOpIiEEPKilEEPiiNS8_6detail34convert_binary_result_type_wrapperINS8_3SumESH_iEEEE10hipError_tPvRmT1_T2_T3_mT4_P12ihipStream_tbEUlT_E1_NS1_11comp_targetILNS1_3genE8ELNS1_11target_archE1030ELNS1_3gpuE2ELNS1_3repE0EEENS1_30default_config_static_selectorELNS0_4arch9wavefront6targetE0EEEvSQ_.kd
    .uniform_work_group_size: 1
    .uses_dynamic_stack: false
    .vgpr_count:     0
    .vgpr_spill_count: 0
    .wavefront_size: 32
    .workgroup_processor_mode: 1
  - .args:
      - .offset:         0
        .size:           120
        .value_kind:     by_value
    .group_segment_fixed_size: 0
    .kernarg_segment_align: 8
    .kernarg_segment_size: 120
    .language:       OpenCL C
    .language_version:
      - 2
      - 0
    .max_flat_workgroup_size: 128
    .name:           _ZN7rocprim17ROCPRIM_400000_NS6detail17trampoline_kernelINS0_14default_configENS1_25partition_config_selectorILNS1_17partition_subalgoE5ElNS0_10empty_typeEbEEZZNS1_14partition_implILS5_5ELb0ES3_mN6hipcub16HIPCUB_304000_NS21CountingInputIteratorIllEEPS6_NSA_22TransformInputIteratorIbN2at6native12_GLOBAL__N_19NonZeroOpIiEEPKilEENS0_5tupleIJPlS6_EEENSN_IJSD_SD_EEES6_PiJS6_EEE10hipError_tPvRmT3_T4_T5_T6_T7_T9_mT8_P12ihipStream_tbDpT10_ENKUlT_T0_E_clISt17integral_constantIbLb0EES1B_EEDaS16_S17_EUlS16_E_NS1_11comp_targetILNS1_3genE0ELNS1_11target_archE4294967295ELNS1_3gpuE0ELNS1_3repE0EEENS1_30default_config_static_selectorELNS0_4arch9wavefront6targetE0EEEvT1_
    .private_segment_fixed_size: 0
    .sgpr_count:     0
    .sgpr_spill_count: 0
    .symbol:         _ZN7rocprim17ROCPRIM_400000_NS6detail17trampoline_kernelINS0_14default_configENS1_25partition_config_selectorILNS1_17partition_subalgoE5ElNS0_10empty_typeEbEEZZNS1_14partition_implILS5_5ELb0ES3_mN6hipcub16HIPCUB_304000_NS21CountingInputIteratorIllEEPS6_NSA_22TransformInputIteratorIbN2at6native12_GLOBAL__N_19NonZeroOpIiEEPKilEENS0_5tupleIJPlS6_EEENSN_IJSD_SD_EEES6_PiJS6_EEE10hipError_tPvRmT3_T4_T5_T6_T7_T9_mT8_P12ihipStream_tbDpT10_ENKUlT_T0_E_clISt17integral_constantIbLb0EES1B_EEDaS16_S17_EUlS16_E_NS1_11comp_targetILNS1_3genE0ELNS1_11target_archE4294967295ELNS1_3gpuE0ELNS1_3repE0EEENS1_30default_config_static_selectorELNS0_4arch9wavefront6targetE0EEEvT1_.kd
    .uniform_work_group_size: 1
    .uses_dynamic_stack: false
    .vgpr_count:     0
    .vgpr_spill_count: 0
    .wavefront_size: 32
    .workgroup_processor_mode: 1
  - .args:
      - .offset:         0
        .size:           120
        .value_kind:     by_value
    .group_segment_fixed_size: 0
    .kernarg_segment_align: 8
    .kernarg_segment_size: 120
    .language:       OpenCL C
    .language_version:
      - 2
      - 0
    .max_flat_workgroup_size: 512
    .name:           _ZN7rocprim17ROCPRIM_400000_NS6detail17trampoline_kernelINS0_14default_configENS1_25partition_config_selectorILNS1_17partition_subalgoE5ElNS0_10empty_typeEbEEZZNS1_14partition_implILS5_5ELb0ES3_mN6hipcub16HIPCUB_304000_NS21CountingInputIteratorIllEEPS6_NSA_22TransformInputIteratorIbN2at6native12_GLOBAL__N_19NonZeroOpIiEEPKilEENS0_5tupleIJPlS6_EEENSN_IJSD_SD_EEES6_PiJS6_EEE10hipError_tPvRmT3_T4_T5_T6_T7_T9_mT8_P12ihipStream_tbDpT10_ENKUlT_T0_E_clISt17integral_constantIbLb0EES1B_EEDaS16_S17_EUlS16_E_NS1_11comp_targetILNS1_3genE5ELNS1_11target_archE942ELNS1_3gpuE9ELNS1_3repE0EEENS1_30default_config_static_selectorELNS0_4arch9wavefront6targetE0EEEvT1_
    .private_segment_fixed_size: 0
    .sgpr_count:     0
    .sgpr_spill_count: 0
    .symbol:         _ZN7rocprim17ROCPRIM_400000_NS6detail17trampoline_kernelINS0_14default_configENS1_25partition_config_selectorILNS1_17partition_subalgoE5ElNS0_10empty_typeEbEEZZNS1_14partition_implILS5_5ELb0ES3_mN6hipcub16HIPCUB_304000_NS21CountingInputIteratorIllEEPS6_NSA_22TransformInputIteratorIbN2at6native12_GLOBAL__N_19NonZeroOpIiEEPKilEENS0_5tupleIJPlS6_EEENSN_IJSD_SD_EEES6_PiJS6_EEE10hipError_tPvRmT3_T4_T5_T6_T7_T9_mT8_P12ihipStream_tbDpT10_ENKUlT_T0_E_clISt17integral_constantIbLb0EES1B_EEDaS16_S17_EUlS16_E_NS1_11comp_targetILNS1_3genE5ELNS1_11target_archE942ELNS1_3gpuE9ELNS1_3repE0EEENS1_30default_config_static_selectorELNS0_4arch9wavefront6targetE0EEEvT1_.kd
    .uniform_work_group_size: 1
    .uses_dynamic_stack: false
    .vgpr_count:     0
    .vgpr_spill_count: 0
    .wavefront_size: 32
    .workgroup_processor_mode: 1
  - .args:
      - .offset:         0
        .size:           120
        .value_kind:     by_value
    .group_segment_fixed_size: 0
    .kernarg_segment_align: 8
    .kernarg_segment_size: 120
    .language:       OpenCL C
    .language_version:
      - 2
      - 0
    .max_flat_workgroup_size: 192
    .name:           _ZN7rocprim17ROCPRIM_400000_NS6detail17trampoline_kernelINS0_14default_configENS1_25partition_config_selectorILNS1_17partition_subalgoE5ElNS0_10empty_typeEbEEZZNS1_14partition_implILS5_5ELb0ES3_mN6hipcub16HIPCUB_304000_NS21CountingInputIteratorIllEEPS6_NSA_22TransformInputIteratorIbN2at6native12_GLOBAL__N_19NonZeroOpIiEEPKilEENS0_5tupleIJPlS6_EEENSN_IJSD_SD_EEES6_PiJS6_EEE10hipError_tPvRmT3_T4_T5_T6_T7_T9_mT8_P12ihipStream_tbDpT10_ENKUlT_T0_E_clISt17integral_constantIbLb0EES1B_EEDaS16_S17_EUlS16_E_NS1_11comp_targetILNS1_3genE4ELNS1_11target_archE910ELNS1_3gpuE8ELNS1_3repE0EEENS1_30default_config_static_selectorELNS0_4arch9wavefront6targetE0EEEvT1_
    .private_segment_fixed_size: 0
    .sgpr_count:     0
    .sgpr_spill_count: 0
    .symbol:         _ZN7rocprim17ROCPRIM_400000_NS6detail17trampoline_kernelINS0_14default_configENS1_25partition_config_selectorILNS1_17partition_subalgoE5ElNS0_10empty_typeEbEEZZNS1_14partition_implILS5_5ELb0ES3_mN6hipcub16HIPCUB_304000_NS21CountingInputIteratorIllEEPS6_NSA_22TransformInputIteratorIbN2at6native12_GLOBAL__N_19NonZeroOpIiEEPKilEENS0_5tupleIJPlS6_EEENSN_IJSD_SD_EEES6_PiJS6_EEE10hipError_tPvRmT3_T4_T5_T6_T7_T9_mT8_P12ihipStream_tbDpT10_ENKUlT_T0_E_clISt17integral_constantIbLb0EES1B_EEDaS16_S17_EUlS16_E_NS1_11comp_targetILNS1_3genE4ELNS1_11target_archE910ELNS1_3gpuE8ELNS1_3repE0EEENS1_30default_config_static_selectorELNS0_4arch9wavefront6targetE0EEEvT1_.kd
    .uniform_work_group_size: 1
    .uses_dynamic_stack: false
    .vgpr_count:     0
    .vgpr_spill_count: 0
    .wavefront_size: 32
    .workgroup_processor_mode: 1
  - .args:
      - .offset:         0
        .size:           120
        .value_kind:     by_value
    .group_segment_fixed_size: 0
    .kernarg_segment_align: 8
    .kernarg_segment_size: 120
    .language:       OpenCL C
    .language_version:
      - 2
      - 0
    .max_flat_workgroup_size: 128
    .name:           _ZN7rocprim17ROCPRIM_400000_NS6detail17trampoline_kernelINS0_14default_configENS1_25partition_config_selectorILNS1_17partition_subalgoE5ElNS0_10empty_typeEbEEZZNS1_14partition_implILS5_5ELb0ES3_mN6hipcub16HIPCUB_304000_NS21CountingInputIteratorIllEEPS6_NSA_22TransformInputIteratorIbN2at6native12_GLOBAL__N_19NonZeroOpIiEEPKilEENS0_5tupleIJPlS6_EEENSN_IJSD_SD_EEES6_PiJS6_EEE10hipError_tPvRmT3_T4_T5_T6_T7_T9_mT8_P12ihipStream_tbDpT10_ENKUlT_T0_E_clISt17integral_constantIbLb0EES1B_EEDaS16_S17_EUlS16_E_NS1_11comp_targetILNS1_3genE3ELNS1_11target_archE908ELNS1_3gpuE7ELNS1_3repE0EEENS1_30default_config_static_selectorELNS0_4arch9wavefront6targetE0EEEvT1_
    .private_segment_fixed_size: 0
    .sgpr_count:     0
    .sgpr_spill_count: 0
    .symbol:         _ZN7rocprim17ROCPRIM_400000_NS6detail17trampoline_kernelINS0_14default_configENS1_25partition_config_selectorILNS1_17partition_subalgoE5ElNS0_10empty_typeEbEEZZNS1_14partition_implILS5_5ELb0ES3_mN6hipcub16HIPCUB_304000_NS21CountingInputIteratorIllEEPS6_NSA_22TransformInputIteratorIbN2at6native12_GLOBAL__N_19NonZeroOpIiEEPKilEENS0_5tupleIJPlS6_EEENSN_IJSD_SD_EEES6_PiJS6_EEE10hipError_tPvRmT3_T4_T5_T6_T7_T9_mT8_P12ihipStream_tbDpT10_ENKUlT_T0_E_clISt17integral_constantIbLb0EES1B_EEDaS16_S17_EUlS16_E_NS1_11comp_targetILNS1_3genE3ELNS1_11target_archE908ELNS1_3gpuE7ELNS1_3repE0EEENS1_30default_config_static_selectorELNS0_4arch9wavefront6targetE0EEEvT1_.kd
    .uniform_work_group_size: 1
    .uses_dynamic_stack: false
    .vgpr_count:     0
    .vgpr_spill_count: 0
    .wavefront_size: 32
    .workgroup_processor_mode: 1
  - .args:
      - .offset:         0
        .size:           120
        .value_kind:     by_value
    .group_segment_fixed_size: 0
    .kernarg_segment_align: 8
    .kernarg_segment_size: 120
    .language:       OpenCL C
    .language_version:
      - 2
      - 0
    .max_flat_workgroup_size: 256
    .name:           _ZN7rocprim17ROCPRIM_400000_NS6detail17trampoline_kernelINS0_14default_configENS1_25partition_config_selectorILNS1_17partition_subalgoE5ElNS0_10empty_typeEbEEZZNS1_14partition_implILS5_5ELb0ES3_mN6hipcub16HIPCUB_304000_NS21CountingInputIteratorIllEEPS6_NSA_22TransformInputIteratorIbN2at6native12_GLOBAL__N_19NonZeroOpIiEEPKilEENS0_5tupleIJPlS6_EEENSN_IJSD_SD_EEES6_PiJS6_EEE10hipError_tPvRmT3_T4_T5_T6_T7_T9_mT8_P12ihipStream_tbDpT10_ENKUlT_T0_E_clISt17integral_constantIbLb0EES1B_EEDaS16_S17_EUlS16_E_NS1_11comp_targetILNS1_3genE2ELNS1_11target_archE906ELNS1_3gpuE6ELNS1_3repE0EEENS1_30default_config_static_selectorELNS0_4arch9wavefront6targetE0EEEvT1_
    .private_segment_fixed_size: 0
    .sgpr_count:     0
    .sgpr_spill_count: 0
    .symbol:         _ZN7rocprim17ROCPRIM_400000_NS6detail17trampoline_kernelINS0_14default_configENS1_25partition_config_selectorILNS1_17partition_subalgoE5ElNS0_10empty_typeEbEEZZNS1_14partition_implILS5_5ELb0ES3_mN6hipcub16HIPCUB_304000_NS21CountingInputIteratorIllEEPS6_NSA_22TransformInputIteratorIbN2at6native12_GLOBAL__N_19NonZeroOpIiEEPKilEENS0_5tupleIJPlS6_EEENSN_IJSD_SD_EEES6_PiJS6_EEE10hipError_tPvRmT3_T4_T5_T6_T7_T9_mT8_P12ihipStream_tbDpT10_ENKUlT_T0_E_clISt17integral_constantIbLb0EES1B_EEDaS16_S17_EUlS16_E_NS1_11comp_targetILNS1_3genE2ELNS1_11target_archE906ELNS1_3gpuE6ELNS1_3repE0EEENS1_30default_config_static_selectorELNS0_4arch9wavefront6targetE0EEEvT1_.kd
    .uniform_work_group_size: 1
    .uses_dynamic_stack: false
    .vgpr_count:     0
    .vgpr_spill_count: 0
    .wavefront_size: 32
    .workgroup_processor_mode: 1
  - .args:
      - .offset:         0
        .size:           120
        .value_kind:     by_value
    .group_segment_fixed_size: 0
    .kernarg_segment_align: 8
    .kernarg_segment_size: 120
    .language:       OpenCL C
    .language_version:
      - 2
      - 0
    .max_flat_workgroup_size: 256
    .name:           _ZN7rocprim17ROCPRIM_400000_NS6detail17trampoline_kernelINS0_14default_configENS1_25partition_config_selectorILNS1_17partition_subalgoE5ElNS0_10empty_typeEbEEZZNS1_14partition_implILS5_5ELb0ES3_mN6hipcub16HIPCUB_304000_NS21CountingInputIteratorIllEEPS6_NSA_22TransformInputIteratorIbN2at6native12_GLOBAL__N_19NonZeroOpIiEEPKilEENS0_5tupleIJPlS6_EEENSN_IJSD_SD_EEES6_PiJS6_EEE10hipError_tPvRmT3_T4_T5_T6_T7_T9_mT8_P12ihipStream_tbDpT10_ENKUlT_T0_E_clISt17integral_constantIbLb0EES1B_EEDaS16_S17_EUlS16_E_NS1_11comp_targetILNS1_3genE10ELNS1_11target_archE1200ELNS1_3gpuE4ELNS1_3repE0EEENS1_30default_config_static_selectorELNS0_4arch9wavefront6targetE0EEEvT1_
    .private_segment_fixed_size: 0
    .sgpr_count:     0
    .sgpr_spill_count: 0
    .symbol:         _ZN7rocprim17ROCPRIM_400000_NS6detail17trampoline_kernelINS0_14default_configENS1_25partition_config_selectorILNS1_17partition_subalgoE5ElNS0_10empty_typeEbEEZZNS1_14partition_implILS5_5ELb0ES3_mN6hipcub16HIPCUB_304000_NS21CountingInputIteratorIllEEPS6_NSA_22TransformInputIteratorIbN2at6native12_GLOBAL__N_19NonZeroOpIiEEPKilEENS0_5tupleIJPlS6_EEENSN_IJSD_SD_EEES6_PiJS6_EEE10hipError_tPvRmT3_T4_T5_T6_T7_T9_mT8_P12ihipStream_tbDpT10_ENKUlT_T0_E_clISt17integral_constantIbLb0EES1B_EEDaS16_S17_EUlS16_E_NS1_11comp_targetILNS1_3genE10ELNS1_11target_archE1200ELNS1_3gpuE4ELNS1_3repE0EEENS1_30default_config_static_selectorELNS0_4arch9wavefront6targetE0EEEvT1_.kd
    .uniform_work_group_size: 1
    .uses_dynamic_stack: false
    .vgpr_count:     0
    .vgpr_spill_count: 0
    .wavefront_size: 32
    .workgroup_processor_mode: 1
  - .args:
      - .offset:         0
        .size:           120
        .value_kind:     by_value
    .group_segment_fixed_size: 6160
    .kernarg_segment_align: 8
    .kernarg_segment_size: 120
    .language:       OpenCL C
    .language_version:
      - 2
      - 0
    .max_flat_workgroup_size: 128
    .name:           _ZN7rocprim17ROCPRIM_400000_NS6detail17trampoline_kernelINS0_14default_configENS1_25partition_config_selectorILNS1_17partition_subalgoE5ElNS0_10empty_typeEbEEZZNS1_14partition_implILS5_5ELb0ES3_mN6hipcub16HIPCUB_304000_NS21CountingInputIteratorIllEEPS6_NSA_22TransformInputIteratorIbN2at6native12_GLOBAL__N_19NonZeroOpIiEEPKilEENS0_5tupleIJPlS6_EEENSN_IJSD_SD_EEES6_PiJS6_EEE10hipError_tPvRmT3_T4_T5_T6_T7_T9_mT8_P12ihipStream_tbDpT10_ENKUlT_T0_E_clISt17integral_constantIbLb0EES1B_EEDaS16_S17_EUlS16_E_NS1_11comp_targetILNS1_3genE9ELNS1_11target_archE1100ELNS1_3gpuE3ELNS1_3repE0EEENS1_30default_config_static_selectorELNS0_4arch9wavefront6targetE0EEEvT1_
    .private_segment_fixed_size: 0
    .sgpr_count:     23
    .sgpr_spill_count: 0
    .symbol:         _ZN7rocprim17ROCPRIM_400000_NS6detail17trampoline_kernelINS0_14default_configENS1_25partition_config_selectorILNS1_17partition_subalgoE5ElNS0_10empty_typeEbEEZZNS1_14partition_implILS5_5ELb0ES3_mN6hipcub16HIPCUB_304000_NS21CountingInputIteratorIllEEPS6_NSA_22TransformInputIteratorIbN2at6native12_GLOBAL__N_19NonZeroOpIiEEPKilEENS0_5tupleIJPlS6_EEENSN_IJSD_SD_EEES6_PiJS6_EEE10hipError_tPvRmT3_T4_T5_T6_T7_T9_mT8_P12ihipStream_tbDpT10_ENKUlT_T0_E_clISt17integral_constantIbLb0EES1B_EEDaS16_S17_EUlS16_E_NS1_11comp_targetILNS1_3genE9ELNS1_11target_archE1100ELNS1_3gpuE3ELNS1_3repE0EEENS1_30default_config_static_selectorELNS0_4arch9wavefront6targetE0EEEvT1_.kd
    .uniform_work_group_size: 1
    .uses_dynamic_stack: false
    .vgpr_count:     57
    .vgpr_spill_count: 0
    .wavefront_size: 32
    .workgroup_processor_mode: 1
  - .args:
      - .offset:         0
        .size:           120
        .value_kind:     by_value
    .group_segment_fixed_size: 0
    .kernarg_segment_align: 8
    .kernarg_segment_size: 120
    .language:       OpenCL C
    .language_version:
      - 2
      - 0
    .max_flat_workgroup_size: 512
    .name:           _ZN7rocprim17ROCPRIM_400000_NS6detail17trampoline_kernelINS0_14default_configENS1_25partition_config_selectorILNS1_17partition_subalgoE5ElNS0_10empty_typeEbEEZZNS1_14partition_implILS5_5ELb0ES3_mN6hipcub16HIPCUB_304000_NS21CountingInputIteratorIllEEPS6_NSA_22TransformInputIteratorIbN2at6native12_GLOBAL__N_19NonZeroOpIiEEPKilEENS0_5tupleIJPlS6_EEENSN_IJSD_SD_EEES6_PiJS6_EEE10hipError_tPvRmT3_T4_T5_T6_T7_T9_mT8_P12ihipStream_tbDpT10_ENKUlT_T0_E_clISt17integral_constantIbLb0EES1B_EEDaS16_S17_EUlS16_E_NS1_11comp_targetILNS1_3genE8ELNS1_11target_archE1030ELNS1_3gpuE2ELNS1_3repE0EEENS1_30default_config_static_selectorELNS0_4arch9wavefront6targetE0EEEvT1_
    .private_segment_fixed_size: 0
    .sgpr_count:     0
    .sgpr_spill_count: 0
    .symbol:         _ZN7rocprim17ROCPRIM_400000_NS6detail17trampoline_kernelINS0_14default_configENS1_25partition_config_selectorILNS1_17partition_subalgoE5ElNS0_10empty_typeEbEEZZNS1_14partition_implILS5_5ELb0ES3_mN6hipcub16HIPCUB_304000_NS21CountingInputIteratorIllEEPS6_NSA_22TransformInputIteratorIbN2at6native12_GLOBAL__N_19NonZeroOpIiEEPKilEENS0_5tupleIJPlS6_EEENSN_IJSD_SD_EEES6_PiJS6_EEE10hipError_tPvRmT3_T4_T5_T6_T7_T9_mT8_P12ihipStream_tbDpT10_ENKUlT_T0_E_clISt17integral_constantIbLb0EES1B_EEDaS16_S17_EUlS16_E_NS1_11comp_targetILNS1_3genE8ELNS1_11target_archE1030ELNS1_3gpuE2ELNS1_3repE0EEENS1_30default_config_static_selectorELNS0_4arch9wavefront6targetE0EEEvT1_.kd
    .uniform_work_group_size: 1
    .uses_dynamic_stack: false
    .vgpr_count:     0
    .vgpr_spill_count: 0
    .wavefront_size: 32
    .workgroup_processor_mode: 1
  - .args:
      - .offset:         0
        .size:           136
        .value_kind:     by_value
    .group_segment_fixed_size: 0
    .kernarg_segment_align: 8
    .kernarg_segment_size: 136
    .language:       OpenCL C
    .language_version:
      - 2
      - 0
    .max_flat_workgroup_size: 128
    .name:           _ZN7rocprim17ROCPRIM_400000_NS6detail17trampoline_kernelINS0_14default_configENS1_25partition_config_selectorILNS1_17partition_subalgoE5ElNS0_10empty_typeEbEEZZNS1_14partition_implILS5_5ELb0ES3_mN6hipcub16HIPCUB_304000_NS21CountingInputIteratorIllEEPS6_NSA_22TransformInputIteratorIbN2at6native12_GLOBAL__N_19NonZeroOpIiEEPKilEENS0_5tupleIJPlS6_EEENSN_IJSD_SD_EEES6_PiJS6_EEE10hipError_tPvRmT3_T4_T5_T6_T7_T9_mT8_P12ihipStream_tbDpT10_ENKUlT_T0_E_clISt17integral_constantIbLb1EES1B_EEDaS16_S17_EUlS16_E_NS1_11comp_targetILNS1_3genE0ELNS1_11target_archE4294967295ELNS1_3gpuE0ELNS1_3repE0EEENS1_30default_config_static_selectorELNS0_4arch9wavefront6targetE0EEEvT1_
    .private_segment_fixed_size: 0
    .sgpr_count:     0
    .sgpr_spill_count: 0
    .symbol:         _ZN7rocprim17ROCPRIM_400000_NS6detail17trampoline_kernelINS0_14default_configENS1_25partition_config_selectorILNS1_17partition_subalgoE5ElNS0_10empty_typeEbEEZZNS1_14partition_implILS5_5ELb0ES3_mN6hipcub16HIPCUB_304000_NS21CountingInputIteratorIllEEPS6_NSA_22TransformInputIteratorIbN2at6native12_GLOBAL__N_19NonZeroOpIiEEPKilEENS0_5tupleIJPlS6_EEENSN_IJSD_SD_EEES6_PiJS6_EEE10hipError_tPvRmT3_T4_T5_T6_T7_T9_mT8_P12ihipStream_tbDpT10_ENKUlT_T0_E_clISt17integral_constantIbLb1EES1B_EEDaS16_S17_EUlS16_E_NS1_11comp_targetILNS1_3genE0ELNS1_11target_archE4294967295ELNS1_3gpuE0ELNS1_3repE0EEENS1_30default_config_static_selectorELNS0_4arch9wavefront6targetE0EEEvT1_.kd
    .uniform_work_group_size: 1
    .uses_dynamic_stack: false
    .vgpr_count:     0
    .vgpr_spill_count: 0
    .wavefront_size: 32
    .workgroup_processor_mode: 1
  - .args:
      - .offset:         0
        .size:           136
        .value_kind:     by_value
    .group_segment_fixed_size: 0
    .kernarg_segment_align: 8
    .kernarg_segment_size: 136
    .language:       OpenCL C
    .language_version:
      - 2
      - 0
    .max_flat_workgroup_size: 512
    .name:           _ZN7rocprim17ROCPRIM_400000_NS6detail17trampoline_kernelINS0_14default_configENS1_25partition_config_selectorILNS1_17partition_subalgoE5ElNS0_10empty_typeEbEEZZNS1_14partition_implILS5_5ELb0ES3_mN6hipcub16HIPCUB_304000_NS21CountingInputIteratorIllEEPS6_NSA_22TransformInputIteratorIbN2at6native12_GLOBAL__N_19NonZeroOpIiEEPKilEENS0_5tupleIJPlS6_EEENSN_IJSD_SD_EEES6_PiJS6_EEE10hipError_tPvRmT3_T4_T5_T6_T7_T9_mT8_P12ihipStream_tbDpT10_ENKUlT_T0_E_clISt17integral_constantIbLb1EES1B_EEDaS16_S17_EUlS16_E_NS1_11comp_targetILNS1_3genE5ELNS1_11target_archE942ELNS1_3gpuE9ELNS1_3repE0EEENS1_30default_config_static_selectorELNS0_4arch9wavefront6targetE0EEEvT1_
    .private_segment_fixed_size: 0
    .sgpr_count:     0
    .sgpr_spill_count: 0
    .symbol:         _ZN7rocprim17ROCPRIM_400000_NS6detail17trampoline_kernelINS0_14default_configENS1_25partition_config_selectorILNS1_17partition_subalgoE5ElNS0_10empty_typeEbEEZZNS1_14partition_implILS5_5ELb0ES3_mN6hipcub16HIPCUB_304000_NS21CountingInputIteratorIllEEPS6_NSA_22TransformInputIteratorIbN2at6native12_GLOBAL__N_19NonZeroOpIiEEPKilEENS0_5tupleIJPlS6_EEENSN_IJSD_SD_EEES6_PiJS6_EEE10hipError_tPvRmT3_T4_T5_T6_T7_T9_mT8_P12ihipStream_tbDpT10_ENKUlT_T0_E_clISt17integral_constantIbLb1EES1B_EEDaS16_S17_EUlS16_E_NS1_11comp_targetILNS1_3genE5ELNS1_11target_archE942ELNS1_3gpuE9ELNS1_3repE0EEENS1_30default_config_static_selectorELNS0_4arch9wavefront6targetE0EEEvT1_.kd
    .uniform_work_group_size: 1
    .uses_dynamic_stack: false
    .vgpr_count:     0
    .vgpr_spill_count: 0
    .wavefront_size: 32
    .workgroup_processor_mode: 1
  - .args:
      - .offset:         0
        .size:           136
        .value_kind:     by_value
    .group_segment_fixed_size: 0
    .kernarg_segment_align: 8
    .kernarg_segment_size: 136
    .language:       OpenCL C
    .language_version:
      - 2
      - 0
    .max_flat_workgroup_size: 192
    .name:           _ZN7rocprim17ROCPRIM_400000_NS6detail17trampoline_kernelINS0_14default_configENS1_25partition_config_selectorILNS1_17partition_subalgoE5ElNS0_10empty_typeEbEEZZNS1_14partition_implILS5_5ELb0ES3_mN6hipcub16HIPCUB_304000_NS21CountingInputIteratorIllEEPS6_NSA_22TransformInputIteratorIbN2at6native12_GLOBAL__N_19NonZeroOpIiEEPKilEENS0_5tupleIJPlS6_EEENSN_IJSD_SD_EEES6_PiJS6_EEE10hipError_tPvRmT3_T4_T5_T6_T7_T9_mT8_P12ihipStream_tbDpT10_ENKUlT_T0_E_clISt17integral_constantIbLb1EES1B_EEDaS16_S17_EUlS16_E_NS1_11comp_targetILNS1_3genE4ELNS1_11target_archE910ELNS1_3gpuE8ELNS1_3repE0EEENS1_30default_config_static_selectorELNS0_4arch9wavefront6targetE0EEEvT1_
    .private_segment_fixed_size: 0
    .sgpr_count:     0
    .sgpr_spill_count: 0
    .symbol:         _ZN7rocprim17ROCPRIM_400000_NS6detail17trampoline_kernelINS0_14default_configENS1_25partition_config_selectorILNS1_17partition_subalgoE5ElNS0_10empty_typeEbEEZZNS1_14partition_implILS5_5ELb0ES3_mN6hipcub16HIPCUB_304000_NS21CountingInputIteratorIllEEPS6_NSA_22TransformInputIteratorIbN2at6native12_GLOBAL__N_19NonZeroOpIiEEPKilEENS0_5tupleIJPlS6_EEENSN_IJSD_SD_EEES6_PiJS6_EEE10hipError_tPvRmT3_T4_T5_T6_T7_T9_mT8_P12ihipStream_tbDpT10_ENKUlT_T0_E_clISt17integral_constantIbLb1EES1B_EEDaS16_S17_EUlS16_E_NS1_11comp_targetILNS1_3genE4ELNS1_11target_archE910ELNS1_3gpuE8ELNS1_3repE0EEENS1_30default_config_static_selectorELNS0_4arch9wavefront6targetE0EEEvT1_.kd
    .uniform_work_group_size: 1
    .uses_dynamic_stack: false
    .vgpr_count:     0
    .vgpr_spill_count: 0
    .wavefront_size: 32
    .workgroup_processor_mode: 1
  - .args:
      - .offset:         0
        .size:           136
        .value_kind:     by_value
    .group_segment_fixed_size: 0
    .kernarg_segment_align: 8
    .kernarg_segment_size: 136
    .language:       OpenCL C
    .language_version:
      - 2
      - 0
    .max_flat_workgroup_size: 128
    .name:           _ZN7rocprim17ROCPRIM_400000_NS6detail17trampoline_kernelINS0_14default_configENS1_25partition_config_selectorILNS1_17partition_subalgoE5ElNS0_10empty_typeEbEEZZNS1_14partition_implILS5_5ELb0ES3_mN6hipcub16HIPCUB_304000_NS21CountingInputIteratorIllEEPS6_NSA_22TransformInputIteratorIbN2at6native12_GLOBAL__N_19NonZeroOpIiEEPKilEENS0_5tupleIJPlS6_EEENSN_IJSD_SD_EEES6_PiJS6_EEE10hipError_tPvRmT3_T4_T5_T6_T7_T9_mT8_P12ihipStream_tbDpT10_ENKUlT_T0_E_clISt17integral_constantIbLb1EES1B_EEDaS16_S17_EUlS16_E_NS1_11comp_targetILNS1_3genE3ELNS1_11target_archE908ELNS1_3gpuE7ELNS1_3repE0EEENS1_30default_config_static_selectorELNS0_4arch9wavefront6targetE0EEEvT1_
    .private_segment_fixed_size: 0
    .sgpr_count:     0
    .sgpr_spill_count: 0
    .symbol:         _ZN7rocprim17ROCPRIM_400000_NS6detail17trampoline_kernelINS0_14default_configENS1_25partition_config_selectorILNS1_17partition_subalgoE5ElNS0_10empty_typeEbEEZZNS1_14partition_implILS5_5ELb0ES3_mN6hipcub16HIPCUB_304000_NS21CountingInputIteratorIllEEPS6_NSA_22TransformInputIteratorIbN2at6native12_GLOBAL__N_19NonZeroOpIiEEPKilEENS0_5tupleIJPlS6_EEENSN_IJSD_SD_EEES6_PiJS6_EEE10hipError_tPvRmT3_T4_T5_T6_T7_T9_mT8_P12ihipStream_tbDpT10_ENKUlT_T0_E_clISt17integral_constantIbLb1EES1B_EEDaS16_S17_EUlS16_E_NS1_11comp_targetILNS1_3genE3ELNS1_11target_archE908ELNS1_3gpuE7ELNS1_3repE0EEENS1_30default_config_static_selectorELNS0_4arch9wavefront6targetE0EEEvT1_.kd
    .uniform_work_group_size: 1
    .uses_dynamic_stack: false
    .vgpr_count:     0
    .vgpr_spill_count: 0
    .wavefront_size: 32
    .workgroup_processor_mode: 1
  - .args:
      - .offset:         0
        .size:           136
        .value_kind:     by_value
    .group_segment_fixed_size: 0
    .kernarg_segment_align: 8
    .kernarg_segment_size: 136
    .language:       OpenCL C
    .language_version:
      - 2
      - 0
    .max_flat_workgroup_size: 256
    .name:           _ZN7rocprim17ROCPRIM_400000_NS6detail17trampoline_kernelINS0_14default_configENS1_25partition_config_selectorILNS1_17partition_subalgoE5ElNS0_10empty_typeEbEEZZNS1_14partition_implILS5_5ELb0ES3_mN6hipcub16HIPCUB_304000_NS21CountingInputIteratorIllEEPS6_NSA_22TransformInputIteratorIbN2at6native12_GLOBAL__N_19NonZeroOpIiEEPKilEENS0_5tupleIJPlS6_EEENSN_IJSD_SD_EEES6_PiJS6_EEE10hipError_tPvRmT3_T4_T5_T6_T7_T9_mT8_P12ihipStream_tbDpT10_ENKUlT_T0_E_clISt17integral_constantIbLb1EES1B_EEDaS16_S17_EUlS16_E_NS1_11comp_targetILNS1_3genE2ELNS1_11target_archE906ELNS1_3gpuE6ELNS1_3repE0EEENS1_30default_config_static_selectorELNS0_4arch9wavefront6targetE0EEEvT1_
    .private_segment_fixed_size: 0
    .sgpr_count:     0
    .sgpr_spill_count: 0
    .symbol:         _ZN7rocprim17ROCPRIM_400000_NS6detail17trampoline_kernelINS0_14default_configENS1_25partition_config_selectorILNS1_17partition_subalgoE5ElNS0_10empty_typeEbEEZZNS1_14partition_implILS5_5ELb0ES3_mN6hipcub16HIPCUB_304000_NS21CountingInputIteratorIllEEPS6_NSA_22TransformInputIteratorIbN2at6native12_GLOBAL__N_19NonZeroOpIiEEPKilEENS0_5tupleIJPlS6_EEENSN_IJSD_SD_EEES6_PiJS6_EEE10hipError_tPvRmT3_T4_T5_T6_T7_T9_mT8_P12ihipStream_tbDpT10_ENKUlT_T0_E_clISt17integral_constantIbLb1EES1B_EEDaS16_S17_EUlS16_E_NS1_11comp_targetILNS1_3genE2ELNS1_11target_archE906ELNS1_3gpuE6ELNS1_3repE0EEENS1_30default_config_static_selectorELNS0_4arch9wavefront6targetE0EEEvT1_.kd
    .uniform_work_group_size: 1
    .uses_dynamic_stack: false
    .vgpr_count:     0
    .vgpr_spill_count: 0
    .wavefront_size: 32
    .workgroup_processor_mode: 1
  - .args:
      - .offset:         0
        .size:           136
        .value_kind:     by_value
    .group_segment_fixed_size: 0
    .kernarg_segment_align: 8
    .kernarg_segment_size: 136
    .language:       OpenCL C
    .language_version:
      - 2
      - 0
    .max_flat_workgroup_size: 256
    .name:           _ZN7rocprim17ROCPRIM_400000_NS6detail17trampoline_kernelINS0_14default_configENS1_25partition_config_selectorILNS1_17partition_subalgoE5ElNS0_10empty_typeEbEEZZNS1_14partition_implILS5_5ELb0ES3_mN6hipcub16HIPCUB_304000_NS21CountingInputIteratorIllEEPS6_NSA_22TransformInputIteratorIbN2at6native12_GLOBAL__N_19NonZeroOpIiEEPKilEENS0_5tupleIJPlS6_EEENSN_IJSD_SD_EEES6_PiJS6_EEE10hipError_tPvRmT3_T4_T5_T6_T7_T9_mT8_P12ihipStream_tbDpT10_ENKUlT_T0_E_clISt17integral_constantIbLb1EES1B_EEDaS16_S17_EUlS16_E_NS1_11comp_targetILNS1_3genE10ELNS1_11target_archE1200ELNS1_3gpuE4ELNS1_3repE0EEENS1_30default_config_static_selectorELNS0_4arch9wavefront6targetE0EEEvT1_
    .private_segment_fixed_size: 0
    .sgpr_count:     0
    .sgpr_spill_count: 0
    .symbol:         _ZN7rocprim17ROCPRIM_400000_NS6detail17trampoline_kernelINS0_14default_configENS1_25partition_config_selectorILNS1_17partition_subalgoE5ElNS0_10empty_typeEbEEZZNS1_14partition_implILS5_5ELb0ES3_mN6hipcub16HIPCUB_304000_NS21CountingInputIteratorIllEEPS6_NSA_22TransformInputIteratorIbN2at6native12_GLOBAL__N_19NonZeroOpIiEEPKilEENS0_5tupleIJPlS6_EEENSN_IJSD_SD_EEES6_PiJS6_EEE10hipError_tPvRmT3_T4_T5_T6_T7_T9_mT8_P12ihipStream_tbDpT10_ENKUlT_T0_E_clISt17integral_constantIbLb1EES1B_EEDaS16_S17_EUlS16_E_NS1_11comp_targetILNS1_3genE10ELNS1_11target_archE1200ELNS1_3gpuE4ELNS1_3repE0EEENS1_30default_config_static_selectorELNS0_4arch9wavefront6targetE0EEEvT1_.kd
    .uniform_work_group_size: 1
    .uses_dynamic_stack: false
    .vgpr_count:     0
    .vgpr_spill_count: 0
    .wavefront_size: 32
    .workgroup_processor_mode: 1
  - .args:
      - .offset:         0
        .size:           136
        .value_kind:     by_value
    .group_segment_fixed_size: 6160
    .kernarg_segment_align: 8
    .kernarg_segment_size: 136
    .language:       OpenCL C
    .language_version:
      - 2
      - 0
    .max_flat_workgroup_size: 128
    .name:           _ZN7rocprim17ROCPRIM_400000_NS6detail17trampoline_kernelINS0_14default_configENS1_25partition_config_selectorILNS1_17partition_subalgoE5ElNS0_10empty_typeEbEEZZNS1_14partition_implILS5_5ELb0ES3_mN6hipcub16HIPCUB_304000_NS21CountingInputIteratorIllEEPS6_NSA_22TransformInputIteratorIbN2at6native12_GLOBAL__N_19NonZeroOpIiEEPKilEENS0_5tupleIJPlS6_EEENSN_IJSD_SD_EEES6_PiJS6_EEE10hipError_tPvRmT3_T4_T5_T6_T7_T9_mT8_P12ihipStream_tbDpT10_ENKUlT_T0_E_clISt17integral_constantIbLb1EES1B_EEDaS16_S17_EUlS16_E_NS1_11comp_targetILNS1_3genE9ELNS1_11target_archE1100ELNS1_3gpuE3ELNS1_3repE0EEENS1_30default_config_static_selectorELNS0_4arch9wavefront6targetE0EEEvT1_
    .private_segment_fixed_size: 0
    .sgpr_count:     26
    .sgpr_spill_count: 0
    .symbol:         _ZN7rocprim17ROCPRIM_400000_NS6detail17trampoline_kernelINS0_14default_configENS1_25partition_config_selectorILNS1_17partition_subalgoE5ElNS0_10empty_typeEbEEZZNS1_14partition_implILS5_5ELb0ES3_mN6hipcub16HIPCUB_304000_NS21CountingInputIteratorIllEEPS6_NSA_22TransformInputIteratorIbN2at6native12_GLOBAL__N_19NonZeroOpIiEEPKilEENS0_5tupleIJPlS6_EEENSN_IJSD_SD_EEES6_PiJS6_EEE10hipError_tPvRmT3_T4_T5_T6_T7_T9_mT8_P12ihipStream_tbDpT10_ENKUlT_T0_E_clISt17integral_constantIbLb1EES1B_EEDaS16_S17_EUlS16_E_NS1_11comp_targetILNS1_3genE9ELNS1_11target_archE1100ELNS1_3gpuE3ELNS1_3repE0EEENS1_30default_config_static_selectorELNS0_4arch9wavefront6targetE0EEEvT1_.kd
    .uniform_work_group_size: 1
    .uses_dynamic_stack: false
    .vgpr_count:     57
    .vgpr_spill_count: 0
    .wavefront_size: 32
    .workgroup_processor_mode: 1
  - .args:
      - .offset:         0
        .size:           136
        .value_kind:     by_value
    .group_segment_fixed_size: 0
    .kernarg_segment_align: 8
    .kernarg_segment_size: 136
    .language:       OpenCL C
    .language_version:
      - 2
      - 0
    .max_flat_workgroup_size: 512
    .name:           _ZN7rocprim17ROCPRIM_400000_NS6detail17trampoline_kernelINS0_14default_configENS1_25partition_config_selectorILNS1_17partition_subalgoE5ElNS0_10empty_typeEbEEZZNS1_14partition_implILS5_5ELb0ES3_mN6hipcub16HIPCUB_304000_NS21CountingInputIteratorIllEEPS6_NSA_22TransformInputIteratorIbN2at6native12_GLOBAL__N_19NonZeroOpIiEEPKilEENS0_5tupleIJPlS6_EEENSN_IJSD_SD_EEES6_PiJS6_EEE10hipError_tPvRmT3_T4_T5_T6_T7_T9_mT8_P12ihipStream_tbDpT10_ENKUlT_T0_E_clISt17integral_constantIbLb1EES1B_EEDaS16_S17_EUlS16_E_NS1_11comp_targetILNS1_3genE8ELNS1_11target_archE1030ELNS1_3gpuE2ELNS1_3repE0EEENS1_30default_config_static_selectorELNS0_4arch9wavefront6targetE0EEEvT1_
    .private_segment_fixed_size: 0
    .sgpr_count:     0
    .sgpr_spill_count: 0
    .symbol:         _ZN7rocprim17ROCPRIM_400000_NS6detail17trampoline_kernelINS0_14default_configENS1_25partition_config_selectorILNS1_17partition_subalgoE5ElNS0_10empty_typeEbEEZZNS1_14partition_implILS5_5ELb0ES3_mN6hipcub16HIPCUB_304000_NS21CountingInputIteratorIllEEPS6_NSA_22TransformInputIteratorIbN2at6native12_GLOBAL__N_19NonZeroOpIiEEPKilEENS0_5tupleIJPlS6_EEENSN_IJSD_SD_EEES6_PiJS6_EEE10hipError_tPvRmT3_T4_T5_T6_T7_T9_mT8_P12ihipStream_tbDpT10_ENKUlT_T0_E_clISt17integral_constantIbLb1EES1B_EEDaS16_S17_EUlS16_E_NS1_11comp_targetILNS1_3genE8ELNS1_11target_archE1030ELNS1_3gpuE2ELNS1_3repE0EEENS1_30default_config_static_selectorELNS0_4arch9wavefront6targetE0EEEvT1_.kd
    .uniform_work_group_size: 1
    .uses_dynamic_stack: false
    .vgpr_count:     0
    .vgpr_spill_count: 0
    .wavefront_size: 32
    .workgroup_processor_mode: 1
  - .args:
      - .offset:         0
        .size:           120
        .value_kind:     by_value
    .group_segment_fixed_size: 0
    .kernarg_segment_align: 8
    .kernarg_segment_size: 120
    .language:       OpenCL C
    .language_version:
      - 2
      - 0
    .max_flat_workgroup_size: 128
    .name:           _ZN7rocprim17ROCPRIM_400000_NS6detail17trampoline_kernelINS0_14default_configENS1_25partition_config_selectorILNS1_17partition_subalgoE5ElNS0_10empty_typeEbEEZZNS1_14partition_implILS5_5ELb0ES3_mN6hipcub16HIPCUB_304000_NS21CountingInputIteratorIllEEPS6_NSA_22TransformInputIteratorIbN2at6native12_GLOBAL__N_19NonZeroOpIiEEPKilEENS0_5tupleIJPlS6_EEENSN_IJSD_SD_EEES6_PiJS6_EEE10hipError_tPvRmT3_T4_T5_T6_T7_T9_mT8_P12ihipStream_tbDpT10_ENKUlT_T0_E_clISt17integral_constantIbLb1EES1A_IbLb0EEEEDaS16_S17_EUlS16_E_NS1_11comp_targetILNS1_3genE0ELNS1_11target_archE4294967295ELNS1_3gpuE0ELNS1_3repE0EEENS1_30default_config_static_selectorELNS0_4arch9wavefront6targetE0EEEvT1_
    .private_segment_fixed_size: 0
    .sgpr_count:     0
    .sgpr_spill_count: 0
    .symbol:         _ZN7rocprim17ROCPRIM_400000_NS6detail17trampoline_kernelINS0_14default_configENS1_25partition_config_selectorILNS1_17partition_subalgoE5ElNS0_10empty_typeEbEEZZNS1_14partition_implILS5_5ELb0ES3_mN6hipcub16HIPCUB_304000_NS21CountingInputIteratorIllEEPS6_NSA_22TransformInputIteratorIbN2at6native12_GLOBAL__N_19NonZeroOpIiEEPKilEENS0_5tupleIJPlS6_EEENSN_IJSD_SD_EEES6_PiJS6_EEE10hipError_tPvRmT3_T4_T5_T6_T7_T9_mT8_P12ihipStream_tbDpT10_ENKUlT_T0_E_clISt17integral_constantIbLb1EES1A_IbLb0EEEEDaS16_S17_EUlS16_E_NS1_11comp_targetILNS1_3genE0ELNS1_11target_archE4294967295ELNS1_3gpuE0ELNS1_3repE0EEENS1_30default_config_static_selectorELNS0_4arch9wavefront6targetE0EEEvT1_.kd
    .uniform_work_group_size: 1
    .uses_dynamic_stack: false
    .vgpr_count:     0
    .vgpr_spill_count: 0
    .wavefront_size: 32
    .workgroup_processor_mode: 1
  - .args:
      - .offset:         0
        .size:           120
        .value_kind:     by_value
    .group_segment_fixed_size: 0
    .kernarg_segment_align: 8
    .kernarg_segment_size: 120
    .language:       OpenCL C
    .language_version:
      - 2
      - 0
    .max_flat_workgroup_size: 512
    .name:           _ZN7rocprim17ROCPRIM_400000_NS6detail17trampoline_kernelINS0_14default_configENS1_25partition_config_selectorILNS1_17partition_subalgoE5ElNS0_10empty_typeEbEEZZNS1_14partition_implILS5_5ELb0ES3_mN6hipcub16HIPCUB_304000_NS21CountingInputIteratorIllEEPS6_NSA_22TransformInputIteratorIbN2at6native12_GLOBAL__N_19NonZeroOpIiEEPKilEENS0_5tupleIJPlS6_EEENSN_IJSD_SD_EEES6_PiJS6_EEE10hipError_tPvRmT3_T4_T5_T6_T7_T9_mT8_P12ihipStream_tbDpT10_ENKUlT_T0_E_clISt17integral_constantIbLb1EES1A_IbLb0EEEEDaS16_S17_EUlS16_E_NS1_11comp_targetILNS1_3genE5ELNS1_11target_archE942ELNS1_3gpuE9ELNS1_3repE0EEENS1_30default_config_static_selectorELNS0_4arch9wavefront6targetE0EEEvT1_
    .private_segment_fixed_size: 0
    .sgpr_count:     0
    .sgpr_spill_count: 0
    .symbol:         _ZN7rocprim17ROCPRIM_400000_NS6detail17trampoline_kernelINS0_14default_configENS1_25partition_config_selectorILNS1_17partition_subalgoE5ElNS0_10empty_typeEbEEZZNS1_14partition_implILS5_5ELb0ES3_mN6hipcub16HIPCUB_304000_NS21CountingInputIteratorIllEEPS6_NSA_22TransformInputIteratorIbN2at6native12_GLOBAL__N_19NonZeroOpIiEEPKilEENS0_5tupleIJPlS6_EEENSN_IJSD_SD_EEES6_PiJS6_EEE10hipError_tPvRmT3_T4_T5_T6_T7_T9_mT8_P12ihipStream_tbDpT10_ENKUlT_T0_E_clISt17integral_constantIbLb1EES1A_IbLb0EEEEDaS16_S17_EUlS16_E_NS1_11comp_targetILNS1_3genE5ELNS1_11target_archE942ELNS1_3gpuE9ELNS1_3repE0EEENS1_30default_config_static_selectorELNS0_4arch9wavefront6targetE0EEEvT1_.kd
    .uniform_work_group_size: 1
    .uses_dynamic_stack: false
    .vgpr_count:     0
    .vgpr_spill_count: 0
    .wavefront_size: 32
    .workgroup_processor_mode: 1
  - .args:
      - .offset:         0
        .size:           120
        .value_kind:     by_value
    .group_segment_fixed_size: 0
    .kernarg_segment_align: 8
    .kernarg_segment_size: 120
    .language:       OpenCL C
    .language_version:
      - 2
      - 0
    .max_flat_workgroup_size: 192
    .name:           _ZN7rocprim17ROCPRIM_400000_NS6detail17trampoline_kernelINS0_14default_configENS1_25partition_config_selectorILNS1_17partition_subalgoE5ElNS0_10empty_typeEbEEZZNS1_14partition_implILS5_5ELb0ES3_mN6hipcub16HIPCUB_304000_NS21CountingInputIteratorIllEEPS6_NSA_22TransformInputIteratorIbN2at6native12_GLOBAL__N_19NonZeroOpIiEEPKilEENS0_5tupleIJPlS6_EEENSN_IJSD_SD_EEES6_PiJS6_EEE10hipError_tPvRmT3_T4_T5_T6_T7_T9_mT8_P12ihipStream_tbDpT10_ENKUlT_T0_E_clISt17integral_constantIbLb1EES1A_IbLb0EEEEDaS16_S17_EUlS16_E_NS1_11comp_targetILNS1_3genE4ELNS1_11target_archE910ELNS1_3gpuE8ELNS1_3repE0EEENS1_30default_config_static_selectorELNS0_4arch9wavefront6targetE0EEEvT1_
    .private_segment_fixed_size: 0
    .sgpr_count:     0
    .sgpr_spill_count: 0
    .symbol:         _ZN7rocprim17ROCPRIM_400000_NS6detail17trampoline_kernelINS0_14default_configENS1_25partition_config_selectorILNS1_17partition_subalgoE5ElNS0_10empty_typeEbEEZZNS1_14partition_implILS5_5ELb0ES3_mN6hipcub16HIPCUB_304000_NS21CountingInputIteratorIllEEPS6_NSA_22TransformInputIteratorIbN2at6native12_GLOBAL__N_19NonZeroOpIiEEPKilEENS0_5tupleIJPlS6_EEENSN_IJSD_SD_EEES6_PiJS6_EEE10hipError_tPvRmT3_T4_T5_T6_T7_T9_mT8_P12ihipStream_tbDpT10_ENKUlT_T0_E_clISt17integral_constantIbLb1EES1A_IbLb0EEEEDaS16_S17_EUlS16_E_NS1_11comp_targetILNS1_3genE4ELNS1_11target_archE910ELNS1_3gpuE8ELNS1_3repE0EEENS1_30default_config_static_selectorELNS0_4arch9wavefront6targetE0EEEvT1_.kd
    .uniform_work_group_size: 1
    .uses_dynamic_stack: false
    .vgpr_count:     0
    .vgpr_spill_count: 0
    .wavefront_size: 32
    .workgroup_processor_mode: 1
  - .args:
      - .offset:         0
        .size:           120
        .value_kind:     by_value
    .group_segment_fixed_size: 0
    .kernarg_segment_align: 8
    .kernarg_segment_size: 120
    .language:       OpenCL C
    .language_version:
      - 2
      - 0
    .max_flat_workgroup_size: 128
    .name:           _ZN7rocprim17ROCPRIM_400000_NS6detail17trampoline_kernelINS0_14default_configENS1_25partition_config_selectorILNS1_17partition_subalgoE5ElNS0_10empty_typeEbEEZZNS1_14partition_implILS5_5ELb0ES3_mN6hipcub16HIPCUB_304000_NS21CountingInputIteratorIllEEPS6_NSA_22TransformInputIteratorIbN2at6native12_GLOBAL__N_19NonZeroOpIiEEPKilEENS0_5tupleIJPlS6_EEENSN_IJSD_SD_EEES6_PiJS6_EEE10hipError_tPvRmT3_T4_T5_T6_T7_T9_mT8_P12ihipStream_tbDpT10_ENKUlT_T0_E_clISt17integral_constantIbLb1EES1A_IbLb0EEEEDaS16_S17_EUlS16_E_NS1_11comp_targetILNS1_3genE3ELNS1_11target_archE908ELNS1_3gpuE7ELNS1_3repE0EEENS1_30default_config_static_selectorELNS0_4arch9wavefront6targetE0EEEvT1_
    .private_segment_fixed_size: 0
    .sgpr_count:     0
    .sgpr_spill_count: 0
    .symbol:         _ZN7rocprim17ROCPRIM_400000_NS6detail17trampoline_kernelINS0_14default_configENS1_25partition_config_selectorILNS1_17partition_subalgoE5ElNS0_10empty_typeEbEEZZNS1_14partition_implILS5_5ELb0ES3_mN6hipcub16HIPCUB_304000_NS21CountingInputIteratorIllEEPS6_NSA_22TransformInputIteratorIbN2at6native12_GLOBAL__N_19NonZeroOpIiEEPKilEENS0_5tupleIJPlS6_EEENSN_IJSD_SD_EEES6_PiJS6_EEE10hipError_tPvRmT3_T4_T5_T6_T7_T9_mT8_P12ihipStream_tbDpT10_ENKUlT_T0_E_clISt17integral_constantIbLb1EES1A_IbLb0EEEEDaS16_S17_EUlS16_E_NS1_11comp_targetILNS1_3genE3ELNS1_11target_archE908ELNS1_3gpuE7ELNS1_3repE0EEENS1_30default_config_static_selectorELNS0_4arch9wavefront6targetE0EEEvT1_.kd
    .uniform_work_group_size: 1
    .uses_dynamic_stack: false
    .vgpr_count:     0
    .vgpr_spill_count: 0
    .wavefront_size: 32
    .workgroup_processor_mode: 1
  - .args:
      - .offset:         0
        .size:           120
        .value_kind:     by_value
    .group_segment_fixed_size: 0
    .kernarg_segment_align: 8
    .kernarg_segment_size: 120
    .language:       OpenCL C
    .language_version:
      - 2
      - 0
    .max_flat_workgroup_size: 256
    .name:           _ZN7rocprim17ROCPRIM_400000_NS6detail17trampoline_kernelINS0_14default_configENS1_25partition_config_selectorILNS1_17partition_subalgoE5ElNS0_10empty_typeEbEEZZNS1_14partition_implILS5_5ELb0ES3_mN6hipcub16HIPCUB_304000_NS21CountingInputIteratorIllEEPS6_NSA_22TransformInputIteratorIbN2at6native12_GLOBAL__N_19NonZeroOpIiEEPKilEENS0_5tupleIJPlS6_EEENSN_IJSD_SD_EEES6_PiJS6_EEE10hipError_tPvRmT3_T4_T5_T6_T7_T9_mT8_P12ihipStream_tbDpT10_ENKUlT_T0_E_clISt17integral_constantIbLb1EES1A_IbLb0EEEEDaS16_S17_EUlS16_E_NS1_11comp_targetILNS1_3genE2ELNS1_11target_archE906ELNS1_3gpuE6ELNS1_3repE0EEENS1_30default_config_static_selectorELNS0_4arch9wavefront6targetE0EEEvT1_
    .private_segment_fixed_size: 0
    .sgpr_count:     0
    .sgpr_spill_count: 0
    .symbol:         _ZN7rocprim17ROCPRIM_400000_NS6detail17trampoline_kernelINS0_14default_configENS1_25partition_config_selectorILNS1_17partition_subalgoE5ElNS0_10empty_typeEbEEZZNS1_14partition_implILS5_5ELb0ES3_mN6hipcub16HIPCUB_304000_NS21CountingInputIteratorIllEEPS6_NSA_22TransformInputIteratorIbN2at6native12_GLOBAL__N_19NonZeroOpIiEEPKilEENS0_5tupleIJPlS6_EEENSN_IJSD_SD_EEES6_PiJS6_EEE10hipError_tPvRmT3_T4_T5_T6_T7_T9_mT8_P12ihipStream_tbDpT10_ENKUlT_T0_E_clISt17integral_constantIbLb1EES1A_IbLb0EEEEDaS16_S17_EUlS16_E_NS1_11comp_targetILNS1_3genE2ELNS1_11target_archE906ELNS1_3gpuE6ELNS1_3repE0EEENS1_30default_config_static_selectorELNS0_4arch9wavefront6targetE0EEEvT1_.kd
    .uniform_work_group_size: 1
    .uses_dynamic_stack: false
    .vgpr_count:     0
    .vgpr_spill_count: 0
    .wavefront_size: 32
    .workgroup_processor_mode: 1
  - .args:
      - .offset:         0
        .size:           120
        .value_kind:     by_value
    .group_segment_fixed_size: 0
    .kernarg_segment_align: 8
    .kernarg_segment_size: 120
    .language:       OpenCL C
    .language_version:
      - 2
      - 0
    .max_flat_workgroup_size: 256
    .name:           _ZN7rocprim17ROCPRIM_400000_NS6detail17trampoline_kernelINS0_14default_configENS1_25partition_config_selectorILNS1_17partition_subalgoE5ElNS0_10empty_typeEbEEZZNS1_14partition_implILS5_5ELb0ES3_mN6hipcub16HIPCUB_304000_NS21CountingInputIteratorIllEEPS6_NSA_22TransformInputIteratorIbN2at6native12_GLOBAL__N_19NonZeroOpIiEEPKilEENS0_5tupleIJPlS6_EEENSN_IJSD_SD_EEES6_PiJS6_EEE10hipError_tPvRmT3_T4_T5_T6_T7_T9_mT8_P12ihipStream_tbDpT10_ENKUlT_T0_E_clISt17integral_constantIbLb1EES1A_IbLb0EEEEDaS16_S17_EUlS16_E_NS1_11comp_targetILNS1_3genE10ELNS1_11target_archE1200ELNS1_3gpuE4ELNS1_3repE0EEENS1_30default_config_static_selectorELNS0_4arch9wavefront6targetE0EEEvT1_
    .private_segment_fixed_size: 0
    .sgpr_count:     0
    .sgpr_spill_count: 0
    .symbol:         _ZN7rocprim17ROCPRIM_400000_NS6detail17trampoline_kernelINS0_14default_configENS1_25partition_config_selectorILNS1_17partition_subalgoE5ElNS0_10empty_typeEbEEZZNS1_14partition_implILS5_5ELb0ES3_mN6hipcub16HIPCUB_304000_NS21CountingInputIteratorIllEEPS6_NSA_22TransformInputIteratorIbN2at6native12_GLOBAL__N_19NonZeroOpIiEEPKilEENS0_5tupleIJPlS6_EEENSN_IJSD_SD_EEES6_PiJS6_EEE10hipError_tPvRmT3_T4_T5_T6_T7_T9_mT8_P12ihipStream_tbDpT10_ENKUlT_T0_E_clISt17integral_constantIbLb1EES1A_IbLb0EEEEDaS16_S17_EUlS16_E_NS1_11comp_targetILNS1_3genE10ELNS1_11target_archE1200ELNS1_3gpuE4ELNS1_3repE0EEENS1_30default_config_static_selectorELNS0_4arch9wavefront6targetE0EEEvT1_.kd
    .uniform_work_group_size: 1
    .uses_dynamic_stack: false
    .vgpr_count:     0
    .vgpr_spill_count: 0
    .wavefront_size: 32
    .workgroup_processor_mode: 1
  - .args:
      - .offset:         0
        .size:           120
        .value_kind:     by_value
    .group_segment_fixed_size: 6160
    .kernarg_segment_align: 8
    .kernarg_segment_size: 120
    .language:       OpenCL C
    .language_version:
      - 2
      - 0
    .max_flat_workgroup_size: 128
    .name:           _ZN7rocprim17ROCPRIM_400000_NS6detail17trampoline_kernelINS0_14default_configENS1_25partition_config_selectorILNS1_17partition_subalgoE5ElNS0_10empty_typeEbEEZZNS1_14partition_implILS5_5ELb0ES3_mN6hipcub16HIPCUB_304000_NS21CountingInputIteratorIllEEPS6_NSA_22TransformInputIteratorIbN2at6native12_GLOBAL__N_19NonZeroOpIiEEPKilEENS0_5tupleIJPlS6_EEENSN_IJSD_SD_EEES6_PiJS6_EEE10hipError_tPvRmT3_T4_T5_T6_T7_T9_mT8_P12ihipStream_tbDpT10_ENKUlT_T0_E_clISt17integral_constantIbLb1EES1A_IbLb0EEEEDaS16_S17_EUlS16_E_NS1_11comp_targetILNS1_3genE9ELNS1_11target_archE1100ELNS1_3gpuE3ELNS1_3repE0EEENS1_30default_config_static_selectorELNS0_4arch9wavefront6targetE0EEEvT1_
    .private_segment_fixed_size: 0
    .sgpr_count:     23
    .sgpr_spill_count: 0
    .symbol:         _ZN7rocprim17ROCPRIM_400000_NS6detail17trampoline_kernelINS0_14default_configENS1_25partition_config_selectorILNS1_17partition_subalgoE5ElNS0_10empty_typeEbEEZZNS1_14partition_implILS5_5ELb0ES3_mN6hipcub16HIPCUB_304000_NS21CountingInputIteratorIllEEPS6_NSA_22TransformInputIteratorIbN2at6native12_GLOBAL__N_19NonZeroOpIiEEPKilEENS0_5tupleIJPlS6_EEENSN_IJSD_SD_EEES6_PiJS6_EEE10hipError_tPvRmT3_T4_T5_T6_T7_T9_mT8_P12ihipStream_tbDpT10_ENKUlT_T0_E_clISt17integral_constantIbLb1EES1A_IbLb0EEEEDaS16_S17_EUlS16_E_NS1_11comp_targetILNS1_3genE9ELNS1_11target_archE1100ELNS1_3gpuE3ELNS1_3repE0EEENS1_30default_config_static_selectorELNS0_4arch9wavefront6targetE0EEEvT1_.kd
    .uniform_work_group_size: 1
    .uses_dynamic_stack: false
    .vgpr_count:     57
    .vgpr_spill_count: 0
    .wavefront_size: 32
    .workgroup_processor_mode: 1
  - .args:
      - .offset:         0
        .size:           120
        .value_kind:     by_value
    .group_segment_fixed_size: 0
    .kernarg_segment_align: 8
    .kernarg_segment_size: 120
    .language:       OpenCL C
    .language_version:
      - 2
      - 0
    .max_flat_workgroup_size: 512
    .name:           _ZN7rocprim17ROCPRIM_400000_NS6detail17trampoline_kernelINS0_14default_configENS1_25partition_config_selectorILNS1_17partition_subalgoE5ElNS0_10empty_typeEbEEZZNS1_14partition_implILS5_5ELb0ES3_mN6hipcub16HIPCUB_304000_NS21CountingInputIteratorIllEEPS6_NSA_22TransformInputIteratorIbN2at6native12_GLOBAL__N_19NonZeroOpIiEEPKilEENS0_5tupleIJPlS6_EEENSN_IJSD_SD_EEES6_PiJS6_EEE10hipError_tPvRmT3_T4_T5_T6_T7_T9_mT8_P12ihipStream_tbDpT10_ENKUlT_T0_E_clISt17integral_constantIbLb1EES1A_IbLb0EEEEDaS16_S17_EUlS16_E_NS1_11comp_targetILNS1_3genE8ELNS1_11target_archE1030ELNS1_3gpuE2ELNS1_3repE0EEENS1_30default_config_static_selectorELNS0_4arch9wavefront6targetE0EEEvT1_
    .private_segment_fixed_size: 0
    .sgpr_count:     0
    .sgpr_spill_count: 0
    .symbol:         _ZN7rocprim17ROCPRIM_400000_NS6detail17trampoline_kernelINS0_14default_configENS1_25partition_config_selectorILNS1_17partition_subalgoE5ElNS0_10empty_typeEbEEZZNS1_14partition_implILS5_5ELb0ES3_mN6hipcub16HIPCUB_304000_NS21CountingInputIteratorIllEEPS6_NSA_22TransformInputIteratorIbN2at6native12_GLOBAL__N_19NonZeroOpIiEEPKilEENS0_5tupleIJPlS6_EEENSN_IJSD_SD_EEES6_PiJS6_EEE10hipError_tPvRmT3_T4_T5_T6_T7_T9_mT8_P12ihipStream_tbDpT10_ENKUlT_T0_E_clISt17integral_constantIbLb1EES1A_IbLb0EEEEDaS16_S17_EUlS16_E_NS1_11comp_targetILNS1_3genE8ELNS1_11target_archE1030ELNS1_3gpuE2ELNS1_3repE0EEENS1_30default_config_static_selectorELNS0_4arch9wavefront6targetE0EEEvT1_.kd
    .uniform_work_group_size: 1
    .uses_dynamic_stack: false
    .vgpr_count:     0
    .vgpr_spill_count: 0
    .wavefront_size: 32
    .workgroup_processor_mode: 1
  - .args:
      - .offset:         0
        .size:           136
        .value_kind:     by_value
    .group_segment_fixed_size: 0
    .kernarg_segment_align: 8
    .kernarg_segment_size: 136
    .language:       OpenCL C
    .language_version:
      - 2
      - 0
    .max_flat_workgroup_size: 128
    .name:           _ZN7rocprim17ROCPRIM_400000_NS6detail17trampoline_kernelINS0_14default_configENS1_25partition_config_selectorILNS1_17partition_subalgoE5ElNS0_10empty_typeEbEEZZNS1_14partition_implILS5_5ELb0ES3_mN6hipcub16HIPCUB_304000_NS21CountingInputIteratorIllEEPS6_NSA_22TransformInputIteratorIbN2at6native12_GLOBAL__N_19NonZeroOpIiEEPKilEENS0_5tupleIJPlS6_EEENSN_IJSD_SD_EEES6_PiJS6_EEE10hipError_tPvRmT3_T4_T5_T6_T7_T9_mT8_P12ihipStream_tbDpT10_ENKUlT_T0_E_clISt17integral_constantIbLb0EES1A_IbLb1EEEEDaS16_S17_EUlS16_E_NS1_11comp_targetILNS1_3genE0ELNS1_11target_archE4294967295ELNS1_3gpuE0ELNS1_3repE0EEENS1_30default_config_static_selectorELNS0_4arch9wavefront6targetE0EEEvT1_
    .private_segment_fixed_size: 0
    .sgpr_count:     0
    .sgpr_spill_count: 0
    .symbol:         _ZN7rocprim17ROCPRIM_400000_NS6detail17trampoline_kernelINS0_14default_configENS1_25partition_config_selectorILNS1_17partition_subalgoE5ElNS0_10empty_typeEbEEZZNS1_14partition_implILS5_5ELb0ES3_mN6hipcub16HIPCUB_304000_NS21CountingInputIteratorIllEEPS6_NSA_22TransformInputIteratorIbN2at6native12_GLOBAL__N_19NonZeroOpIiEEPKilEENS0_5tupleIJPlS6_EEENSN_IJSD_SD_EEES6_PiJS6_EEE10hipError_tPvRmT3_T4_T5_T6_T7_T9_mT8_P12ihipStream_tbDpT10_ENKUlT_T0_E_clISt17integral_constantIbLb0EES1A_IbLb1EEEEDaS16_S17_EUlS16_E_NS1_11comp_targetILNS1_3genE0ELNS1_11target_archE4294967295ELNS1_3gpuE0ELNS1_3repE0EEENS1_30default_config_static_selectorELNS0_4arch9wavefront6targetE0EEEvT1_.kd
    .uniform_work_group_size: 1
    .uses_dynamic_stack: false
    .vgpr_count:     0
    .vgpr_spill_count: 0
    .wavefront_size: 32
    .workgroup_processor_mode: 1
  - .args:
      - .offset:         0
        .size:           136
        .value_kind:     by_value
    .group_segment_fixed_size: 0
    .kernarg_segment_align: 8
    .kernarg_segment_size: 136
    .language:       OpenCL C
    .language_version:
      - 2
      - 0
    .max_flat_workgroup_size: 512
    .name:           _ZN7rocprim17ROCPRIM_400000_NS6detail17trampoline_kernelINS0_14default_configENS1_25partition_config_selectorILNS1_17partition_subalgoE5ElNS0_10empty_typeEbEEZZNS1_14partition_implILS5_5ELb0ES3_mN6hipcub16HIPCUB_304000_NS21CountingInputIteratorIllEEPS6_NSA_22TransformInputIteratorIbN2at6native12_GLOBAL__N_19NonZeroOpIiEEPKilEENS0_5tupleIJPlS6_EEENSN_IJSD_SD_EEES6_PiJS6_EEE10hipError_tPvRmT3_T4_T5_T6_T7_T9_mT8_P12ihipStream_tbDpT10_ENKUlT_T0_E_clISt17integral_constantIbLb0EES1A_IbLb1EEEEDaS16_S17_EUlS16_E_NS1_11comp_targetILNS1_3genE5ELNS1_11target_archE942ELNS1_3gpuE9ELNS1_3repE0EEENS1_30default_config_static_selectorELNS0_4arch9wavefront6targetE0EEEvT1_
    .private_segment_fixed_size: 0
    .sgpr_count:     0
    .sgpr_spill_count: 0
    .symbol:         _ZN7rocprim17ROCPRIM_400000_NS6detail17trampoline_kernelINS0_14default_configENS1_25partition_config_selectorILNS1_17partition_subalgoE5ElNS0_10empty_typeEbEEZZNS1_14partition_implILS5_5ELb0ES3_mN6hipcub16HIPCUB_304000_NS21CountingInputIteratorIllEEPS6_NSA_22TransformInputIteratorIbN2at6native12_GLOBAL__N_19NonZeroOpIiEEPKilEENS0_5tupleIJPlS6_EEENSN_IJSD_SD_EEES6_PiJS6_EEE10hipError_tPvRmT3_T4_T5_T6_T7_T9_mT8_P12ihipStream_tbDpT10_ENKUlT_T0_E_clISt17integral_constantIbLb0EES1A_IbLb1EEEEDaS16_S17_EUlS16_E_NS1_11comp_targetILNS1_3genE5ELNS1_11target_archE942ELNS1_3gpuE9ELNS1_3repE0EEENS1_30default_config_static_selectorELNS0_4arch9wavefront6targetE0EEEvT1_.kd
    .uniform_work_group_size: 1
    .uses_dynamic_stack: false
    .vgpr_count:     0
    .vgpr_spill_count: 0
    .wavefront_size: 32
    .workgroup_processor_mode: 1
  - .args:
      - .offset:         0
        .size:           136
        .value_kind:     by_value
    .group_segment_fixed_size: 0
    .kernarg_segment_align: 8
    .kernarg_segment_size: 136
    .language:       OpenCL C
    .language_version:
      - 2
      - 0
    .max_flat_workgroup_size: 192
    .name:           _ZN7rocprim17ROCPRIM_400000_NS6detail17trampoline_kernelINS0_14default_configENS1_25partition_config_selectorILNS1_17partition_subalgoE5ElNS0_10empty_typeEbEEZZNS1_14partition_implILS5_5ELb0ES3_mN6hipcub16HIPCUB_304000_NS21CountingInputIteratorIllEEPS6_NSA_22TransformInputIteratorIbN2at6native12_GLOBAL__N_19NonZeroOpIiEEPKilEENS0_5tupleIJPlS6_EEENSN_IJSD_SD_EEES6_PiJS6_EEE10hipError_tPvRmT3_T4_T5_T6_T7_T9_mT8_P12ihipStream_tbDpT10_ENKUlT_T0_E_clISt17integral_constantIbLb0EES1A_IbLb1EEEEDaS16_S17_EUlS16_E_NS1_11comp_targetILNS1_3genE4ELNS1_11target_archE910ELNS1_3gpuE8ELNS1_3repE0EEENS1_30default_config_static_selectorELNS0_4arch9wavefront6targetE0EEEvT1_
    .private_segment_fixed_size: 0
    .sgpr_count:     0
    .sgpr_spill_count: 0
    .symbol:         _ZN7rocprim17ROCPRIM_400000_NS6detail17trampoline_kernelINS0_14default_configENS1_25partition_config_selectorILNS1_17partition_subalgoE5ElNS0_10empty_typeEbEEZZNS1_14partition_implILS5_5ELb0ES3_mN6hipcub16HIPCUB_304000_NS21CountingInputIteratorIllEEPS6_NSA_22TransformInputIteratorIbN2at6native12_GLOBAL__N_19NonZeroOpIiEEPKilEENS0_5tupleIJPlS6_EEENSN_IJSD_SD_EEES6_PiJS6_EEE10hipError_tPvRmT3_T4_T5_T6_T7_T9_mT8_P12ihipStream_tbDpT10_ENKUlT_T0_E_clISt17integral_constantIbLb0EES1A_IbLb1EEEEDaS16_S17_EUlS16_E_NS1_11comp_targetILNS1_3genE4ELNS1_11target_archE910ELNS1_3gpuE8ELNS1_3repE0EEENS1_30default_config_static_selectorELNS0_4arch9wavefront6targetE0EEEvT1_.kd
    .uniform_work_group_size: 1
    .uses_dynamic_stack: false
    .vgpr_count:     0
    .vgpr_spill_count: 0
    .wavefront_size: 32
    .workgroup_processor_mode: 1
  - .args:
      - .offset:         0
        .size:           136
        .value_kind:     by_value
    .group_segment_fixed_size: 0
    .kernarg_segment_align: 8
    .kernarg_segment_size: 136
    .language:       OpenCL C
    .language_version:
      - 2
      - 0
    .max_flat_workgroup_size: 128
    .name:           _ZN7rocprim17ROCPRIM_400000_NS6detail17trampoline_kernelINS0_14default_configENS1_25partition_config_selectorILNS1_17partition_subalgoE5ElNS0_10empty_typeEbEEZZNS1_14partition_implILS5_5ELb0ES3_mN6hipcub16HIPCUB_304000_NS21CountingInputIteratorIllEEPS6_NSA_22TransformInputIteratorIbN2at6native12_GLOBAL__N_19NonZeroOpIiEEPKilEENS0_5tupleIJPlS6_EEENSN_IJSD_SD_EEES6_PiJS6_EEE10hipError_tPvRmT3_T4_T5_T6_T7_T9_mT8_P12ihipStream_tbDpT10_ENKUlT_T0_E_clISt17integral_constantIbLb0EES1A_IbLb1EEEEDaS16_S17_EUlS16_E_NS1_11comp_targetILNS1_3genE3ELNS1_11target_archE908ELNS1_3gpuE7ELNS1_3repE0EEENS1_30default_config_static_selectorELNS0_4arch9wavefront6targetE0EEEvT1_
    .private_segment_fixed_size: 0
    .sgpr_count:     0
    .sgpr_spill_count: 0
    .symbol:         _ZN7rocprim17ROCPRIM_400000_NS6detail17trampoline_kernelINS0_14default_configENS1_25partition_config_selectorILNS1_17partition_subalgoE5ElNS0_10empty_typeEbEEZZNS1_14partition_implILS5_5ELb0ES3_mN6hipcub16HIPCUB_304000_NS21CountingInputIteratorIllEEPS6_NSA_22TransformInputIteratorIbN2at6native12_GLOBAL__N_19NonZeroOpIiEEPKilEENS0_5tupleIJPlS6_EEENSN_IJSD_SD_EEES6_PiJS6_EEE10hipError_tPvRmT3_T4_T5_T6_T7_T9_mT8_P12ihipStream_tbDpT10_ENKUlT_T0_E_clISt17integral_constantIbLb0EES1A_IbLb1EEEEDaS16_S17_EUlS16_E_NS1_11comp_targetILNS1_3genE3ELNS1_11target_archE908ELNS1_3gpuE7ELNS1_3repE0EEENS1_30default_config_static_selectorELNS0_4arch9wavefront6targetE0EEEvT1_.kd
    .uniform_work_group_size: 1
    .uses_dynamic_stack: false
    .vgpr_count:     0
    .vgpr_spill_count: 0
    .wavefront_size: 32
    .workgroup_processor_mode: 1
  - .args:
      - .offset:         0
        .size:           136
        .value_kind:     by_value
    .group_segment_fixed_size: 0
    .kernarg_segment_align: 8
    .kernarg_segment_size: 136
    .language:       OpenCL C
    .language_version:
      - 2
      - 0
    .max_flat_workgroup_size: 256
    .name:           _ZN7rocprim17ROCPRIM_400000_NS6detail17trampoline_kernelINS0_14default_configENS1_25partition_config_selectorILNS1_17partition_subalgoE5ElNS0_10empty_typeEbEEZZNS1_14partition_implILS5_5ELb0ES3_mN6hipcub16HIPCUB_304000_NS21CountingInputIteratorIllEEPS6_NSA_22TransformInputIteratorIbN2at6native12_GLOBAL__N_19NonZeroOpIiEEPKilEENS0_5tupleIJPlS6_EEENSN_IJSD_SD_EEES6_PiJS6_EEE10hipError_tPvRmT3_T4_T5_T6_T7_T9_mT8_P12ihipStream_tbDpT10_ENKUlT_T0_E_clISt17integral_constantIbLb0EES1A_IbLb1EEEEDaS16_S17_EUlS16_E_NS1_11comp_targetILNS1_3genE2ELNS1_11target_archE906ELNS1_3gpuE6ELNS1_3repE0EEENS1_30default_config_static_selectorELNS0_4arch9wavefront6targetE0EEEvT1_
    .private_segment_fixed_size: 0
    .sgpr_count:     0
    .sgpr_spill_count: 0
    .symbol:         _ZN7rocprim17ROCPRIM_400000_NS6detail17trampoline_kernelINS0_14default_configENS1_25partition_config_selectorILNS1_17partition_subalgoE5ElNS0_10empty_typeEbEEZZNS1_14partition_implILS5_5ELb0ES3_mN6hipcub16HIPCUB_304000_NS21CountingInputIteratorIllEEPS6_NSA_22TransformInputIteratorIbN2at6native12_GLOBAL__N_19NonZeroOpIiEEPKilEENS0_5tupleIJPlS6_EEENSN_IJSD_SD_EEES6_PiJS6_EEE10hipError_tPvRmT3_T4_T5_T6_T7_T9_mT8_P12ihipStream_tbDpT10_ENKUlT_T0_E_clISt17integral_constantIbLb0EES1A_IbLb1EEEEDaS16_S17_EUlS16_E_NS1_11comp_targetILNS1_3genE2ELNS1_11target_archE906ELNS1_3gpuE6ELNS1_3repE0EEENS1_30default_config_static_selectorELNS0_4arch9wavefront6targetE0EEEvT1_.kd
    .uniform_work_group_size: 1
    .uses_dynamic_stack: false
    .vgpr_count:     0
    .vgpr_spill_count: 0
    .wavefront_size: 32
    .workgroup_processor_mode: 1
  - .args:
      - .offset:         0
        .size:           136
        .value_kind:     by_value
    .group_segment_fixed_size: 0
    .kernarg_segment_align: 8
    .kernarg_segment_size: 136
    .language:       OpenCL C
    .language_version:
      - 2
      - 0
    .max_flat_workgroup_size: 256
    .name:           _ZN7rocprim17ROCPRIM_400000_NS6detail17trampoline_kernelINS0_14default_configENS1_25partition_config_selectorILNS1_17partition_subalgoE5ElNS0_10empty_typeEbEEZZNS1_14partition_implILS5_5ELb0ES3_mN6hipcub16HIPCUB_304000_NS21CountingInputIteratorIllEEPS6_NSA_22TransformInputIteratorIbN2at6native12_GLOBAL__N_19NonZeroOpIiEEPKilEENS0_5tupleIJPlS6_EEENSN_IJSD_SD_EEES6_PiJS6_EEE10hipError_tPvRmT3_T4_T5_T6_T7_T9_mT8_P12ihipStream_tbDpT10_ENKUlT_T0_E_clISt17integral_constantIbLb0EES1A_IbLb1EEEEDaS16_S17_EUlS16_E_NS1_11comp_targetILNS1_3genE10ELNS1_11target_archE1200ELNS1_3gpuE4ELNS1_3repE0EEENS1_30default_config_static_selectorELNS0_4arch9wavefront6targetE0EEEvT1_
    .private_segment_fixed_size: 0
    .sgpr_count:     0
    .sgpr_spill_count: 0
    .symbol:         _ZN7rocprim17ROCPRIM_400000_NS6detail17trampoline_kernelINS0_14default_configENS1_25partition_config_selectorILNS1_17partition_subalgoE5ElNS0_10empty_typeEbEEZZNS1_14partition_implILS5_5ELb0ES3_mN6hipcub16HIPCUB_304000_NS21CountingInputIteratorIllEEPS6_NSA_22TransformInputIteratorIbN2at6native12_GLOBAL__N_19NonZeroOpIiEEPKilEENS0_5tupleIJPlS6_EEENSN_IJSD_SD_EEES6_PiJS6_EEE10hipError_tPvRmT3_T4_T5_T6_T7_T9_mT8_P12ihipStream_tbDpT10_ENKUlT_T0_E_clISt17integral_constantIbLb0EES1A_IbLb1EEEEDaS16_S17_EUlS16_E_NS1_11comp_targetILNS1_3genE10ELNS1_11target_archE1200ELNS1_3gpuE4ELNS1_3repE0EEENS1_30default_config_static_selectorELNS0_4arch9wavefront6targetE0EEEvT1_.kd
    .uniform_work_group_size: 1
    .uses_dynamic_stack: false
    .vgpr_count:     0
    .vgpr_spill_count: 0
    .wavefront_size: 32
    .workgroup_processor_mode: 1
  - .args:
      - .offset:         0
        .size:           136
        .value_kind:     by_value
    .group_segment_fixed_size: 6160
    .kernarg_segment_align: 8
    .kernarg_segment_size: 136
    .language:       OpenCL C
    .language_version:
      - 2
      - 0
    .max_flat_workgroup_size: 128
    .name:           _ZN7rocprim17ROCPRIM_400000_NS6detail17trampoline_kernelINS0_14default_configENS1_25partition_config_selectorILNS1_17partition_subalgoE5ElNS0_10empty_typeEbEEZZNS1_14partition_implILS5_5ELb0ES3_mN6hipcub16HIPCUB_304000_NS21CountingInputIteratorIllEEPS6_NSA_22TransformInputIteratorIbN2at6native12_GLOBAL__N_19NonZeroOpIiEEPKilEENS0_5tupleIJPlS6_EEENSN_IJSD_SD_EEES6_PiJS6_EEE10hipError_tPvRmT3_T4_T5_T6_T7_T9_mT8_P12ihipStream_tbDpT10_ENKUlT_T0_E_clISt17integral_constantIbLb0EES1A_IbLb1EEEEDaS16_S17_EUlS16_E_NS1_11comp_targetILNS1_3genE9ELNS1_11target_archE1100ELNS1_3gpuE3ELNS1_3repE0EEENS1_30default_config_static_selectorELNS0_4arch9wavefront6targetE0EEEvT1_
    .private_segment_fixed_size: 0
    .sgpr_count:     26
    .sgpr_spill_count: 0
    .symbol:         _ZN7rocprim17ROCPRIM_400000_NS6detail17trampoline_kernelINS0_14default_configENS1_25partition_config_selectorILNS1_17partition_subalgoE5ElNS0_10empty_typeEbEEZZNS1_14partition_implILS5_5ELb0ES3_mN6hipcub16HIPCUB_304000_NS21CountingInputIteratorIllEEPS6_NSA_22TransformInputIteratorIbN2at6native12_GLOBAL__N_19NonZeroOpIiEEPKilEENS0_5tupleIJPlS6_EEENSN_IJSD_SD_EEES6_PiJS6_EEE10hipError_tPvRmT3_T4_T5_T6_T7_T9_mT8_P12ihipStream_tbDpT10_ENKUlT_T0_E_clISt17integral_constantIbLb0EES1A_IbLb1EEEEDaS16_S17_EUlS16_E_NS1_11comp_targetILNS1_3genE9ELNS1_11target_archE1100ELNS1_3gpuE3ELNS1_3repE0EEENS1_30default_config_static_selectorELNS0_4arch9wavefront6targetE0EEEvT1_.kd
    .uniform_work_group_size: 1
    .uses_dynamic_stack: false
    .vgpr_count:     57
    .vgpr_spill_count: 0
    .wavefront_size: 32
    .workgroup_processor_mode: 1
  - .args:
      - .offset:         0
        .size:           136
        .value_kind:     by_value
    .group_segment_fixed_size: 0
    .kernarg_segment_align: 8
    .kernarg_segment_size: 136
    .language:       OpenCL C
    .language_version:
      - 2
      - 0
    .max_flat_workgroup_size: 512
    .name:           _ZN7rocprim17ROCPRIM_400000_NS6detail17trampoline_kernelINS0_14default_configENS1_25partition_config_selectorILNS1_17partition_subalgoE5ElNS0_10empty_typeEbEEZZNS1_14partition_implILS5_5ELb0ES3_mN6hipcub16HIPCUB_304000_NS21CountingInputIteratorIllEEPS6_NSA_22TransformInputIteratorIbN2at6native12_GLOBAL__N_19NonZeroOpIiEEPKilEENS0_5tupleIJPlS6_EEENSN_IJSD_SD_EEES6_PiJS6_EEE10hipError_tPvRmT3_T4_T5_T6_T7_T9_mT8_P12ihipStream_tbDpT10_ENKUlT_T0_E_clISt17integral_constantIbLb0EES1A_IbLb1EEEEDaS16_S17_EUlS16_E_NS1_11comp_targetILNS1_3genE8ELNS1_11target_archE1030ELNS1_3gpuE2ELNS1_3repE0EEENS1_30default_config_static_selectorELNS0_4arch9wavefront6targetE0EEEvT1_
    .private_segment_fixed_size: 0
    .sgpr_count:     0
    .sgpr_spill_count: 0
    .symbol:         _ZN7rocprim17ROCPRIM_400000_NS6detail17trampoline_kernelINS0_14default_configENS1_25partition_config_selectorILNS1_17partition_subalgoE5ElNS0_10empty_typeEbEEZZNS1_14partition_implILS5_5ELb0ES3_mN6hipcub16HIPCUB_304000_NS21CountingInputIteratorIllEEPS6_NSA_22TransformInputIteratorIbN2at6native12_GLOBAL__N_19NonZeroOpIiEEPKilEENS0_5tupleIJPlS6_EEENSN_IJSD_SD_EEES6_PiJS6_EEE10hipError_tPvRmT3_T4_T5_T6_T7_T9_mT8_P12ihipStream_tbDpT10_ENKUlT_T0_E_clISt17integral_constantIbLb0EES1A_IbLb1EEEEDaS16_S17_EUlS16_E_NS1_11comp_targetILNS1_3genE8ELNS1_11target_archE1030ELNS1_3gpuE2ELNS1_3repE0EEENS1_30default_config_static_selectorELNS0_4arch9wavefront6targetE0EEEvT1_.kd
    .uniform_work_group_size: 1
    .uses_dynamic_stack: false
    .vgpr_count:     0
    .vgpr_spill_count: 0
    .wavefront_size: 32
    .workgroup_processor_mode: 1
  - .args:
      - .offset:         0
        .size:           56
        .value_kind:     by_value
    .group_segment_fixed_size: 0
    .kernarg_segment_align: 8
    .kernarg_segment_size: 56
    .language:       OpenCL C
    .language_version:
      - 2
      - 0
    .max_flat_workgroup_size: 256
    .name:           _ZN7rocprim17ROCPRIM_400000_NS6detail17trampoline_kernelINS0_14default_configENS1_22reduce_config_selectorIiEEZNS1_11reduce_implILb1ES3_PiS7_iN6hipcub16HIPCUB_304000_NS6detail34convert_binary_result_type_wrapperINS9_3SumENS9_22TransformInputIteratorIbN2at6native12_GLOBAL__N_19NonZeroOpIlEEPKllEEiEEEE10hipError_tPvRmT1_T2_T3_mT4_P12ihipStream_tbEUlT_E0_NS1_11comp_targetILNS1_3genE0ELNS1_11target_archE4294967295ELNS1_3gpuE0ELNS1_3repE0EEENS1_30default_config_static_selectorELNS0_4arch9wavefront6targetE0EEEvSQ_
    .private_segment_fixed_size: 0
    .sgpr_count:     0
    .sgpr_spill_count: 0
    .symbol:         _ZN7rocprim17ROCPRIM_400000_NS6detail17trampoline_kernelINS0_14default_configENS1_22reduce_config_selectorIiEEZNS1_11reduce_implILb1ES3_PiS7_iN6hipcub16HIPCUB_304000_NS6detail34convert_binary_result_type_wrapperINS9_3SumENS9_22TransformInputIteratorIbN2at6native12_GLOBAL__N_19NonZeroOpIlEEPKllEEiEEEE10hipError_tPvRmT1_T2_T3_mT4_P12ihipStream_tbEUlT_E0_NS1_11comp_targetILNS1_3genE0ELNS1_11target_archE4294967295ELNS1_3gpuE0ELNS1_3repE0EEENS1_30default_config_static_selectorELNS0_4arch9wavefront6targetE0EEEvSQ_.kd
    .uniform_work_group_size: 1
    .uses_dynamic_stack: false
    .vgpr_count:     0
    .vgpr_spill_count: 0
    .wavefront_size: 32
    .workgroup_processor_mode: 1
  - .args:
      - .offset:         0
        .size:           56
        .value_kind:     by_value
    .group_segment_fixed_size: 0
    .kernarg_segment_align: 8
    .kernarg_segment_size: 56
    .language:       OpenCL C
    .language_version:
      - 2
      - 0
    .max_flat_workgroup_size: 256
    .name:           _ZN7rocprim17ROCPRIM_400000_NS6detail17trampoline_kernelINS0_14default_configENS1_22reduce_config_selectorIiEEZNS1_11reduce_implILb1ES3_PiS7_iN6hipcub16HIPCUB_304000_NS6detail34convert_binary_result_type_wrapperINS9_3SumENS9_22TransformInputIteratorIbN2at6native12_GLOBAL__N_19NonZeroOpIlEEPKllEEiEEEE10hipError_tPvRmT1_T2_T3_mT4_P12ihipStream_tbEUlT_E0_NS1_11comp_targetILNS1_3genE5ELNS1_11target_archE942ELNS1_3gpuE9ELNS1_3repE0EEENS1_30default_config_static_selectorELNS0_4arch9wavefront6targetE0EEEvSQ_
    .private_segment_fixed_size: 0
    .sgpr_count:     0
    .sgpr_spill_count: 0
    .symbol:         _ZN7rocprim17ROCPRIM_400000_NS6detail17trampoline_kernelINS0_14default_configENS1_22reduce_config_selectorIiEEZNS1_11reduce_implILb1ES3_PiS7_iN6hipcub16HIPCUB_304000_NS6detail34convert_binary_result_type_wrapperINS9_3SumENS9_22TransformInputIteratorIbN2at6native12_GLOBAL__N_19NonZeroOpIlEEPKllEEiEEEE10hipError_tPvRmT1_T2_T3_mT4_P12ihipStream_tbEUlT_E0_NS1_11comp_targetILNS1_3genE5ELNS1_11target_archE942ELNS1_3gpuE9ELNS1_3repE0EEENS1_30default_config_static_selectorELNS0_4arch9wavefront6targetE0EEEvSQ_.kd
    .uniform_work_group_size: 1
    .uses_dynamic_stack: false
    .vgpr_count:     0
    .vgpr_spill_count: 0
    .wavefront_size: 32
    .workgroup_processor_mode: 1
  - .args:
      - .offset:         0
        .size:           56
        .value_kind:     by_value
    .group_segment_fixed_size: 0
    .kernarg_segment_align: 8
    .kernarg_segment_size: 56
    .language:       OpenCL C
    .language_version:
      - 2
      - 0
    .max_flat_workgroup_size: 128
    .name:           _ZN7rocprim17ROCPRIM_400000_NS6detail17trampoline_kernelINS0_14default_configENS1_22reduce_config_selectorIiEEZNS1_11reduce_implILb1ES3_PiS7_iN6hipcub16HIPCUB_304000_NS6detail34convert_binary_result_type_wrapperINS9_3SumENS9_22TransformInputIteratorIbN2at6native12_GLOBAL__N_19NonZeroOpIlEEPKllEEiEEEE10hipError_tPvRmT1_T2_T3_mT4_P12ihipStream_tbEUlT_E0_NS1_11comp_targetILNS1_3genE4ELNS1_11target_archE910ELNS1_3gpuE8ELNS1_3repE0EEENS1_30default_config_static_selectorELNS0_4arch9wavefront6targetE0EEEvSQ_
    .private_segment_fixed_size: 0
    .sgpr_count:     0
    .sgpr_spill_count: 0
    .symbol:         _ZN7rocprim17ROCPRIM_400000_NS6detail17trampoline_kernelINS0_14default_configENS1_22reduce_config_selectorIiEEZNS1_11reduce_implILb1ES3_PiS7_iN6hipcub16HIPCUB_304000_NS6detail34convert_binary_result_type_wrapperINS9_3SumENS9_22TransformInputIteratorIbN2at6native12_GLOBAL__N_19NonZeroOpIlEEPKllEEiEEEE10hipError_tPvRmT1_T2_T3_mT4_P12ihipStream_tbEUlT_E0_NS1_11comp_targetILNS1_3genE4ELNS1_11target_archE910ELNS1_3gpuE8ELNS1_3repE0EEENS1_30default_config_static_selectorELNS0_4arch9wavefront6targetE0EEEvSQ_.kd
    .uniform_work_group_size: 1
    .uses_dynamic_stack: false
    .vgpr_count:     0
    .vgpr_spill_count: 0
    .wavefront_size: 32
    .workgroup_processor_mode: 1
  - .args:
      - .offset:         0
        .size:           56
        .value_kind:     by_value
    .group_segment_fixed_size: 0
    .kernarg_segment_align: 8
    .kernarg_segment_size: 56
    .language:       OpenCL C
    .language_version:
      - 2
      - 0
    .max_flat_workgroup_size: 256
    .name:           _ZN7rocprim17ROCPRIM_400000_NS6detail17trampoline_kernelINS0_14default_configENS1_22reduce_config_selectorIiEEZNS1_11reduce_implILb1ES3_PiS7_iN6hipcub16HIPCUB_304000_NS6detail34convert_binary_result_type_wrapperINS9_3SumENS9_22TransformInputIteratorIbN2at6native12_GLOBAL__N_19NonZeroOpIlEEPKllEEiEEEE10hipError_tPvRmT1_T2_T3_mT4_P12ihipStream_tbEUlT_E0_NS1_11comp_targetILNS1_3genE3ELNS1_11target_archE908ELNS1_3gpuE7ELNS1_3repE0EEENS1_30default_config_static_selectorELNS0_4arch9wavefront6targetE0EEEvSQ_
    .private_segment_fixed_size: 0
    .sgpr_count:     0
    .sgpr_spill_count: 0
    .symbol:         _ZN7rocprim17ROCPRIM_400000_NS6detail17trampoline_kernelINS0_14default_configENS1_22reduce_config_selectorIiEEZNS1_11reduce_implILb1ES3_PiS7_iN6hipcub16HIPCUB_304000_NS6detail34convert_binary_result_type_wrapperINS9_3SumENS9_22TransformInputIteratorIbN2at6native12_GLOBAL__N_19NonZeroOpIlEEPKllEEiEEEE10hipError_tPvRmT1_T2_T3_mT4_P12ihipStream_tbEUlT_E0_NS1_11comp_targetILNS1_3genE3ELNS1_11target_archE908ELNS1_3gpuE7ELNS1_3repE0EEENS1_30default_config_static_selectorELNS0_4arch9wavefront6targetE0EEEvSQ_.kd
    .uniform_work_group_size: 1
    .uses_dynamic_stack: false
    .vgpr_count:     0
    .vgpr_spill_count: 0
    .wavefront_size: 32
    .workgroup_processor_mode: 1
  - .args:
      - .offset:         0
        .size:           56
        .value_kind:     by_value
    .group_segment_fixed_size: 0
    .kernarg_segment_align: 8
    .kernarg_segment_size: 56
    .language:       OpenCL C
    .language_version:
      - 2
      - 0
    .max_flat_workgroup_size: 256
    .name:           _ZN7rocprim17ROCPRIM_400000_NS6detail17trampoline_kernelINS0_14default_configENS1_22reduce_config_selectorIiEEZNS1_11reduce_implILb1ES3_PiS7_iN6hipcub16HIPCUB_304000_NS6detail34convert_binary_result_type_wrapperINS9_3SumENS9_22TransformInputIteratorIbN2at6native12_GLOBAL__N_19NonZeroOpIlEEPKllEEiEEEE10hipError_tPvRmT1_T2_T3_mT4_P12ihipStream_tbEUlT_E0_NS1_11comp_targetILNS1_3genE2ELNS1_11target_archE906ELNS1_3gpuE6ELNS1_3repE0EEENS1_30default_config_static_selectorELNS0_4arch9wavefront6targetE0EEEvSQ_
    .private_segment_fixed_size: 0
    .sgpr_count:     0
    .sgpr_spill_count: 0
    .symbol:         _ZN7rocprim17ROCPRIM_400000_NS6detail17trampoline_kernelINS0_14default_configENS1_22reduce_config_selectorIiEEZNS1_11reduce_implILb1ES3_PiS7_iN6hipcub16HIPCUB_304000_NS6detail34convert_binary_result_type_wrapperINS9_3SumENS9_22TransformInputIteratorIbN2at6native12_GLOBAL__N_19NonZeroOpIlEEPKllEEiEEEE10hipError_tPvRmT1_T2_T3_mT4_P12ihipStream_tbEUlT_E0_NS1_11comp_targetILNS1_3genE2ELNS1_11target_archE906ELNS1_3gpuE6ELNS1_3repE0EEENS1_30default_config_static_selectorELNS0_4arch9wavefront6targetE0EEEvSQ_.kd
    .uniform_work_group_size: 1
    .uses_dynamic_stack: false
    .vgpr_count:     0
    .vgpr_spill_count: 0
    .wavefront_size: 32
    .workgroup_processor_mode: 1
  - .args:
      - .offset:         0
        .size:           56
        .value_kind:     by_value
    .group_segment_fixed_size: 0
    .kernarg_segment_align: 8
    .kernarg_segment_size: 56
    .language:       OpenCL C
    .language_version:
      - 2
      - 0
    .max_flat_workgroup_size: 256
    .name:           _ZN7rocprim17ROCPRIM_400000_NS6detail17trampoline_kernelINS0_14default_configENS1_22reduce_config_selectorIiEEZNS1_11reduce_implILb1ES3_PiS7_iN6hipcub16HIPCUB_304000_NS6detail34convert_binary_result_type_wrapperINS9_3SumENS9_22TransformInputIteratorIbN2at6native12_GLOBAL__N_19NonZeroOpIlEEPKllEEiEEEE10hipError_tPvRmT1_T2_T3_mT4_P12ihipStream_tbEUlT_E0_NS1_11comp_targetILNS1_3genE10ELNS1_11target_archE1201ELNS1_3gpuE5ELNS1_3repE0EEENS1_30default_config_static_selectorELNS0_4arch9wavefront6targetE0EEEvSQ_
    .private_segment_fixed_size: 0
    .sgpr_count:     0
    .sgpr_spill_count: 0
    .symbol:         _ZN7rocprim17ROCPRIM_400000_NS6detail17trampoline_kernelINS0_14default_configENS1_22reduce_config_selectorIiEEZNS1_11reduce_implILb1ES3_PiS7_iN6hipcub16HIPCUB_304000_NS6detail34convert_binary_result_type_wrapperINS9_3SumENS9_22TransformInputIteratorIbN2at6native12_GLOBAL__N_19NonZeroOpIlEEPKllEEiEEEE10hipError_tPvRmT1_T2_T3_mT4_P12ihipStream_tbEUlT_E0_NS1_11comp_targetILNS1_3genE10ELNS1_11target_archE1201ELNS1_3gpuE5ELNS1_3repE0EEENS1_30default_config_static_selectorELNS0_4arch9wavefront6targetE0EEEvSQ_.kd
    .uniform_work_group_size: 1
    .uses_dynamic_stack: false
    .vgpr_count:     0
    .vgpr_spill_count: 0
    .wavefront_size: 32
    .workgroup_processor_mode: 1
  - .args:
      - .offset:         0
        .size:           56
        .value_kind:     by_value
    .group_segment_fixed_size: 0
    .kernarg_segment_align: 8
    .kernarg_segment_size: 56
    .language:       OpenCL C
    .language_version:
      - 2
      - 0
    .max_flat_workgroup_size: 256
    .name:           _ZN7rocprim17ROCPRIM_400000_NS6detail17trampoline_kernelINS0_14default_configENS1_22reduce_config_selectorIiEEZNS1_11reduce_implILb1ES3_PiS7_iN6hipcub16HIPCUB_304000_NS6detail34convert_binary_result_type_wrapperINS9_3SumENS9_22TransformInputIteratorIbN2at6native12_GLOBAL__N_19NonZeroOpIlEEPKllEEiEEEE10hipError_tPvRmT1_T2_T3_mT4_P12ihipStream_tbEUlT_E0_NS1_11comp_targetILNS1_3genE10ELNS1_11target_archE1200ELNS1_3gpuE4ELNS1_3repE0EEENS1_30default_config_static_selectorELNS0_4arch9wavefront6targetE0EEEvSQ_
    .private_segment_fixed_size: 0
    .sgpr_count:     0
    .sgpr_spill_count: 0
    .symbol:         _ZN7rocprim17ROCPRIM_400000_NS6detail17trampoline_kernelINS0_14default_configENS1_22reduce_config_selectorIiEEZNS1_11reduce_implILb1ES3_PiS7_iN6hipcub16HIPCUB_304000_NS6detail34convert_binary_result_type_wrapperINS9_3SumENS9_22TransformInputIteratorIbN2at6native12_GLOBAL__N_19NonZeroOpIlEEPKllEEiEEEE10hipError_tPvRmT1_T2_T3_mT4_P12ihipStream_tbEUlT_E0_NS1_11comp_targetILNS1_3genE10ELNS1_11target_archE1200ELNS1_3gpuE4ELNS1_3repE0EEENS1_30default_config_static_selectorELNS0_4arch9wavefront6targetE0EEEvSQ_.kd
    .uniform_work_group_size: 1
    .uses_dynamic_stack: false
    .vgpr_count:     0
    .vgpr_spill_count: 0
    .wavefront_size: 32
    .workgroup_processor_mode: 1
  - .args:
      - .offset:         0
        .size:           56
        .value_kind:     by_value
    .group_segment_fixed_size: 64
    .kernarg_segment_align: 8
    .kernarg_segment_size: 56
    .language:       OpenCL C
    .language_version:
      - 2
      - 0
    .max_flat_workgroup_size: 256
    .name:           _ZN7rocprim17ROCPRIM_400000_NS6detail17trampoline_kernelINS0_14default_configENS1_22reduce_config_selectorIiEEZNS1_11reduce_implILb1ES3_PiS7_iN6hipcub16HIPCUB_304000_NS6detail34convert_binary_result_type_wrapperINS9_3SumENS9_22TransformInputIteratorIbN2at6native12_GLOBAL__N_19NonZeroOpIlEEPKllEEiEEEE10hipError_tPvRmT1_T2_T3_mT4_P12ihipStream_tbEUlT_E0_NS1_11comp_targetILNS1_3genE9ELNS1_11target_archE1100ELNS1_3gpuE3ELNS1_3repE0EEENS1_30default_config_static_selectorELNS0_4arch9wavefront6targetE0EEEvSQ_
    .private_segment_fixed_size: 0
    .sgpr_count:     24
    .sgpr_spill_count: 0
    .symbol:         _ZN7rocprim17ROCPRIM_400000_NS6detail17trampoline_kernelINS0_14default_configENS1_22reduce_config_selectorIiEEZNS1_11reduce_implILb1ES3_PiS7_iN6hipcub16HIPCUB_304000_NS6detail34convert_binary_result_type_wrapperINS9_3SumENS9_22TransformInputIteratorIbN2at6native12_GLOBAL__N_19NonZeroOpIlEEPKllEEiEEEE10hipError_tPvRmT1_T2_T3_mT4_P12ihipStream_tbEUlT_E0_NS1_11comp_targetILNS1_3genE9ELNS1_11target_archE1100ELNS1_3gpuE3ELNS1_3repE0EEENS1_30default_config_static_selectorELNS0_4arch9wavefront6targetE0EEEvSQ_.kd
    .uniform_work_group_size: 1
    .uses_dynamic_stack: false
    .vgpr_count:     12
    .vgpr_spill_count: 0
    .wavefront_size: 32
    .workgroup_processor_mode: 1
  - .args:
      - .offset:         0
        .size:           56
        .value_kind:     by_value
    .group_segment_fixed_size: 0
    .kernarg_segment_align: 8
    .kernarg_segment_size: 56
    .language:       OpenCL C
    .language_version:
      - 2
      - 0
    .max_flat_workgroup_size: 256
    .name:           _ZN7rocprim17ROCPRIM_400000_NS6detail17trampoline_kernelINS0_14default_configENS1_22reduce_config_selectorIiEEZNS1_11reduce_implILb1ES3_PiS7_iN6hipcub16HIPCUB_304000_NS6detail34convert_binary_result_type_wrapperINS9_3SumENS9_22TransformInputIteratorIbN2at6native12_GLOBAL__N_19NonZeroOpIlEEPKllEEiEEEE10hipError_tPvRmT1_T2_T3_mT4_P12ihipStream_tbEUlT_E0_NS1_11comp_targetILNS1_3genE8ELNS1_11target_archE1030ELNS1_3gpuE2ELNS1_3repE0EEENS1_30default_config_static_selectorELNS0_4arch9wavefront6targetE0EEEvSQ_
    .private_segment_fixed_size: 0
    .sgpr_count:     0
    .sgpr_spill_count: 0
    .symbol:         _ZN7rocprim17ROCPRIM_400000_NS6detail17trampoline_kernelINS0_14default_configENS1_22reduce_config_selectorIiEEZNS1_11reduce_implILb1ES3_PiS7_iN6hipcub16HIPCUB_304000_NS6detail34convert_binary_result_type_wrapperINS9_3SumENS9_22TransformInputIteratorIbN2at6native12_GLOBAL__N_19NonZeroOpIlEEPKllEEiEEEE10hipError_tPvRmT1_T2_T3_mT4_P12ihipStream_tbEUlT_E0_NS1_11comp_targetILNS1_3genE8ELNS1_11target_archE1030ELNS1_3gpuE2ELNS1_3repE0EEENS1_30default_config_static_selectorELNS0_4arch9wavefront6targetE0EEEvSQ_.kd
    .uniform_work_group_size: 1
    .uses_dynamic_stack: false
    .vgpr_count:     0
    .vgpr_spill_count: 0
    .wavefront_size: 32
    .workgroup_processor_mode: 1
  - .args:
      - .offset:         0
        .size:           40
        .value_kind:     by_value
    .group_segment_fixed_size: 0
    .kernarg_segment_align: 8
    .kernarg_segment_size: 40
    .language:       OpenCL C
    .language_version:
      - 2
      - 0
    .max_flat_workgroup_size: 256
    .name:           _ZN7rocprim17ROCPRIM_400000_NS6detail17trampoline_kernelINS0_14default_configENS1_22reduce_config_selectorIiEEZNS1_11reduce_implILb1ES3_PiS7_iN6hipcub16HIPCUB_304000_NS6detail34convert_binary_result_type_wrapperINS9_3SumENS9_22TransformInputIteratorIbN2at6native12_GLOBAL__N_19NonZeroOpIlEEPKllEEiEEEE10hipError_tPvRmT1_T2_T3_mT4_P12ihipStream_tbEUlT_E1_NS1_11comp_targetILNS1_3genE0ELNS1_11target_archE4294967295ELNS1_3gpuE0ELNS1_3repE0EEENS1_30default_config_static_selectorELNS0_4arch9wavefront6targetE0EEEvSQ_
    .private_segment_fixed_size: 0
    .sgpr_count:     0
    .sgpr_spill_count: 0
    .symbol:         _ZN7rocprim17ROCPRIM_400000_NS6detail17trampoline_kernelINS0_14default_configENS1_22reduce_config_selectorIiEEZNS1_11reduce_implILb1ES3_PiS7_iN6hipcub16HIPCUB_304000_NS6detail34convert_binary_result_type_wrapperINS9_3SumENS9_22TransformInputIteratorIbN2at6native12_GLOBAL__N_19NonZeroOpIlEEPKllEEiEEEE10hipError_tPvRmT1_T2_T3_mT4_P12ihipStream_tbEUlT_E1_NS1_11comp_targetILNS1_3genE0ELNS1_11target_archE4294967295ELNS1_3gpuE0ELNS1_3repE0EEENS1_30default_config_static_selectorELNS0_4arch9wavefront6targetE0EEEvSQ_.kd
    .uniform_work_group_size: 1
    .uses_dynamic_stack: false
    .vgpr_count:     0
    .vgpr_spill_count: 0
    .wavefront_size: 32
    .workgroup_processor_mode: 1
  - .args:
      - .offset:         0
        .size:           40
        .value_kind:     by_value
    .group_segment_fixed_size: 0
    .kernarg_segment_align: 8
    .kernarg_segment_size: 40
    .language:       OpenCL C
    .language_version:
      - 2
      - 0
    .max_flat_workgroup_size: 256
    .name:           _ZN7rocprim17ROCPRIM_400000_NS6detail17trampoline_kernelINS0_14default_configENS1_22reduce_config_selectorIiEEZNS1_11reduce_implILb1ES3_PiS7_iN6hipcub16HIPCUB_304000_NS6detail34convert_binary_result_type_wrapperINS9_3SumENS9_22TransformInputIteratorIbN2at6native12_GLOBAL__N_19NonZeroOpIlEEPKllEEiEEEE10hipError_tPvRmT1_T2_T3_mT4_P12ihipStream_tbEUlT_E1_NS1_11comp_targetILNS1_3genE5ELNS1_11target_archE942ELNS1_3gpuE9ELNS1_3repE0EEENS1_30default_config_static_selectorELNS0_4arch9wavefront6targetE0EEEvSQ_
    .private_segment_fixed_size: 0
    .sgpr_count:     0
    .sgpr_spill_count: 0
    .symbol:         _ZN7rocprim17ROCPRIM_400000_NS6detail17trampoline_kernelINS0_14default_configENS1_22reduce_config_selectorIiEEZNS1_11reduce_implILb1ES3_PiS7_iN6hipcub16HIPCUB_304000_NS6detail34convert_binary_result_type_wrapperINS9_3SumENS9_22TransformInputIteratorIbN2at6native12_GLOBAL__N_19NonZeroOpIlEEPKllEEiEEEE10hipError_tPvRmT1_T2_T3_mT4_P12ihipStream_tbEUlT_E1_NS1_11comp_targetILNS1_3genE5ELNS1_11target_archE942ELNS1_3gpuE9ELNS1_3repE0EEENS1_30default_config_static_selectorELNS0_4arch9wavefront6targetE0EEEvSQ_.kd
    .uniform_work_group_size: 1
    .uses_dynamic_stack: false
    .vgpr_count:     0
    .vgpr_spill_count: 0
    .wavefront_size: 32
    .workgroup_processor_mode: 1
  - .args:
      - .offset:         0
        .size:           40
        .value_kind:     by_value
    .group_segment_fixed_size: 0
    .kernarg_segment_align: 8
    .kernarg_segment_size: 40
    .language:       OpenCL C
    .language_version:
      - 2
      - 0
    .max_flat_workgroup_size: 128
    .name:           _ZN7rocprim17ROCPRIM_400000_NS6detail17trampoline_kernelINS0_14default_configENS1_22reduce_config_selectorIiEEZNS1_11reduce_implILb1ES3_PiS7_iN6hipcub16HIPCUB_304000_NS6detail34convert_binary_result_type_wrapperINS9_3SumENS9_22TransformInputIteratorIbN2at6native12_GLOBAL__N_19NonZeroOpIlEEPKllEEiEEEE10hipError_tPvRmT1_T2_T3_mT4_P12ihipStream_tbEUlT_E1_NS1_11comp_targetILNS1_3genE4ELNS1_11target_archE910ELNS1_3gpuE8ELNS1_3repE0EEENS1_30default_config_static_selectorELNS0_4arch9wavefront6targetE0EEEvSQ_
    .private_segment_fixed_size: 0
    .sgpr_count:     0
    .sgpr_spill_count: 0
    .symbol:         _ZN7rocprim17ROCPRIM_400000_NS6detail17trampoline_kernelINS0_14default_configENS1_22reduce_config_selectorIiEEZNS1_11reduce_implILb1ES3_PiS7_iN6hipcub16HIPCUB_304000_NS6detail34convert_binary_result_type_wrapperINS9_3SumENS9_22TransformInputIteratorIbN2at6native12_GLOBAL__N_19NonZeroOpIlEEPKllEEiEEEE10hipError_tPvRmT1_T2_T3_mT4_P12ihipStream_tbEUlT_E1_NS1_11comp_targetILNS1_3genE4ELNS1_11target_archE910ELNS1_3gpuE8ELNS1_3repE0EEENS1_30default_config_static_selectorELNS0_4arch9wavefront6targetE0EEEvSQ_.kd
    .uniform_work_group_size: 1
    .uses_dynamic_stack: false
    .vgpr_count:     0
    .vgpr_spill_count: 0
    .wavefront_size: 32
    .workgroup_processor_mode: 1
  - .args:
      - .offset:         0
        .size:           40
        .value_kind:     by_value
    .group_segment_fixed_size: 0
    .kernarg_segment_align: 8
    .kernarg_segment_size: 40
    .language:       OpenCL C
    .language_version:
      - 2
      - 0
    .max_flat_workgroup_size: 256
    .name:           _ZN7rocprim17ROCPRIM_400000_NS6detail17trampoline_kernelINS0_14default_configENS1_22reduce_config_selectorIiEEZNS1_11reduce_implILb1ES3_PiS7_iN6hipcub16HIPCUB_304000_NS6detail34convert_binary_result_type_wrapperINS9_3SumENS9_22TransformInputIteratorIbN2at6native12_GLOBAL__N_19NonZeroOpIlEEPKllEEiEEEE10hipError_tPvRmT1_T2_T3_mT4_P12ihipStream_tbEUlT_E1_NS1_11comp_targetILNS1_3genE3ELNS1_11target_archE908ELNS1_3gpuE7ELNS1_3repE0EEENS1_30default_config_static_selectorELNS0_4arch9wavefront6targetE0EEEvSQ_
    .private_segment_fixed_size: 0
    .sgpr_count:     0
    .sgpr_spill_count: 0
    .symbol:         _ZN7rocprim17ROCPRIM_400000_NS6detail17trampoline_kernelINS0_14default_configENS1_22reduce_config_selectorIiEEZNS1_11reduce_implILb1ES3_PiS7_iN6hipcub16HIPCUB_304000_NS6detail34convert_binary_result_type_wrapperINS9_3SumENS9_22TransformInputIteratorIbN2at6native12_GLOBAL__N_19NonZeroOpIlEEPKllEEiEEEE10hipError_tPvRmT1_T2_T3_mT4_P12ihipStream_tbEUlT_E1_NS1_11comp_targetILNS1_3genE3ELNS1_11target_archE908ELNS1_3gpuE7ELNS1_3repE0EEENS1_30default_config_static_selectorELNS0_4arch9wavefront6targetE0EEEvSQ_.kd
    .uniform_work_group_size: 1
    .uses_dynamic_stack: false
    .vgpr_count:     0
    .vgpr_spill_count: 0
    .wavefront_size: 32
    .workgroup_processor_mode: 1
  - .args:
      - .offset:         0
        .size:           40
        .value_kind:     by_value
    .group_segment_fixed_size: 0
    .kernarg_segment_align: 8
    .kernarg_segment_size: 40
    .language:       OpenCL C
    .language_version:
      - 2
      - 0
    .max_flat_workgroup_size: 256
    .name:           _ZN7rocprim17ROCPRIM_400000_NS6detail17trampoline_kernelINS0_14default_configENS1_22reduce_config_selectorIiEEZNS1_11reduce_implILb1ES3_PiS7_iN6hipcub16HIPCUB_304000_NS6detail34convert_binary_result_type_wrapperINS9_3SumENS9_22TransformInputIteratorIbN2at6native12_GLOBAL__N_19NonZeroOpIlEEPKllEEiEEEE10hipError_tPvRmT1_T2_T3_mT4_P12ihipStream_tbEUlT_E1_NS1_11comp_targetILNS1_3genE2ELNS1_11target_archE906ELNS1_3gpuE6ELNS1_3repE0EEENS1_30default_config_static_selectorELNS0_4arch9wavefront6targetE0EEEvSQ_
    .private_segment_fixed_size: 0
    .sgpr_count:     0
    .sgpr_spill_count: 0
    .symbol:         _ZN7rocprim17ROCPRIM_400000_NS6detail17trampoline_kernelINS0_14default_configENS1_22reduce_config_selectorIiEEZNS1_11reduce_implILb1ES3_PiS7_iN6hipcub16HIPCUB_304000_NS6detail34convert_binary_result_type_wrapperINS9_3SumENS9_22TransformInputIteratorIbN2at6native12_GLOBAL__N_19NonZeroOpIlEEPKllEEiEEEE10hipError_tPvRmT1_T2_T3_mT4_P12ihipStream_tbEUlT_E1_NS1_11comp_targetILNS1_3genE2ELNS1_11target_archE906ELNS1_3gpuE6ELNS1_3repE0EEENS1_30default_config_static_selectorELNS0_4arch9wavefront6targetE0EEEvSQ_.kd
    .uniform_work_group_size: 1
    .uses_dynamic_stack: false
    .vgpr_count:     0
    .vgpr_spill_count: 0
    .wavefront_size: 32
    .workgroup_processor_mode: 1
  - .args:
      - .offset:         0
        .size:           40
        .value_kind:     by_value
    .group_segment_fixed_size: 0
    .kernarg_segment_align: 8
    .kernarg_segment_size: 40
    .language:       OpenCL C
    .language_version:
      - 2
      - 0
    .max_flat_workgroup_size: 256
    .name:           _ZN7rocprim17ROCPRIM_400000_NS6detail17trampoline_kernelINS0_14default_configENS1_22reduce_config_selectorIiEEZNS1_11reduce_implILb1ES3_PiS7_iN6hipcub16HIPCUB_304000_NS6detail34convert_binary_result_type_wrapperINS9_3SumENS9_22TransformInputIteratorIbN2at6native12_GLOBAL__N_19NonZeroOpIlEEPKllEEiEEEE10hipError_tPvRmT1_T2_T3_mT4_P12ihipStream_tbEUlT_E1_NS1_11comp_targetILNS1_3genE10ELNS1_11target_archE1201ELNS1_3gpuE5ELNS1_3repE0EEENS1_30default_config_static_selectorELNS0_4arch9wavefront6targetE0EEEvSQ_
    .private_segment_fixed_size: 0
    .sgpr_count:     0
    .sgpr_spill_count: 0
    .symbol:         _ZN7rocprim17ROCPRIM_400000_NS6detail17trampoline_kernelINS0_14default_configENS1_22reduce_config_selectorIiEEZNS1_11reduce_implILb1ES3_PiS7_iN6hipcub16HIPCUB_304000_NS6detail34convert_binary_result_type_wrapperINS9_3SumENS9_22TransformInputIteratorIbN2at6native12_GLOBAL__N_19NonZeroOpIlEEPKllEEiEEEE10hipError_tPvRmT1_T2_T3_mT4_P12ihipStream_tbEUlT_E1_NS1_11comp_targetILNS1_3genE10ELNS1_11target_archE1201ELNS1_3gpuE5ELNS1_3repE0EEENS1_30default_config_static_selectorELNS0_4arch9wavefront6targetE0EEEvSQ_.kd
    .uniform_work_group_size: 1
    .uses_dynamic_stack: false
    .vgpr_count:     0
    .vgpr_spill_count: 0
    .wavefront_size: 32
    .workgroup_processor_mode: 1
  - .args:
      - .offset:         0
        .size:           40
        .value_kind:     by_value
    .group_segment_fixed_size: 0
    .kernarg_segment_align: 8
    .kernarg_segment_size: 40
    .language:       OpenCL C
    .language_version:
      - 2
      - 0
    .max_flat_workgroup_size: 256
    .name:           _ZN7rocprim17ROCPRIM_400000_NS6detail17trampoline_kernelINS0_14default_configENS1_22reduce_config_selectorIiEEZNS1_11reduce_implILb1ES3_PiS7_iN6hipcub16HIPCUB_304000_NS6detail34convert_binary_result_type_wrapperINS9_3SumENS9_22TransformInputIteratorIbN2at6native12_GLOBAL__N_19NonZeroOpIlEEPKllEEiEEEE10hipError_tPvRmT1_T2_T3_mT4_P12ihipStream_tbEUlT_E1_NS1_11comp_targetILNS1_3genE10ELNS1_11target_archE1200ELNS1_3gpuE4ELNS1_3repE0EEENS1_30default_config_static_selectorELNS0_4arch9wavefront6targetE0EEEvSQ_
    .private_segment_fixed_size: 0
    .sgpr_count:     0
    .sgpr_spill_count: 0
    .symbol:         _ZN7rocprim17ROCPRIM_400000_NS6detail17trampoline_kernelINS0_14default_configENS1_22reduce_config_selectorIiEEZNS1_11reduce_implILb1ES3_PiS7_iN6hipcub16HIPCUB_304000_NS6detail34convert_binary_result_type_wrapperINS9_3SumENS9_22TransformInputIteratorIbN2at6native12_GLOBAL__N_19NonZeroOpIlEEPKllEEiEEEE10hipError_tPvRmT1_T2_T3_mT4_P12ihipStream_tbEUlT_E1_NS1_11comp_targetILNS1_3genE10ELNS1_11target_archE1200ELNS1_3gpuE4ELNS1_3repE0EEENS1_30default_config_static_selectorELNS0_4arch9wavefront6targetE0EEEvSQ_.kd
    .uniform_work_group_size: 1
    .uses_dynamic_stack: false
    .vgpr_count:     0
    .vgpr_spill_count: 0
    .wavefront_size: 32
    .workgroup_processor_mode: 1
  - .args:
      - .offset:         0
        .size:           40
        .value_kind:     by_value
    .group_segment_fixed_size: 224
    .kernarg_segment_align: 8
    .kernarg_segment_size: 40
    .language:       OpenCL C
    .language_version:
      - 2
      - 0
    .max_flat_workgroup_size: 256
    .name:           _ZN7rocprim17ROCPRIM_400000_NS6detail17trampoline_kernelINS0_14default_configENS1_22reduce_config_selectorIiEEZNS1_11reduce_implILb1ES3_PiS7_iN6hipcub16HIPCUB_304000_NS6detail34convert_binary_result_type_wrapperINS9_3SumENS9_22TransformInputIteratorIbN2at6native12_GLOBAL__N_19NonZeroOpIlEEPKllEEiEEEE10hipError_tPvRmT1_T2_T3_mT4_P12ihipStream_tbEUlT_E1_NS1_11comp_targetILNS1_3genE9ELNS1_11target_archE1100ELNS1_3gpuE3ELNS1_3repE0EEENS1_30default_config_static_selectorELNS0_4arch9wavefront6targetE0EEEvSQ_
    .private_segment_fixed_size: 0
    .sgpr_count:     29
    .sgpr_spill_count: 0
    .symbol:         _ZN7rocprim17ROCPRIM_400000_NS6detail17trampoline_kernelINS0_14default_configENS1_22reduce_config_selectorIiEEZNS1_11reduce_implILb1ES3_PiS7_iN6hipcub16HIPCUB_304000_NS6detail34convert_binary_result_type_wrapperINS9_3SumENS9_22TransformInputIteratorIbN2at6native12_GLOBAL__N_19NonZeroOpIlEEPKllEEiEEEE10hipError_tPvRmT1_T2_T3_mT4_P12ihipStream_tbEUlT_E1_NS1_11comp_targetILNS1_3genE9ELNS1_11target_archE1100ELNS1_3gpuE3ELNS1_3repE0EEENS1_30default_config_static_selectorELNS0_4arch9wavefront6targetE0EEEvSQ_.kd
    .uniform_work_group_size: 1
    .uses_dynamic_stack: false
    .vgpr_count:     34
    .vgpr_spill_count: 0
    .wavefront_size: 32
    .workgroup_processor_mode: 1
  - .args:
      - .offset:         0
        .size:           40
        .value_kind:     by_value
    .group_segment_fixed_size: 0
    .kernarg_segment_align: 8
    .kernarg_segment_size: 40
    .language:       OpenCL C
    .language_version:
      - 2
      - 0
    .max_flat_workgroup_size: 256
    .name:           _ZN7rocprim17ROCPRIM_400000_NS6detail17trampoline_kernelINS0_14default_configENS1_22reduce_config_selectorIiEEZNS1_11reduce_implILb1ES3_PiS7_iN6hipcub16HIPCUB_304000_NS6detail34convert_binary_result_type_wrapperINS9_3SumENS9_22TransformInputIteratorIbN2at6native12_GLOBAL__N_19NonZeroOpIlEEPKllEEiEEEE10hipError_tPvRmT1_T2_T3_mT4_P12ihipStream_tbEUlT_E1_NS1_11comp_targetILNS1_3genE8ELNS1_11target_archE1030ELNS1_3gpuE2ELNS1_3repE0EEENS1_30default_config_static_selectorELNS0_4arch9wavefront6targetE0EEEvSQ_
    .private_segment_fixed_size: 0
    .sgpr_count:     0
    .sgpr_spill_count: 0
    .symbol:         _ZN7rocprim17ROCPRIM_400000_NS6detail17trampoline_kernelINS0_14default_configENS1_22reduce_config_selectorIiEEZNS1_11reduce_implILb1ES3_PiS7_iN6hipcub16HIPCUB_304000_NS6detail34convert_binary_result_type_wrapperINS9_3SumENS9_22TransformInputIteratorIbN2at6native12_GLOBAL__N_19NonZeroOpIlEEPKllEEiEEEE10hipError_tPvRmT1_T2_T3_mT4_P12ihipStream_tbEUlT_E1_NS1_11comp_targetILNS1_3genE8ELNS1_11target_archE1030ELNS1_3gpuE2ELNS1_3repE0EEENS1_30default_config_static_selectorELNS0_4arch9wavefront6targetE0EEEvSQ_.kd
    .uniform_work_group_size: 1
    .uses_dynamic_stack: false
    .vgpr_count:     0
    .vgpr_spill_count: 0
    .wavefront_size: 32
    .workgroup_processor_mode: 1
  - .args:
      - .offset:         0
        .size:           64
        .value_kind:     by_value
    .group_segment_fixed_size: 0
    .kernarg_segment_align: 8
    .kernarg_segment_size: 64
    .language:       OpenCL C
    .language_version:
      - 2
      - 0
    .max_flat_workgroup_size: 256
    .name:           _ZN7rocprim17ROCPRIM_400000_NS6detail17trampoline_kernelINS0_14default_configENS1_22reduce_config_selectorIbEEZNS1_11reduce_implILb1ES3_N6hipcub16HIPCUB_304000_NS22TransformInputIteratorIbN2at6native12_GLOBAL__N_19NonZeroOpIlEEPKllEEPiiNS8_6detail34convert_binary_result_type_wrapperINS8_3SumESH_iEEEE10hipError_tPvRmT1_T2_T3_mT4_P12ihipStream_tbEUlT_E0_NS1_11comp_targetILNS1_3genE0ELNS1_11target_archE4294967295ELNS1_3gpuE0ELNS1_3repE0EEENS1_30default_config_static_selectorELNS0_4arch9wavefront6targetE0EEEvSQ_
    .private_segment_fixed_size: 0
    .sgpr_count:     0
    .sgpr_spill_count: 0
    .symbol:         _ZN7rocprim17ROCPRIM_400000_NS6detail17trampoline_kernelINS0_14default_configENS1_22reduce_config_selectorIbEEZNS1_11reduce_implILb1ES3_N6hipcub16HIPCUB_304000_NS22TransformInputIteratorIbN2at6native12_GLOBAL__N_19NonZeroOpIlEEPKllEEPiiNS8_6detail34convert_binary_result_type_wrapperINS8_3SumESH_iEEEE10hipError_tPvRmT1_T2_T3_mT4_P12ihipStream_tbEUlT_E0_NS1_11comp_targetILNS1_3genE0ELNS1_11target_archE4294967295ELNS1_3gpuE0ELNS1_3repE0EEENS1_30default_config_static_selectorELNS0_4arch9wavefront6targetE0EEEvSQ_.kd
    .uniform_work_group_size: 1
    .uses_dynamic_stack: false
    .vgpr_count:     0
    .vgpr_spill_count: 0
    .wavefront_size: 32
    .workgroup_processor_mode: 1
  - .args:
      - .offset:         0
        .size:           64
        .value_kind:     by_value
    .group_segment_fixed_size: 0
    .kernarg_segment_align: 8
    .kernarg_segment_size: 64
    .language:       OpenCL C
    .language_version:
      - 2
      - 0
    .max_flat_workgroup_size: 256
    .name:           _ZN7rocprim17ROCPRIM_400000_NS6detail17trampoline_kernelINS0_14default_configENS1_22reduce_config_selectorIbEEZNS1_11reduce_implILb1ES3_N6hipcub16HIPCUB_304000_NS22TransformInputIteratorIbN2at6native12_GLOBAL__N_19NonZeroOpIlEEPKllEEPiiNS8_6detail34convert_binary_result_type_wrapperINS8_3SumESH_iEEEE10hipError_tPvRmT1_T2_T3_mT4_P12ihipStream_tbEUlT_E0_NS1_11comp_targetILNS1_3genE5ELNS1_11target_archE942ELNS1_3gpuE9ELNS1_3repE0EEENS1_30default_config_static_selectorELNS0_4arch9wavefront6targetE0EEEvSQ_
    .private_segment_fixed_size: 0
    .sgpr_count:     0
    .sgpr_spill_count: 0
    .symbol:         _ZN7rocprim17ROCPRIM_400000_NS6detail17trampoline_kernelINS0_14default_configENS1_22reduce_config_selectorIbEEZNS1_11reduce_implILb1ES3_N6hipcub16HIPCUB_304000_NS22TransformInputIteratorIbN2at6native12_GLOBAL__N_19NonZeroOpIlEEPKllEEPiiNS8_6detail34convert_binary_result_type_wrapperINS8_3SumESH_iEEEE10hipError_tPvRmT1_T2_T3_mT4_P12ihipStream_tbEUlT_E0_NS1_11comp_targetILNS1_3genE5ELNS1_11target_archE942ELNS1_3gpuE9ELNS1_3repE0EEENS1_30default_config_static_selectorELNS0_4arch9wavefront6targetE0EEEvSQ_.kd
    .uniform_work_group_size: 1
    .uses_dynamic_stack: false
    .vgpr_count:     0
    .vgpr_spill_count: 0
    .wavefront_size: 32
    .workgroup_processor_mode: 1
  - .args:
      - .offset:         0
        .size:           64
        .value_kind:     by_value
    .group_segment_fixed_size: 0
    .kernarg_segment_align: 8
    .kernarg_segment_size: 64
    .language:       OpenCL C
    .language_version:
      - 2
      - 0
    .max_flat_workgroup_size: 128
    .name:           _ZN7rocprim17ROCPRIM_400000_NS6detail17trampoline_kernelINS0_14default_configENS1_22reduce_config_selectorIbEEZNS1_11reduce_implILb1ES3_N6hipcub16HIPCUB_304000_NS22TransformInputIteratorIbN2at6native12_GLOBAL__N_19NonZeroOpIlEEPKllEEPiiNS8_6detail34convert_binary_result_type_wrapperINS8_3SumESH_iEEEE10hipError_tPvRmT1_T2_T3_mT4_P12ihipStream_tbEUlT_E0_NS1_11comp_targetILNS1_3genE4ELNS1_11target_archE910ELNS1_3gpuE8ELNS1_3repE0EEENS1_30default_config_static_selectorELNS0_4arch9wavefront6targetE0EEEvSQ_
    .private_segment_fixed_size: 0
    .sgpr_count:     0
    .sgpr_spill_count: 0
    .symbol:         _ZN7rocprim17ROCPRIM_400000_NS6detail17trampoline_kernelINS0_14default_configENS1_22reduce_config_selectorIbEEZNS1_11reduce_implILb1ES3_N6hipcub16HIPCUB_304000_NS22TransformInputIteratorIbN2at6native12_GLOBAL__N_19NonZeroOpIlEEPKllEEPiiNS8_6detail34convert_binary_result_type_wrapperINS8_3SumESH_iEEEE10hipError_tPvRmT1_T2_T3_mT4_P12ihipStream_tbEUlT_E0_NS1_11comp_targetILNS1_3genE4ELNS1_11target_archE910ELNS1_3gpuE8ELNS1_3repE0EEENS1_30default_config_static_selectorELNS0_4arch9wavefront6targetE0EEEvSQ_.kd
    .uniform_work_group_size: 1
    .uses_dynamic_stack: false
    .vgpr_count:     0
    .vgpr_spill_count: 0
    .wavefront_size: 32
    .workgroup_processor_mode: 1
  - .args:
      - .offset:         0
        .size:           64
        .value_kind:     by_value
    .group_segment_fixed_size: 0
    .kernarg_segment_align: 8
    .kernarg_segment_size: 64
    .language:       OpenCL C
    .language_version:
      - 2
      - 0
    .max_flat_workgroup_size: 256
    .name:           _ZN7rocprim17ROCPRIM_400000_NS6detail17trampoline_kernelINS0_14default_configENS1_22reduce_config_selectorIbEEZNS1_11reduce_implILb1ES3_N6hipcub16HIPCUB_304000_NS22TransformInputIteratorIbN2at6native12_GLOBAL__N_19NonZeroOpIlEEPKllEEPiiNS8_6detail34convert_binary_result_type_wrapperINS8_3SumESH_iEEEE10hipError_tPvRmT1_T2_T3_mT4_P12ihipStream_tbEUlT_E0_NS1_11comp_targetILNS1_3genE3ELNS1_11target_archE908ELNS1_3gpuE7ELNS1_3repE0EEENS1_30default_config_static_selectorELNS0_4arch9wavefront6targetE0EEEvSQ_
    .private_segment_fixed_size: 0
    .sgpr_count:     0
    .sgpr_spill_count: 0
    .symbol:         _ZN7rocprim17ROCPRIM_400000_NS6detail17trampoline_kernelINS0_14default_configENS1_22reduce_config_selectorIbEEZNS1_11reduce_implILb1ES3_N6hipcub16HIPCUB_304000_NS22TransformInputIteratorIbN2at6native12_GLOBAL__N_19NonZeroOpIlEEPKllEEPiiNS8_6detail34convert_binary_result_type_wrapperINS8_3SumESH_iEEEE10hipError_tPvRmT1_T2_T3_mT4_P12ihipStream_tbEUlT_E0_NS1_11comp_targetILNS1_3genE3ELNS1_11target_archE908ELNS1_3gpuE7ELNS1_3repE0EEENS1_30default_config_static_selectorELNS0_4arch9wavefront6targetE0EEEvSQ_.kd
    .uniform_work_group_size: 1
    .uses_dynamic_stack: false
    .vgpr_count:     0
    .vgpr_spill_count: 0
    .wavefront_size: 32
    .workgroup_processor_mode: 1
  - .args:
      - .offset:         0
        .size:           64
        .value_kind:     by_value
    .group_segment_fixed_size: 0
    .kernarg_segment_align: 8
    .kernarg_segment_size: 64
    .language:       OpenCL C
    .language_version:
      - 2
      - 0
    .max_flat_workgroup_size: 128
    .name:           _ZN7rocprim17ROCPRIM_400000_NS6detail17trampoline_kernelINS0_14default_configENS1_22reduce_config_selectorIbEEZNS1_11reduce_implILb1ES3_N6hipcub16HIPCUB_304000_NS22TransformInputIteratorIbN2at6native12_GLOBAL__N_19NonZeroOpIlEEPKllEEPiiNS8_6detail34convert_binary_result_type_wrapperINS8_3SumESH_iEEEE10hipError_tPvRmT1_T2_T3_mT4_P12ihipStream_tbEUlT_E0_NS1_11comp_targetILNS1_3genE2ELNS1_11target_archE906ELNS1_3gpuE6ELNS1_3repE0EEENS1_30default_config_static_selectorELNS0_4arch9wavefront6targetE0EEEvSQ_
    .private_segment_fixed_size: 0
    .sgpr_count:     0
    .sgpr_spill_count: 0
    .symbol:         _ZN7rocprim17ROCPRIM_400000_NS6detail17trampoline_kernelINS0_14default_configENS1_22reduce_config_selectorIbEEZNS1_11reduce_implILb1ES3_N6hipcub16HIPCUB_304000_NS22TransformInputIteratorIbN2at6native12_GLOBAL__N_19NonZeroOpIlEEPKllEEPiiNS8_6detail34convert_binary_result_type_wrapperINS8_3SumESH_iEEEE10hipError_tPvRmT1_T2_T3_mT4_P12ihipStream_tbEUlT_E0_NS1_11comp_targetILNS1_3genE2ELNS1_11target_archE906ELNS1_3gpuE6ELNS1_3repE0EEENS1_30default_config_static_selectorELNS0_4arch9wavefront6targetE0EEEvSQ_.kd
    .uniform_work_group_size: 1
    .uses_dynamic_stack: false
    .vgpr_count:     0
    .vgpr_spill_count: 0
    .wavefront_size: 32
    .workgroup_processor_mode: 1
  - .args:
      - .offset:         0
        .size:           64
        .value_kind:     by_value
    .group_segment_fixed_size: 0
    .kernarg_segment_align: 8
    .kernarg_segment_size: 64
    .language:       OpenCL C
    .language_version:
      - 2
      - 0
    .max_flat_workgroup_size: 256
    .name:           _ZN7rocprim17ROCPRIM_400000_NS6detail17trampoline_kernelINS0_14default_configENS1_22reduce_config_selectorIbEEZNS1_11reduce_implILb1ES3_N6hipcub16HIPCUB_304000_NS22TransformInputIteratorIbN2at6native12_GLOBAL__N_19NonZeroOpIlEEPKllEEPiiNS8_6detail34convert_binary_result_type_wrapperINS8_3SumESH_iEEEE10hipError_tPvRmT1_T2_T3_mT4_P12ihipStream_tbEUlT_E0_NS1_11comp_targetILNS1_3genE10ELNS1_11target_archE1201ELNS1_3gpuE5ELNS1_3repE0EEENS1_30default_config_static_selectorELNS0_4arch9wavefront6targetE0EEEvSQ_
    .private_segment_fixed_size: 0
    .sgpr_count:     0
    .sgpr_spill_count: 0
    .symbol:         _ZN7rocprim17ROCPRIM_400000_NS6detail17trampoline_kernelINS0_14default_configENS1_22reduce_config_selectorIbEEZNS1_11reduce_implILb1ES3_N6hipcub16HIPCUB_304000_NS22TransformInputIteratorIbN2at6native12_GLOBAL__N_19NonZeroOpIlEEPKllEEPiiNS8_6detail34convert_binary_result_type_wrapperINS8_3SumESH_iEEEE10hipError_tPvRmT1_T2_T3_mT4_P12ihipStream_tbEUlT_E0_NS1_11comp_targetILNS1_3genE10ELNS1_11target_archE1201ELNS1_3gpuE5ELNS1_3repE0EEENS1_30default_config_static_selectorELNS0_4arch9wavefront6targetE0EEEvSQ_.kd
    .uniform_work_group_size: 1
    .uses_dynamic_stack: false
    .vgpr_count:     0
    .vgpr_spill_count: 0
    .wavefront_size: 32
    .workgroup_processor_mode: 1
  - .args:
      - .offset:         0
        .size:           64
        .value_kind:     by_value
    .group_segment_fixed_size: 0
    .kernarg_segment_align: 8
    .kernarg_segment_size: 64
    .language:       OpenCL C
    .language_version:
      - 2
      - 0
    .max_flat_workgroup_size: 256
    .name:           _ZN7rocprim17ROCPRIM_400000_NS6detail17trampoline_kernelINS0_14default_configENS1_22reduce_config_selectorIbEEZNS1_11reduce_implILb1ES3_N6hipcub16HIPCUB_304000_NS22TransformInputIteratorIbN2at6native12_GLOBAL__N_19NonZeroOpIlEEPKllEEPiiNS8_6detail34convert_binary_result_type_wrapperINS8_3SumESH_iEEEE10hipError_tPvRmT1_T2_T3_mT4_P12ihipStream_tbEUlT_E0_NS1_11comp_targetILNS1_3genE10ELNS1_11target_archE1200ELNS1_3gpuE4ELNS1_3repE0EEENS1_30default_config_static_selectorELNS0_4arch9wavefront6targetE0EEEvSQ_
    .private_segment_fixed_size: 0
    .sgpr_count:     0
    .sgpr_spill_count: 0
    .symbol:         _ZN7rocprim17ROCPRIM_400000_NS6detail17trampoline_kernelINS0_14default_configENS1_22reduce_config_selectorIbEEZNS1_11reduce_implILb1ES3_N6hipcub16HIPCUB_304000_NS22TransformInputIteratorIbN2at6native12_GLOBAL__N_19NonZeroOpIlEEPKllEEPiiNS8_6detail34convert_binary_result_type_wrapperINS8_3SumESH_iEEEE10hipError_tPvRmT1_T2_T3_mT4_P12ihipStream_tbEUlT_E0_NS1_11comp_targetILNS1_3genE10ELNS1_11target_archE1200ELNS1_3gpuE4ELNS1_3repE0EEENS1_30default_config_static_selectorELNS0_4arch9wavefront6targetE0EEEvSQ_.kd
    .uniform_work_group_size: 1
    .uses_dynamic_stack: false
    .vgpr_count:     0
    .vgpr_spill_count: 0
    .wavefront_size: 32
    .workgroup_processor_mode: 1
  - .args:
      - .offset:         0
        .size:           64
        .value_kind:     by_value
    .group_segment_fixed_size: 32
    .kernarg_segment_align: 8
    .kernarg_segment_size: 64
    .language:       OpenCL C
    .language_version:
      - 2
      - 0
    .max_flat_workgroup_size: 128
    .name:           _ZN7rocprim17ROCPRIM_400000_NS6detail17trampoline_kernelINS0_14default_configENS1_22reduce_config_selectorIbEEZNS1_11reduce_implILb1ES3_N6hipcub16HIPCUB_304000_NS22TransformInputIteratorIbN2at6native12_GLOBAL__N_19NonZeroOpIlEEPKllEEPiiNS8_6detail34convert_binary_result_type_wrapperINS8_3SumESH_iEEEE10hipError_tPvRmT1_T2_T3_mT4_P12ihipStream_tbEUlT_E0_NS1_11comp_targetILNS1_3genE9ELNS1_11target_archE1100ELNS1_3gpuE3ELNS1_3repE0EEENS1_30default_config_static_selectorELNS0_4arch9wavefront6targetE0EEEvSQ_
    .private_segment_fixed_size: 0
    .sgpr_count:     32
    .sgpr_spill_count: 0
    .symbol:         _ZN7rocprim17ROCPRIM_400000_NS6detail17trampoline_kernelINS0_14default_configENS1_22reduce_config_selectorIbEEZNS1_11reduce_implILb1ES3_N6hipcub16HIPCUB_304000_NS22TransformInputIteratorIbN2at6native12_GLOBAL__N_19NonZeroOpIlEEPKllEEPiiNS8_6detail34convert_binary_result_type_wrapperINS8_3SumESH_iEEEE10hipError_tPvRmT1_T2_T3_mT4_P12ihipStream_tbEUlT_E0_NS1_11comp_targetILNS1_3genE9ELNS1_11target_archE1100ELNS1_3gpuE3ELNS1_3repE0EEENS1_30default_config_static_selectorELNS0_4arch9wavefront6targetE0EEEvSQ_.kd
    .uniform_work_group_size: 1
    .uses_dynamic_stack: false
    .vgpr_count:     35
    .vgpr_spill_count: 0
    .wavefront_size: 32
    .workgroup_processor_mode: 1
  - .args:
      - .offset:         0
        .size:           64
        .value_kind:     by_value
    .group_segment_fixed_size: 0
    .kernarg_segment_align: 8
    .kernarg_segment_size: 64
    .language:       OpenCL C
    .language_version:
      - 2
      - 0
    .max_flat_workgroup_size: 256
    .name:           _ZN7rocprim17ROCPRIM_400000_NS6detail17trampoline_kernelINS0_14default_configENS1_22reduce_config_selectorIbEEZNS1_11reduce_implILb1ES3_N6hipcub16HIPCUB_304000_NS22TransformInputIteratorIbN2at6native12_GLOBAL__N_19NonZeroOpIlEEPKllEEPiiNS8_6detail34convert_binary_result_type_wrapperINS8_3SumESH_iEEEE10hipError_tPvRmT1_T2_T3_mT4_P12ihipStream_tbEUlT_E0_NS1_11comp_targetILNS1_3genE8ELNS1_11target_archE1030ELNS1_3gpuE2ELNS1_3repE0EEENS1_30default_config_static_selectorELNS0_4arch9wavefront6targetE0EEEvSQ_
    .private_segment_fixed_size: 0
    .sgpr_count:     0
    .sgpr_spill_count: 0
    .symbol:         _ZN7rocprim17ROCPRIM_400000_NS6detail17trampoline_kernelINS0_14default_configENS1_22reduce_config_selectorIbEEZNS1_11reduce_implILb1ES3_N6hipcub16HIPCUB_304000_NS22TransformInputIteratorIbN2at6native12_GLOBAL__N_19NonZeroOpIlEEPKllEEPiiNS8_6detail34convert_binary_result_type_wrapperINS8_3SumESH_iEEEE10hipError_tPvRmT1_T2_T3_mT4_P12ihipStream_tbEUlT_E0_NS1_11comp_targetILNS1_3genE8ELNS1_11target_archE1030ELNS1_3gpuE2ELNS1_3repE0EEENS1_30default_config_static_selectorELNS0_4arch9wavefront6targetE0EEEvSQ_.kd
    .uniform_work_group_size: 1
    .uses_dynamic_stack: false
    .vgpr_count:     0
    .vgpr_spill_count: 0
    .wavefront_size: 32
    .workgroup_processor_mode: 1
  - .args:
      - .offset:         0
        .size:           48
        .value_kind:     by_value
    .group_segment_fixed_size: 0
    .kernarg_segment_align: 8
    .kernarg_segment_size: 48
    .language:       OpenCL C
    .language_version:
      - 2
      - 0
    .max_flat_workgroup_size: 256
    .name:           _ZN7rocprim17ROCPRIM_400000_NS6detail17trampoline_kernelINS0_14default_configENS1_22reduce_config_selectorIbEEZNS1_11reduce_implILb1ES3_N6hipcub16HIPCUB_304000_NS22TransformInputIteratorIbN2at6native12_GLOBAL__N_19NonZeroOpIlEEPKllEEPiiNS8_6detail34convert_binary_result_type_wrapperINS8_3SumESH_iEEEE10hipError_tPvRmT1_T2_T3_mT4_P12ihipStream_tbEUlT_E1_NS1_11comp_targetILNS1_3genE0ELNS1_11target_archE4294967295ELNS1_3gpuE0ELNS1_3repE0EEENS1_30default_config_static_selectorELNS0_4arch9wavefront6targetE0EEEvSQ_
    .private_segment_fixed_size: 0
    .sgpr_count:     0
    .sgpr_spill_count: 0
    .symbol:         _ZN7rocprim17ROCPRIM_400000_NS6detail17trampoline_kernelINS0_14default_configENS1_22reduce_config_selectorIbEEZNS1_11reduce_implILb1ES3_N6hipcub16HIPCUB_304000_NS22TransformInputIteratorIbN2at6native12_GLOBAL__N_19NonZeroOpIlEEPKllEEPiiNS8_6detail34convert_binary_result_type_wrapperINS8_3SumESH_iEEEE10hipError_tPvRmT1_T2_T3_mT4_P12ihipStream_tbEUlT_E1_NS1_11comp_targetILNS1_3genE0ELNS1_11target_archE4294967295ELNS1_3gpuE0ELNS1_3repE0EEENS1_30default_config_static_selectorELNS0_4arch9wavefront6targetE0EEEvSQ_.kd
    .uniform_work_group_size: 1
    .uses_dynamic_stack: false
    .vgpr_count:     0
    .vgpr_spill_count: 0
    .wavefront_size: 32
    .workgroup_processor_mode: 1
  - .args:
      - .offset:         0
        .size:           48
        .value_kind:     by_value
    .group_segment_fixed_size: 0
    .kernarg_segment_align: 8
    .kernarg_segment_size: 48
    .language:       OpenCL C
    .language_version:
      - 2
      - 0
    .max_flat_workgroup_size: 256
    .name:           _ZN7rocprim17ROCPRIM_400000_NS6detail17trampoline_kernelINS0_14default_configENS1_22reduce_config_selectorIbEEZNS1_11reduce_implILb1ES3_N6hipcub16HIPCUB_304000_NS22TransformInputIteratorIbN2at6native12_GLOBAL__N_19NonZeroOpIlEEPKllEEPiiNS8_6detail34convert_binary_result_type_wrapperINS8_3SumESH_iEEEE10hipError_tPvRmT1_T2_T3_mT4_P12ihipStream_tbEUlT_E1_NS1_11comp_targetILNS1_3genE5ELNS1_11target_archE942ELNS1_3gpuE9ELNS1_3repE0EEENS1_30default_config_static_selectorELNS0_4arch9wavefront6targetE0EEEvSQ_
    .private_segment_fixed_size: 0
    .sgpr_count:     0
    .sgpr_spill_count: 0
    .symbol:         _ZN7rocprim17ROCPRIM_400000_NS6detail17trampoline_kernelINS0_14default_configENS1_22reduce_config_selectorIbEEZNS1_11reduce_implILb1ES3_N6hipcub16HIPCUB_304000_NS22TransformInputIteratorIbN2at6native12_GLOBAL__N_19NonZeroOpIlEEPKllEEPiiNS8_6detail34convert_binary_result_type_wrapperINS8_3SumESH_iEEEE10hipError_tPvRmT1_T2_T3_mT4_P12ihipStream_tbEUlT_E1_NS1_11comp_targetILNS1_3genE5ELNS1_11target_archE942ELNS1_3gpuE9ELNS1_3repE0EEENS1_30default_config_static_selectorELNS0_4arch9wavefront6targetE0EEEvSQ_.kd
    .uniform_work_group_size: 1
    .uses_dynamic_stack: false
    .vgpr_count:     0
    .vgpr_spill_count: 0
    .wavefront_size: 32
    .workgroup_processor_mode: 1
  - .args:
      - .offset:         0
        .size:           48
        .value_kind:     by_value
    .group_segment_fixed_size: 0
    .kernarg_segment_align: 8
    .kernarg_segment_size: 48
    .language:       OpenCL C
    .language_version:
      - 2
      - 0
    .max_flat_workgroup_size: 128
    .name:           _ZN7rocprim17ROCPRIM_400000_NS6detail17trampoline_kernelINS0_14default_configENS1_22reduce_config_selectorIbEEZNS1_11reduce_implILb1ES3_N6hipcub16HIPCUB_304000_NS22TransformInputIteratorIbN2at6native12_GLOBAL__N_19NonZeroOpIlEEPKllEEPiiNS8_6detail34convert_binary_result_type_wrapperINS8_3SumESH_iEEEE10hipError_tPvRmT1_T2_T3_mT4_P12ihipStream_tbEUlT_E1_NS1_11comp_targetILNS1_3genE4ELNS1_11target_archE910ELNS1_3gpuE8ELNS1_3repE0EEENS1_30default_config_static_selectorELNS0_4arch9wavefront6targetE0EEEvSQ_
    .private_segment_fixed_size: 0
    .sgpr_count:     0
    .sgpr_spill_count: 0
    .symbol:         _ZN7rocprim17ROCPRIM_400000_NS6detail17trampoline_kernelINS0_14default_configENS1_22reduce_config_selectorIbEEZNS1_11reduce_implILb1ES3_N6hipcub16HIPCUB_304000_NS22TransformInputIteratorIbN2at6native12_GLOBAL__N_19NonZeroOpIlEEPKllEEPiiNS8_6detail34convert_binary_result_type_wrapperINS8_3SumESH_iEEEE10hipError_tPvRmT1_T2_T3_mT4_P12ihipStream_tbEUlT_E1_NS1_11comp_targetILNS1_3genE4ELNS1_11target_archE910ELNS1_3gpuE8ELNS1_3repE0EEENS1_30default_config_static_selectorELNS0_4arch9wavefront6targetE0EEEvSQ_.kd
    .uniform_work_group_size: 1
    .uses_dynamic_stack: false
    .vgpr_count:     0
    .vgpr_spill_count: 0
    .wavefront_size: 32
    .workgroup_processor_mode: 1
  - .args:
      - .offset:         0
        .size:           48
        .value_kind:     by_value
    .group_segment_fixed_size: 0
    .kernarg_segment_align: 8
    .kernarg_segment_size: 48
    .language:       OpenCL C
    .language_version:
      - 2
      - 0
    .max_flat_workgroup_size: 256
    .name:           _ZN7rocprim17ROCPRIM_400000_NS6detail17trampoline_kernelINS0_14default_configENS1_22reduce_config_selectorIbEEZNS1_11reduce_implILb1ES3_N6hipcub16HIPCUB_304000_NS22TransformInputIteratorIbN2at6native12_GLOBAL__N_19NonZeroOpIlEEPKllEEPiiNS8_6detail34convert_binary_result_type_wrapperINS8_3SumESH_iEEEE10hipError_tPvRmT1_T2_T3_mT4_P12ihipStream_tbEUlT_E1_NS1_11comp_targetILNS1_3genE3ELNS1_11target_archE908ELNS1_3gpuE7ELNS1_3repE0EEENS1_30default_config_static_selectorELNS0_4arch9wavefront6targetE0EEEvSQ_
    .private_segment_fixed_size: 0
    .sgpr_count:     0
    .sgpr_spill_count: 0
    .symbol:         _ZN7rocprim17ROCPRIM_400000_NS6detail17trampoline_kernelINS0_14default_configENS1_22reduce_config_selectorIbEEZNS1_11reduce_implILb1ES3_N6hipcub16HIPCUB_304000_NS22TransformInputIteratorIbN2at6native12_GLOBAL__N_19NonZeroOpIlEEPKllEEPiiNS8_6detail34convert_binary_result_type_wrapperINS8_3SumESH_iEEEE10hipError_tPvRmT1_T2_T3_mT4_P12ihipStream_tbEUlT_E1_NS1_11comp_targetILNS1_3genE3ELNS1_11target_archE908ELNS1_3gpuE7ELNS1_3repE0EEENS1_30default_config_static_selectorELNS0_4arch9wavefront6targetE0EEEvSQ_.kd
    .uniform_work_group_size: 1
    .uses_dynamic_stack: false
    .vgpr_count:     0
    .vgpr_spill_count: 0
    .wavefront_size: 32
    .workgroup_processor_mode: 1
  - .args:
      - .offset:         0
        .size:           48
        .value_kind:     by_value
    .group_segment_fixed_size: 0
    .kernarg_segment_align: 8
    .kernarg_segment_size: 48
    .language:       OpenCL C
    .language_version:
      - 2
      - 0
    .max_flat_workgroup_size: 128
    .name:           _ZN7rocprim17ROCPRIM_400000_NS6detail17trampoline_kernelINS0_14default_configENS1_22reduce_config_selectorIbEEZNS1_11reduce_implILb1ES3_N6hipcub16HIPCUB_304000_NS22TransformInputIteratorIbN2at6native12_GLOBAL__N_19NonZeroOpIlEEPKllEEPiiNS8_6detail34convert_binary_result_type_wrapperINS8_3SumESH_iEEEE10hipError_tPvRmT1_T2_T3_mT4_P12ihipStream_tbEUlT_E1_NS1_11comp_targetILNS1_3genE2ELNS1_11target_archE906ELNS1_3gpuE6ELNS1_3repE0EEENS1_30default_config_static_selectorELNS0_4arch9wavefront6targetE0EEEvSQ_
    .private_segment_fixed_size: 0
    .sgpr_count:     0
    .sgpr_spill_count: 0
    .symbol:         _ZN7rocprim17ROCPRIM_400000_NS6detail17trampoline_kernelINS0_14default_configENS1_22reduce_config_selectorIbEEZNS1_11reduce_implILb1ES3_N6hipcub16HIPCUB_304000_NS22TransformInputIteratorIbN2at6native12_GLOBAL__N_19NonZeroOpIlEEPKllEEPiiNS8_6detail34convert_binary_result_type_wrapperINS8_3SumESH_iEEEE10hipError_tPvRmT1_T2_T3_mT4_P12ihipStream_tbEUlT_E1_NS1_11comp_targetILNS1_3genE2ELNS1_11target_archE906ELNS1_3gpuE6ELNS1_3repE0EEENS1_30default_config_static_selectorELNS0_4arch9wavefront6targetE0EEEvSQ_.kd
    .uniform_work_group_size: 1
    .uses_dynamic_stack: false
    .vgpr_count:     0
    .vgpr_spill_count: 0
    .wavefront_size: 32
    .workgroup_processor_mode: 1
  - .args:
      - .offset:         0
        .size:           48
        .value_kind:     by_value
    .group_segment_fixed_size: 0
    .kernarg_segment_align: 8
    .kernarg_segment_size: 48
    .language:       OpenCL C
    .language_version:
      - 2
      - 0
    .max_flat_workgroup_size: 256
    .name:           _ZN7rocprim17ROCPRIM_400000_NS6detail17trampoline_kernelINS0_14default_configENS1_22reduce_config_selectorIbEEZNS1_11reduce_implILb1ES3_N6hipcub16HIPCUB_304000_NS22TransformInputIteratorIbN2at6native12_GLOBAL__N_19NonZeroOpIlEEPKllEEPiiNS8_6detail34convert_binary_result_type_wrapperINS8_3SumESH_iEEEE10hipError_tPvRmT1_T2_T3_mT4_P12ihipStream_tbEUlT_E1_NS1_11comp_targetILNS1_3genE10ELNS1_11target_archE1201ELNS1_3gpuE5ELNS1_3repE0EEENS1_30default_config_static_selectorELNS0_4arch9wavefront6targetE0EEEvSQ_
    .private_segment_fixed_size: 0
    .sgpr_count:     0
    .sgpr_spill_count: 0
    .symbol:         _ZN7rocprim17ROCPRIM_400000_NS6detail17trampoline_kernelINS0_14default_configENS1_22reduce_config_selectorIbEEZNS1_11reduce_implILb1ES3_N6hipcub16HIPCUB_304000_NS22TransformInputIteratorIbN2at6native12_GLOBAL__N_19NonZeroOpIlEEPKllEEPiiNS8_6detail34convert_binary_result_type_wrapperINS8_3SumESH_iEEEE10hipError_tPvRmT1_T2_T3_mT4_P12ihipStream_tbEUlT_E1_NS1_11comp_targetILNS1_3genE10ELNS1_11target_archE1201ELNS1_3gpuE5ELNS1_3repE0EEENS1_30default_config_static_selectorELNS0_4arch9wavefront6targetE0EEEvSQ_.kd
    .uniform_work_group_size: 1
    .uses_dynamic_stack: false
    .vgpr_count:     0
    .vgpr_spill_count: 0
    .wavefront_size: 32
    .workgroup_processor_mode: 1
  - .args:
      - .offset:         0
        .size:           48
        .value_kind:     by_value
    .group_segment_fixed_size: 0
    .kernarg_segment_align: 8
    .kernarg_segment_size: 48
    .language:       OpenCL C
    .language_version:
      - 2
      - 0
    .max_flat_workgroup_size: 256
    .name:           _ZN7rocprim17ROCPRIM_400000_NS6detail17trampoline_kernelINS0_14default_configENS1_22reduce_config_selectorIbEEZNS1_11reduce_implILb1ES3_N6hipcub16HIPCUB_304000_NS22TransformInputIteratorIbN2at6native12_GLOBAL__N_19NonZeroOpIlEEPKllEEPiiNS8_6detail34convert_binary_result_type_wrapperINS8_3SumESH_iEEEE10hipError_tPvRmT1_T2_T3_mT4_P12ihipStream_tbEUlT_E1_NS1_11comp_targetILNS1_3genE10ELNS1_11target_archE1200ELNS1_3gpuE4ELNS1_3repE0EEENS1_30default_config_static_selectorELNS0_4arch9wavefront6targetE0EEEvSQ_
    .private_segment_fixed_size: 0
    .sgpr_count:     0
    .sgpr_spill_count: 0
    .symbol:         _ZN7rocprim17ROCPRIM_400000_NS6detail17trampoline_kernelINS0_14default_configENS1_22reduce_config_selectorIbEEZNS1_11reduce_implILb1ES3_N6hipcub16HIPCUB_304000_NS22TransformInputIteratorIbN2at6native12_GLOBAL__N_19NonZeroOpIlEEPKllEEPiiNS8_6detail34convert_binary_result_type_wrapperINS8_3SumESH_iEEEE10hipError_tPvRmT1_T2_T3_mT4_P12ihipStream_tbEUlT_E1_NS1_11comp_targetILNS1_3genE10ELNS1_11target_archE1200ELNS1_3gpuE4ELNS1_3repE0EEENS1_30default_config_static_selectorELNS0_4arch9wavefront6targetE0EEEvSQ_.kd
    .uniform_work_group_size: 1
    .uses_dynamic_stack: false
    .vgpr_count:     0
    .vgpr_spill_count: 0
    .wavefront_size: 32
    .workgroup_processor_mode: 1
  - .args:
      - .offset:         0
        .size:           48
        .value_kind:     by_value
    .group_segment_fixed_size: 144
    .kernarg_segment_align: 8
    .kernarg_segment_size: 48
    .language:       OpenCL C
    .language_version:
      - 2
      - 0
    .max_flat_workgroup_size: 128
    .name:           _ZN7rocprim17ROCPRIM_400000_NS6detail17trampoline_kernelINS0_14default_configENS1_22reduce_config_selectorIbEEZNS1_11reduce_implILb1ES3_N6hipcub16HIPCUB_304000_NS22TransformInputIteratorIbN2at6native12_GLOBAL__N_19NonZeroOpIlEEPKllEEPiiNS8_6detail34convert_binary_result_type_wrapperINS8_3SumESH_iEEEE10hipError_tPvRmT1_T2_T3_mT4_P12ihipStream_tbEUlT_E1_NS1_11comp_targetILNS1_3genE9ELNS1_11target_archE1100ELNS1_3gpuE3ELNS1_3repE0EEENS1_30default_config_static_selectorELNS0_4arch9wavefront6targetE0EEEvSQ_
    .private_segment_fixed_size: 0
    .sgpr_count:     36
    .sgpr_spill_count: 0
    .symbol:         _ZN7rocprim17ROCPRIM_400000_NS6detail17trampoline_kernelINS0_14default_configENS1_22reduce_config_selectorIbEEZNS1_11reduce_implILb1ES3_N6hipcub16HIPCUB_304000_NS22TransformInputIteratorIbN2at6native12_GLOBAL__N_19NonZeroOpIlEEPKllEEPiiNS8_6detail34convert_binary_result_type_wrapperINS8_3SumESH_iEEEE10hipError_tPvRmT1_T2_T3_mT4_P12ihipStream_tbEUlT_E1_NS1_11comp_targetILNS1_3genE9ELNS1_11target_archE1100ELNS1_3gpuE3ELNS1_3repE0EEENS1_30default_config_static_selectorELNS0_4arch9wavefront6targetE0EEEvSQ_.kd
    .uniform_work_group_size: 1
    .uses_dynamic_stack: false
    .vgpr_count:     142
    .vgpr_spill_count: 0
    .wavefront_size: 32
    .workgroup_processor_mode: 1
  - .args:
      - .offset:         0
        .size:           48
        .value_kind:     by_value
    .group_segment_fixed_size: 0
    .kernarg_segment_align: 8
    .kernarg_segment_size: 48
    .language:       OpenCL C
    .language_version:
      - 2
      - 0
    .max_flat_workgroup_size: 256
    .name:           _ZN7rocprim17ROCPRIM_400000_NS6detail17trampoline_kernelINS0_14default_configENS1_22reduce_config_selectorIbEEZNS1_11reduce_implILb1ES3_N6hipcub16HIPCUB_304000_NS22TransformInputIteratorIbN2at6native12_GLOBAL__N_19NonZeroOpIlEEPKllEEPiiNS8_6detail34convert_binary_result_type_wrapperINS8_3SumESH_iEEEE10hipError_tPvRmT1_T2_T3_mT4_P12ihipStream_tbEUlT_E1_NS1_11comp_targetILNS1_3genE8ELNS1_11target_archE1030ELNS1_3gpuE2ELNS1_3repE0EEENS1_30default_config_static_selectorELNS0_4arch9wavefront6targetE0EEEvSQ_
    .private_segment_fixed_size: 0
    .sgpr_count:     0
    .sgpr_spill_count: 0
    .symbol:         _ZN7rocprim17ROCPRIM_400000_NS6detail17trampoline_kernelINS0_14default_configENS1_22reduce_config_selectorIbEEZNS1_11reduce_implILb1ES3_N6hipcub16HIPCUB_304000_NS22TransformInputIteratorIbN2at6native12_GLOBAL__N_19NonZeroOpIlEEPKllEEPiiNS8_6detail34convert_binary_result_type_wrapperINS8_3SumESH_iEEEE10hipError_tPvRmT1_T2_T3_mT4_P12ihipStream_tbEUlT_E1_NS1_11comp_targetILNS1_3genE8ELNS1_11target_archE1030ELNS1_3gpuE2ELNS1_3repE0EEENS1_30default_config_static_selectorELNS0_4arch9wavefront6targetE0EEEvSQ_.kd
    .uniform_work_group_size: 1
    .uses_dynamic_stack: false
    .vgpr_count:     0
    .vgpr_spill_count: 0
    .wavefront_size: 32
    .workgroup_processor_mode: 1
  - .args:
      - .offset:         0
        .size:           120
        .value_kind:     by_value
    .group_segment_fixed_size: 0
    .kernarg_segment_align: 8
    .kernarg_segment_size: 120
    .language:       OpenCL C
    .language_version:
      - 2
      - 0
    .max_flat_workgroup_size: 128
    .name:           _ZN7rocprim17ROCPRIM_400000_NS6detail17trampoline_kernelINS0_14default_configENS1_25partition_config_selectorILNS1_17partition_subalgoE5ElNS0_10empty_typeEbEEZZNS1_14partition_implILS5_5ELb0ES3_mN6hipcub16HIPCUB_304000_NS21CountingInputIteratorIllEEPS6_NSA_22TransformInputIteratorIbN2at6native12_GLOBAL__N_19NonZeroOpIlEEPKllEENS0_5tupleIJPlS6_EEENSN_IJSD_SD_EEES6_PiJS6_EEE10hipError_tPvRmT3_T4_T5_T6_T7_T9_mT8_P12ihipStream_tbDpT10_ENKUlT_T0_E_clISt17integral_constantIbLb0EES1B_EEDaS16_S17_EUlS16_E_NS1_11comp_targetILNS1_3genE0ELNS1_11target_archE4294967295ELNS1_3gpuE0ELNS1_3repE0EEENS1_30default_config_static_selectorELNS0_4arch9wavefront6targetE0EEEvT1_
    .private_segment_fixed_size: 0
    .sgpr_count:     0
    .sgpr_spill_count: 0
    .symbol:         _ZN7rocprim17ROCPRIM_400000_NS6detail17trampoline_kernelINS0_14default_configENS1_25partition_config_selectorILNS1_17partition_subalgoE5ElNS0_10empty_typeEbEEZZNS1_14partition_implILS5_5ELb0ES3_mN6hipcub16HIPCUB_304000_NS21CountingInputIteratorIllEEPS6_NSA_22TransformInputIteratorIbN2at6native12_GLOBAL__N_19NonZeroOpIlEEPKllEENS0_5tupleIJPlS6_EEENSN_IJSD_SD_EEES6_PiJS6_EEE10hipError_tPvRmT3_T4_T5_T6_T7_T9_mT8_P12ihipStream_tbDpT10_ENKUlT_T0_E_clISt17integral_constantIbLb0EES1B_EEDaS16_S17_EUlS16_E_NS1_11comp_targetILNS1_3genE0ELNS1_11target_archE4294967295ELNS1_3gpuE0ELNS1_3repE0EEENS1_30default_config_static_selectorELNS0_4arch9wavefront6targetE0EEEvT1_.kd
    .uniform_work_group_size: 1
    .uses_dynamic_stack: false
    .vgpr_count:     0
    .vgpr_spill_count: 0
    .wavefront_size: 32
    .workgroup_processor_mode: 1
  - .args:
      - .offset:         0
        .size:           120
        .value_kind:     by_value
    .group_segment_fixed_size: 0
    .kernarg_segment_align: 8
    .kernarg_segment_size: 120
    .language:       OpenCL C
    .language_version:
      - 2
      - 0
    .max_flat_workgroup_size: 512
    .name:           _ZN7rocprim17ROCPRIM_400000_NS6detail17trampoline_kernelINS0_14default_configENS1_25partition_config_selectorILNS1_17partition_subalgoE5ElNS0_10empty_typeEbEEZZNS1_14partition_implILS5_5ELb0ES3_mN6hipcub16HIPCUB_304000_NS21CountingInputIteratorIllEEPS6_NSA_22TransformInputIteratorIbN2at6native12_GLOBAL__N_19NonZeroOpIlEEPKllEENS0_5tupleIJPlS6_EEENSN_IJSD_SD_EEES6_PiJS6_EEE10hipError_tPvRmT3_T4_T5_T6_T7_T9_mT8_P12ihipStream_tbDpT10_ENKUlT_T0_E_clISt17integral_constantIbLb0EES1B_EEDaS16_S17_EUlS16_E_NS1_11comp_targetILNS1_3genE5ELNS1_11target_archE942ELNS1_3gpuE9ELNS1_3repE0EEENS1_30default_config_static_selectorELNS0_4arch9wavefront6targetE0EEEvT1_
    .private_segment_fixed_size: 0
    .sgpr_count:     0
    .sgpr_spill_count: 0
    .symbol:         _ZN7rocprim17ROCPRIM_400000_NS6detail17trampoline_kernelINS0_14default_configENS1_25partition_config_selectorILNS1_17partition_subalgoE5ElNS0_10empty_typeEbEEZZNS1_14partition_implILS5_5ELb0ES3_mN6hipcub16HIPCUB_304000_NS21CountingInputIteratorIllEEPS6_NSA_22TransformInputIteratorIbN2at6native12_GLOBAL__N_19NonZeroOpIlEEPKllEENS0_5tupleIJPlS6_EEENSN_IJSD_SD_EEES6_PiJS6_EEE10hipError_tPvRmT3_T4_T5_T6_T7_T9_mT8_P12ihipStream_tbDpT10_ENKUlT_T0_E_clISt17integral_constantIbLb0EES1B_EEDaS16_S17_EUlS16_E_NS1_11comp_targetILNS1_3genE5ELNS1_11target_archE942ELNS1_3gpuE9ELNS1_3repE0EEENS1_30default_config_static_selectorELNS0_4arch9wavefront6targetE0EEEvT1_.kd
    .uniform_work_group_size: 1
    .uses_dynamic_stack: false
    .vgpr_count:     0
    .vgpr_spill_count: 0
    .wavefront_size: 32
    .workgroup_processor_mode: 1
  - .args:
      - .offset:         0
        .size:           120
        .value_kind:     by_value
    .group_segment_fixed_size: 0
    .kernarg_segment_align: 8
    .kernarg_segment_size: 120
    .language:       OpenCL C
    .language_version:
      - 2
      - 0
    .max_flat_workgroup_size: 192
    .name:           _ZN7rocprim17ROCPRIM_400000_NS6detail17trampoline_kernelINS0_14default_configENS1_25partition_config_selectorILNS1_17partition_subalgoE5ElNS0_10empty_typeEbEEZZNS1_14partition_implILS5_5ELb0ES3_mN6hipcub16HIPCUB_304000_NS21CountingInputIteratorIllEEPS6_NSA_22TransformInputIteratorIbN2at6native12_GLOBAL__N_19NonZeroOpIlEEPKllEENS0_5tupleIJPlS6_EEENSN_IJSD_SD_EEES6_PiJS6_EEE10hipError_tPvRmT3_T4_T5_T6_T7_T9_mT8_P12ihipStream_tbDpT10_ENKUlT_T0_E_clISt17integral_constantIbLb0EES1B_EEDaS16_S17_EUlS16_E_NS1_11comp_targetILNS1_3genE4ELNS1_11target_archE910ELNS1_3gpuE8ELNS1_3repE0EEENS1_30default_config_static_selectorELNS0_4arch9wavefront6targetE0EEEvT1_
    .private_segment_fixed_size: 0
    .sgpr_count:     0
    .sgpr_spill_count: 0
    .symbol:         _ZN7rocprim17ROCPRIM_400000_NS6detail17trampoline_kernelINS0_14default_configENS1_25partition_config_selectorILNS1_17partition_subalgoE5ElNS0_10empty_typeEbEEZZNS1_14partition_implILS5_5ELb0ES3_mN6hipcub16HIPCUB_304000_NS21CountingInputIteratorIllEEPS6_NSA_22TransformInputIteratorIbN2at6native12_GLOBAL__N_19NonZeroOpIlEEPKllEENS0_5tupleIJPlS6_EEENSN_IJSD_SD_EEES6_PiJS6_EEE10hipError_tPvRmT3_T4_T5_T6_T7_T9_mT8_P12ihipStream_tbDpT10_ENKUlT_T0_E_clISt17integral_constantIbLb0EES1B_EEDaS16_S17_EUlS16_E_NS1_11comp_targetILNS1_3genE4ELNS1_11target_archE910ELNS1_3gpuE8ELNS1_3repE0EEENS1_30default_config_static_selectorELNS0_4arch9wavefront6targetE0EEEvT1_.kd
    .uniform_work_group_size: 1
    .uses_dynamic_stack: false
    .vgpr_count:     0
    .vgpr_spill_count: 0
    .wavefront_size: 32
    .workgroup_processor_mode: 1
  - .args:
      - .offset:         0
        .size:           120
        .value_kind:     by_value
    .group_segment_fixed_size: 0
    .kernarg_segment_align: 8
    .kernarg_segment_size: 120
    .language:       OpenCL C
    .language_version:
      - 2
      - 0
    .max_flat_workgroup_size: 128
    .name:           _ZN7rocprim17ROCPRIM_400000_NS6detail17trampoline_kernelINS0_14default_configENS1_25partition_config_selectorILNS1_17partition_subalgoE5ElNS0_10empty_typeEbEEZZNS1_14partition_implILS5_5ELb0ES3_mN6hipcub16HIPCUB_304000_NS21CountingInputIteratorIllEEPS6_NSA_22TransformInputIteratorIbN2at6native12_GLOBAL__N_19NonZeroOpIlEEPKllEENS0_5tupleIJPlS6_EEENSN_IJSD_SD_EEES6_PiJS6_EEE10hipError_tPvRmT3_T4_T5_T6_T7_T9_mT8_P12ihipStream_tbDpT10_ENKUlT_T0_E_clISt17integral_constantIbLb0EES1B_EEDaS16_S17_EUlS16_E_NS1_11comp_targetILNS1_3genE3ELNS1_11target_archE908ELNS1_3gpuE7ELNS1_3repE0EEENS1_30default_config_static_selectorELNS0_4arch9wavefront6targetE0EEEvT1_
    .private_segment_fixed_size: 0
    .sgpr_count:     0
    .sgpr_spill_count: 0
    .symbol:         _ZN7rocprim17ROCPRIM_400000_NS6detail17trampoline_kernelINS0_14default_configENS1_25partition_config_selectorILNS1_17partition_subalgoE5ElNS0_10empty_typeEbEEZZNS1_14partition_implILS5_5ELb0ES3_mN6hipcub16HIPCUB_304000_NS21CountingInputIteratorIllEEPS6_NSA_22TransformInputIteratorIbN2at6native12_GLOBAL__N_19NonZeroOpIlEEPKllEENS0_5tupleIJPlS6_EEENSN_IJSD_SD_EEES6_PiJS6_EEE10hipError_tPvRmT3_T4_T5_T6_T7_T9_mT8_P12ihipStream_tbDpT10_ENKUlT_T0_E_clISt17integral_constantIbLb0EES1B_EEDaS16_S17_EUlS16_E_NS1_11comp_targetILNS1_3genE3ELNS1_11target_archE908ELNS1_3gpuE7ELNS1_3repE0EEENS1_30default_config_static_selectorELNS0_4arch9wavefront6targetE0EEEvT1_.kd
    .uniform_work_group_size: 1
    .uses_dynamic_stack: false
    .vgpr_count:     0
    .vgpr_spill_count: 0
    .wavefront_size: 32
    .workgroup_processor_mode: 1
  - .args:
      - .offset:         0
        .size:           120
        .value_kind:     by_value
    .group_segment_fixed_size: 0
    .kernarg_segment_align: 8
    .kernarg_segment_size: 120
    .language:       OpenCL C
    .language_version:
      - 2
      - 0
    .max_flat_workgroup_size: 256
    .name:           _ZN7rocprim17ROCPRIM_400000_NS6detail17trampoline_kernelINS0_14default_configENS1_25partition_config_selectorILNS1_17partition_subalgoE5ElNS0_10empty_typeEbEEZZNS1_14partition_implILS5_5ELb0ES3_mN6hipcub16HIPCUB_304000_NS21CountingInputIteratorIllEEPS6_NSA_22TransformInputIteratorIbN2at6native12_GLOBAL__N_19NonZeroOpIlEEPKllEENS0_5tupleIJPlS6_EEENSN_IJSD_SD_EEES6_PiJS6_EEE10hipError_tPvRmT3_T4_T5_T6_T7_T9_mT8_P12ihipStream_tbDpT10_ENKUlT_T0_E_clISt17integral_constantIbLb0EES1B_EEDaS16_S17_EUlS16_E_NS1_11comp_targetILNS1_3genE2ELNS1_11target_archE906ELNS1_3gpuE6ELNS1_3repE0EEENS1_30default_config_static_selectorELNS0_4arch9wavefront6targetE0EEEvT1_
    .private_segment_fixed_size: 0
    .sgpr_count:     0
    .sgpr_spill_count: 0
    .symbol:         _ZN7rocprim17ROCPRIM_400000_NS6detail17trampoline_kernelINS0_14default_configENS1_25partition_config_selectorILNS1_17partition_subalgoE5ElNS0_10empty_typeEbEEZZNS1_14partition_implILS5_5ELb0ES3_mN6hipcub16HIPCUB_304000_NS21CountingInputIteratorIllEEPS6_NSA_22TransformInputIteratorIbN2at6native12_GLOBAL__N_19NonZeroOpIlEEPKllEENS0_5tupleIJPlS6_EEENSN_IJSD_SD_EEES6_PiJS6_EEE10hipError_tPvRmT3_T4_T5_T6_T7_T9_mT8_P12ihipStream_tbDpT10_ENKUlT_T0_E_clISt17integral_constantIbLb0EES1B_EEDaS16_S17_EUlS16_E_NS1_11comp_targetILNS1_3genE2ELNS1_11target_archE906ELNS1_3gpuE6ELNS1_3repE0EEENS1_30default_config_static_selectorELNS0_4arch9wavefront6targetE0EEEvT1_.kd
    .uniform_work_group_size: 1
    .uses_dynamic_stack: false
    .vgpr_count:     0
    .vgpr_spill_count: 0
    .wavefront_size: 32
    .workgroup_processor_mode: 1
  - .args:
      - .offset:         0
        .size:           120
        .value_kind:     by_value
    .group_segment_fixed_size: 0
    .kernarg_segment_align: 8
    .kernarg_segment_size: 120
    .language:       OpenCL C
    .language_version:
      - 2
      - 0
    .max_flat_workgroup_size: 256
    .name:           _ZN7rocprim17ROCPRIM_400000_NS6detail17trampoline_kernelINS0_14default_configENS1_25partition_config_selectorILNS1_17partition_subalgoE5ElNS0_10empty_typeEbEEZZNS1_14partition_implILS5_5ELb0ES3_mN6hipcub16HIPCUB_304000_NS21CountingInputIteratorIllEEPS6_NSA_22TransformInputIteratorIbN2at6native12_GLOBAL__N_19NonZeroOpIlEEPKllEENS0_5tupleIJPlS6_EEENSN_IJSD_SD_EEES6_PiJS6_EEE10hipError_tPvRmT3_T4_T5_T6_T7_T9_mT8_P12ihipStream_tbDpT10_ENKUlT_T0_E_clISt17integral_constantIbLb0EES1B_EEDaS16_S17_EUlS16_E_NS1_11comp_targetILNS1_3genE10ELNS1_11target_archE1200ELNS1_3gpuE4ELNS1_3repE0EEENS1_30default_config_static_selectorELNS0_4arch9wavefront6targetE0EEEvT1_
    .private_segment_fixed_size: 0
    .sgpr_count:     0
    .sgpr_spill_count: 0
    .symbol:         _ZN7rocprim17ROCPRIM_400000_NS6detail17trampoline_kernelINS0_14default_configENS1_25partition_config_selectorILNS1_17partition_subalgoE5ElNS0_10empty_typeEbEEZZNS1_14partition_implILS5_5ELb0ES3_mN6hipcub16HIPCUB_304000_NS21CountingInputIteratorIllEEPS6_NSA_22TransformInputIteratorIbN2at6native12_GLOBAL__N_19NonZeroOpIlEEPKllEENS0_5tupleIJPlS6_EEENSN_IJSD_SD_EEES6_PiJS6_EEE10hipError_tPvRmT3_T4_T5_T6_T7_T9_mT8_P12ihipStream_tbDpT10_ENKUlT_T0_E_clISt17integral_constantIbLb0EES1B_EEDaS16_S17_EUlS16_E_NS1_11comp_targetILNS1_3genE10ELNS1_11target_archE1200ELNS1_3gpuE4ELNS1_3repE0EEENS1_30default_config_static_selectorELNS0_4arch9wavefront6targetE0EEEvT1_.kd
    .uniform_work_group_size: 1
    .uses_dynamic_stack: false
    .vgpr_count:     0
    .vgpr_spill_count: 0
    .wavefront_size: 32
    .workgroup_processor_mode: 1
  - .args:
      - .offset:         0
        .size:           120
        .value_kind:     by_value
    .group_segment_fixed_size: 6160
    .kernarg_segment_align: 8
    .kernarg_segment_size: 120
    .language:       OpenCL C
    .language_version:
      - 2
      - 0
    .max_flat_workgroup_size: 128
    .name:           _ZN7rocprim17ROCPRIM_400000_NS6detail17trampoline_kernelINS0_14default_configENS1_25partition_config_selectorILNS1_17partition_subalgoE5ElNS0_10empty_typeEbEEZZNS1_14partition_implILS5_5ELb0ES3_mN6hipcub16HIPCUB_304000_NS21CountingInputIteratorIllEEPS6_NSA_22TransformInputIteratorIbN2at6native12_GLOBAL__N_19NonZeroOpIlEEPKllEENS0_5tupleIJPlS6_EEENSN_IJSD_SD_EEES6_PiJS6_EEE10hipError_tPvRmT3_T4_T5_T6_T7_T9_mT8_P12ihipStream_tbDpT10_ENKUlT_T0_E_clISt17integral_constantIbLb0EES1B_EEDaS16_S17_EUlS16_E_NS1_11comp_targetILNS1_3genE9ELNS1_11target_archE1100ELNS1_3gpuE3ELNS1_3repE0EEENS1_30default_config_static_selectorELNS0_4arch9wavefront6targetE0EEEvT1_
    .private_segment_fixed_size: 0
    .sgpr_count:     23
    .sgpr_spill_count: 0
    .symbol:         _ZN7rocprim17ROCPRIM_400000_NS6detail17trampoline_kernelINS0_14default_configENS1_25partition_config_selectorILNS1_17partition_subalgoE5ElNS0_10empty_typeEbEEZZNS1_14partition_implILS5_5ELb0ES3_mN6hipcub16HIPCUB_304000_NS21CountingInputIteratorIllEEPS6_NSA_22TransformInputIteratorIbN2at6native12_GLOBAL__N_19NonZeroOpIlEEPKllEENS0_5tupleIJPlS6_EEENSN_IJSD_SD_EEES6_PiJS6_EEE10hipError_tPvRmT3_T4_T5_T6_T7_T9_mT8_P12ihipStream_tbDpT10_ENKUlT_T0_E_clISt17integral_constantIbLb0EES1B_EEDaS16_S17_EUlS16_E_NS1_11comp_targetILNS1_3genE9ELNS1_11target_archE1100ELNS1_3gpuE3ELNS1_3repE0EEENS1_30default_config_static_selectorELNS0_4arch9wavefront6targetE0EEEvT1_.kd
    .uniform_work_group_size: 1
    .uses_dynamic_stack: false
    .vgpr_count:     57
    .vgpr_spill_count: 0
    .wavefront_size: 32
    .workgroup_processor_mode: 1
  - .args:
      - .offset:         0
        .size:           120
        .value_kind:     by_value
    .group_segment_fixed_size: 0
    .kernarg_segment_align: 8
    .kernarg_segment_size: 120
    .language:       OpenCL C
    .language_version:
      - 2
      - 0
    .max_flat_workgroup_size: 512
    .name:           _ZN7rocprim17ROCPRIM_400000_NS6detail17trampoline_kernelINS0_14default_configENS1_25partition_config_selectorILNS1_17partition_subalgoE5ElNS0_10empty_typeEbEEZZNS1_14partition_implILS5_5ELb0ES3_mN6hipcub16HIPCUB_304000_NS21CountingInputIteratorIllEEPS6_NSA_22TransformInputIteratorIbN2at6native12_GLOBAL__N_19NonZeroOpIlEEPKllEENS0_5tupleIJPlS6_EEENSN_IJSD_SD_EEES6_PiJS6_EEE10hipError_tPvRmT3_T4_T5_T6_T7_T9_mT8_P12ihipStream_tbDpT10_ENKUlT_T0_E_clISt17integral_constantIbLb0EES1B_EEDaS16_S17_EUlS16_E_NS1_11comp_targetILNS1_3genE8ELNS1_11target_archE1030ELNS1_3gpuE2ELNS1_3repE0EEENS1_30default_config_static_selectorELNS0_4arch9wavefront6targetE0EEEvT1_
    .private_segment_fixed_size: 0
    .sgpr_count:     0
    .sgpr_spill_count: 0
    .symbol:         _ZN7rocprim17ROCPRIM_400000_NS6detail17trampoline_kernelINS0_14default_configENS1_25partition_config_selectorILNS1_17partition_subalgoE5ElNS0_10empty_typeEbEEZZNS1_14partition_implILS5_5ELb0ES3_mN6hipcub16HIPCUB_304000_NS21CountingInputIteratorIllEEPS6_NSA_22TransformInputIteratorIbN2at6native12_GLOBAL__N_19NonZeroOpIlEEPKllEENS0_5tupleIJPlS6_EEENSN_IJSD_SD_EEES6_PiJS6_EEE10hipError_tPvRmT3_T4_T5_T6_T7_T9_mT8_P12ihipStream_tbDpT10_ENKUlT_T0_E_clISt17integral_constantIbLb0EES1B_EEDaS16_S17_EUlS16_E_NS1_11comp_targetILNS1_3genE8ELNS1_11target_archE1030ELNS1_3gpuE2ELNS1_3repE0EEENS1_30default_config_static_selectorELNS0_4arch9wavefront6targetE0EEEvT1_.kd
    .uniform_work_group_size: 1
    .uses_dynamic_stack: false
    .vgpr_count:     0
    .vgpr_spill_count: 0
    .wavefront_size: 32
    .workgroup_processor_mode: 1
  - .args:
      - .offset:         0
        .size:           136
        .value_kind:     by_value
    .group_segment_fixed_size: 0
    .kernarg_segment_align: 8
    .kernarg_segment_size: 136
    .language:       OpenCL C
    .language_version:
      - 2
      - 0
    .max_flat_workgroup_size: 128
    .name:           _ZN7rocprim17ROCPRIM_400000_NS6detail17trampoline_kernelINS0_14default_configENS1_25partition_config_selectorILNS1_17partition_subalgoE5ElNS0_10empty_typeEbEEZZNS1_14partition_implILS5_5ELb0ES3_mN6hipcub16HIPCUB_304000_NS21CountingInputIteratorIllEEPS6_NSA_22TransformInputIteratorIbN2at6native12_GLOBAL__N_19NonZeroOpIlEEPKllEENS0_5tupleIJPlS6_EEENSN_IJSD_SD_EEES6_PiJS6_EEE10hipError_tPvRmT3_T4_T5_T6_T7_T9_mT8_P12ihipStream_tbDpT10_ENKUlT_T0_E_clISt17integral_constantIbLb1EES1B_EEDaS16_S17_EUlS16_E_NS1_11comp_targetILNS1_3genE0ELNS1_11target_archE4294967295ELNS1_3gpuE0ELNS1_3repE0EEENS1_30default_config_static_selectorELNS0_4arch9wavefront6targetE0EEEvT1_
    .private_segment_fixed_size: 0
    .sgpr_count:     0
    .sgpr_spill_count: 0
    .symbol:         _ZN7rocprim17ROCPRIM_400000_NS6detail17trampoline_kernelINS0_14default_configENS1_25partition_config_selectorILNS1_17partition_subalgoE5ElNS0_10empty_typeEbEEZZNS1_14partition_implILS5_5ELb0ES3_mN6hipcub16HIPCUB_304000_NS21CountingInputIteratorIllEEPS6_NSA_22TransformInputIteratorIbN2at6native12_GLOBAL__N_19NonZeroOpIlEEPKllEENS0_5tupleIJPlS6_EEENSN_IJSD_SD_EEES6_PiJS6_EEE10hipError_tPvRmT3_T4_T5_T6_T7_T9_mT8_P12ihipStream_tbDpT10_ENKUlT_T0_E_clISt17integral_constantIbLb1EES1B_EEDaS16_S17_EUlS16_E_NS1_11comp_targetILNS1_3genE0ELNS1_11target_archE4294967295ELNS1_3gpuE0ELNS1_3repE0EEENS1_30default_config_static_selectorELNS0_4arch9wavefront6targetE0EEEvT1_.kd
    .uniform_work_group_size: 1
    .uses_dynamic_stack: false
    .vgpr_count:     0
    .vgpr_spill_count: 0
    .wavefront_size: 32
    .workgroup_processor_mode: 1
  - .args:
      - .offset:         0
        .size:           136
        .value_kind:     by_value
    .group_segment_fixed_size: 0
    .kernarg_segment_align: 8
    .kernarg_segment_size: 136
    .language:       OpenCL C
    .language_version:
      - 2
      - 0
    .max_flat_workgroup_size: 512
    .name:           _ZN7rocprim17ROCPRIM_400000_NS6detail17trampoline_kernelINS0_14default_configENS1_25partition_config_selectorILNS1_17partition_subalgoE5ElNS0_10empty_typeEbEEZZNS1_14partition_implILS5_5ELb0ES3_mN6hipcub16HIPCUB_304000_NS21CountingInputIteratorIllEEPS6_NSA_22TransformInputIteratorIbN2at6native12_GLOBAL__N_19NonZeroOpIlEEPKllEENS0_5tupleIJPlS6_EEENSN_IJSD_SD_EEES6_PiJS6_EEE10hipError_tPvRmT3_T4_T5_T6_T7_T9_mT8_P12ihipStream_tbDpT10_ENKUlT_T0_E_clISt17integral_constantIbLb1EES1B_EEDaS16_S17_EUlS16_E_NS1_11comp_targetILNS1_3genE5ELNS1_11target_archE942ELNS1_3gpuE9ELNS1_3repE0EEENS1_30default_config_static_selectorELNS0_4arch9wavefront6targetE0EEEvT1_
    .private_segment_fixed_size: 0
    .sgpr_count:     0
    .sgpr_spill_count: 0
    .symbol:         _ZN7rocprim17ROCPRIM_400000_NS6detail17trampoline_kernelINS0_14default_configENS1_25partition_config_selectorILNS1_17partition_subalgoE5ElNS0_10empty_typeEbEEZZNS1_14partition_implILS5_5ELb0ES3_mN6hipcub16HIPCUB_304000_NS21CountingInputIteratorIllEEPS6_NSA_22TransformInputIteratorIbN2at6native12_GLOBAL__N_19NonZeroOpIlEEPKllEENS0_5tupleIJPlS6_EEENSN_IJSD_SD_EEES6_PiJS6_EEE10hipError_tPvRmT3_T4_T5_T6_T7_T9_mT8_P12ihipStream_tbDpT10_ENKUlT_T0_E_clISt17integral_constantIbLb1EES1B_EEDaS16_S17_EUlS16_E_NS1_11comp_targetILNS1_3genE5ELNS1_11target_archE942ELNS1_3gpuE9ELNS1_3repE0EEENS1_30default_config_static_selectorELNS0_4arch9wavefront6targetE0EEEvT1_.kd
    .uniform_work_group_size: 1
    .uses_dynamic_stack: false
    .vgpr_count:     0
    .vgpr_spill_count: 0
    .wavefront_size: 32
    .workgroup_processor_mode: 1
  - .args:
      - .offset:         0
        .size:           136
        .value_kind:     by_value
    .group_segment_fixed_size: 0
    .kernarg_segment_align: 8
    .kernarg_segment_size: 136
    .language:       OpenCL C
    .language_version:
      - 2
      - 0
    .max_flat_workgroup_size: 192
    .name:           _ZN7rocprim17ROCPRIM_400000_NS6detail17trampoline_kernelINS0_14default_configENS1_25partition_config_selectorILNS1_17partition_subalgoE5ElNS0_10empty_typeEbEEZZNS1_14partition_implILS5_5ELb0ES3_mN6hipcub16HIPCUB_304000_NS21CountingInputIteratorIllEEPS6_NSA_22TransformInputIteratorIbN2at6native12_GLOBAL__N_19NonZeroOpIlEEPKllEENS0_5tupleIJPlS6_EEENSN_IJSD_SD_EEES6_PiJS6_EEE10hipError_tPvRmT3_T4_T5_T6_T7_T9_mT8_P12ihipStream_tbDpT10_ENKUlT_T0_E_clISt17integral_constantIbLb1EES1B_EEDaS16_S17_EUlS16_E_NS1_11comp_targetILNS1_3genE4ELNS1_11target_archE910ELNS1_3gpuE8ELNS1_3repE0EEENS1_30default_config_static_selectorELNS0_4arch9wavefront6targetE0EEEvT1_
    .private_segment_fixed_size: 0
    .sgpr_count:     0
    .sgpr_spill_count: 0
    .symbol:         _ZN7rocprim17ROCPRIM_400000_NS6detail17trampoline_kernelINS0_14default_configENS1_25partition_config_selectorILNS1_17partition_subalgoE5ElNS0_10empty_typeEbEEZZNS1_14partition_implILS5_5ELb0ES3_mN6hipcub16HIPCUB_304000_NS21CountingInputIteratorIllEEPS6_NSA_22TransformInputIteratorIbN2at6native12_GLOBAL__N_19NonZeroOpIlEEPKllEENS0_5tupleIJPlS6_EEENSN_IJSD_SD_EEES6_PiJS6_EEE10hipError_tPvRmT3_T4_T5_T6_T7_T9_mT8_P12ihipStream_tbDpT10_ENKUlT_T0_E_clISt17integral_constantIbLb1EES1B_EEDaS16_S17_EUlS16_E_NS1_11comp_targetILNS1_3genE4ELNS1_11target_archE910ELNS1_3gpuE8ELNS1_3repE0EEENS1_30default_config_static_selectorELNS0_4arch9wavefront6targetE0EEEvT1_.kd
    .uniform_work_group_size: 1
    .uses_dynamic_stack: false
    .vgpr_count:     0
    .vgpr_spill_count: 0
    .wavefront_size: 32
    .workgroup_processor_mode: 1
  - .args:
      - .offset:         0
        .size:           136
        .value_kind:     by_value
    .group_segment_fixed_size: 0
    .kernarg_segment_align: 8
    .kernarg_segment_size: 136
    .language:       OpenCL C
    .language_version:
      - 2
      - 0
    .max_flat_workgroup_size: 128
    .name:           _ZN7rocprim17ROCPRIM_400000_NS6detail17trampoline_kernelINS0_14default_configENS1_25partition_config_selectorILNS1_17partition_subalgoE5ElNS0_10empty_typeEbEEZZNS1_14partition_implILS5_5ELb0ES3_mN6hipcub16HIPCUB_304000_NS21CountingInputIteratorIllEEPS6_NSA_22TransformInputIteratorIbN2at6native12_GLOBAL__N_19NonZeroOpIlEEPKllEENS0_5tupleIJPlS6_EEENSN_IJSD_SD_EEES6_PiJS6_EEE10hipError_tPvRmT3_T4_T5_T6_T7_T9_mT8_P12ihipStream_tbDpT10_ENKUlT_T0_E_clISt17integral_constantIbLb1EES1B_EEDaS16_S17_EUlS16_E_NS1_11comp_targetILNS1_3genE3ELNS1_11target_archE908ELNS1_3gpuE7ELNS1_3repE0EEENS1_30default_config_static_selectorELNS0_4arch9wavefront6targetE0EEEvT1_
    .private_segment_fixed_size: 0
    .sgpr_count:     0
    .sgpr_spill_count: 0
    .symbol:         _ZN7rocprim17ROCPRIM_400000_NS6detail17trampoline_kernelINS0_14default_configENS1_25partition_config_selectorILNS1_17partition_subalgoE5ElNS0_10empty_typeEbEEZZNS1_14partition_implILS5_5ELb0ES3_mN6hipcub16HIPCUB_304000_NS21CountingInputIteratorIllEEPS6_NSA_22TransformInputIteratorIbN2at6native12_GLOBAL__N_19NonZeroOpIlEEPKllEENS0_5tupleIJPlS6_EEENSN_IJSD_SD_EEES6_PiJS6_EEE10hipError_tPvRmT3_T4_T5_T6_T7_T9_mT8_P12ihipStream_tbDpT10_ENKUlT_T0_E_clISt17integral_constantIbLb1EES1B_EEDaS16_S17_EUlS16_E_NS1_11comp_targetILNS1_3genE3ELNS1_11target_archE908ELNS1_3gpuE7ELNS1_3repE0EEENS1_30default_config_static_selectorELNS0_4arch9wavefront6targetE0EEEvT1_.kd
    .uniform_work_group_size: 1
    .uses_dynamic_stack: false
    .vgpr_count:     0
    .vgpr_spill_count: 0
    .wavefront_size: 32
    .workgroup_processor_mode: 1
  - .args:
      - .offset:         0
        .size:           136
        .value_kind:     by_value
    .group_segment_fixed_size: 0
    .kernarg_segment_align: 8
    .kernarg_segment_size: 136
    .language:       OpenCL C
    .language_version:
      - 2
      - 0
    .max_flat_workgroup_size: 256
    .name:           _ZN7rocprim17ROCPRIM_400000_NS6detail17trampoline_kernelINS0_14default_configENS1_25partition_config_selectorILNS1_17partition_subalgoE5ElNS0_10empty_typeEbEEZZNS1_14partition_implILS5_5ELb0ES3_mN6hipcub16HIPCUB_304000_NS21CountingInputIteratorIllEEPS6_NSA_22TransformInputIteratorIbN2at6native12_GLOBAL__N_19NonZeroOpIlEEPKllEENS0_5tupleIJPlS6_EEENSN_IJSD_SD_EEES6_PiJS6_EEE10hipError_tPvRmT3_T4_T5_T6_T7_T9_mT8_P12ihipStream_tbDpT10_ENKUlT_T0_E_clISt17integral_constantIbLb1EES1B_EEDaS16_S17_EUlS16_E_NS1_11comp_targetILNS1_3genE2ELNS1_11target_archE906ELNS1_3gpuE6ELNS1_3repE0EEENS1_30default_config_static_selectorELNS0_4arch9wavefront6targetE0EEEvT1_
    .private_segment_fixed_size: 0
    .sgpr_count:     0
    .sgpr_spill_count: 0
    .symbol:         _ZN7rocprim17ROCPRIM_400000_NS6detail17trampoline_kernelINS0_14default_configENS1_25partition_config_selectorILNS1_17partition_subalgoE5ElNS0_10empty_typeEbEEZZNS1_14partition_implILS5_5ELb0ES3_mN6hipcub16HIPCUB_304000_NS21CountingInputIteratorIllEEPS6_NSA_22TransformInputIteratorIbN2at6native12_GLOBAL__N_19NonZeroOpIlEEPKllEENS0_5tupleIJPlS6_EEENSN_IJSD_SD_EEES6_PiJS6_EEE10hipError_tPvRmT3_T4_T5_T6_T7_T9_mT8_P12ihipStream_tbDpT10_ENKUlT_T0_E_clISt17integral_constantIbLb1EES1B_EEDaS16_S17_EUlS16_E_NS1_11comp_targetILNS1_3genE2ELNS1_11target_archE906ELNS1_3gpuE6ELNS1_3repE0EEENS1_30default_config_static_selectorELNS0_4arch9wavefront6targetE0EEEvT1_.kd
    .uniform_work_group_size: 1
    .uses_dynamic_stack: false
    .vgpr_count:     0
    .vgpr_spill_count: 0
    .wavefront_size: 32
    .workgroup_processor_mode: 1
  - .args:
      - .offset:         0
        .size:           136
        .value_kind:     by_value
    .group_segment_fixed_size: 0
    .kernarg_segment_align: 8
    .kernarg_segment_size: 136
    .language:       OpenCL C
    .language_version:
      - 2
      - 0
    .max_flat_workgroup_size: 256
    .name:           _ZN7rocprim17ROCPRIM_400000_NS6detail17trampoline_kernelINS0_14default_configENS1_25partition_config_selectorILNS1_17partition_subalgoE5ElNS0_10empty_typeEbEEZZNS1_14partition_implILS5_5ELb0ES3_mN6hipcub16HIPCUB_304000_NS21CountingInputIteratorIllEEPS6_NSA_22TransformInputIteratorIbN2at6native12_GLOBAL__N_19NonZeroOpIlEEPKllEENS0_5tupleIJPlS6_EEENSN_IJSD_SD_EEES6_PiJS6_EEE10hipError_tPvRmT3_T4_T5_T6_T7_T9_mT8_P12ihipStream_tbDpT10_ENKUlT_T0_E_clISt17integral_constantIbLb1EES1B_EEDaS16_S17_EUlS16_E_NS1_11comp_targetILNS1_3genE10ELNS1_11target_archE1200ELNS1_3gpuE4ELNS1_3repE0EEENS1_30default_config_static_selectorELNS0_4arch9wavefront6targetE0EEEvT1_
    .private_segment_fixed_size: 0
    .sgpr_count:     0
    .sgpr_spill_count: 0
    .symbol:         _ZN7rocprim17ROCPRIM_400000_NS6detail17trampoline_kernelINS0_14default_configENS1_25partition_config_selectorILNS1_17partition_subalgoE5ElNS0_10empty_typeEbEEZZNS1_14partition_implILS5_5ELb0ES3_mN6hipcub16HIPCUB_304000_NS21CountingInputIteratorIllEEPS6_NSA_22TransformInputIteratorIbN2at6native12_GLOBAL__N_19NonZeroOpIlEEPKllEENS0_5tupleIJPlS6_EEENSN_IJSD_SD_EEES6_PiJS6_EEE10hipError_tPvRmT3_T4_T5_T6_T7_T9_mT8_P12ihipStream_tbDpT10_ENKUlT_T0_E_clISt17integral_constantIbLb1EES1B_EEDaS16_S17_EUlS16_E_NS1_11comp_targetILNS1_3genE10ELNS1_11target_archE1200ELNS1_3gpuE4ELNS1_3repE0EEENS1_30default_config_static_selectorELNS0_4arch9wavefront6targetE0EEEvT1_.kd
    .uniform_work_group_size: 1
    .uses_dynamic_stack: false
    .vgpr_count:     0
    .vgpr_spill_count: 0
    .wavefront_size: 32
    .workgroup_processor_mode: 1
  - .args:
      - .offset:         0
        .size:           136
        .value_kind:     by_value
    .group_segment_fixed_size: 6160
    .kernarg_segment_align: 8
    .kernarg_segment_size: 136
    .language:       OpenCL C
    .language_version:
      - 2
      - 0
    .max_flat_workgroup_size: 128
    .name:           _ZN7rocprim17ROCPRIM_400000_NS6detail17trampoline_kernelINS0_14default_configENS1_25partition_config_selectorILNS1_17partition_subalgoE5ElNS0_10empty_typeEbEEZZNS1_14partition_implILS5_5ELb0ES3_mN6hipcub16HIPCUB_304000_NS21CountingInputIteratorIllEEPS6_NSA_22TransformInputIteratorIbN2at6native12_GLOBAL__N_19NonZeroOpIlEEPKllEENS0_5tupleIJPlS6_EEENSN_IJSD_SD_EEES6_PiJS6_EEE10hipError_tPvRmT3_T4_T5_T6_T7_T9_mT8_P12ihipStream_tbDpT10_ENKUlT_T0_E_clISt17integral_constantIbLb1EES1B_EEDaS16_S17_EUlS16_E_NS1_11comp_targetILNS1_3genE9ELNS1_11target_archE1100ELNS1_3gpuE3ELNS1_3repE0EEENS1_30default_config_static_selectorELNS0_4arch9wavefront6targetE0EEEvT1_
    .private_segment_fixed_size: 0
    .sgpr_count:     26
    .sgpr_spill_count: 0
    .symbol:         _ZN7rocprim17ROCPRIM_400000_NS6detail17trampoline_kernelINS0_14default_configENS1_25partition_config_selectorILNS1_17partition_subalgoE5ElNS0_10empty_typeEbEEZZNS1_14partition_implILS5_5ELb0ES3_mN6hipcub16HIPCUB_304000_NS21CountingInputIteratorIllEEPS6_NSA_22TransformInputIteratorIbN2at6native12_GLOBAL__N_19NonZeroOpIlEEPKllEENS0_5tupleIJPlS6_EEENSN_IJSD_SD_EEES6_PiJS6_EEE10hipError_tPvRmT3_T4_T5_T6_T7_T9_mT8_P12ihipStream_tbDpT10_ENKUlT_T0_E_clISt17integral_constantIbLb1EES1B_EEDaS16_S17_EUlS16_E_NS1_11comp_targetILNS1_3genE9ELNS1_11target_archE1100ELNS1_3gpuE3ELNS1_3repE0EEENS1_30default_config_static_selectorELNS0_4arch9wavefront6targetE0EEEvT1_.kd
    .uniform_work_group_size: 1
    .uses_dynamic_stack: false
    .vgpr_count:     57
    .vgpr_spill_count: 0
    .wavefront_size: 32
    .workgroup_processor_mode: 1
  - .args:
      - .offset:         0
        .size:           136
        .value_kind:     by_value
    .group_segment_fixed_size: 0
    .kernarg_segment_align: 8
    .kernarg_segment_size: 136
    .language:       OpenCL C
    .language_version:
      - 2
      - 0
    .max_flat_workgroup_size: 512
    .name:           _ZN7rocprim17ROCPRIM_400000_NS6detail17trampoline_kernelINS0_14default_configENS1_25partition_config_selectorILNS1_17partition_subalgoE5ElNS0_10empty_typeEbEEZZNS1_14partition_implILS5_5ELb0ES3_mN6hipcub16HIPCUB_304000_NS21CountingInputIteratorIllEEPS6_NSA_22TransformInputIteratorIbN2at6native12_GLOBAL__N_19NonZeroOpIlEEPKllEENS0_5tupleIJPlS6_EEENSN_IJSD_SD_EEES6_PiJS6_EEE10hipError_tPvRmT3_T4_T5_T6_T7_T9_mT8_P12ihipStream_tbDpT10_ENKUlT_T0_E_clISt17integral_constantIbLb1EES1B_EEDaS16_S17_EUlS16_E_NS1_11comp_targetILNS1_3genE8ELNS1_11target_archE1030ELNS1_3gpuE2ELNS1_3repE0EEENS1_30default_config_static_selectorELNS0_4arch9wavefront6targetE0EEEvT1_
    .private_segment_fixed_size: 0
    .sgpr_count:     0
    .sgpr_spill_count: 0
    .symbol:         _ZN7rocprim17ROCPRIM_400000_NS6detail17trampoline_kernelINS0_14default_configENS1_25partition_config_selectorILNS1_17partition_subalgoE5ElNS0_10empty_typeEbEEZZNS1_14partition_implILS5_5ELb0ES3_mN6hipcub16HIPCUB_304000_NS21CountingInputIteratorIllEEPS6_NSA_22TransformInputIteratorIbN2at6native12_GLOBAL__N_19NonZeroOpIlEEPKllEENS0_5tupleIJPlS6_EEENSN_IJSD_SD_EEES6_PiJS6_EEE10hipError_tPvRmT3_T4_T5_T6_T7_T9_mT8_P12ihipStream_tbDpT10_ENKUlT_T0_E_clISt17integral_constantIbLb1EES1B_EEDaS16_S17_EUlS16_E_NS1_11comp_targetILNS1_3genE8ELNS1_11target_archE1030ELNS1_3gpuE2ELNS1_3repE0EEENS1_30default_config_static_selectorELNS0_4arch9wavefront6targetE0EEEvT1_.kd
    .uniform_work_group_size: 1
    .uses_dynamic_stack: false
    .vgpr_count:     0
    .vgpr_spill_count: 0
    .wavefront_size: 32
    .workgroup_processor_mode: 1
  - .args:
      - .offset:         0
        .size:           120
        .value_kind:     by_value
    .group_segment_fixed_size: 0
    .kernarg_segment_align: 8
    .kernarg_segment_size: 120
    .language:       OpenCL C
    .language_version:
      - 2
      - 0
    .max_flat_workgroup_size: 128
    .name:           _ZN7rocprim17ROCPRIM_400000_NS6detail17trampoline_kernelINS0_14default_configENS1_25partition_config_selectorILNS1_17partition_subalgoE5ElNS0_10empty_typeEbEEZZNS1_14partition_implILS5_5ELb0ES3_mN6hipcub16HIPCUB_304000_NS21CountingInputIteratorIllEEPS6_NSA_22TransformInputIteratorIbN2at6native12_GLOBAL__N_19NonZeroOpIlEEPKllEENS0_5tupleIJPlS6_EEENSN_IJSD_SD_EEES6_PiJS6_EEE10hipError_tPvRmT3_T4_T5_T6_T7_T9_mT8_P12ihipStream_tbDpT10_ENKUlT_T0_E_clISt17integral_constantIbLb1EES1A_IbLb0EEEEDaS16_S17_EUlS16_E_NS1_11comp_targetILNS1_3genE0ELNS1_11target_archE4294967295ELNS1_3gpuE0ELNS1_3repE0EEENS1_30default_config_static_selectorELNS0_4arch9wavefront6targetE0EEEvT1_
    .private_segment_fixed_size: 0
    .sgpr_count:     0
    .sgpr_spill_count: 0
    .symbol:         _ZN7rocprim17ROCPRIM_400000_NS6detail17trampoline_kernelINS0_14default_configENS1_25partition_config_selectorILNS1_17partition_subalgoE5ElNS0_10empty_typeEbEEZZNS1_14partition_implILS5_5ELb0ES3_mN6hipcub16HIPCUB_304000_NS21CountingInputIteratorIllEEPS6_NSA_22TransformInputIteratorIbN2at6native12_GLOBAL__N_19NonZeroOpIlEEPKllEENS0_5tupleIJPlS6_EEENSN_IJSD_SD_EEES6_PiJS6_EEE10hipError_tPvRmT3_T4_T5_T6_T7_T9_mT8_P12ihipStream_tbDpT10_ENKUlT_T0_E_clISt17integral_constantIbLb1EES1A_IbLb0EEEEDaS16_S17_EUlS16_E_NS1_11comp_targetILNS1_3genE0ELNS1_11target_archE4294967295ELNS1_3gpuE0ELNS1_3repE0EEENS1_30default_config_static_selectorELNS0_4arch9wavefront6targetE0EEEvT1_.kd
    .uniform_work_group_size: 1
    .uses_dynamic_stack: false
    .vgpr_count:     0
    .vgpr_spill_count: 0
    .wavefront_size: 32
    .workgroup_processor_mode: 1
  - .args:
      - .offset:         0
        .size:           120
        .value_kind:     by_value
    .group_segment_fixed_size: 0
    .kernarg_segment_align: 8
    .kernarg_segment_size: 120
    .language:       OpenCL C
    .language_version:
      - 2
      - 0
    .max_flat_workgroup_size: 512
    .name:           _ZN7rocprim17ROCPRIM_400000_NS6detail17trampoline_kernelINS0_14default_configENS1_25partition_config_selectorILNS1_17partition_subalgoE5ElNS0_10empty_typeEbEEZZNS1_14partition_implILS5_5ELb0ES3_mN6hipcub16HIPCUB_304000_NS21CountingInputIteratorIllEEPS6_NSA_22TransformInputIteratorIbN2at6native12_GLOBAL__N_19NonZeroOpIlEEPKllEENS0_5tupleIJPlS6_EEENSN_IJSD_SD_EEES6_PiJS6_EEE10hipError_tPvRmT3_T4_T5_T6_T7_T9_mT8_P12ihipStream_tbDpT10_ENKUlT_T0_E_clISt17integral_constantIbLb1EES1A_IbLb0EEEEDaS16_S17_EUlS16_E_NS1_11comp_targetILNS1_3genE5ELNS1_11target_archE942ELNS1_3gpuE9ELNS1_3repE0EEENS1_30default_config_static_selectorELNS0_4arch9wavefront6targetE0EEEvT1_
    .private_segment_fixed_size: 0
    .sgpr_count:     0
    .sgpr_spill_count: 0
    .symbol:         _ZN7rocprim17ROCPRIM_400000_NS6detail17trampoline_kernelINS0_14default_configENS1_25partition_config_selectorILNS1_17partition_subalgoE5ElNS0_10empty_typeEbEEZZNS1_14partition_implILS5_5ELb0ES3_mN6hipcub16HIPCUB_304000_NS21CountingInputIteratorIllEEPS6_NSA_22TransformInputIteratorIbN2at6native12_GLOBAL__N_19NonZeroOpIlEEPKllEENS0_5tupleIJPlS6_EEENSN_IJSD_SD_EEES6_PiJS6_EEE10hipError_tPvRmT3_T4_T5_T6_T7_T9_mT8_P12ihipStream_tbDpT10_ENKUlT_T0_E_clISt17integral_constantIbLb1EES1A_IbLb0EEEEDaS16_S17_EUlS16_E_NS1_11comp_targetILNS1_3genE5ELNS1_11target_archE942ELNS1_3gpuE9ELNS1_3repE0EEENS1_30default_config_static_selectorELNS0_4arch9wavefront6targetE0EEEvT1_.kd
    .uniform_work_group_size: 1
    .uses_dynamic_stack: false
    .vgpr_count:     0
    .vgpr_spill_count: 0
    .wavefront_size: 32
    .workgroup_processor_mode: 1
  - .args:
      - .offset:         0
        .size:           120
        .value_kind:     by_value
    .group_segment_fixed_size: 0
    .kernarg_segment_align: 8
    .kernarg_segment_size: 120
    .language:       OpenCL C
    .language_version:
      - 2
      - 0
    .max_flat_workgroup_size: 192
    .name:           _ZN7rocprim17ROCPRIM_400000_NS6detail17trampoline_kernelINS0_14default_configENS1_25partition_config_selectorILNS1_17partition_subalgoE5ElNS0_10empty_typeEbEEZZNS1_14partition_implILS5_5ELb0ES3_mN6hipcub16HIPCUB_304000_NS21CountingInputIteratorIllEEPS6_NSA_22TransformInputIteratorIbN2at6native12_GLOBAL__N_19NonZeroOpIlEEPKllEENS0_5tupleIJPlS6_EEENSN_IJSD_SD_EEES6_PiJS6_EEE10hipError_tPvRmT3_T4_T5_T6_T7_T9_mT8_P12ihipStream_tbDpT10_ENKUlT_T0_E_clISt17integral_constantIbLb1EES1A_IbLb0EEEEDaS16_S17_EUlS16_E_NS1_11comp_targetILNS1_3genE4ELNS1_11target_archE910ELNS1_3gpuE8ELNS1_3repE0EEENS1_30default_config_static_selectorELNS0_4arch9wavefront6targetE0EEEvT1_
    .private_segment_fixed_size: 0
    .sgpr_count:     0
    .sgpr_spill_count: 0
    .symbol:         _ZN7rocprim17ROCPRIM_400000_NS6detail17trampoline_kernelINS0_14default_configENS1_25partition_config_selectorILNS1_17partition_subalgoE5ElNS0_10empty_typeEbEEZZNS1_14partition_implILS5_5ELb0ES3_mN6hipcub16HIPCUB_304000_NS21CountingInputIteratorIllEEPS6_NSA_22TransformInputIteratorIbN2at6native12_GLOBAL__N_19NonZeroOpIlEEPKllEENS0_5tupleIJPlS6_EEENSN_IJSD_SD_EEES6_PiJS6_EEE10hipError_tPvRmT3_T4_T5_T6_T7_T9_mT8_P12ihipStream_tbDpT10_ENKUlT_T0_E_clISt17integral_constantIbLb1EES1A_IbLb0EEEEDaS16_S17_EUlS16_E_NS1_11comp_targetILNS1_3genE4ELNS1_11target_archE910ELNS1_3gpuE8ELNS1_3repE0EEENS1_30default_config_static_selectorELNS0_4arch9wavefront6targetE0EEEvT1_.kd
    .uniform_work_group_size: 1
    .uses_dynamic_stack: false
    .vgpr_count:     0
    .vgpr_spill_count: 0
    .wavefront_size: 32
    .workgroup_processor_mode: 1
  - .args:
      - .offset:         0
        .size:           120
        .value_kind:     by_value
    .group_segment_fixed_size: 0
    .kernarg_segment_align: 8
    .kernarg_segment_size: 120
    .language:       OpenCL C
    .language_version:
      - 2
      - 0
    .max_flat_workgroup_size: 128
    .name:           _ZN7rocprim17ROCPRIM_400000_NS6detail17trampoline_kernelINS0_14default_configENS1_25partition_config_selectorILNS1_17partition_subalgoE5ElNS0_10empty_typeEbEEZZNS1_14partition_implILS5_5ELb0ES3_mN6hipcub16HIPCUB_304000_NS21CountingInputIteratorIllEEPS6_NSA_22TransformInputIteratorIbN2at6native12_GLOBAL__N_19NonZeroOpIlEEPKllEENS0_5tupleIJPlS6_EEENSN_IJSD_SD_EEES6_PiJS6_EEE10hipError_tPvRmT3_T4_T5_T6_T7_T9_mT8_P12ihipStream_tbDpT10_ENKUlT_T0_E_clISt17integral_constantIbLb1EES1A_IbLb0EEEEDaS16_S17_EUlS16_E_NS1_11comp_targetILNS1_3genE3ELNS1_11target_archE908ELNS1_3gpuE7ELNS1_3repE0EEENS1_30default_config_static_selectorELNS0_4arch9wavefront6targetE0EEEvT1_
    .private_segment_fixed_size: 0
    .sgpr_count:     0
    .sgpr_spill_count: 0
    .symbol:         _ZN7rocprim17ROCPRIM_400000_NS6detail17trampoline_kernelINS0_14default_configENS1_25partition_config_selectorILNS1_17partition_subalgoE5ElNS0_10empty_typeEbEEZZNS1_14partition_implILS5_5ELb0ES3_mN6hipcub16HIPCUB_304000_NS21CountingInputIteratorIllEEPS6_NSA_22TransformInputIteratorIbN2at6native12_GLOBAL__N_19NonZeroOpIlEEPKllEENS0_5tupleIJPlS6_EEENSN_IJSD_SD_EEES6_PiJS6_EEE10hipError_tPvRmT3_T4_T5_T6_T7_T9_mT8_P12ihipStream_tbDpT10_ENKUlT_T0_E_clISt17integral_constantIbLb1EES1A_IbLb0EEEEDaS16_S17_EUlS16_E_NS1_11comp_targetILNS1_3genE3ELNS1_11target_archE908ELNS1_3gpuE7ELNS1_3repE0EEENS1_30default_config_static_selectorELNS0_4arch9wavefront6targetE0EEEvT1_.kd
    .uniform_work_group_size: 1
    .uses_dynamic_stack: false
    .vgpr_count:     0
    .vgpr_spill_count: 0
    .wavefront_size: 32
    .workgroup_processor_mode: 1
  - .args:
      - .offset:         0
        .size:           120
        .value_kind:     by_value
    .group_segment_fixed_size: 0
    .kernarg_segment_align: 8
    .kernarg_segment_size: 120
    .language:       OpenCL C
    .language_version:
      - 2
      - 0
    .max_flat_workgroup_size: 256
    .name:           _ZN7rocprim17ROCPRIM_400000_NS6detail17trampoline_kernelINS0_14default_configENS1_25partition_config_selectorILNS1_17partition_subalgoE5ElNS0_10empty_typeEbEEZZNS1_14partition_implILS5_5ELb0ES3_mN6hipcub16HIPCUB_304000_NS21CountingInputIteratorIllEEPS6_NSA_22TransformInputIteratorIbN2at6native12_GLOBAL__N_19NonZeroOpIlEEPKllEENS0_5tupleIJPlS6_EEENSN_IJSD_SD_EEES6_PiJS6_EEE10hipError_tPvRmT3_T4_T5_T6_T7_T9_mT8_P12ihipStream_tbDpT10_ENKUlT_T0_E_clISt17integral_constantIbLb1EES1A_IbLb0EEEEDaS16_S17_EUlS16_E_NS1_11comp_targetILNS1_3genE2ELNS1_11target_archE906ELNS1_3gpuE6ELNS1_3repE0EEENS1_30default_config_static_selectorELNS0_4arch9wavefront6targetE0EEEvT1_
    .private_segment_fixed_size: 0
    .sgpr_count:     0
    .sgpr_spill_count: 0
    .symbol:         _ZN7rocprim17ROCPRIM_400000_NS6detail17trampoline_kernelINS0_14default_configENS1_25partition_config_selectorILNS1_17partition_subalgoE5ElNS0_10empty_typeEbEEZZNS1_14partition_implILS5_5ELb0ES3_mN6hipcub16HIPCUB_304000_NS21CountingInputIteratorIllEEPS6_NSA_22TransformInputIteratorIbN2at6native12_GLOBAL__N_19NonZeroOpIlEEPKllEENS0_5tupleIJPlS6_EEENSN_IJSD_SD_EEES6_PiJS6_EEE10hipError_tPvRmT3_T4_T5_T6_T7_T9_mT8_P12ihipStream_tbDpT10_ENKUlT_T0_E_clISt17integral_constantIbLb1EES1A_IbLb0EEEEDaS16_S17_EUlS16_E_NS1_11comp_targetILNS1_3genE2ELNS1_11target_archE906ELNS1_3gpuE6ELNS1_3repE0EEENS1_30default_config_static_selectorELNS0_4arch9wavefront6targetE0EEEvT1_.kd
    .uniform_work_group_size: 1
    .uses_dynamic_stack: false
    .vgpr_count:     0
    .vgpr_spill_count: 0
    .wavefront_size: 32
    .workgroup_processor_mode: 1
  - .args:
      - .offset:         0
        .size:           120
        .value_kind:     by_value
    .group_segment_fixed_size: 0
    .kernarg_segment_align: 8
    .kernarg_segment_size: 120
    .language:       OpenCL C
    .language_version:
      - 2
      - 0
    .max_flat_workgroup_size: 256
    .name:           _ZN7rocprim17ROCPRIM_400000_NS6detail17trampoline_kernelINS0_14default_configENS1_25partition_config_selectorILNS1_17partition_subalgoE5ElNS0_10empty_typeEbEEZZNS1_14partition_implILS5_5ELb0ES3_mN6hipcub16HIPCUB_304000_NS21CountingInputIteratorIllEEPS6_NSA_22TransformInputIteratorIbN2at6native12_GLOBAL__N_19NonZeroOpIlEEPKllEENS0_5tupleIJPlS6_EEENSN_IJSD_SD_EEES6_PiJS6_EEE10hipError_tPvRmT3_T4_T5_T6_T7_T9_mT8_P12ihipStream_tbDpT10_ENKUlT_T0_E_clISt17integral_constantIbLb1EES1A_IbLb0EEEEDaS16_S17_EUlS16_E_NS1_11comp_targetILNS1_3genE10ELNS1_11target_archE1200ELNS1_3gpuE4ELNS1_3repE0EEENS1_30default_config_static_selectorELNS0_4arch9wavefront6targetE0EEEvT1_
    .private_segment_fixed_size: 0
    .sgpr_count:     0
    .sgpr_spill_count: 0
    .symbol:         _ZN7rocprim17ROCPRIM_400000_NS6detail17trampoline_kernelINS0_14default_configENS1_25partition_config_selectorILNS1_17partition_subalgoE5ElNS0_10empty_typeEbEEZZNS1_14partition_implILS5_5ELb0ES3_mN6hipcub16HIPCUB_304000_NS21CountingInputIteratorIllEEPS6_NSA_22TransformInputIteratorIbN2at6native12_GLOBAL__N_19NonZeroOpIlEEPKllEENS0_5tupleIJPlS6_EEENSN_IJSD_SD_EEES6_PiJS6_EEE10hipError_tPvRmT3_T4_T5_T6_T7_T9_mT8_P12ihipStream_tbDpT10_ENKUlT_T0_E_clISt17integral_constantIbLb1EES1A_IbLb0EEEEDaS16_S17_EUlS16_E_NS1_11comp_targetILNS1_3genE10ELNS1_11target_archE1200ELNS1_3gpuE4ELNS1_3repE0EEENS1_30default_config_static_selectorELNS0_4arch9wavefront6targetE0EEEvT1_.kd
    .uniform_work_group_size: 1
    .uses_dynamic_stack: false
    .vgpr_count:     0
    .vgpr_spill_count: 0
    .wavefront_size: 32
    .workgroup_processor_mode: 1
  - .args:
      - .offset:         0
        .size:           120
        .value_kind:     by_value
    .group_segment_fixed_size: 6160
    .kernarg_segment_align: 8
    .kernarg_segment_size: 120
    .language:       OpenCL C
    .language_version:
      - 2
      - 0
    .max_flat_workgroup_size: 128
    .name:           _ZN7rocprim17ROCPRIM_400000_NS6detail17trampoline_kernelINS0_14default_configENS1_25partition_config_selectorILNS1_17partition_subalgoE5ElNS0_10empty_typeEbEEZZNS1_14partition_implILS5_5ELb0ES3_mN6hipcub16HIPCUB_304000_NS21CountingInputIteratorIllEEPS6_NSA_22TransformInputIteratorIbN2at6native12_GLOBAL__N_19NonZeroOpIlEEPKllEENS0_5tupleIJPlS6_EEENSN_IJSD_SD_EEES6_PiJS6_EEE10hipError_tPvRmT3_T4_T5_T6_T7_T9_mT8_P12ihipStream_tbDpT10_ENKUlT_T0_E_clISt17integral_constantIbLb1EES1A_IbLb0EEEEDaS16_S17_EUlS16_E_NS1_11comp_targetILNS1_3genE9ELNS1_11target_archE1100ELNS1_3gpuE3ELNS1_3repE0EEENS1_30default_config_static_selectorELNS0_4arch9wavefront6targetE0EEEvT1_
    .private_segment_fixed_size: 0
    .sgpr_count:     23
    .sgpr_spill_count: 0
    .symbol:         _ZN7rocprim17ROCPRIM_400000_NS6detail17trampoline_kernelINS0_14default_configENS1_25partition_config_selectorILNS1_17partition_subalgoE5ElNS0_10empty_typeEbEEZZNS1_14partition_implILS5_5ELb0ES3_mN6hipcub16HIPCUB_304000_NS21CountingInputIteratorIllEEPS6_NSA_22TransformInputIteratorIbN2at6native12_GLOBAL__N_19NonZeroOpIlEEPKllEENS0_5tupleIJPlS6_EEENSN_IJSD_SD_EEES6_PiJS6_EEE10hipError_tPvRmT3_T4_T5_T6_T7_T9_mT8_P12ihipStream_tbDpT10_ENKUlT_T0_E_clISt17integral_constantIbLb1EES1A_IbLb0EEEEDaS16_S17_EUlS16_E_NS1_11comp_targetILNS1_3genE9ELNS1_11target_archE1100ELNS1_3gpuE3ELNS1_3repE0EEENS1_30default_config_static_selectorELNS0_4arch9wavefront6targetE0EEEvT1_.kd
    .uniform_work_group_size: 1
    .uses_dynamic_stack: false
    .vgpr_count:     57
    .vgpr_spill_count: 0
    .wavefront_size: 32
    .workgroup_processor_mode: 1
  - .args:
      - .offset:         0
        .size:           120
        .value_kind:     by_value
    .group_segment_fixed_size: 0
    .kernarg_segment_align: 8
    .kernarg_segment_size: 120
    .language:       OpenCL C
    .language_version:
      - 2
      - 0
    .max_flat_workgroup_size: 512
    .name:           _ZN7rocprim17ROCPRIM_400000_NS6detail17trampoline_kernelINS0_14default_configENS1_25partition_config_selectorILNS1_17partition_subalgoE5ElNS0_10empty_typeEbEEZZNS1_14partition_implILS5_5ELb0ES3_mN6hipcub16HIPCUB_304000_NS21CountingInputIteratorIllEEPS6_NSA_22TransformInputIteratorIbN2at6native12_GLOBAL__N_19NonZeroOpIlEEPKllEENS0_5tupleIJPlS6_EEENSN_IJSD_SD_EEES6_PiJS6_EEE10hipError_tPvRmT3_T4_T5_T6_T7_T9_mT8_P12ihipStream_tbDpT10_ENKUlT_T0_E_clISt17integral_constantIbLb1EES1A_IbLb0EEEEDaS16_S17_EUlS16_E_NS1_11comp_targetILNS1_3genE8ELNS1_11target_archE1030ELNS1_3gpuE2ELNS1_3repE0EEENS1_30default_config_static_selectorELNS0_4arch9wavefront6targetE0EEEvT1_
    .private_segment_fixed_size: 0
    .sgpr_count:     0
    .sgpr_spill_count: 0
    .symbol:         _ZN7rocprim17ROCPRIM_400000_NS6detail17trampoline_kernelINS0_14default_configENS1_25partition_config_selectorILNS1_17partition_subalgoE5ElNS0_10empty_typeEbEEZZNS1_14partition_implILS5_5ELb0ES3_mN6hipcub16HIPCUB_304000_NS21CountingInputIteratorIllEEPS6_NSA_22TransformInputIteratorIbN2at6native12_GLOBAL__N_19NonZeroOpIlEEPKllEENS0_5tupleIJPlS6_EEENSN_IJSD_SD_EEES6_PiJS6_EEE10hipError_tPvRmT3_T4_T5_T6_T7_T9_mT8_P12ihipStream_tbDpT10_ENKUlT_T0_E_clISt17integral_constantIbLb1EES1A_IbLb0EEEEDaS16_S17_EUlS16_E_NS1_11comp_targetILNS1_3genE8ELNS1_11target_archE1030ELNS1_3gpuE2ELNS1_3repE0EEENS1_30default_config_static_selectorELNS0_4arch9wavefront6targetE0EEEvT1_.kd
    .uniform_work_group_size: 1
    .uses_dynamic_stack: false
    .vgpr_count:     0
    .vgpr_spill_count: 0
    .wavefront_size: 32
    .workgroup_processor_mode: 1
  - .args:
      - .offset:         0
        .size:           136
        .value_kind:     by_value
    .group_segment_fixed_size: 0
    .kernarg_segment_align: 8
    .kernarg_segment_size: 136
    .language:       OpenCL C
    .language_version:
      - 2
      - 0
    .max_flat_workgroup_size: 128
    .name:           _ZN7rocprim17ROCPRIM_400000_NS6detail17trampoline_kernelINS0_14default_configENS1_25partition_config_selectorILNS1_17partition_subalgoE5ElNS0_10empty_typeEbEEZZNS1_14partition_implILS5_5ELb0ES3_mN6hipcub16HIPCUB_304000_NS21CountingInputIteratorIllEEPS6_NSA_22TransformInputIteratorIbN2at6native12_GLOBAL__N_19NonZeroOpIlEEPKllEENS0_5tupleIJPlS6_EEENSN_IJSD_SD_EEES6_PiJS6_EEE10hipError_tPvRmT3_T4_T5_T6_T7_T9_mT8_P12ihipStream_tbDpT10_ENKUlT_T0_E_clISt17integral_constantIbLb0EES1A_IbLb1EEEEDaS16_S17_EUlS16_E_NS1_11comp_targetILNS1_3genE0ELNS1_11target_archE4294967295ELNS1_3gpuE0ELNS1_3repE0EEENS1_30default_config_static_selectorELNS0_4arch9wavefront6targetE0EEEvT1_
    .private_segment_fixed_size: 0
    .sgpr_count:     0
    .sgpr_spill_count: 0
    .symbol:         _ZN7rocprim17ROCPRIM_400000_NS6detail17trampoline_kernelINS0_14default_configENS1_25partition_config_selectorILNS1_17partition_subalgoE5ElNS0_10empty_typeEbEEZZNS1_14partition_implILS5_5ELb0ES3_mN6hipcub16HIPCUB_304000_NS21CountingInputIteratorIllEEPS6_NSA_22TransformInputIteratorIbN2at6native12_GLOBAL__N_19NonZeroOpIlEEPKllEENS0_5tupleIJPlS6_EEENSN_IJSD_SD_EEES6_PiJS6_EEE10hipError_tPvRmT3_T4_T5_T6_T7_T9_mT8_P12ihipStream_tbDpT10_ENKUlT_T0_E_clISt17integral_constantIbLb0EES1A_IbLb1EEEEDaS16_S17_EUlS16_E_NS1_11comp_targetILNS1_3genE0ELNS1_11target_archE4294967295ELNS1_3gpuE0ELNS1_3repE0EEENS1_30default_config_static_selectorELNS0_4arch9wavefront6targetE0EEEvT1_.kd
    .uniform_work_group_size: 1
    .uses_dynamic_stack: false
    .vgpr_count:     0
    .vgpr_spill_count: 0
    .wavefront_size: 32
    .workgroup_processor_mode: 1
  - .args:
      - .offset:         0
        .size:           136
        .value_kind:     by_value
    .group_segment_fixed_size: 0
    .kernarg_segment_align: 8
    .kernarg_segment_size: 136
    .language:       OpenCL C
    .language_version:
      - 2
      - 0
    .max_flat_workgroup_size: 512
    .name:           _ZN7rocprim17ROCPRIM_400000_NS6detail17trampoline_kernelINS0_14default_configENS1_25partition_config_selectorILNS1_17partition_subalgoE5ElNS0_10empty_typeEbEEZZNS1_14partition_implILS5_5ELb0ES3_mN6hipcub16HIPCUB_304000_NS21CountingInputIteratorIllEEPS6_NSA_22TransformInputIteratorIbN2at6native12_GLOBAL__N_19NonZeroOpIlEEPKllEENS0_5tupleIJPlS6_EEENSN_IJSD_SD_EEES6_PiJS6_EEE10hipError_tPvRmT3_T4_T5_T6_T7_T9_mT8_P12ihipStream_tbDpT10_ENKUlT_T0_E_clISt17integral_constantIbLb0EES1A_IbLb1EEEEDaS16_S17_EUlS16_E_NS1_11comp_targetILNS1_3genE5ELNS1_11target_archE942ELNS1_3gpuE9ELNS1_3repE0EEENS1_30default_config_static_selectorELNS0_4arch9wavefront6targetE0EEEvT1_
    .private_segment_fixed_size: 0
    .sgpr_count:     0
    .sgpr_spill_count: 0
    .symbol:         _ZN7rocprim17ROCPRIM_400000_NS6detail17trampoline_kernelINS0_14default_configENS1_25partition_config_selectorILNS1_17partition_subalgoE5ElNS0_10empty_typeEbEEZZNS1_14partition_implILS5_5ELb0ES3_mN6hipcub16HIPCUB_304000_NS21CountingInputIteratorIllEEPS6_NSA_22TransformInputIteratorIbN2at6native12_GLOBAL__N_19NonZeroOpIlEEPKllEENS0_5tupleIJPlS6_EEENSN_IJSD_SD_EEES6_PiJS6_EEE10hipError_tPvRmT3_T4_T5_T6_T7_T9_mT8_P12ihipStream_tbDpT10_ENKUlT_T0_E_clISt17integral_constantIbLb0EES1A_IbLb1EEEEDaS16_S17_EUlS16_E_NS1_11comp_targetILNS1_3genE5ELNS1_11target_archE942ELNS1_3gpuE9ELNS1_3repE0EEENS1_30default_config_static_selectorELNS0_4arch9wavefront6targetE0EEEvT1_.kd
    .uniform_work_group_size: 1
    .uses_dynamic_stack: false
    .vgpr_count:     0
    .vgpr_spill_count: 0
    .wavefront_size: 32
    .workgroup_processor_mode: 1
  - .args:
      - .offset:         0
        .size:           136
        .value_kind:     by_value
    .group_segment_fixed_size: 0
    .kernarg_segment_align: 8
    .kernarg_segment_size: 136
    .language:       OpenCL C
    .language_version:
      - 2
      - 0
    .max_flat_workgroup_size: 192
    .name:           _ZN7rocprim17ROCPRIM_400000_NS6detail17trampoline_kernelINS0_14default_configENS1_25partition_config_selectorILNS1_17partition_subalgoE5ElNS0_10empty_typeEbEEZZNS1_14partition_implILS5_5ELb0ES3_mN6hipcub16HIPCUB_304000_NS21CountingInputIteratorIllEEPS6_NSA_22TransformInputIteratorIbN2at6native12_GLOBAL__N_19NonZeroOpIlEEPKllEENS0_5tupleIJPlS6_EEENSN_IJSD_SD_EEES6_PiJS6_EEE10hipError_tPvRmT3_T4_T5_T6_T7_T9_mT8_P12ihipStream_tbDpT10_ENKUlT_T0_E_clISt17integral_constantIbLb0EES1A_IbLb1EEEEDaS16_S17_EUlS16_E_NS1_11comp_targetILNS1_3genE4ELNS1_11target_archE910ELNS1_3gpuE8ELNS1_3repE0EEENS1_30default_config_static_selectorELNS0_4arch9wavefront6targetE0EEEvT1_
    .private_segment_fixed_size: 0
    .sgpr_count:     0
    .sgpr_spill_count: 0
    .symbol:         _ZN7rocprim17ROCPRIM_400000_NS6detail17trampoline_kernelINS0_14default_configENS1_25partition_config_selectorILNS1_17partition_subalgoE5ElNS0_10empty_typeEbEEZZNS1_14partition_implILS5_5ELb0ES3_mN6hipcub16HIPCUB_304000_NS21CountingInputIteratorIllEEPS6_NSA_22TransformInputIteratorIbN2at6native12_GLOBAL__N_19NonZeroOpIlEEPKllEENS0_5tupleIJPlS6_EEENSN_IJSD_SD_EEES6_PiJS6_EEE10hipError_tPvRmT3_T4_T5_T6_T7_T9_mT8_P12ihipStream_tbDpT10_ENKUlT_T0_E_clISt17integral_constantIbLb0EES1A_IbLb1EEEEDaS16_S17_EUlS16_E_NS1_11comp_targetILNS1_3genE4ELNS1_11target_archE910ELNS1_3gpuE8ELNS1_3repE0EEENS1_30default_config_static_selectorELNS0_4arch9wavefront6targetE0EEEvT1_.kd
    .uniform_work_group_size: 1
    .uses_dynamic_stack: false
    .vgpr_count:     0
    .vgpr_spill_count: 0
    .wavefront_size: 32
    .workgroup_processor_mode: 1
  - .args:
      - .offset:         0
        .size:           136
        .value_kind:     by_value
    .group_segment_fixed_size: 0
    .kernarg_segment_align: 8
    .kernarg_segment_size: 136
    .language:       OpenCL C
    .language_version:
      - 2
      - 0
    .max_flat_workgroup_size: 128
    .name:           _ZN7rocprim17ROCPRIM_400000_NS6detail17trampoline_kernelINS0_14default_configENS1_25partition_config_selectorILNS1_17partition_subalgoE5ElNS0_10empty_typeEbEEZZNS1_14partition_implILS5_5ELb0ES3_mN6hipcub16HIPCUB_304000_NS21CountingInputIteratorIllEEPS6_NSA_22TransformInputIteratorIbN2at6native12_GLOBAL__N_19NonZeroOpIlEEPKllEENS0_5tupleIJPlS6_EEENSN_IJSD_SD_EEES6_PiJS6_EEE10hipError_tPvRmT3_T4_T5_T6_T7_T9_mT8_P12ihipStream_tbDpT10_ENKUlT_T0_E_clISt17integral_constantIbLb0EES1A_IbLb1EEEEDaS16_S17_EUlS16_E_NS1_11comp_targetILNS1_3genE3ELNS1_11target_archE908ELNS1_3gpuE7ELNS1_3repE0EEENS1_30default_config_static_selectorELNS0_4arch9wavefront6targetE0EEEvT1_
    .private_segment_fixed_size: 0
    .sgpr_count:     0
    .sgpr_spill_count: 0
    .symbol:         _ZN7rocprim17ROCPRIM_400000_NS6detail17trampoline_kernelINS0_14default_configENS1_25partition_config_selectorILNS1_17partition_subalgoE5ElNS0_10empty_typeEbEEZZNS1_14partition_implILS5_5ELb0ES3_mN6hipcub16HIPCUB_304000_NS21CountingInputIteratorIllEEPS6_NSA_22TransformInputIteratorIbN2at6native12_GLOBAL__N_19NonZeroOpIlEEPKllEENS0_5tupleIJPlS6_EEENSN_IJSD_SD_EEES6_PiJS6_EEE10hipError_tPvRmT3_T4_T5_T6_T7_T9_mT8_P12ihipStream_tbDpT10_ENKUlT_T0_E_clISt17integral_constantIbLb0EES1A_IbLb1EEEEDaS16_S17_EUlS16_E_NS1_11comp_targetILNS1_3genE3ELNS1_11target_archE908ELNS1_3gpuE7ELNS1_3repE0EEENS1_30default_config_static_selectorELNS0_4arch9wavefront6targetE0EEEvT1_.kd
    .uniform_work_group_size: 1
    .uses_dynamic_stack: false
    .vgpr_count:     0
    .vgpr_spill_count: 0
    .wavefront_size: 32
    .workgroup_processor_mode: 1
  - .args:
      - .offset:         0
        .size:           136
        .value_kind:     by_value
    .group_segment_fixed_size: 0
    .kernarg_segment_align: 8
    .kernarg_segment_size: 136
    .language:       OpenCL C
    .language_version:
      - 2
      - 0
    .max_flat_workgroup_size: 256
    .name:           _ZN7rocprim17ROCPRIM_400000_NS6detail17trampoline_kernelINS0_14default_configENS1_25partition_config_selectorILNS1_17partition_subalgoE5ElNS0_10empty_typeEbEEZZNS1_14partition_implILS5_5ELb0ES3_mN6hipcub16HIPCUB_304000_NS21CountingInputIteratorIllEEPS6_NSA_22TransformInputIteratorIbN2at6native12_GLOBAL__N_19NonZeroOpIlEEPKllEENS0_5tupleIJPlS6_EEENSN_IJSD_SD_EEES6_PiJS6_EEE10hipError_tPvRmT3_T4_T5_T6_T7_T9_mT8_P12ihipStream_tbDpT10_ENKUlT_T0_E_clISt17integral_constantIbLb0EES1A_IbLb1EEEEDaS16_S17_EUlS16_E_NS1_11comp_targetILNS1_3genE2ELNS1_11target_archE906ELNS1_3gpuE6ELNS1_3repE0EEENS1_30default_config_static_selectorELNS0_4arch9wavefront6targetE0EEEvT1_
    .private_segment_fixed_size: 0
    .sgpr_count:     0
    .sgpr_spill_count: 0
    .symbol:         _ZN7rocprim17ROCPRIM_400000_NS6detail17trampoline_kernelINS0_14default_configENS1_25partition_config_selectorILNS1_17partition_subalgoE5ElNS0_10empty_typeEbEEZZNS1_14partition_implILS5_5ELb0ES3_mN6hipcub16HIPCUB_304000_NS21CountingInputIteratorIllEEPS6_NSA_22TransformInputIteratorIbN2at6native12_GLOBAL__N_19NonZeroOpIlEEPKllEENS0_5tupleIJPlS6_EEENSN_IJSD_SD_EEES6_PiJS6_EEE10hipError_tPvRmT3_T4_T5_T6_T7_T9_mT8_P12ihipStream_tbDpT10_ENKUlT_T0_E_clISt17integral_constantIbLb0EES1A_IbLb1EEEEDaS16_S17_EUlS16_E_NS1_11comp_targetILNS1_3genE2ELNS1_11target_archE906ELNS1_3gpuE6ELNS1_3repE0EEENS1_30default_config_static_selectorELNS0_4arch9wavefront6targetE0EEEvT1_.kd
    .uniform_work_group_size: 1
    .uses_dynamic_stack: false
    .vgpr_count:     0
    .vgpr_spill_count: 0
    .wavefront_size: 32
    .workgroup_processor_mode: 1
  - .args:
      - .offset:         0
        .size:           136
        .value_kind:     by_value
    .group_segment_fixed_size: 0
    .kernarg_segment_align: 8
    .kernarg_segment_size: 136
    .language:       OpenCL C
    .language_version:
      - 2
      - 0
    .max_flat_workgroup_size: 256
    .name:           _ZN7rocprim17ROCPRIM_400000_NS6detail17trampoline_kernelINS0_14default_configENS1_25partition_config_selectorILNS1_17partition_subalgoE5ElNS0_10empty_typeEbEEZZNS1_14partition_implILS5_5ELb0ES3_mN6hipcub16HIPCUB_304000_NS21CountingInputIteratorIllEEPS6_NSA_22TransformInputIteratorIbN2at6native12_GLOBAL__N_19NonZeroOpIlEEPKllEENS0_5tupleIJPlS6_EEENSN_IJSD_SD_EEES6_PiJS6_EEE10hipError_tPvRmT3_T4_T5_T6_T7_T9_mT8_P12ihipStream_tbDpT10_ENKUlT_T0_E_clISt17integral_constantIbLb0EES1A_IbLb1EEEEDaS16_S17_EUlS16_E_NS1_11comp_targetILNS1_3genE10ELNS1_11target_archE1200ELNS1_3gpuE4ELNS1_3repE0EEENS1_30default_config_static_selectorELNS0_4arch9wavefront6targetE0EEEvT1_
    .private_segment_fixed_size: 0
    .sgpr_count:     0
    .sgpr_spill_count: 0
    .symbol:         _ZN7rocprim17ROCPRIM_400000_NS6detail17trampoline_kernelINS0_14default_configENS1_25partition_config_selectorILNS1_17partition_subalgoE5ElNS0_10empty_typeEbEEZZNS1_14partition_implILS5_5ELb0ES3_mN6hipcub16HIPCUB_304000_NS21CountingInputIteratorIllEEPS6_NSA_22TransformInputIteratorIbN2at6native12_GLOBAL__N_19NonZeroOpIlEEPKllEENS0_5tupleIJPlS6_EEENSN_IJSD_SD_EEES6_PiJS6_EEE10hipError_tPvRmT3_T4_T5_T6_T7_T9_mT8_P12ihipStream_tbDpT10_ENKUlT_T0_E_clISt17integral_constantIbLb0EES1A_IbLb1EEEEDaS16_S17_EUlS16_E_NS1_11comp_targetILNS1_3genE10ELNS1_11target_archE1200ELNS1_3gpuE4ELNS1_3repE0EEENS1_30default_config_static_selectorELNS0_4arch9wavefront6targetE0EEEvT1_.kd
    .uniform_work_group_size: 1
    .uses_dynamic_stack: false
    .vgpr_count:     0
    .vgpr_spill_count: 0
    .wavefront_size: 32
    .workgroup_processor_mode: 1
  - .args:
      - .offset:         0
        .size:           136
        .value_kind:     by_value
    .group_segment_fixed_size: 6160
    .kernarg_segment_align: 8
    .kernarg_segment_size: 136
    .language:       OpenCL C
    .language_version:
      - 2
      - 0
    .max_flat_workgroup_size: 128
    .name:           _ZN7rocprim17ROCPRIM_400000_NS6detail17trampoline_kernelINS0_14default_configENS1_25partition_config_selectorILNS1_17partition_subalgoE5ElNS0_10empty_typeEbEEZZNS1_14partition_implILS5_5ELb0ES3_mN6hipcub16HIPCUB_304000_NS21CountingInputIteratorIllEEPS6_NSA_22TransformInputIteratorIbN2at6native12_GLOBAL__N_19NonZeroOpIlEEPKllEENS0_5tupleIJPlS6_EEENSN_IJSD_SD_EEES6_PiJS6_EEE10hipError_tPvRmT3_T4_T5_T6_T7_T9_mT8_P12ihipStream_tbDpT10_ENKUlT_T0_E_clISt17integral_constantIbLb0EES1A_IbLb1EEEEDaS16_S17_EUlS16_E_NS1_11comp_targetILNS1_3genE9ELNS1_11target_archE1100ELNS1_3gpuE3ELNS1_3repE0EEENS1_30default_config_static_selectorELNS0_4arch9wavefront6targetE0EEEvT1_
    .private_segment_fixed_size: 0
    .sgpr_count:     26
    .sgpr_spill_count: 0
    .symbol:         _ZN7rocprim17ROCPRIM_400000_NS6detail17trampoline_kernelINS0_14default_configENS1_25partition_config_selectorILNS1_17partition_subalgoE5ElNS0_10empty_typeEbEEZZNS1_14partition_implILS5_5ELb0ES3_mN6hipcub16HIPCUB_304000_NS21CountingInputIteratorIllEEPS6_NSA_22TransformInputIteratorIbN2at6native12_GLOBAL__N_19NonZeroOpIlEEPKllEENS0_5tupleIJPlS6_EEENSN_IJSD_SD_EEES6_PiJS6_EEE10hipError_tPvRmT3_T4_T5_T6_T7_T9_mT8_P12ihipStream_tbDpT10_ENKUlT_T0_E_clISt17integral_constantIbLb0EES1A_IbLb1EEEEDaS16_S17_EUlS16_E_NS1_11comp_targetILNS1_3genE9ELNS1_11target_archE1100ELNS1_3gpuE3ELNS1_3repE0EEENS1_30default_config_static_selectorELNS0_4arch9wavefront6targetE0EEEvT1_.kd
    .uniform_work_group_size: 1
    .uses_dynamic_stack: false
    .vgpr_count:     57
    .vgpr_spill_count: 0
    .wavefront_size: 32
    .workgroup_processor_mode: 1
  - .args:
      - .offset:         0
        .size:           136
        .value_kind:     by_value
    .group_segment_fixed_size: 0
    .kernarg_segment_align: 8
    .kernarg_segment_size: 136
    .language:       OpenCL C
    .language_version:
      - 2
      - 0
    .max_flat_workgroup_size: 512
    .name:           _ZN7rocprim17ROCPRIM_400000_NS6detail17trampoline_kernelINS0_14default_configENS1_25partition_config_selectorILNS1_17partition_subalgoE5ElNS0_10empty_typeEbEEZZNS1_14partition_implILS5_5ELb0ES3_mN6hipcub16HIPCUB_304000_NS21CountingInputIteratorIllEEPS6_NSA_22TransformInputIteratorIbN2at6native12_GLOBAL__N_19NonZeroOpIlEEPKllEENS0_5tupleIJPlS6_EEENSN_IJSD_SD_EEES6_PiJS6_EEE10hipError_tPvRmT3_T4_T5_T6_T7_T9_mT8_P12ihipStream_tbDpT10_ENKUlT_T0_E_clISt17integral_constantIbLb0EES1A_IbLb1EEEEDaS16_S17_EUlS16_E_NS1_11comp_targetILNS1_3genE8ELNS1_11target_archE1030ELNS1_3gpuE2ELNS1_3repE0EEENS1_30default_config_static_selectorELNS0_4arch9wavefront6targetE0EEEvT1_
    .private_segment_fixed_size: 0
    .sgpr_count:     0
    .sgpr_spill_count: 0
    .symbol:         _ZN7rocprim17ROCPRIM_400000_NS6detail17trampoline_kernelINS0_14default_configENS1_25partition_config_selectorILNS1_17partition_subalgoE5ElNS0_10empty_typeEbEEZZNS1_14partition_implILS5_5ELb0ES3_mN6hipcub16HIPCUB_304000_NS21CountingInputIteratorIllEEPS6_NSA_22TransformInputIteratorIbN2at6native12_GLOBAL__N_19NonZeroOpIlEEPKllEENS0_5tupleIJPlS6_EEENSN_IJSD_SD_EEES6_PiJS6_EEE10hipError_tPvRmT3_T4_T5_T6_T7_T9_mT8_P12ihipStream_tbDpT10_ENKUlT_T0_E_clISt17integral_constantIbLb0EES1A_IbLb1EEEEDaS16_S17_EUlS16_E_NS1_11comp_targetILNS1_3genE8ELNS1_11target_archE1030ELNS1_3gpuE2ELNS1_3repE0EEENS1_30default_config_static_selectorELNS0_4arch9wavefront6targetE0EEEvT1_.kd
    .uniform_work_group_size: 1
    .uses_dynamic_stack: false
    .vgpr_count:     0
    .vgpr_spill_count: 0
    .wavefront_size: 32
    .workgroup_processor_mode: 1
  - .args:
      - .offset:         0
        .size:           56
        .value_kind:     by_value
    .group_segment_fixed_size: 0
    .kernarg_segment_align: 8
    .kernarg_segment_size: 56
    .language:       OpenCL C
    .language_version:
      - 2
      - 0
    .max_flat_workgroup_size: 256
    .name:           _ZN7rocprim17ROCPRIM_400000_NS6detail17trampoline_kernelINS0_14default_configENS1_22reduce_config_selectorIiEEZNS1_11reduce_implILb1ES3_PiS7_iN6hipcub16HIPCUB_304000_NS6detail34convert_binary_result_type_wrapperINS9_3SumENS9_22TransformInputIteratorIbN2at6native12_GLOBAL__N_19NonZeroOpIsEEPKslEEiEEEE10hipError_tPvRmT1_T2_T3_mT4_P12ihipStream_tbEUlT_E0_NS1_11comp_targetILNS1_3genE0ELNS1_11target_archE4294967295ELNS1_3gpuE0ELNS1_3repE0EEENS1_30default_config_static_selectorELNS0_4arch9wavefront6targetE0EEEvSQ_
    .private_segment_fixed_size: 0
    .sgpr_count:     0
    .sgpr_spill_count: 0
    .symbol:         _ZN7rocprim17ROCPRIM_400000_NS6detail17trampoline_kernelINS0_14default_configENS1_22reduce_config_selectorIiEEZNS1_11reduce_implILb1ES3_PiS7_iN6hipcub16HIPCUB_304000_NS6detail34convert_binary_result_type_wrapperINS9_3SumENS9_22TransformInputIteratorIbN2at6native12_GLOBAL__N_19NonZeroOpIsEEPKslEEiEEEE10hipError_tPvRmT1_T2_T3_mT4_P12ihipStream_tbEUlT_E0_NS1_11comp_targetILNS1_3genE0ELNS1_11target_archE4294967295ELNS1_3gpuE0ELNS1_3repE0EEENS1_30default_config_static_selectorELNS0_4arch9wavefront6targetE0EEEvSQ_.kd
    .uniform_work_group_size: 1
    .uses_dynamic_stack: false
    .vgpr_count:     0
    .vgpr_spill_count: 0
    .wavefront_size: 32
    .workgroup_processor_mode: 1
  - .args:
      - .offset:         0
        .size:           56
        .value_kind:     by_value
    .group_segment_fixed_size: 0
    .kernarg_segment_align: 8
    .kernarg_segment_size: 56
    .language:       OpenCL C
    .language_version:
      - 2
      - 0
    .max_flat_workgroup_size: 256
    .name:           _ZN7rocprim17ROCPRIM_400000_NS6detail17trampoline_kernelINS0_14default_configENS1_22reduce_config_selectorIiEEZNS1_11reduce_implILb1ES3_PiS7_iN6hipcub16HIPCUB_304000_NS6detail34convert_binary_result_type_wrapperINS9_3SumENS9_22TransformInputIteratorIbN2at6native12_GLOBAL__N_19NonZeroOpIsEEPKslEEiEEEE10hipError_tPvRmT1_T2_T3_mT4_P12ihipStream_tbEUlT_E0_NS1_11comp_targetILNS1_3genE5ELNS1_11target_archE942ELNS1_3gpuE9ELNS1_3repE0EEENS1_30default_config_static_selectorELNS0_4arch9wavefront6targetE0EEEvSQ_
    .private_segment_fixed_size: 0
    .sgpr_count:     0
    .sgpr_spill_count: 0
    .symbol:         _ZN7rocprim17ROCPRIM_400000_NS6detail17trampoline_kernelINS0_14default_configENS1_22reduce_config_selectorIiEEZNS1_11reduce_implILb1ES3_PiS7_iN6hipcub16HIPCUB_304000_NS6detail34convert_binary_result_type_wrapperINS9_3SumENS9_22TransformInputIteratorIbN2at6native12_GLOBAL__N_19NonZeroOpIsEEPKslEEiEEEE10hipError_tPvRmT1_T2_T3_mT4_P12ihipStream_tbEUlT_E0_NS1_11comp_targetILNS1_3genE5ELNS1_11target_archE942ELNS1_3gpuE9ELNS1_3repE0EEENS1_30default_config_static_selectorELNS0_4arch9wavefront6targetE0EEEvSQ_.kd
    .uniform_work_group_size: 1
    .uses_dynamic_stack: false
    .vgpr_count:     0
    .vgpr_spill_count: 0
    .wavefront_size: 32
    .workgroup_processor_mode: 1
  - .args:
      - .offset:         0
        .size:           56
        .value_kind:     by_value
    .group_segment_fixed_size: 0
    .kernarg_segment_align: 8
    .kernarg_segment_size: 56
    .language:       OpenCL C
    .language_version:
      - 2
      - 0
    .max_flat_workgroup_size: 128
    .name:           _ZN7rocprim17ROCPRIM_400000_NS6detail17trampoline_kernelINS0_14default_configENS1_22reduce_config_selectorIiEEZNS1_11reduce_implILb1ES3_PiS7_iN6hipcub16HIPCUB_304000_NS6detail34convert_binary_result_type_wrapperINS9_3SumENS9_22TransformInputIteratorIbN2at6native12_GLOBAL__N_19NonZeroOpIsEEPKslEEiEEEE10hipError_tPvRmT1_T2_T3_mT4_P12ihipStream_tbEUlT_E0_NS1_11comp_targetILNS1_3genE4ELNS1_11target_archE910ELNS1_3gpuE8ELNS1_3repE0EEENS1_30default_config_static_selectorELNS0_4arch9wavefront6targetE0EEEvSQ_
    .private_segment_fixed_size: 0
    .sgpr_count:     0
    .sgpr_spill_count: 0
    .symbol:         _ZN7rocprim17ROCPRIM_400000_NS6detail17trampoline_kernelINS0_14default_configENS1_22reduce_config_selectorIiEEZNS1_11reduce_implILb1ES3_PiS7_iN6hipcub16HIPCUB_304000_NS6detail34convert_binary_result_type_wrapperINS9_3SumENS9_22TransformInputIteratorIbN2at6native12_GLOBAL__N_19NonZeroOpIsEEPKslEEiEEEE10hipError_tPvRmT1_T2_T3_mT4_P12ihipStream_tbEUlT_E0_NS1_11comp_targetILNS1_3genE4ELNS1_11target_archE910ELNS1_3gpuE8ELNS1_3repE0EEENS1_30default_config_static_selectorELNS0_4arch9wavefront6targetE0EEEvSQ_.kd
    .uniform_work_group_size: 1
    .uses_dynamic_stack: false
    .vgpr_count:     0
    .vgpr_spill_count: 0
    .wavefront_size: 32
    .workgroup_processor_mode: 1
  - .args:
      - .offset:         0
        .size:           56
        .value_kind:     by_value
    .group_segment_fixed_size: 0
    .kernarg_segment_align: 8
    .kernarg_segment_size: 56
    .language:       OpenCL C
    .language_version:
      - 2
      - 0
    .max_flat_workgroup_size: 256
    .name:           _ZN7rocprim17ROCPRIM_400000_NS6detail17trampoline_kernelINS0_14default_configENS1_22reduce_config_selectorIiEEZNS1_11reduce_implILb1ES3_PiS7_iN6hipcub16HIPCUB_304000_NS6detail34convert_binary_result_type_wrapperINS9_3SumENS9_22TransformInputIteratorIbN2at6native12_GLOBAL__N_19NonZeroOpIsEEPKslEEiEEEE10hipError_tPvRmT1_T2_T3_mT4_P12ihipStream_tbEUlT_E0_NS1_11comp_targetILNS1_3genE3ELNS1_11target_archE908ELNS1_3gpuE7ELNS1_3repE0EEENS1_30default_config_static_selectorELNS0_4arch9wavefront6targetE0EEEvSQ_
    .private_segment_fixed_size: 0
    .sgpr_count:     0
    .sgpr_spill_count: 0
    .symbol:         _ZN7rocprim17ROCPRIM_400000_NS6detail17trampoline_kernelINS0_14default_configENS1_22reduce_config_selectorIiEEZNS1_11reduce_implILb1ES3_PiS7_iN6hipcub16HIPCUB_304000_NS6detail34convert_binary_result_type_wrapperINS9_3SumENS9_22TransformInputIteratorIbN2at6native12_GLOBAL__N_19NonZeroOpIsEEPKslEEiEEEE10hipError_tPvRmT1_T2_T3_mT4_P12ihipStream_tbEUlT_E0_NS1_11comp_targetILNS1_3genE3ELNS1_11target_archE908ELNS1_3gpuE7ELNS1_3repE0EEENS1_30default_config_static_selectorELNS0_4arch9wavefront6targetE0EEEvSQ_.kd
    .uniform_work_group_size: 1
    .uses_dynamic_stack: false
    .vgpr_count:     0
    .vgpr_spill_count: 0
    .wavefront_size: 32
    .workgroup_processor_mode: 1
  - .args:
      - .offset:         0
        .size:           56
        .value_kind:     by_value
    .group_segment_fixed_size: 0
    .kernarg_segment_align: 8
    .kernarg_segment_size: 56
    .language:       OpenCL C
    .language_version:
      - 2
      - 0
    .max_flat_workgroup_size: 256
    .name:           _ZN7rocprim17ROCPRIM_400000_NS6detail17trampoline_kernelINS0_14default_configENS1_22reduce_config_selectorIiEEZNS1_11reduce_implILb1ES3_PiS7_iN6hipcub16HIPCUB_304000_NS6detail34convert_binary_result_type_wrapperINS9_3SumENS9_22TransformInputIteratorIbN2at6native12_GLOBAL__N_19NonZeroOpIsEEPKslEEiEEEE10hipError_tPvRmT1_T2_T3_mT4_P12ihipStream_tbEUlT_E0_NS1_11comp_targetILNS1_3genE2ELNS1_11target_archE906ELNS1_3gpuE6ELNS1_3repE0EEENS1_30default_config_static_selectorELNS0_4arch9wavefront6targetE0EEEvSQ_
    .private_segment_fixed_size: 0
    .sgpr_count:     0
    .sgpr_spill_count: 0
    .symbol:         _ZN7rocprim17ROCPRIM_400000_NS6detail17trampoline_kernelINS0_14default_configENS1_22reduce_config_selectorIiEEZNS1_11reduce_implILb1ES3_PiS7_iN6hipcub16HIPCUB_304000_NS6detail34convert_binary_result_type_wrapperINS9_3SumENS9_22TransformInputIteratorIbN2at6native12_GLOBAL__N_19NonZeroOpIsEEPKslEEiEEEE10hipError_tPvRmT1_T2_T3_mT4_P12ihipStream_tbEUlT_E0_NS1_11comp_targetILNS1_3genE2ELNS1_11target_archE906ELNS1_3gpuE6ELNS1_3repE0EEENS1_30default_config_static_selectorELNS0_4arch9wavefront6targetE0EEEvSQ_.kd
    .uniform_work_group_size: 1
    .uses_dynamic_stack: false
    .vgpr_count:     0
    .vgpr_spill_count: 0
    .wavefront_size: 32
    .workgroup_processor_mode: 1
  - .args:
      - .offset:         0
        .size:           56
        .value_kind:     by_value
    .group_segment_fixed_size: 0
    .kernarg_segment_align: 8
    .kernarg_segment_size: 56
    .language:       OpenCL C
    .language_version:
      - 2
      - 0
    .max_flat_workgroup_size: 256
    .name:           _ZN7rocprim17ROCPRIM_400000_NS6detail17trampoline_kernelINS0_14default_configENS1_22reduce_config_selectorIiEEZNS1_11reduce_implILb1ES3_PiS7_iN6hipcub16HIPCUB_304000_NS6detail34convert_binary_result_type_wrapperINS9_3SumENS9_22TransformInputIteratorIbN2at6native12_GLOBAL__N_19NonZeroOpIsEEPKslEEiEEEE10hipError_tPvRmT1_T2_T3_mT4_P12ihipStream_tbEUlT_E0_NS1_11comp_targetILNS1_3genE10ELNS1_11target_archE1201ELNS1_3gpuE5ELNS1_3repE0EEENS1_30default_config_static_selectorELNS0_4arch9wavefront6targetE0EEEvSQ_
    .private_segment_fixed_size: 0
    .sgpr_count:     0
    .sgpr_spill_count: 0
    .symbol:         _ZN7rocprim17ROCPRIM_400000_NS6detail17trampoline_kernelINS0_14default_configENS1_22reduce_config_selectorIiEEZNS1_11reduce_implILb1ES3_PiS7_iN6hipcub16HIPCUB_304000_NS6detail34convert_binary_result_type_wrapperINS9_3SumENS9_22TransformInputIteratorIbN2at6native12_GLOBAL__N_19NonZeroOpIsEEPKslEEiEEEE10hipError_tPvRmT1_T2_T3_mT4_P12ihipStream_tbEUlT_E0_NS1_11comp_targetILNS1_3genE10ELNS1_11target_archE1201ELNS1_3gpuE5ELNS1_3repE0EEENS1_30default_config_static_selectorELNS0_4arch9wavefront6targetE0EEEvSQ_.kd
    .uniform_work_group_size: 1
    .uses_dynamic_stack: false
    .vgpr_count:     0
    .vgpr_spill_count: 0
    .wavefront_size: 32
    .workgroup_processor_mode: 1
  - .args:
      - .offset:         0
        .size:           56
        .value_kind:     by_value
    .group_segment_fixed_size: 0
    .kernarg_segment_align: 8
    .kernarg_segment_size: 56
    .language:       OpenCL C
    .language_version:
      - 2
      - 0
    .max_flat_workgroup_size: 256
    .name:           _ZN7rocprim17ROCPRIM_400000_NS6detail17trampoline_kernelINS0_14default_configENS1_22reduce_config_selectorIiEEZNS1_11reduce_implILb1ES3_PiS7_iN6hipcub16HIPCUB_304000_NS6detail34convert_binary_result_type_wrapperINS9_3SumENS9_22TransformInputIteratorIbN2at6native12_GLOBAL__N_19NonZeroOpIsEEPKslEEiEEEE10hipError_tPvRmT1_T2_T3_mT4_P12ihipStream_tbEUlT_E0_NS1_11comp_targetILNS1_3genE10ELNS1_11target_archE1200ELNS1_3gpuE4ELNS1_3repE0EEENS1_30default_config_static_selectorELNS0_4arch9wavefront6targetE0EEEvSQ_
    .private_segment_fixed_size: 0
    .sgpr_count:     0
    .sgpr_spill_count: 0
    .symbol:         _ZN7rocprim17ROCPRIM_400000_NS6detail17trampoline_kernelINS0_14default_configENS1_22reduce_config_selectorIiEEZNS1_11reduce_implILb1ES3_PiS7_iN6hipcub16HIPCUB_304000_NS6detail34convert_binary_result_type_wrapperINS9_3SumENS9_22TransformInputIteratorIbN2at6native12_GLOBAL__N_19NonZeroOpIsEEPKslEEiEEEE10hipError_tPvRmT1_T2_T3_mT4_P12ihipStream_tbEUlT_E0_NS1_11comp_targetILNS1_3genE10ELNS1_11target_archE1200ELNS1_3gpuE4ELNS1_3repE0EEENS1_30default_config_static_selectorELNS0_4arch9wavefront6targetE0EEEvSQ_.kd
    .uniform_work_group_size: 1
    .uses_dynamic_stack: false
    .vgpr_count:     0
    .vgpr_spill_count: 0
    .wavefront_size: 32
    .workgroup_processor_mode: 1
  - .args:
      - .offset:         0
        .size:           56
        .value_kind:     by_value
    .group_segment_fixed_size: 64
    .kernarg_segment_align: 8
    .kernarg_segment_size: 56
    .language:       OpenCL C
    .language_version:
      - 2
      - 0
    .max_flat_workgroup_size: 256
    .name:           _ZN7rocprim17ROCPRIM_400000_NS6detail17trampoline_kernelINS0_14default_configENS1_22reduce_config_selectorIiEEZNS1_11reduce_implILb1ES3_PiS7_iN6hipcub16HIPCUB_304000_NS6detail34convert_binary_result_type_wrapperINS9_3SumENS9_22TransformInputIteratorIbN2at6native12_GLOBAL__N_19NonZeroOpIsEEPKslEEiEEEE10hipError_tPvRmT1_T2_T3_mT4_P12ihipStream_tbEUlT_E0_NS1_11comp_targetILNS1_3genE9ELNS1_11target_archE1100ELNS1_3gpuE3ELNS1_3repE0EEENS1_30default_config_static_selectorELNS0_4arch9wavefront6targetE0EEEvSQ_
    .private_segment_fixed_size: 0
    .sgpr_count:     24
    .sgpr_spill_count: 0
    .symbol:         _ZN7rocprim17ROCPRIM_400000_NS6detail17trampoline_kernelINS0_14default_configENS1_22reduce_config_selectorIiEEZNS1_11reduce_implILb1ES3_PiS7_iN6hipcub16HIPCUB_304000_NS6detail34convert_binary_result_type_wrapperINS9_3SumENS9_22TransformInputIteratorIbN2at6native12_GLOBAL__N_19NonZeroOpIsEEPKslEEiEEEE10hipError_tPvRmT1_T2_T3_mT4_P12ihipStream_tbEUlT_E0_NS1_11comp_targetILNS1_3genE9ELNS1_11target_archE1100ELNS1_3gpuE3ELNS1_3repE0EEENS1_30default_config_static_selectorELNS0_4arch9wavefront6targetE0EEEvSQ_.kd
    .uniform_work_group_size: 1
    .uses_dynamic_stack: false
    .vgpr_count:     12
    .vgpr_spill_count: 0
    .wavefront_size: 32
    .workgroup_processor_mode: 1
  - .args:
      - .offset:         0
        .size:           56
        .value_kind:     by_value
    .group_segment_fixed_size: 0
    .kernarg_segment_align: 8
    .kernarg_segment_size: 56
    .language:       OpenCL C
    .language_version:
      - 2
      - 0
    .max_flat_workgroup_size: 256
    .name:           _ZN7rocprim17ROCPRIM_400000_NS6detail17trampoline_kernelINS0_14default_configENS1_22reduce_config_selectorIiEEZNS1_11reduce_implILb1ES3_PiS7_iN6hipcub16HIPCUB_304000_NS6detail34convert_binary_result_type_wrapperINS9_3SumENS9_22TransformInputIteratorIbN2at6native12_GLOBAL__N_19NonZeroOpIsEEPKslEEiEEEE10hipError_tPvRmT1_T2_T3_mT4_P12ihipStream_tbEUlT_E0_NS1_11comp_targetILNS1_3genE8ELNS1_11target_archE1030ELNS1_3gpuE2ELNS1_3repE0EEENS1_30default_config_static_selectorELNS0_4arch9wavefront6targetE0EEEvSQ_
    .private_segment_fixed_size: 0
    .sgpr_count:     0
    .sgpr_spill_count: 0
    .symbol:         _ZN7rocprim17ROCPRIM_400000_NS6detail17trampoline_kernelINS0_14default_configENS1_22reduce_config_selectorIiEEZNS1_11reduce_implILb1ES3_PiS7_iN6hipcub16HIPCUB_304000_NS6detail34convert_binary_result_type_wrapperINS9_3SumENS9_22TransformInputIteratorIbN2at6native12_GLOBAL__N_19NonZeroOpIsEEPKslEEiEEEE10hipError_tPvRmT1_T2_T3_mT4_P12ihipStream_tbEUlT_E0_NS1_11comp_targetILNS1_3genE8ELNS1_11target_archE1030ELNS1_3gpuE2ELNS1_3repE0EEENS1_30default_config_static_selectorELNS0_4arch9wavefront6targetE0EEEvSQ_.kd
    .uniform_work_group_size: 1
    .uses_dynamic_stack: false
    .vgpr_count:     0
    .vgpr_spill_count: 0
    .wavefront_size: 32
    .workgroup_processor_mode: 1
  - .args:
      - .offset:         0
        .size:           40
        .value_kind:     by_value
    .group_segment_fixed_size: 0
    .kernarg_segment_align: 8
    .kernarg_segment_size: 40
    .language:       OpenCL C
    .language_version:
      - 2
      - 0
    .max_flat_workgroup_size: 256
    .name:           _ZN7rocprim17ROCPRIM_400000_NS6detail17trampoline_kernelINS0_14default_configENS1_22reduce_config_selectorIiEEZNS1_11reduce_implILb1ES3_PiS7_iN6hipcub16HIPCUB_304000_NS6detail34convert_binary_result_type_wrapperINS9_3SumENS9_22TransformInputIteratorIbN2at6native12_GLOBAL__N_19NonZeroOpIsEEPKslEEiEEEE10hipError_tPvRmT1_T2_T3_mT4_P12ihipStream_tbEUlT_E1_NS1_11comp_targetILNS1_3genE0ELNS1_11target_archE4294967295ELNS1_3gpuE0ELNS1_3repE0EEENS1_30default_config_static_selectorELNS0_4arch9wavefront6targetE0EEEvSQ_
    .private_segment_fixed_size: 0
    .sgpr_count:     0
    .sgpr_spill_count: 0
    .symbol:         _ZN7rocprim17ROCPRIM_400000_NS6detail17trampoline_kernelINS0_14default_configENS1_22reduce_config_selectorIiEEZNS1_11reduce_implILb1ES3_PiS7_iN6hipcub16HIPCUB_304000_NS6detail34convert_binary_result_type_wrapperINS9_3SumENS9_22TransformInputIteratorIbN2at6native12_GLOBAL__N_19NonZeroOpIsEEPKslEEiEEEE10hipError_tPvRmT1_T2_T3_mT4_P12ihipStream_tbEUlT_E1_NS1_11comp_targetILNS1_3genE0ELNS1_11target_archE4294967295ELNS1_3gpuE0ELNS1_3repE0EEENS1_30default_config_static_selectorELNS0_4arch9wavefront6targetE0EEEvSQ_.kd
    .uniform_work_group_size: 1
    .uses_dynamic_stack: false
    .vgpr_count:     0
    .vgpr_spill_count: 0
    .wavefront_size: 32
    .workgroup_processor_mode: 1
  - .args:
      - .offset:         0
        .size:           40
        .value_kind:     by_value
    .group_segment_fixed_size: 0
    .kernarg_segment_align: 8
    .kernarg_segment_size: 40
    .language:       OpenCL C
    .language_version:
      - 2
      - 0
    .max_flat_workgroup_size: 256
    .name:           _ZN7rocprim17ROCPRIM_400000_NS6detail17trampoline_kernelINS0_14default_configENS1_22reduce_config_selectorIiEEZNS1_11reduce_implILb1ES3_PiS7_iN6hipcub16HIPCUB_304000_NS6detail34convert_binary_result_type_wrapperINS9_3SumENS9_22TransformInputIteratorIbN2at6native12_GLOBAL__N_19NonZeroOpIsEEPKslEEiEEEE10hipError_tPvRmT1_T2_T3_mT4_P12ihipStream_tbEUlT_E1_NS1_11comp_targetILNS1_3genE5ELNS1_11target_archE942ELNS1_3gpuE9ELNS1_3repE0EEENS1_30default_config_static_selectorELNS0_4arch9wavefront6targetE0EEEvSQ_
    .private_segment_fixed_size: 0
    .sgpr_count:     0
    .sgpr_spill_count: 0
    .symbol:         _ZN7rocprim17ROCPRIM_400000_NS6detail17trampoline_kernelINS0_14default_configENS1_22reduce_config_selectorIiEEZNS1_11reduce_implILb1ES3_PiS7_iN6hipcub16HIPCUB_304000_NS6detail34convert_binary_result_type_wrapperINS9_3SumENS9_22TransformInputIteratorIbN2at6native12_GLOBAL__N_19NonZeroOpIsEEPKslEEiEEEE10hipError_tPvRmT1_T2_T3_mT4_P12ihipStream_tbEUlT_E1_NS1_11comp_targetILNS1_3genE5ELNS1_11target_archE942ELNS1_3gpuE9ELNS1_3repE0EEENS1_30default_config_static_selectorELNS0_4arch9wavefront6targetE0EEEvSQ_.kd
    .uniform_work_group_size: 1
    .uses_dynamic_stack: false
    .vgpr_count:     0
    .vgpr_spill_count: 0
    .wavefront_size: 32
    .workgroup_processor_mode: 1
  - .args:
      - .offset:         0
        .size:           40
        .value_kind:     by_value
    .group_segment_fixed_size: 0
    .kernarg_segment_align: 8
    .kernarg_segment_size: 40
    .language:       OpenCL C
    .language_version:
      - 2
      - 0
    .max_flat_workgroup_size: 128
    .name:           _ZN7rocprim17ROCPRIM_400000_NS6detail17trampoline_kernelINS0_14default_configENS1_22reduce_config_selectorIiEEZNS1_11reduce_implILb1ES3_PiS7_iN6hipcub16HIPCUB_304000_NS6detail34convert_binary_result_type_wrapperINS9_3SumENS9_22TransformInputIteratorIbN2at6native12_GLOBAL__N_19NonZeroOpIsEEPKslEEiEEEE10hipError_tPvRmT1_T2_T3_mT4_P12ihipStream_tbEUlT_E1_NS1_11comp_targetILNS1_3genE4ELNS1_11target_archE910ELNS1_3gpuE8ELNS1_3repE0EEENS1_30default_config_static_selectorELNS0_4arch9wavefront6targetE0EEEvSQ_
    .private_segment_fixed_size: 0
    .sgpr_count:     0
    .sgpr_spill_count: 0
    .symbol:         _ZN7rocprim17ROCPRIM_400000_NS6detail17trampoline_kernelINS0_14default_configENS1_22reduce_config_selectorIiEEZNS1_11reduce_implILb1ES3_PiS7_iN6hipcub16HIPCUB_304000_NS6detail34convert_binary_result_type_wrapperINS9_3SumENS9_22TransformInputIteratorIbN2at6native12_GLOBAL__N_19NonZeroOpIsEEPKslEEiEEEE10hipError_tPvRmT1_T2_T3_mT4_P12ihipStream_tbEUlT_E1_NS1_11comp_targetILNS1_3genE4ELNS1_11target_archE910ELNS1_3gpuE8ELNS1_3repE0EEENS1_30default_config_static_selectorELNS0_4arch9wavefront6targetE0EEEvSQ_.kd
    .uniform_work_group_size: 1
    .uses_dynamic_stack: false
    .vgpr_count:     0
    .vgpr_spill_count: 0
    .wavefront_size: 32
    .workgroup_processor_mode: 1
  - .args:
      - .offset:         0
        .size:           40
        .value_kind:     by_value
    .group_segment_fixed_size: 0
    .kernarg_segment_align: 8
    .kernarg_segment_size: 40
    .language:       OpenCL C
    .language_version:
      - 2
      - 0
    .max_flat_workgroup_size: 256
    .name:           _ZN7rocprim17ROCPRIM_400000_NS6detail17trampoline_kernelINS0_14default_configENS1_22reduce_config_selectorIiEEZNS1_11reduce_implILb1ES3_PiS7_iN6hipcub16HIPCUB_304000_NS6detail34convert_binary_result_type_wrapperINS9_3SumENS9_22TransformInputIteratorIbN2at6native12_GLOBAL__N_19NonZeroOpIsEEPKslEEiEEEE10hipError_tPvRmT1_T2_T3_mT4_P12ihipStream_tbEUlT_E1_NS1_11comp_targetILNS1_3genE3ELNS1_11target_archE908ELNS1_3gpuE7ELNS1_3repE0EEENS1_30default_config_static_selectorELNS0_4arch9wavefront6targetE0EEEvSQ_
    .private_segment_fixed_size: 0
    .sgpr_count:     0
    .sgpr_spill_count: 0
    .symbol:         _ZN7rocprim17ROCPRIM_400000_NS6detail17trampoline_kernelINS0_14default_configENS1_22reduce_config_selectorIiEEZNS1_11reduce_implILb1ES3_PiS7_iN6hipcub16HIPCUB_304000_NS6detail34convert_binary_result_type_wrapperINS9_3SumENS9_22TransformInputIteratorIbN2at6native12_GLOBAL__N_19NonZeroOpIsEEPKslEEiEEEE10hipError_tPvRmT1_T2_T3_mT4_P12ihipStream_tbEUlT_E1_NS1_11comp_targetILNS1_3genE3ELNS1_11target_archE908ELNS1_3gpuE7ELNS1_3repE0EEENS1_30default_config_static_selectorELNS0_4arch9wavefront6targetE0EEEvSQ_.kd
    .uniform_work_group_size: 1
    .uses_dynamic_stack: false
    .vgpr_count:     0
    .vgpr_spill_count: 0
    .wavefront_size: 32
    .workgroup_processor_mode: 1
  - .args:
      - .offset:         0
        .size:           40
        .value_kind:     by_value
    .group_segment_fixed_size: 0
    .kernarg_segment_align: 8
    .kernarg_segment_size: 40
    .language:       OpenCL C
    .language_version:
      - 2
      - 0
    .max_flat_workgroup_size: 256
    .name:           _ZN7rocprim17ROCPRIM_400000_NS6detail17trampoline_kernelINS0_14default_configENS1_22reduce_config_selectorIiEEZNS1_11reduce_implILb1ES3_PiS7_iN6hipcub16HIPCUB_304000_NS6detail34convert_binary_result_type_wrapperINS9_3SumENS9_22TransformInputIteratorIbN2at6native12_GLOBAL__N_19NonZeroOpIsEEPKslEEiEEEE10hipError_tPvRmT1_T2_T3_mT4_P12ihipStream_tbEUlT_E1_NS1_11comp_targetILNS1_3genE2ELNS1_11target_archE906ELNS1_3gpuE6ELNS1_3repE0EEENS1_30default_config_static_selectorELNS0_4arch9wavefront6targetE0EEEvSQ_
    .private_segment_fixed_size: 0
    .sgpr_count:     0
    .sgpr_spill_count: 0
    .symbol:         _ZN7rocprim17ROCPRIM_400000_NS6detail17trampoline_kernelINS0_14default_configENS1_22reduce_config_selectorIiEEZNS1_11reduce_implILb1ES3_PiS7_iN6hipcub16HIPCUB_304000_NS6detail34convert_binary_result_type_wrapperINS9_3SumENS9_22TransformInputIteratorIbN2at6native12_GLOBAL__N_19NonZeroOpIsEEPKslEEiEEEE10hipError_tPvRmT1_T2_T3_mT4_P12ihipStream_tbEUlT_E1_NS1_11comp_targetILNS1_3genE2ELNS1_11target_archE906ELNS1_3gpuE6ELNS1_3repE0EEENS1_30default_config_static_selectorELNS0_4arch9wavefront6targetE0EEEvSQ_.kd
    .uniform_work_group_size: 1
    .uses_dynamic_stack: false
    .vgpr_count:     0
    .vgpr_spill_count: 0
    .wavefront_size: 32
    .workgroup_processor_mode: 1
  - .args:
      - .offset:         0
        .size:           40
        .value_kind:     by_value
    .group_segment_fixed_size: 0
    .kernarg_segment_align: 8
    .kernarg_segment_size: 40
    .language:       OpenCL C
    .language_version:
      - 2
      - 0
    .max_flat_workgroup_size: 256
    .name:           _ZN7rocprim17ROCPRIM_400000_NS6detail17trampoline_kernelINS0_14default_configENS1_22reduce_config_selectorIiEEZNS1_11reduce_implILb1ES3_PiS7_iN6hipcub16HIPCUB_304000_NS6detail34convert_binary_result_type_wrapperINS9_3SumENS9_22TransformInputIteratorIbN2at6native12_GLOBAL__N_19NonZeroOpIsEEPKslEEiEEEE10hipError_tPvRmT1_T2_T3_mT4_P12ihipStream_tbEUlT_E1_NS1_11comp_targetILNS1_3genE10ELNS1_11target_archE1201ELNS1_3gpuE5ELNS1_3repE0EEENS1_30default_config_static_selectorELNS0_4arch9wavefront6targetE0EEEvSQ_
    .private_segment_fixed_size: 0
    .sgpr_count:     0
    .sgpr_spill_count: 0
    .symbol:         _ZN7rocprim17ROCPRIM_400000_NS6detail17trampoline_kernelINS0_14default_configENS1_22reduce_config_selectorIiEEZNS1_11reduce_implILb1ES3_PiS7_iN6hipcub16HIPCUB_304000_NS6detail34convert_binary_result_type_wrapperINS9_3SumENS9_22TransformInputIteratorIbN2at6native12_GLOBAL__N_19NonZeroOpIsEEPKslEEiEEEE10hipError_tPvRmT1_T2_T3_mT4_P12ihipStream_tbEUlT_E1_NS1_11comp_targetILNS1_3genE10ELNS1_11target_archE1201ELNS1_3gpuE5ELNS1_3repE0EEENS1_30default_config_static_selectorELNS0_4arch9wavefront6targetE0EEEvSQ_.kd
    .uniform_work_group_size: 1
    .uses_dynamic_stack: false
    .vgpr_count:     0
    .vgpr_spill_count: 0
    .wavefront_size: 32
    .workgroup_processor_mode: 1
  - .args:
      - .offset:         0
        .size:           40
        .value_kind:     by_value
    .group_segment_fixed_size: 0
    .kernarg_segment_align: 8
    .kernarg_segment_size: 40
    .language:       OpenCL C
    .language_version:
      - 2
      - 0
    .max_flat_workgroup_size: 256
    .name:           _ZN7rocprim17ROCPRIM_400000_NS6detail17trampoline_kernelINS0_14default_configENS1_22reduce_config_selectorIiEEZNS1_11reduce_implILb1ES3_PiS7_iN6hipcub16HIPCUB_304000_NS6detail34convert_binary_result_type_wrapperINS9_3SumENS9_22TransformInputIteratorIbN2at6native12_GLOBAL__N_19NonZeroOpIsEEPKslEEiEEEE10hipError_tPvRmT1_T2_T3_mT4_P12ihipStream_tbEUlT_E1_NS1_11comp_targetILNS1_3genE10ELNS1_11target_archE1200ELNS1_3gpuE4ELNS1_3repE0EEENS1_30default_config_static_selectorELNS0_4arch9wavefront6targetE0EEEvSQ_
    .private_segment_fixed_size: 0
    .sgpr_count:     0
    .sgpr_spill_count: 0
    .symbol:         _ZN7rocprim17ROCPRIM_400000_NS6detail17trampoline_kernelINS0_14default_configENS1_22reduce_config_selectorIiEEZNS1_11reduce_implILb1ES3_PiS7_iN6hipcub16HIPCUB_304000_NS6detail34convert_binary_result_type_wrapperINS9_3SumENS9_22TransformInputIteratorIbN2at6native12_GLOBAL__N_19NonZeroOpIsEEPKslEEiEEEE10hipError_tPvRmT1_T2_T3_mT4_P12ihipStream_tbEUlT_E1_NS1_11comp_targetILNS1_3genE10ELNS1_11target_archE1200ELNS1_3gpuE4ELNS1_3repE0EEENS1_30default_config_static_selectorELNS0_4arch9wavefront6targetE0EEEvSQ_.kd
    .uniform_work_group_size: 1
    .uses_dynamic_stack: false
    .vgpr_count:     0
    .vgpr_spill_count: 0
    .wavefront_size: 32
    .workgroup_processor_mode: 1
  - .args:
      - .offset:         0
        .size:           40
        .value_kind:     by_value
    .group_segment_fixed_size: 224
    .kernarg_segment_align: 8
    .kernarg_segment_size: 40
    .language:       OpenCL C
    .language_version:
      - 2
      - 0
    .max_flat_workgroup_size: 256
    .name:           _ZN7rocprim17ROCPRIM_400000_NS6detail17trampoline_kernelINS0_14default_configENS1_22reduce_config_selectorIiEEZNS1_11reduce_implILb1ES3_PiS7_iN6hipcub16HIPCUB_304000_NS6detail34convert_binary_result_type_wrapperINS9_3SumENS9_22TransformInputIteratorIbN2at6native12_GLOBAL__N_19NonZeroOpIsEEPKslEEiEEEE10hipError_tPvRmT1_T2_T3_mT4_P12ihipStream_tbEUlT_E1_NS1_11comp_targetILNS1_3genE9ELNS1_11target_archE1100ELNS1_3gpuE3ELNS1_3repE0EEENS1_30default_config_static_selectorELNS0_4arch9wavefront6targetE0EEEvSQ_
    .private_segment_fixed_size: 0
    .sgpr_count:     29
    .sgpr_spill_count: 0
    .symbol:         _ZN7rocprim17ROCPRIM_400000_NS6detail17trampoline_kernelINS0_14default_configENS1_22reduce_config_selectorIiEEZNS1_11reduce_implILb1ES3_PiS7_iN6hipcub16HIPCUB_304000_NS6detail34convert_binary_result_type_wrapperINS9_3SumENS9_22TransformInputIteratorIbN2at6native12_GLOBAL__N_19NonZeroOpIsEEPKslEEiEEEE10hipError_tPvRmT1_T2_T3_mT4_P12ihipStream_tbEUlT_E1_NS1_11comp_targetILNS1_3genE9ELNS1_11target_archE1100ELNS1_3gpuE3ELNS1_3repE0EEENS1_30default_config_static_selectorELNS0_4arch9wavefront6targetE0EEEvSQ_.kd
    .uniform_work_group_size: 1
    .uses_dynamic_stack: false
    .vgpr_count:     34
    .vgpr_spill_count: 0
    .wavefront_size: 32
    .workgroup_processor_mode: 1
  - .args:
      - .offset:         0
        .size:           40
        .value_kind:     by_value
    .group_segment_fixed_size: 0
    .kernarg_segment_align: 8
    .kernarg_segment_size: 40
    .language:       OpenCL C
    .language_version:
      - 2
      - 0
    .max_flat_workgroup_size: 256
    .name:           _ZN7rocprim17ROCPRIM_400000_NS6detail17trampoline_kernelINS0_14default_configENS1_22reduce_config_selectorIiEEZNS1_11reduce_implILb1ES3_PiS7_iN6hipcub16HIPCUB_304000_NS6detail34convert_binary_result_type_wrapperINS9_3SumENS9_22TransformInputIteratorIbN2at6native12_GLOBAL__N_19NonZeroOpIsEEPKslEEiEEEE10hipError_tPvRmT1_T2_T3_mT4_P12ihipStream_tbEUlT_E1_NS1_11comp_targetILNS1_3genE8ELNS1_11target_archE1030ELNS1_3gpuE2ELNS1_3repE0EEENS1_30default_config_static_selectorELNS0_4arch9wavefront6targetE0EEEvSQ_
    .private_segment_fixed_size: 0
    .sgpr_count:     0
    .sgpr_spill_count: 0
    .symbol:         _ZN7rocprim17ROCPRIM_400000_NS6detail17trampoline_kernelINS0_14default_configENS1_22reduce_config_selectorIiEEZNS1_11reduce_implILb1ES3_PiS7_iN6hipcub16HIPCUB_304000_NS6detail34convert_binary_result_type_wrapperINS9_3SumENS9_22TransformInputIteratorIbN2at6native12_GLOBAL__N_19NonZeroOpIsEEPKslEEiEEEE10hipError_tPvRmT1_T2_T3_mT4_P12ihipStream_tbEUlT_E1_NS1_11comp_targetILNS1_3genE8ELNS1_11target_archE1030ELNS1_3gpuE2ELNS1_3repE0EEENS1_30default_config_static_selectorELNS0_4arch9wavefront6targetE0EEEvSQ_.kd
    .uniform_work_group_size: 1
    .uses_dynamic_stack: false
    .vgpr_count:     0
    .vgpr_spill_count: 0
    .wavefront_size: 32
    .workgroup_processor_mode: 1
  - .args:
      - .offset:         0
        .size:           64
        .value_kind:     by_value
    .group_segment_fixed_size: 0
    .kernarg_segment_align: 8
    .kernarg_segment_size: 64
    .language:       OpenCL C
    .language_version:
      - 2
      - 0
    .max_flat_workgroup_size: 256
    .name:           _ZN7rocprim17ROCPRIM_400000_NS6detail17trampoline_kernelINS0_14default_configENS1_22reduce_config_selectorIbEEZNS1_11reduce_implILb1ES3_N6hipcub16HIPCUB_304000_NS22TransformInputIteratorIbN2at6native12_GLOBAL__N_19NonZeroOpIsEEPKslEEPiiNS8_6detail34convert_binary_result_type_wrapperINS8_3SumESH_iEEEE10hipError_tPvRmT1_T2_T3_mT4_P12ihipStream_tbEUlT_E0_NS1_11comp_targetILNS1_3genE0ELNS1_11target_archE4294967295ELNS1_3gpuE0ELNS1_3repE0EEENS1_30default_config_static_selectorELNS0_4arch9wavefront6targetE0EEEvSQ_
    .private_segment_fixed_size: 0
    .sgpr_count:     0
    .sgpr_spill_count: 0
    .symbol:         _ZN7rocprim17ROCPRIM_400000_NS6detail17trampoline_kernelINS0_14default_configENS1_22reduce_config_selectorIbEEZNS1_11reduce_implILb1ES3_N6hipcub16HIPCUB_304000_NS22TransformInputIteratorIbN2at6native12_GLOBAL__N_19NonZeroOpIsEEPKslEEPiiNS8_6detail34convert_binary_result_type_wrapperINS8_3SumESH_iEEEE10hipError_tPvRmT1_T2_T3_mT4_P12ihipStream_tbEUlT_E0_NS1_11comp_targetILNS1_3genE0ELNS1_11target_archE4294967295ELNS1_3gpuE0ELNS1_3repE0EEENS1_30default_config_static_selectorELNS0_4arch9wavefront6targetE0EEEvSQ_.kd
    .uniform_work_group_size: 1
    .uses_dynamic_stack: false
    .vgpr_count:     0
    .vgpr_spill_count: 0
    .wavefront_size: 32
    .workgroup_processor_mode: 1
  - .args:
      - .offset:         0
        .size:           64
        .value_kind:     by_value
    .group_segment_fixed_size: 0
    .kernarg_segment_align: 8
    .kernarg_segment_size: 64
    .language:       OpenCL C
    .language_version:
      - 2
      - 0
    .max_flat_workgroup_size: 256
    .name:           _ZN7rocprim17ROCPRIM_400000_NS6detail17trampoline_kernelINS0_14default_configENS1_22reduce_config_selectorIbEEZNS1_11reduce_implILb1ES3_N6hipcub16HIPCUB_304000_NS22TransformInputIteratorIbN2at6native12_GLOBAL__N_19NonZeroOpIsEEPKslEEPiiNS8_6detail34convert_binary_result_type_wrapperINS8_3SumESH_iEEEE10hipError_tPvRmT1_T2_T3_mT4_P12ihipStream_tbEUlT_E0_NS1_11comp_targetILNS1_3genE5ELNS1_11target_archE942ELNS1_3gpuE9ELNS1_3repE0EEENS1_30default_config_static_selectorELNS0_4arch9wavefront6targetE0EEEvSQ_
    .private_segment_fixed_size: 0
    .sgpr_count:     0
    .sgpr_spill_count: 0
    .symbol:         _ZN7rocprim17ROCPRIM_400000_NS6detail17trampoline_kernelINS0_14default_configENS1_22reduce_config_selectorIbEEZNS1_11reduce_implILb1ES3_N6hipcub16HIPCUB_304000_NS22TransformInputIteratorIbN2at6native12_GLOBAL__N_19NonZeroOpIsEEPKslEEPiiNS8_6detail34convert_binary_result_type_wrapperINS8_3SumESH_iEEEE10hipError_tPvRmT1_T2_T3_mT4_P12ihipStream_tbEUlT_E0_NS1_11comp_targetILNS1_3genE5ELNS1_11target_archE942ELNS1_3gpuE9ELNS1_3repE0EEENS1_30default_config_static_selectorELNS0_4arch9wavefront6targetE0EEEvSQ_.kd
    .uniform_work_group_size: 1
    .uses_dynamic_stack: false
    .vgpr_count:     0
    .vgpr_spill_count: 0
    .wavefront_size: 32
    .workgroup_processor_mode: 1
  - .args:
      - .offset:         0
        .size:           64
        .value_kind:     by_value
    .group_segment_fixed_size: 0
    .kernarg_segment_align: 8
    .kernarg_segment_size: 64
    .language:       OpenCL C
    .language_version:
      - 2
      - 0
    .max_flat_workgroup_size: 128
    .name:           _ZN7rocprim17ROCPRIM_400000_NS6detail17trampoline_kernelINS0_14default_configENS1_22reduce_config_selectorIbEEZNS1_11reduce_implILb1ES3_N6hipcub16HIPCUB_304000_NS22TransformInputIteratorIbN2at6native12_GLOBAL__N_19NonZeroOpIsEEPKslEEPiiNS8_6detail34convert_binary_result_type_wrapperINS8_3SumESH_iEEEE10hipError_tPvRmT1_T2_T3_mT4_P12ihipStream_tbEUlT_E0_NS1_11comp_targetILNS1_3genE4ELNS1_11target_archE910ELNS1_3gpuE8ELNS1_3repE0EEENS1_30default_config_static_selectorELNS0_4arch9wavefront6targetE0EEEvSQ_
    .private_segment_fixed_size: 0
    .sgpr_count:     0
    .sgpr_spill_count: 0
    .symbol:         _ZN7rocprim17ROCPRIM_400000_NS6detail17trampoline_kernelINS0_14default_configENS1_22reduce_config_selectorIbEEZNS1_11reduce_implILb1ES3_N6hipcub16HIPCUB_304000_NS22TransformInputIteratorIbN2at6native12_GLOBAL__N_19NonZeroOpIsEEPKslEEPiiNS8_6detail34convert_binary_result_type_wrapperINS8_3SumESH_iEEEE10hipError_tPvRmT1_T2_T3_mT4_P12ihipStream_tbEUlT_E0_NS1_11comp_targetILNS1_3genE4ELNS1_11target_archE910ELNS1_3gpuE8ELNS1_3repE0EEENS1_30default_config_static_selectorELNS0_4arch9wavefront6targetE0EEEvSQ_.kd
    .uniform_work_group_size: 1
    .uses_dynamic_stack: false
    .vgpr_count:     0
    .vgpr_spill_count: 0
    .wavefront_size: 32
    .workgroup_processor_mode: 1
  - .args:
      - .offset:         0
        .size:           64
        .value_kind:     by_value
    .group_segment_fixed_size: 0
    .kernarg_segment_align: 8
    .kernarg_segment_size: 64
    .language:       OpenCL C
    .language_version:
      - 2
      - 0
    .max_flat_workgroup_size: 256
    .name:           _ZN7rocprim17ROCPRIM_400000_NS6detail17trampoline_kernelINS0_14default_configENS1_22reduce_config_selectorIbEEZNS1_11reduce_implILb1ES3_N6hipcub16HIPCUB_304000_NS22TransformInputIteratorIbN2at6native12_GLOBAL__N_19NonZeroOpIsEEPKslEEPiiNS8_6detail34convert_binary_result_type_wrapperINS8_3SumESH_iEEEE10hipError_tPvRmT1_T2_T3_mT4_P12ihipStream_tbEUlT_E0_NS1_11comp_targetILNS1_3genE3ELNS1_11target_archE908ELNS1_3gpuE7ELNS1_3repE0EEENS1_30default_config_static_selectorELNS0_4arch9wavefront6targetE0EEEvSQ_
    .private_segment_fixed_size: 0
    .sgpr_count:     0
    .sgpr_spill_count: 0
    .symbol:         _ZN7rocprim17ROCPRIM_400000_NS6detail17trampoline_kernelINS0_14default_configENS1_22reduce_config_selectorIbEEZNS1_11reduce_implILb1ES3_N6hipcub16HIPCUB_304000_NS22TransformInputIteratorIbN2at6native12_GLOBAL__N_19NonZeroOpIsEEPKslEEPiiNS8_6detail34convert_binary_result_type_wrapperINS8_3SumESH_iEEEE10hipError_tPvRmT1_T2_T3_mT4_P12ihipStream_tbEUlT_E0_NS1_11comp_targetILNS1_3genE3ELNS1_11target_archE908ELNS1_3gpuE7ELNS1_3repE0EEENS1_30default_config_static_selectorELNS0_4arch9wavefront6targetE0EEEvSQ_.kd
    .uniform_work_group_size: 1
    .uses_dynamic_stack: false
    .vgpr_count:     0
    .vgpr_spill_count: 0
    .wavefront_size: 32
    .workgroup_processor_mode: 1
  - .args:
      - .offset:         0
        .size:           64
        .value_kind:     by_value
    .group_segment_fixed_size: 0
    .kernarg_segment_align: 8
    .kernarg_segment_size: 64
    .language:       OpenCL C
    .language_version:
      - 2
      - 0
    .max_flat_workgroup_size: 128
    .name:           _ZN7rocprim17ROCPRIM_400000_NS6detail17trampoline_kernelINS0_14default_configENS1_22reduce_config_selectorIbEEZNS1_11reduce_implILb1ES3_N6hipcub16HIPCUB_304000_NS22TransformInputIteratorIbN2at6native12_GLOBAL__N_19NonZeroOpIsEEPKslEEPiiNS8_6detail34convert_binary_result_type_wrapperINS8_3SumESH_iEEEE10hipError_tPvRmT1_T2_T3_mT4_P12ihipStream_tbEUlT_E0_NS1_11comp_targetILNS1_3genE2ELNS1_11target_archE906ELNS1_3gpuE6ELNS1_3repE0EEENS1_30default_config_static_selectorELNS0_4arch9wavefront6targetE0EEEvSQ_
    .private_segment_fixed_size: 0
    .sgpr_count:     0
    .sgpr_spill_count: 0
    .symbol:         _ZN7rocprim17ROCPRIM_400000_NS6detail17trampoline_kernelINS0_14default_configENS1_22reduce_config_selectorIbEEZNS1_11reduce_implILb1ES3_N6hipcub16HIPCUB_304000_NS22TransformInputIteratorIbN2at6native12_GLOBAL__N_19NonZeroOpIsEEPKslEEPiiNS8_6detail34convert_binary_result_type_wrapperINS8_3SumESH_iEEEE10hipError_tPvRmT1_T2_T3_mT4_P12ihipStream_tbEUlT_E0_NS1_11comp_targetILNS1_3genE2ELNS1_11target_archE906ELNS1_3gpuE6ELNS1_3repE0EEENS1_30default_config_static_selectorELNS0_4arch9wavefront6targetE0EEEvSQ_.kd
    .uniform_work_group_size: 1
    .uses_dynamic_stack: false
    .vgpr_count:     0
    .vgpr_spill_count: 0
    .wavefront_size: 32
    .workgroup_processor_mode: 1
  - .args:
      - .offset:         0
        .size:           64
        .value_kind:     by_value
    .group_segment_fixed_size: 0
    .kernarg_segment_align: 8
    .kernarg_segment_size: 64
    .language:       OpenCL C
    .language_version:
      - 2
      - 0
    .max_flat_workgroup_size: 256
    .name:           _ZN7rocprim17ROCPRIM_400000_NS6detail17trampoline_kernelINS0_14default_configENS1_22reduce_config_selectorIbEEZNS1_11reduce_implILb1ES3_N6hipcub16HIPCUB_304000_NS22TransformInputIteratorIbN2at6native12_GLOBAL__N_19NonZeroOpIsEEPKslEEPiiNS8_6detail34convert_binary_result_type_wrapperINS8_3SumESH_iEEEE10hipError_tPvRmT1_T2_T3_mT4_P12ihipStream_tbEUlT_E0_NS1_11comp_targetILNS1_3genE10ELNS1_11target_archE1201ELNS1_3gpuE5ELNS1_3repE0EEENS1_30default_config_static_selectorELNS0_4arch9wavefront6targetE0EEEvSQ_
    .private_segment_fixed_size: 0
    .sgpr_count:     0
    .sgpr_spill_count: 0
    .symbol:         _ZN7rocprim17ROCPRIM_400000_NS6detail17trampoline_kernelINS0_14default_configENS1_22reduce_config_selectorIbEEZNS1_11reduce_implILb1ES3_N6hipcub16HIPCUB_304000_NS22TransformInputIteratorIbN2at6native12_GLOBAL__N_19NonZeroOpIsEEPKslEEPiiNS8_6detail34convert_binary_result_type_wrapperINS8_3SumESH_iEEEE10hipError_tPvRmT1_T2_T3_mT4_P12ihipStream_tbEUlT_E0_NS1_11comp_targetILNS1_3genE10ELNS1_11target_archE1201ELNS1_3gpuE5ELNS1_3repE0EEENS1_30default_config_static_selectorELNS0_4arch9wavefront6targetE0EEEvSQ_.kd
    .uniform_work_group_size: 1
    .uses_dynamic_stack: false
    .vgpr_count:     0
    .vgpr_spill_count: 0
    .wavefront_size: 32
    .workgroup_processor_mode: 1
  - .args:
      - .offset:         0
        .size:           64
        .value_kind:     by_value
    .group_segment_fixed_size: 0
    .kernarg_segment_align: 8
    .kernarg_segment_size: 64
    .language:       OpenCL C
    .language_version:
      - 2
      - 0
    .max_flat_workgroup_size: 256
    .name:           _ZN7rocprim17ROCPRIM_400000_NS6detail17trampoline_kernelINS0_14default_configENS1_22reduce_config_selectorIbEEZNS1_11reduce_implILb1ES3_N6hipcub16HIPCUB_304000_NS22TransformInputIteratorIbN2at6native12_GLOBAL__N_19NonZeroOpIsEEPKslEEPiiNS8_6detail34convert_binary_result_type_wrapperINS8_3SumESH_iEEEE10hipError_tPvRmT1_T2_T3_mT4_P12ihipStream_tbEUlT_E0_NS1_11comp_targetILNS1_3genE10ELNS1_11target_archE1200ELNS1_3gpuE4ELNS1_3repE0EEENS1_30default_config_static_selectorELNS0_4arch9wavefront6targetE0EEEvSQ_
    .private_segment_fixed_size: 0
    .sgpr_count:     0
    .sgpr_spill_count: 0
    .symbol:         _ZN7rocprim17ROCPRIM_400000_NS6detail17trampoline_kernelINS0_14default_configENS1_22reduce_config_selectorIbEEZNS1_11reduce_implILb1ES3_N6hipcub16HIPCUB_304000_NS22TransformInputIteratorIbN2at6native12_GLOBAL__N_19NonZeroOpIsEEPKslEEPiiNS8_6detail34convert_binary_result_type_wrapperINS8_3SumESH_iEEEE10hipError_tPvRmT1_T2_T3_mT4_P12ihipStream_tbEUlT_E0_NS1_11comp_targetILNS1_3genE10ELNS1_11target_archE1200ELNS1_3gpuE4ELNS1_3repE0EEENS1_30default_config_static_selectorELNS0_4arch9wavefront6targetE0EEEvSQ_.kd
    .uniform_work_group_size: 1
    .uses_dynamic_stack: false
    .vgpr_count:     0
    .vgpr_spill_count: 0
    .wavefront_size: 32
    .workgroup_processor_mode: 1
  - .args:
      - .offset:         0
        .size:           64
        .value_kind:     by_value
    .group_segment_fixed_size: 32
    .kernarg_segment_align: 8
    .kernarg_segment_size: 64
    .language:       OpenCL C
    .language_version:
      - 2
      - 0
    .max_flat_workgroup_size: 128
    .name:           _ZN7rocprim17ROCPRIM_400000_NS6detail17trampoline_kernelINS0_14default_configENS1_22reduce_config_selectorIbEEZNS1_11reduce_implILb1ES3_N6hipcub16HIPCUB_304000_NS22TransformInputIteratorIbN2at6native12_GLOBAL__N_19NonZeroOpIsEEPKslEEPiiNS8_6detail34convert_binary_result_type_wrapperINS8_3SumESH_iEEEE10hipError_tPvRmT1_T2_T3_mT4_P12ihipStream_tbEUlT_E0_NS1_11comp_targetILNS1_3genE9ELNS1_11target_archE1100ELNS1_3gpuE3ELNS1_3repE0EEENS1_30default_config_static_selectorELNS0_4arch9wavefront6targetE0EEEvSQ_
    .private_segment_fixed_size: 0
    .sgpr_count:     32
    .sgpr_spill_count: 0
    .symbol:         _ZN7rocprim17ROCPRIM_400000_NS6detail17trampoline_kernelINS0_14default_configENS1_22reduce_config_selectorIbEEZNS1_11reduce_implILb1ES3_N6hipcub16HIPCUB_304000_NS22TransformInputIteratorIbN2at6native12_GLOBAL__N_19NonZeroOpIsEEPKslEEPiiNS8_6detail34convert_binary_result_type_wrapperINS8_3SumESH_iEEEE10hipError_tPvRmT1_T2_T3_mT4_P12ihipStream_tbEUlT_E0_NS1_11comp_targetILNS1_3genE9ELNS1_11target_archE1100ELNS1_3gpuE3ELNS1_3repE0EEENS1_30default_config_static_selectorELNS0_4arch9wavefront6targetE0EEEvSQ_.kd
    .uniform_work_group_size: 1
    .uses_dynamic_stack: false
    .vgpr_count:     20
    .vgpr_spill_count: 0
    .wavefront_size: 32
    .workgroup_processor_mode: 1
  - .args:
      - .offset:         0
        .size:           64
        .value_kind:     by_value
    .group_segment_fixed_size: 0
    .kernarg_segment_align: 8
    .kernarg_segment_size: 64
    .language:       OpenCL C
    .language_version:
      - 2
      - 0
    .max_flat_workgroup_size: 256
    .name:           _ZN7rocprim17ROCPRIM_400000_NS6detail17trampoline_kernelINS0_14default_configENS1_22reduce_config_selectorIbEEZNS1_11reduce_implILb1ES3_N6hipcub16HIPCUB_304000_NS22TransformInputIteratorIbN2at6native12_GLOBAL__N_19NonZeroOpIsEEPKslEEPiiNS8_6detail34convert_binary_result_type_wrapperINS8_3SumESH_iEEEE10hipError_tPvRmT1_T2_T3_mT4_P12ihipStream_tbEUlT_E0_NS1_11comp_targetILNS1_3genE8ELNS1_11target_archE1030ELNS1_3gpuE2ELNS1_3repE0EEENS1_30default_config_static_selectorELNS0_4arch9wavefront6targetE0EEEvSQ_
    .private_segment_fixed_size: 0
    .sgpr_count:     0
    .sgpr_spill_count: 0
    .symbol:         _ZN7rocprim17ROCPRIM_400000_NS6detail17trampoline_kernelINS0_14default_configENS1_22reduce_config_selectorIbEEZNS1_11reduce_implILb1ES3_N6hipcub16HIPCUB_304000_NS22TransformInputIteratorIbN2at6native12_GLOBAL__N_19NonZeroOpIsEEPKslEEPiiNS8_6detail34convert_binary_result_type_wrapperINS8_3SumESH_iEEEE10hipError_tPvRmT1_T2_T3_mT4_P12ihipStream_tbEUlT_E0_NS1_11comp_targetILNS1_3genE8ELNS1_11target_archE1030ELNS1_3gpuE2ELNS1_3repE0EEENS1_30default_config_static_selectorELNS0_4arch9wavefront6targetE0EEEvSQ_.kd
    .uniform_work_group_size: 1
    .uses_dynamic_stack: false
    .vgpr_count:     0
    .vgpr_spill_count: 0
    .wavefront_size: 32
    .workgroup_processor_mode: 1
  - .args:
      - .offset:         0
        .size:           48
        .value_kind:     by_value
    .group_segment_fixed_size: 0
    .kernarg_segment_align: 8
    .kernarg_segment_size: 48
    .language:       OpenCL C
    .language_version:
      - 2
      - 0
    .max_flat_workgroup_size: 256
    .name:           _ZN7rocprim17ROCPRIM_400000_NS6detail17trampoline_kernelINS0_14default_configENS1_22reduce_config_selectorIbEEZNS1_11reduce_implILb1ES3_N6hipcub16HIPCUB_304000_NS22TransformInputIteratorIbN2at6native12_GLOBAL__N_19NonZeroOpIsEEPKslEEPiiNS8_6detail34convert_binary_result_type_wrapperINS8_3SumESH_iEEEE10hipError_tPvRmT1_T2_T3_mT4_P12ihipStream_tbEUlT_E1_NS1_11comp_targetILNS1_3genE0ELNS1_11target_archE4294967295ELNS1_3gpuE0ELNS1_3repE0EEENS1_30default_config_static_selectorELNS0_4arch9wavefront6targetE0EEEvSQ_
    .private_segment_fixed_size: 0
    .sgpr_count:     0
    .sgpr_spill_count: 0
    .symbol:         _ZN7rocprim17ROCPRIM_400000_NS6detail17trampoline_kernelINS0_14default_configENS1_22reduce_config_selectorIbEEZNS1_11reduce_implILb1ES3_N6hipcub16HIPCUB_304000_NS22TransformInputIteratorIbN2at6native12_GLOBAL__N_19NonZeroOpIsEEPKslEEPiiNS8_6detail34convert_binary_result_type_wrapperINS8_3SumESH_iEEEE10hipError_tPvRmT1_T2_T3_mT4_P12ihipStream_tbEUlT_E1_NS1_11comp_targetILNS1_3genE0ELNS1_11target_archE4294967295ELNS1_3gpuE0ELNS1_3repE0EEENS1_30default_config_static_selectorELNS0_4arch9wavefront6targetE0EEEvSQ_.kd
    .uniform_work_group_size: 1
    .uses_dynamic_stack: false
    .vgpr_count:     0
    .vgpr_spill_count: 0
    .wavefront_size: 32
    .workgroup_processor_mode: 1
  - .args:
      - .offset:         0
        .size:           48
        .value_kind:     by_value
    .group_segment_fixed_size: 0
    .kernarg_segment_align: 8
    .kernarg_segment_size: 48
    .language:       OpenCL C
    .language_version:
      - 2
      - 0
    .max_flat_workgroup_size: 256
    .name:           _ZN7rocprim17ROCPRIM_400000_NS6detail17trampoline_kernelINS0_14default_configENS1_22reduce_config_selectorIbEEZNS1_11reduce_implILb1ES3_N6hipcub16HIPCUB_304000_NS22TransformInputIteratorIbN2at6native12_GLOBAL__N_19NonZeroOpIsEEPKslEEPiiNS8_6detail34convert_binary_result_type_wrapperINS8_3SumESH_iEEEE10hipError_tPvRmT1_T2_T3_mT4_P12ihipStream_tbEUlT_E1_NS1_11comp_targetILNS1_3genE5ELNS1_11target_archE942ELNS1_3gpuE9ELNS1_3repE0EEENS1_30default_config_static_selectorELNS0_4arch9wavefront6targetE0EEEvSQ_
    .private_segment_fixed_size: 0
    .sgpr_count:     0
    .sgpr_spill_count: 0
    .symbol:         _ZN7rocprim17ROCPRIM_400000_NS6detail17trampoline_kernelINS0_14default_configENS1_22reduce_config_selectorIbEEZNS1_11reduce_implILb1ES3_N6hipcub16HIPCUB_304000_NS22TransformInputIteratorIbN2at6native12_GLOBAL__N_19NonZeroOpIsEEPKslEEPiiNS8_6detail34convert_binary_result_type_wrapperINS8_3SumESH_iEEEE10hipError_tPvRmT1_T2_T3_mT4_P12ihipStream_tbEUlT_E1_NS1_11comp_targetILNS1_3genE5ELNS1_11target_archE942ELNS1_3gpuE9ELNS1_3repE0EEENS1_30default_config_static_selectorELNS0_4arch9wavefront6targetE0EEEvSQ_.kd
    .uniform_work_group_size: 1
    .uses_dynamic_stack: false
    .vgpr_count:     0
    .vgpr_spill_count: 0
    .wavefront_size: 32
    .workgroup_processor_mode: 1
  - .args:
      - .offset:         0
        .size:           48
        .value_kind:     by_value
    .group_segment_fixed_size: 0
    .kernarg_segment_align: 8
    .kernarg_segment_size: 48
    .language:       OpenCL C
    .language_version:
      - 2
      - 0
    .max_flat_workgroup_size: 128
    .name:           _ZN7rocprim17ROCPRIM_400000_NS6detail17trampoline_kernelINS0_14default_configENS1_22reduce_config_selectorIbEEZNS1_11reduce_implILb1ES3_N6hipcub16HIPCUB_304000_NS22TransformInputIteratorIbN2at6native12_GLOBAL__N_19NonZeroOpIsEEPKslEEPiiNS8_6detail34convert_binary_result_type_wrapperINS8_3SumESH_iEEEE10hipError_tPvRmT1_T2_T3_mT4_P12ihipStream_tbEUlT_E1_NS1_11comp_targetILNS1_3genE4ELNS1_11target_archE910ELNS1_3gpuE8ELNS1_3repE0EEENS1_30default_config_static_selectorELNS0_4arch9wavefront6targetE0EEEvSQ_
    .private_segment_fixed_size: 0
    .sgpr_count:     0
    .sgpr_spill_count: 0
    .symbol:         _ZN7rocprim17ROCPRIM_400000_NS6detail17trampoline_kernelINS0_14default_configENS1_22reduce_config_selectorIbEEZNS1_11reduce_implILb1ES3_N6hipcub16HIPCUB_304000_NS22TransformInputIteratorIbN2at6native12_GLOBAL__N_19NonZeroOpIsEEPKslEEPiiNS8_6detail34convert_binary_result_type_wrapperINS8_3SumESH_iEEEE10hipError_tPvRmT1_T2_T3_mT4_P12ihipStream_tbEUlT_E1_NS1_11comp_targetILNS1_3genE4ELNS1_11target_archE910ELNS1_3gpuE8ELNS1_3repE0EEENS1_30default_config_static_selectorELNS0_4arch9wavefront6targetE0EEEvSQ_.kd
    .uniform_work_group_size: 1
    .uses_dynamic_stack: false
    .vgpr_count:     0
    .vgpr_spill_count: 0
    .wavefront_size: 32
    .workgroup_processor_mode: 1
  - .args:
      - .offset:         0
        .size:           48
        .value_kind:     by_value
    .group_segment_fixed_size: 0
    .kernarg_segment_align: 8
    .kernarg_segment_size: 48
    .language:       OpenCL C
    .language_version:
      - 2
      - 0
    .max_flat_workgroup_size: 256
    .name:           _ZN7rocprim17ROCPRIM_400000_NS6detail17trampoline_kernelINS0_14default_configENS1_22reduce_config_selectorIbEEZNS1_11reduce_implILb1ES3_N6hipcub16HIPCUB_304000_NS22TransformInputIteratorIbN2at6native12_GLOBAL__N_19NonZeroOpIsEEPKslEEPiiNS8_6detail34convert_binary_result_type_wrapperINS8_3SumESH_iEEEE10hipError_tPvRmT1_T2_T3_mT4_P12ihipStream_tbEUlT_E1_NS1_11comp_targetILNS1_3genE3ELNS1_11target_archE908ELNS1_3gpuE7ELNS1_3repE0EEENS1_30default_config_static_selectorELNS0_4arch9wavefront6targetE0EEEvSQ_
    .private_segment_fixed_size: 0
    .sgpr_count:     0
    .sgpr_spill_count: 0
    .symbol:         _ZN7rocprim17ROCPRIM_400000_NS6detail17trampoline_kernelINS0_14default_configENS1_22reduce_config_selectorIbEEZNS1_11reduce_implILb1ES3_N6hipcub16HIPCUB_304000_NS22TransformInputIteratorIbN2at6native12_GLOBAL__N_19NonZeroOpIsEEPKslEEPiiNS8_6detail34convert_binary_result_type_wrapperINS8_3SumESH_iEEEE10hipError_tPvRmT1_T2_T3_mT4_P12ihipStream_tbEUlT_E1_NS1_11comp_targetILNS1_3genE3ELNS1_11target_archE908ELNS1_3gpuE7ELNS1_3repE0EEENS1_30default_config_static_selectorELNS0_4arch9wavefront6targetE0EEEvSQ_.kd
    .uniform_work_group_size: 1
    .uses_dynamic_stack: false
    .vgpr_count:     0
    .vgpr_spill_count: 0
    .wavefront_size: 32
    .workgroup_processor_mode: 1
  - .args:
      - .offset:         0
        .size:           48
        .value_kind:     by_value
    .group_segment_fixed_size: 0
    .kernarg_segment_align: 8
    .kernarg_segment_size: 48
    .language:       OpenCL C
    .language_version:
      - 2
      - 0
    .max_flat_workgroup_size: 128
    .name:           _ZN7rocprim17ROCPRIM_400000_NS6detail17trampoline_kernelINS0_14default_configENS1_22reduce_config_selectorIbEEZNS1_11reduce_implILb1ES3_N6hipcub16HIPCUB_304000_NS22TransformInputIteratorIbN2at6native12_GLOBAL__N_19NonZeroOpIsEEPKslEEPiiNS8_6detail34convert_binary_result_type_wrapperINS8_3SumESH_iEEEE10hipError_tPvRmT1_T2_T3_mT4_P12ihipStream_tbEUlT_E1_NS1_11comp_targetILNS1_3genE2ELNS1_11target_archE906ELNS1_3gpuE6ELNS1_3repE0EEENS1_30default_config_static_selectorELNS0_4arch9wavefront6targetE0EEEvSQ_
    .private_segment_fixed_size: 0
    .sgpr_count:     0
    .sgpr_spill_count: 0
    .symbol:         _ZN7rocprim17ROCPRIM_400000_NS6detail17trampoline_kernelINS0_14default_configENS1_22reduce_config_selectorIbEEZNS1_11reduce_implILb1ES3_N6hipcub16HIPCUB_304000_NS22TransformInputIteratorIbN2at6native12_GLOBAL__N_19NonZeroOpIsEEPKslEEPiiNS8_6detail34convert_binary_result_type_wrapperINS8_3SumESH_iEEEE10hipError_tPvRmT1_T2_T3_mT4_P12ihipStream_tbEUlT_E1_NS1_11comp_targetILNS1_3genE2ELNS1_11target_archE906ELNS1_3gpuE6ELNS1_3repE0EEENS1_30default_config_static_selectorELNS0_4arch9wavefront6targetE0EEEvSQ_.kd
    .uniform_work_group_size: 1
    .uses_dynamic_stack: false
    .vgpr_count:     0
    .vgpr_spill_count: 0
    .wavefront_size: 32
    .workgroup_processor_mode: 1
  - .args:
      - .offset:         0
        .size:           48
        .value_kind:     by_value
    .group_segment_fixed_size: 0
    .kernarg_segment_align: 8
    .kernarg_segment_size: 48
    .language:       OpenCL C
    .language_version:
      - 2
      - 0
    .max_flat_workgroup_size: 256
    .name:           _ZN7rocprim17ROCPRIM_400000_NS6detail17trampoline_kernelINS0_14default_configENS1_22reduce_config_selectorIbEEZNS1_11reduce_implILb1ES3_N6hipcub16HIPCUB_304000_NS22TransformInputIteratorIbN2at6native12_GLOBAL__N_19NonZeroOpIsEEPKslEEPiiNS8_6detail34convert_binary_result_type_wrapperINS8_3SumESH_iEEEE10hipError_tPvRmT1_T2_T3_mT4_P12ihipStream_tbEUlT_E1_NS1_11comp_targetILNS1_3genE10ELNS1_11target_archE1201ELNS1_3gpuE5ELNS1_3repE0EEENS1_30default_config_static_selectorELNS0_4arch9wavefront6targetE0EEEvSQ_
    .private_segment_fixed_size: 0
    .sgpr_count:     0
    .sgpr_spill_count: 0
    .symbol:         _ZN7rocprim17ROCPRIM_400000_NS6detail17trampoline_kernelINS0_14default_configENS1_22reduce_config_selectorIbEEZNS1_11reduce_implILb1ES3_N6hipcub16HIPCUB_304000_NS22TransformInputIteratorIbN2at6native12_GLOBAL__N_19NonZeroOpIsEEPKslEEPiiNS8_6detail34convert_binary_result_type_wrapperINS8_3SumESH_iEEEE10hipError_tPvRmT1_T2_T3_mT4_P12ihipStream_tbEUlT_E1_NS1_11comp_targetILNS1_3genE10ELNS1_11target_archE1201ELNS1_3gpuE5ELNS1_3repE0EEENS1_30default_config_static_selectorELNS0_4arch9wavefront6targetE0EEEvSQ_.kd
    .uniform_work_group_size: 1
    .uses_dynamic_stack: false
    .vgpr_count:     0
    .vgpr_spill_count: 0
    .wavefront_size: 32
    .workgroup_processor_mode: 1
  - .args:
      - .offset:         0
        .size:           48
        .value_kind:     by_value
    .group_segment_fixed_size: 0
    .kernarg_segment_align: 8
    .kernarg_segment_size: 48
    .language:       OpenCL C
    .language_version:
      - 2
      - 0
    .max_flat_workgroup_size: 256
    .name:           _ZN7rocprim17ROCPRIM_400000_NS6detail17trampoline_kernelINS0_14default_configENS1_22reduce_config_selectorIbEEZNS1_11reduce_implILb1ES3_N6hipcub16HIPCUB_304000_NS22TransformInputIteratorIbN2at6native12_GLOBAL__N_19NonZeroOpIsEEPKslEEPiiNS8_6detail34convert_binary_result_type_wrapperINS8_3SumESH_iEEEE10hipError_tPvRmT1_T2_T3_mT4_P12ihipStream_tbEUlT_E1_NS1_11comp_targetILNS1_3genE10ELNS1_11target_archE1200ELNS1_3gpuE4ELNS1_3repE0EEENS1_30default_config_static_selectorELNS0_4arch9wavefront6targetE0EEEvSQ_
    .private_segment_fixed_size: 0
    .sgpr_count:     0
    .sgpr_spill_count: 0
    .symbol:         _ZN7rocprim17ROCPRIM_400000_NS6detail17trampoline_kernelINS0_14default_configENS1_22reduce_config_selectorIbEEZNS1_11reduce_implILb1ES3_N6hipcub16HIPCUB_304000_NS22TransformInputIteratorIbN2at6native12_GLOBAL__N_19NonZeroOpIsEEPKslEEPiiNS8_6detail34convert_binary_result_type_wrapperINS8_3SumESH_iEEEE10hipError_tPvRmT1_T2_T3_mT4_P12ihipStream_tbEUlT_E1_NS1_11comp_targetILNS1_3genE10ELNS1_11target_archE1200ELNS1_3gpuE4ELNS1_3repE0EEENS1_30default_config_static_selectorELNS0_4arch9wavefront6targetE0EEEvSQ_.kd
    .uniform_work_group_size: 1
    .uses_dynamic_stack: false
    .vgpr_count:     0
    .vgpr_spill_count: 0
    .wavefront_size: 32
    .workgroup_processor_mode: 1
  - .args:
      - .offset:         0
        .size:           48
        .value_kind:     by_value
    .group_segment_fixed_size: 144
    .kernarg_segment_align: 8
    .kernarg_segment_size: 48
    .language:       OpenCL C
    .language_version:
      - 2
      - 0
    .max_flat_workgroup_size: 128
    .name:           _ZN7rocprim17ROCPRIM_400000_NS6detail17trampoline_kernelINS0_14default_configENS1_22reduce_config_selectorIbEEZNS1_11reduce_implILb1ES3_N6hipcub16HIPCUB_304000_NS22TransformInputIteratorIbN2at6native12_GLOBAL__N_19NonZeroOpIsEEPKslEEPiiNS8_6detail34convert_binary_result_type_wrapperINS8_3SumESH_iEEEE10hipError_tPvRmT1_T2_T3_mT4_P12ihipStream_tbEUlT_E1_NS1_11comp_targetILNS1_3genE9ELNS1_11target_archE1100ELNS1_3gpuE3ELNS1_3repE0EEENS1_30default_config_static_selectorELNS0_4arch9wavefront6targetE0EEEvSQ_
    .private_segment_fixed_size: 0
    .sgpr_count:     31
    .sgpr_spill_count: 0
    .symbol:         _ZN7rocprim17ROCPRIM_400000_NS6detail17trampoline_kernelINS0_14default_configENS1_22reduce_config_selectorIbEEZNS1_11reduce_implILb1ES3_N6hipcub16HIPCUB_304000_NS22TransformInputIteratorIbN2at6native12_GLOBAL__N_19NonZeroOpIsEEPKslEEPiiNS8_6detail34convert_binary_result_type_wrapperINS8_3SumESH_iEEEE10hipError_tPvRmT1_T2_T3_mT4_P12ihipStream_tbEUlT_E1_NS1_11comp_targetILNS1_3genE9ELNS1_11target_archE1100ELNS1_3gpuE3ELNS1_3repE0EEENS1_30default_config_static_selectorELNS0_4arch9wavefront6targetE0EEEvSQ_.kd
    .uniform_work_group_size: 1
    .uses_dynamic_stack: false
    .vgpr_count:     130
    .vgpr_spill_count: 0
    .wavefront_size: 32
    .workgroup_processor_mode: 1
  - .args:
      - .offset:         0
        .size:           48
        .value_kind:     by_value
    .group_segment_fixed_size: 0
    .kernarg_segment_align: 8
    .kernarg_segment_size: 48
    .language:       OpenCL C
    .language_version:
      - 2
      - 0
    .max_flat_workgroup_size: 256
    .name:           _ZN7rocprim17ROCPRIM_400000_NS6detail17trampoline_kernelINS0_14default_configENS1_22reduce_config_selectorIbEEZNS1_11reduce_implILb1ES3_N6hipcub16HIPCUB_304000_NS22TransformInputIteratorIbN2at6native12_GLOBAL__N_19NonZeroOpIsEEPKslEEPiiNS8_6detail34convert_binary_result_type_wrapperINS8_3SumESH_iEEEE10hipError_tPvRmT1_T2_T3_mT4_P12ihipStream_tbEUlT_E1_NS1_11comp_targetILNS1_3genE8ELNS1_11target_archE1030ELNS1_3gpuE2ELNS1_3repE0EEENS1_30default_config_static_selectorELNS0_4arch9wavefront6targetE0EEEvSQ_
    .private_segment_fixed_size: 0
    .sgpr_count:     0
    .sgpr_spill_count: 0
    .symbol:         _ZN7rocprim17ROCPRIM_400000_NS6detail17trampoline_kernelINS0_14default_configENS1_22reduce_config_selectorIbEEZNS1_11reduce_implILb1ES3_N6hipcub16HIPCUB_304000_NS22TransformInputIteratorIbN2at6native12_GLOBAL__N_19NonZeroOpIsEEPKslEEPiiNS8_6detail34convert_binary_result_type_wrapperINS8_3SumESH_iEEEE10hipError_tPvRmT1_T2_T3_mT4_P12ihipStream_tbEUlT_E1_NS1_11comp_targetILNS1_3genE8ELNS1_11target_archE1030ELNS1_3gpuE2ELNS1_3repE0EEENS1_30default_config_static_selectorELNS0_4arch9wavefront6targetE0EEEvSQ_.kd
    .uniform_work_group_size: 1
    .uses_dynamic_stack: false
    .vgpr_count:     0
    .vgpr_spill_count: 0
    .wavefront_size: 32
    .workgroup_processor_mode: 1
  - .args:
      - .offset:         0
        .size:           120
        .value_kind:     by_value
    .group_segment_fixed_size: 0
    .kernarg_segment_align: 8
    .kernarg_segment_size: 120
    .language:       OpenCL C
    .language_version:
      - 2
      - 0
    .max_flat_workgroup_size: 128
    .name:           _ZN7rocprim17ROCPRIM_400000_NS6detail17trampoline_kernelINS0_14default_configENS1_25partition_config_selectorILNS1_17partition_subalgoE5ElNS0_10empty_typeEbEEZZNS1_14partition_implILS5_5ELb0ES3_mN6hipcub16HIPCUB_304000_NS21CountingInputIteratorIllEEPS6_NSA_22TransformInputIteratorIbN2at6native12_GLOBAL__N_19NonZeroOpIsEEPKslEENS0_5tupleIJPlS6_EEENSN_IJSD_SD_EEES6_PiJS6_EEE10hipError_tPvRmT3_T4_T5_T6_T7_T9_mT8_P12ihipStream_tbDpT10_ENKUlT_T0_E_clISt17integral_constantIbLb0EES1B_EEDaS16_S17_EUlS16_E_NS1_11comp_targetILNS1_3genE0ELNS1_11target_archE4294967295ELNS1_3gpuE0ELNS1_3repE0EEENS1_30default_config_static_selectorELNS0_4arch9wavefront6targetE0EEEvT1_
    .private_segment_fixed_size: 0
    .sgpr_count:     0
    .sgpr_spill_count: 0
    .symbol:         _ZN7rocprim17ROCPRIM_400000_NS6detail17trampoline_kernelINS0_14default_configENS1_25partition_config_selectorILNS1_17partition_subalgoE5ElNS0_10empty_typeEbEEZZNS1_14partition_implILS5_5ELb0ES3_mN6hipcub16HIPCUB_304000_NS21CountingInputIteratorIllEEPS6_NSA_22TransformInputIteratorIbN2at6native12_GLOBAL__N_19NonZeroOpIsEEPKslEENS0_5tupleIJPlS6_EEENSN_IJSD_SD_EEES6_PiJS6_EEE10hipError_tPvRmT3_T4_T5_T6_T7_T9_mT8_P12ihipStream_tbDpT10_ENKUlT_T0_E_clISt17integral_constantIbLb0EES1B_EEDaS16_S17_EUlS16_E_NS1_11comp_targetILNS1_3genE0ELNS1_11target_archE4294967295ELNS1_3gpuE0ELNS1_3repE0EEENS1_30default_config_static_selectorELNS0_4arch9wavefront6targetE0EEEvT1_.kd
    .uniform_work_group_size: 1
    .uses_dynamic_stack: false
    .vgpr_count:     0
    .vgpr_spill_count: 0
    .wavefront_size: 32
    .workgroup_processor_mode: 1
  - .args:
      - .offset:         0
        .size:           120
        .value_kind:     by_value
    .group_segment_fixed_size: 0
    .kernarg_segment_align: 8
    .kernarg_segment_size: 120
    .language:       OpenCL C
    .language_version:
      - 2
      - 0
    .max_flat_workgroup_size: 512
    .name:           _ZN7rocprim17ROCPRIM_400000_NS6detail17trampoline_kernelINS0_14default_configENS1_25partition_config_selectorILNS1_17partition_subalgoE5ElNS0_10empty_typeEbEEZZNS1_14partition_implILS5_5ELb0ES3_mN6hipcub16HIPCUB_304000_NS21CountingInputIteratorIllEEPS6_NSA_22TransformInputIteratorIbN2at6native12_GLOBAL__N_19NonZeroOpIsEEPKslEENS0_5tupleIJPlS6_EEENSN_IJSD_SD_EEES6_PiJS6_EEE10hipError_tPvRmT3_T4_T5_T6_T7_T9_mT8_P12ihipStream_tbDpT10_ENKUlT_T0_E_clISt17integral_constantIbLb0EES1B_EEDaS16_S17_EUlS16_E_NS1_11comp_targetILNS1_3genE5ELNS1_11target_archE942ELNS1_3gpuE9ELNS1_3repE0EEENS1_30default_config_static_selectorELNS0_4arch9wavefront6targetE0EEEvT1_
    .private_segment_fixed_size: 0
    .sgpr_count:     0
    .sgpr_spill_count: 0
    .symbol:         _ZN7rocprim17ROCPRIM_400000_NS6detail17trampoline_kernelINS0_14default_configENS1_25partition_config_selectorILNS1_17partition_subalgoE5ElNS0_10empty_typeEbEEZZNS1_14partition_implILS5_5ELb0ES3_mN6hipcub16HIPCUB_304000_NS21CountingInputIteratorIllEEPS6_NSA_22TransformInputIteratorIbN2at6native12_GLOBAL__N_19NonZeroOpIsEEPKslEENS0_5tupleIJPlS6_EEENSN_IJSD_SD_EEES6_PiJS6_EEE10hipError_tPvRmT3_T4_T5_T6_T7_T9_mT8_P12ihipStream_tbDpT10_ENKUlT_T0_E_clISt17integral_constantIbLb0EES1B_EEDaS16_S17_EUlS16_E_NS1_11comp_targetILNS1_3genE5ELNS1_11target_archE942ELNS1_3gpuE9ELNS1_3repE0EEENS1_30default_config_static_selectorELNS0_4arch9wavefront6targetE0EEEvT1_.kd
    .uniform_work_group_size: 1
    .uses_dynamic_stack: false
    .vgpr_count:     0
    .vgpr_spill_count: 0
    .wavefront_size: 32
    .workgroup_processor_mode: 1
  - .args:
      - .offset:         0
        .size:           120
        .value_kind:     by_value
    .group_segment_fixed_size: 0
    .kernarg_segment_align: 8
    .kernarg_segment_size: 120
    .language:       OpenCL C
    .language_version:
      - 2
      - 0
    .max_flat_workgroup_size: 192
    .name:           _ZN7rocprim17ROCPRIM_400000_NS6detail17trampoline_kernelINS0_14default_configENS1_25partition_config_selectorILNS1_17partition_subalgoE5ElNS0_10empty_typeEbEEZZNS1_14partition_implILS5_5ELb0ES3_mN6hipcub16HIPCUB_304000_NS21CountingInputIteratorIllEEPS6_NSA_22TransformInputIteratorIbN2at6native12_GLOBAL__N_19NonZeroOpIsEEPKslEENS0_5tupleIJPlS6_EEENSN_IJSD_SD_EEES6_PiJS6_EEE10hipError_tPvRmT3_T4_T5_T6_T7_T9_mT8_P12ihipStream_tbDpT10_ENKUlT_T0_E_clISt17integral_constantIbLb0EES1B_EEDaS16_S17_EUlS16_E_NS1_11comp_targetILNS1_3genE4ELNS1_11target_archE910ELNS1_3gpuE8ELNS1_3repE0EEENS1_30default_config_static_selectorELNS0_4arch9wavefront6targetE0EEEvT1_
    .private_segment_fixed_size: 0
    .sgpr_count:     0
    .sgpr_spill_count: 0
    .symbol:         _ZN7rocprim17ROCPRIM_400000_NS6detail17trampoline_kernelINS0_14default_configENS1_25partition_config_selectorILNS1_17partition_subalgoE5ElNS0_10empty_typeEbEEZZNS1_14partition_implILS5_5ELb0ES3_mN6hipcub16HIPCUB_304000_NS21CountingInputIteratorIllEEPS6_NSA_22TransformInputIteratorIbN2at6native12_GLOBAL__N_19NonZeroOpIsEEPKslEENS0_5tupleIJPlS6_EEENSN_IJSD_SD_EEES6_PiJS6_EEE10hipError_tPvRmT3_T4_T5_T6_T7_T9_mT8_P12ihipStream_tbDpT10_ENKUlT_T0_E_clISt17integral_constantIbLb0EES1B_EEDaS16_S17_EUlS16_E_NS1_11comp_targetILNS1_3genE4ELNS1_11target_archE910ELNS1_3gpuE8ELNS1_3repE0EEENS1_30default_config_static_selectorELNS0_4arch9wavefront6targetE0EEEvT1_.kd
    .uniform_work_group_size: 1
    .uses_dynamic_stack: false
    .vgpr_count:     0
    .vgpr_spill_count: 0
    .wavefront_size: 32
    .workgroup_processor_mode: 1
  - .args:
      - .offset:         0
        .size:           120
        .value_kind:     by_value
    .group_segment_fixed_size: 0
    .kernarg_segment_align: 8
    .kernarg_segment_size: 120
    .language:       OpenCL C
    .language_version:
      - 2
      - 0
    .max_flat_workgroup_size: 128
    .name:           _ZN7rocprim17ROCPRIM_400000_NS6detail17trampoline_kernelINS0_14default_configENS1_25partition_config_selectorILNS1_17partition_subalgoE5ElNS0_10empty_typeEbEEZZNS1_14partition_implILS5_5ELb0ES3_mN6hipcub16HIPCUB_304000_NS21CountingInputIteratorIllEEPS6_NSA_22TransformInputIteratorIbN2at6native12_GLOBAL__N_19NonZeroOpIsEEPKslEENS0_5tupleIJPlS6_EEENSN_IJSD_SD_EEES6_PiJS6_EEE10hipError_tPvRmT3_T4_T5_T6_T7_T9_mT8_P12ihipStream_tbDpT10_ENKUlT_T0_E_clISt17integral_constantIbLb0EES1B_EEDaS16_S17_EUlS16_E_NS1_11comp_targetILNS1_3genE3ELNS1_11target_archE908ELNS1_3gpuE7ELNS1_3repE0EEENS1_30default_config_static_selectorELNS0_4arch9wavefront6targetE0EEEvT1_
    .private_segment_fixed_size: 0
    .sgpr_count:     0
    .sgpr_spill_count: 0
    .symbol:         _ZN7rocprim17ROCPRIM_400000_NS6detail17trampoline_kernelINS0_14default_configENS1_25partition_config_selectorILNS1_17partition_subalgoE5ElNS0_10empty_typeEbEEZZNS1_14partition_implILS5_5ELb0ES3_mN6hipcub16HIPCUB_304000_NS21CountingInputIteratorIllEEPS6_NSA_22TransformInputIteratorIbN2at6native12_GLOBAL__N_19NonZeroOpIsEEPKslEENS0_5tupleIJPlS6_EEENSN_IJSD_SD_EEES6_PiJS6_EEE10hipError_tPvRmT3_T4_T5_T6_T7_T9_mT8_P12ihipStream_tbDpT10_ENKUlT_T0_E_clISt17integral_constantIbLb0EES1B_EEDaS16_S17_EUlS16_E_NS1_11comp_targetILNS1_3genE3ELNS1_11target_archE908ELNS1_3gpuE7ELNS1_3repE0EEENS1_30default_config_static_selectorELNS0_4arch9wavefront6targetE0EEEvT1_.kd
    .uniform_work_group_size: 1
    .uses_dynamic_stack: false
    .vgpr_count:     0
    .vgpr_spill_count: 0
    .wavefront_size: 32
    .workgroup_processor_mode: 1
  - .args:
      - .offset:         0
        .size:           120
        .value_kind:     by_value
    .group_segment_fixed_size: 0
    .kernarg_segment_align: 8
    .kernarg_segment_size: 120
    .language:       OpenCL C
    .language_version:
      - 2
      - 0
    .max_flat_workgroup_size: 256
    .name:           _ZN7rocprim17ROCPRIM_400000_NS6detail17trampoline_kernelINS0_14default_configENS1_25partition_config_selectorILNS1_17partition_subalgoE5ElNS0_10empty_typeEbEEZZNS1_14partition_implILS5_5ELb0ES3_mN6hipcub16HIPCUB_304000_NS21CountingInputIteratorIllEEPS6_NSA_22TransformInputIteratorIbN2at6native12_GLOBAL__N_19NonZeroOpIsEEPKslEENS0_5tupleIJPlS6_EEENSN_IJSD_SD_EEES6_PiJS6_EEE10hipError_tPvRmT3_T4_T5_T6_T7_T9_mT8_P12ihipStream_tbDpT10_ENKUlT_T0_E_clISt17integral_constantIbLb0EES1B_EEDaS16_S17_EUlS16_E_NS1_11comp_targetILNS1_3genE2ELNS1_11target_archE906ELNS1_3gpuE6ELNS1_3repE0EEENS1_30default_config_static_selectorELNS0_4arch9wavefront6targetE0EEEvT1_
    .private_segment_fixed_size: 0
    .sgpr_count:     0
    .sgpr_spill_count: 0
    .symbol:         _ZN7rocprim17ROCPRIM_400000_NS6detail17trampoline_kernelINS0_14default_configENS1_25partition_config_selectorILNS1_17partition_subalgoE5ElNS0_10empty_typeEbEEZZNS1_14partition_implILS5_5ELb0ES3_mN6hipcub16HIPCUB_304000_NS21CountingInputIteratorIllEEPS6_NSA_22TransformInputIteratorIbN2at6native12_GLOBAL__N_19NonZeroOpIsEEPKslEENS0_5tupleIJPlS6_EEENSN_IJSD_SD_EEES6_PiJS6_EEE10hipError_tPvRmT3_T4_T5_T6_T7_T9_mT8_P12ihipStream_tbDpT10_ENKUlT_T0_E_clISt17integral_constantIbLb0EES1B_EEDaS16_S17_EUlS16_E_NS1_11comp_targetILNS1_3genE2ELNS1_11target_archE906ELNS1_3gpuE6ELNS1_3repE0EEENS1_30default_config_static_selectorELNS0_4arch9wavefront6targetE0EEEvT1_.kd
    .uniform_work_group_size: 1
    .uses_dynamic_stack: false
    .vgpr_count:     0
    .vgpr_spill_count: 0
    .wavefront_size: 32
    .workgroup_processor_mode: 1
  - .args:
      - .offset:         0
        .size:           120
        .value_kind:     by_value
    .group_segment_fixed_size: 0
    .kernarg_segment_align: 8
    .kernarg_segment_size: 120
    .language:       OpenCL C
    .language_version:
      - 2
      - 0
    .max_flat_workgroup_size: 256
    .name:           _ZN7rocprim17ROCPRIM_400000_NS6detail17trampoline_kernelINS0_14default_configENS1_25partition_config_selectorILNS1_17partition_subalgoE5ElNS0_10empty_typeEbEEZZNS1_14partition_implILS5_5ELb0ES3_mN6hipcub16HIPCUB_304000_NS21CountingInputIteratorIllEEPS6_NSA_22TransformInputIteratorIbN2at6native12_GLOBAL__N_19NonZeroOpIsEEPKslEENS0_5tupleIJPlS6_EEENSN_IJSD_SD_EEES6_PiJS6_EEE10hipError_tPvRmT3_T4_T5_T6_T7_T9_mT8_P12ihipStream_tbDpT10_ENKUlT_T0_E_clISt17integral_constantIbLb0EES1B_EEDaS16_S17_EUlS16_E_NS1_11comp_targetILNS1_3genE10ELNS1_11target_archE1200ELNS1_3gpuE4ELNS1_3repE0EEENS1_30default_config_static_selectorELNS0_4arch9wavefront6targetE0EEEvT1_
    .private_segment_fixed_size: 0
    .sgpr_count:     0
    .sgpr_spill_count: 0
    .symbol:         _ZN7rocprim17ROCPRIM_400000_NS6detail17trampoline_kernelINS0_14default_configENS1_25partition_config_selectorILNS1_17partition_subalgoE5ElNS0_10empty_typeEbEEZZNS1_14partition_implILS5_5ELb0ES3_mN6hipcub16HIPCUB_304000_NS21CountingInputIteratorIllEEPS6_NSA_22TransformInputIteratorIbN2at6native12_GLOBAL__N_19NonZeroOpIsEEPKslEENS0_5tupleIJPlS6_EEENSN_IJSD_SD_EEES6_PiJS6_EEE10hipError_tPvRmT3_T4_T5_T6_T7_T9_mT8_P12ihipStream_tbDpT10_ENKUlT_T0_E_clISt17integral_constantIbLb0EES1B_EEDaS16_S17_EUlS16_E_NS1_11comp_targetILNS1_3genE10ELNS1_11target_archE1200ELNS1_3gpuE4ELNS1_3repE0EEENS1_30default_config_static_selectorELNS0_4arch9wavefront6targetE0EEEvT1_.kd
    .uniform_work_group_size: 1
    .uses_dynamic_stack: false
    .vgpr_count:     0
    .vgpr_spill_count: 0
    .wavefront_size: 32
    .workgroup_processor_mode: 1
  - .args:
      - .offset:         0
        .size:           120
        .value_kind:     by_value
    .group_segment_fixed_size: 6160
    .kernarg_segment_align: 8
    .kernarg_segment_size: 120
    .language:       OpenCL C
    .language_version:
      - 2
      - 0
    .max_flat_workgroup_size: 128
    .name:           _ZN7rocprim17ROCPRIM_400000_NS6detail17trampoline_kernelINS0_14default_configENS1_25partition_config_selectorILNS1_17partition_subalgoE5ElNS0_10empty_typeEbEEZZNS1_14partition_implILS5_5ELb0ES3_mN6hipcub16HIPCUB_304000_NS21CountingInputIteratorIllEEPS6_NSA_22TransformInputIteratorIbN2at6native12_GLOBAL__N_19NonZeroOpIsEEPKslEENS0_5tupleIJPlS6_EEENSN_IJSD_SD_EEES6_PiJS6_EEE10hipError_tPvRmT3_T4_T5_T6_T7_T9_mT8_P12ihipStream_tbDpT10_ENKUlT_T0_E_clISt17integral_constantIbLb0EES1B_EEDaS16_S17_EUlS16_E_NS1_11comp_targetILNS1_3genE9ELNS1_11target_archE1100ELNS1_3gpuE3ELNS1_3repE0EEENS1_30default_config_static_selectorELNS0_4arch9wavefront6targetE0EEEvT1_
    .private_segment_fixed_size: 0
    .sgpr_count:     23
    .sgpr_spill_count: 0
    .symbol:         _ZN7rocprim17ROCPRIM_400000_NS6detail17trampoline_kernelINS0_14default_configENS1_25partition_config_selectorILNS1_17partition_subalgoE5ElNS0_10empty_typeEbEEZZNS1_14partition_implILS5_5ELb0ES3_mN6hipcub16HIPCUB_304000_NS21CountingInputIteratorIllEEPS6_NSA_22TransformInputIteratorIbN2at6native12_GLOBAL__N_19NonZeroOpIsEEPKslEENS0_5tupleIJPlS6_EEENSN_IJSD_SD_EEES6_PiJS6_EEE10hipError_tPvRmT3_T4_T5_T6_T7_T9_mT8_P12ihipStream_tbDpT10_ENKUlT_T0_E_clISt17integral_constantIbLb0EES1B_EEDaS16_S17_EUlS16_E_NS1_11comp_targetILNS1_3genE9ELNS1_11target_archE1100ELNS1_3gpuE3ELNS1_3repE0EEENS1_30default_config_static_selectorELNS0_4arch9wavefront6targetE0EEEvT1_.kd
    .uniform_work_group_size: 1
    .uses_dynamic_stack: false
    .vgpr_count:     57
    .vgpr_spill_count: 0
    .wavefront_size: 32
    .workgroup_processor_mode: 1
  - .args:
      - .offset:         0
        .size:           120
        .value_kind:     by_value
    .group_segment_fixed_size: 0
    .kernarg_segment_align: 8
    .kernarg_segment_size: 120
    .language:       OpenCL C
    .language_version:
      - 2
      - 0
    .max_flat_workgroup_size: 512
    .name:           _ZN7rocprim17ROCPRIM_400000_NS6detail17trampoline_kernelINS0_14default_configENS1_25partition_config_selectorILNS1_17partition_subalgoE5ElNS0_10empty_typeEbEEZZNS1_14partition_implILS5_5ELb0ES3_mN6hipcub16HIPCUB_304000_NS21CountingInputIteratorIllEEPS6_NSA_22TransformInputIteratorIbN2at6native12_GLOBAL__N_19NonZeroOpIsEEPKslEENS0_5tupleIJPlS6_EEENSN_IJSD_SD_EEES6_PiJS6_EEE10hipError_tPvRmT3_T4_T5_T6_T7_T9_mT8_P12ihipStream_tbDpT10_ENKUlT_T0_E_clISt17integral_constantIbLb0EES1B_EEDaS16_S17_EUlS16_E_NS1_11comp_targetILNS1_3genE8ELNS1_11target_archE1030ELNS1_3gpuE2ELNS1_3repE0EEENS1_30default_config_static_selectorELNS0_4arch9wavefront6targetE0EEEvT1_
    .private_segment_fixed_size: 0
    .sgpr_count:     0
    .sgpr_spill_count: 0
    .symbol:         _ZN7rocprim17ROCPRIM_400000_NS6detail17trampoline_kernelINS0_14default_configENS1_25partition_config_selectorILNS1_17partition_subalgoE5ElNS0_10empty_typeEbEEZZNS1_14partition_implILS5_5ELb0ES3_mN6hipcub16HIPCUB_304000_NS21CountingInputIteratorIllEEPS6_NSA_22TransformInputIteratorIbN2at6native12_GLOBAL__N_19NonZeroOpIsEEPKslEENS0_5tupleIJPlS6_EEENSN_IJSD_SD_EEES6_PiJS6_EEE10hipError_tPvRmT3_T4_T5_T6_T7_T9_mT8_P12ihipStream_tbDpT10_ENKUlT_T0_E_clISt17integral_constantIbLb0EES1B_EEDaS16_S17_EUlS16_E_NS1_11comp_targetILNS1_3genE8ELNS1_11target_archE1030ELNS1_3gpuE2ELNS1_3repE0EEENS1_30default_config_static_selectorELNS0_4arch9wavefront6targetE0EEEvT1_.kd
    .uniform_work_group_size: 1
    .uses_dynamic_stack: false
    .vgpr_count:     0
    .vgpr_spill_count: 0
    .wavefront_size: 32
    .workgroup_processor_mode: 1
  - .args:
      - .offset:         0
        .size:           136
        .value_kind:     by_value
    .group_segment_fixed_size: 0
    .kernarg_segment_align: 8
    .kernarg_segment_size: 136
    .language:       OpenCL C
    .language_version:
      - 2
      - 0
    .max_flat_workgroup_size: 128
    .name:           _ZN7rocprim17ROCPRIM_400000_NS6detail17trampoline_kernelINS0_14default_configENS1_25partition_config_selectorILNS1_17partition_subalgoE5ElNS0_10empty_typeEbEEZZNS1_14partition_implILS5_5ELb0ES3_mN6hipcub16HIPCUB_304000_NS21CountingInputIteratorIllEEPS6_NSA_22TransformInputIteratorIbN2at6native12_GLOBAL__N_19NonZeroOpIsEEPKslEENS0_5tupleIJPlS6_EEENSN_IJSD_SD_EEES6_PiJS6_EEE10hipError_tPvRmT3_T4_T5_T6_T7_T9_mT8_P12ihipStream_tbDpT10_ENKUlT_T0_E_clISt17integral_constantIbLb1EES1B_EEDaS16_S17_EUlS16_E_NS1_11comp_targetILNS1_3genE0ELNS1_11target_archE4294967295ELNS1_3gpuE0ELNS1_3repE0EEENS1_30default_config_static_selectorELNS0_4arch9wavefront6targetE0EEEvT1_
    .private_segment_fixed_size: 0
    .sgpr_count:     0
    .sgpr_spill_count: 0
    .symbol:         _ZN7rocprim17ROCPRIM_400000_NS6detail17trampoline_kernelINS0_14default_configENS1_25partition_config_selectorILNS1_17partition_subalgoE5ElNS0_10empty_typeEbEEZZNS1_14partition_implILS5_5ELb0ES3_mN6hipcub16HIPCUB_304000_NS21CountingInputIteratorIllEEPS6_NSA_22TransformInputIteratorIbN2at6native12_GLOBAL__N_19NonZeroOpIsEEPKslEENS0_5tupleIJPlS6_EEENSN_IJSD_SD_EEES6_PiJS6_EEE10hipError_tPvRmT3_T4_T5_T6_T7_T9_mT8_P12ihipStream_tbDpT10_ENKUlT_T0_E_clISt17integral_constantIbLb1EES1B_EEDaS16_S17_EUlS16_E_NS1_11comp_targetILNS1_3genE0ELNS1_11target_archE4294967295ELNS1_3gpuE0ELNS1_3repE0EEENS1_30default_config_static_selectorELNS0_4arch9wavefront6targetE0EEEvT1_.kd
    .uniform_work_group_size: 1
    .uses_dynamic_stack: false
    .vgpr_count:     0
    .vgpr_spill_count: 0
    .wavefront_size: 32
    .workgroup_processor_mode: 1
  - .args:
      - .offset:         0
        .size:           136
        .value_kind:     by_value
    .group_segment_fixed_size: 0
    .kernarg_segment_align: 8
    .kernarg_segment_size: 136
    .language:       OpenCL C
    .language_version:
      - 2
      - 0
    .max_flat_workgroup_size: 512
    .name:           _ZN7rocprim17ROCPRIM_400000_NS6detail17trampoline_kernelINS0_14default_configENS1_25partition_config_selectorILNS1_17partition_subalgoE5ElNS0_10empty_typeEbEEZZNS1_14partition_implILS5_5ELb0ES3_mN6hipcub16HIPCUB_304000_NS21CountingInputIteratorIllEEPS6_NSA_22TransformInputIteratorIbN2at6native12_GLOBAL__N_19NonZeroOpIsEEPKslEENS0_5tupleIJPlS6_EEENSN_IJSD_SD_EEES6_PiJS6_EEE10hipError_tPvRmT3_T4_T5_T6_T7_T9_mT8_P12ihipStream_tbDpT10_ENKUlT_T0_E_clISt17integral_constantIbLb1EES1B_EEDaS16_S17_EUlS16_E_NS1_11comp_targetILNS1_3genE5ELNS1_11target_archE942ELNS1_3gpuE9ELNS1_3repE0EEENS1_30default_config_static_selectorELNS0_4arch9wavefront6targetE0EEEvT1_
    .private_segment_fixed_size: 0
    .sgpr_count:     0
    .sgpr_spill_count: 0
    .symbol:         _ZN7rocprim17ROCPRIM_400000_NS6detail17trampoline_kernelINS0_14default_configENS1_25partition_config_selectorILNS1_17partition_subalgoE5ElNS0_10empty_typeEbEEZZNS1_14partition_implILS5_5ELb0ES3_mN6hipcub16HIPCUB_304000_NS21CountingInputIteratorIllEEPS6_NSA_22TransformInputIteratorIbN2at6native12_GLOBAL__N_19NonZeroOpIsEEPKslEENS0_5tupleIJPlS6_EEENSN_IJSD_SD_EEES6_PiJS6_EEE10hipError_tPvRmT3_T4_T5_T6_T7_T9_mT8_P12ihipStream_tbDpT10_ENKUlT_T0_E_clISt17integral_constantIbLb1EES1B_EEDaS16_S17_EUlS16_E_NS1_11comp_targetILNS1_3genE5ELNS1_11target_archE942ELNS1_3gpuE9ELNS1_3repE0EEENS1_30default_config_static_selectorELNS0_4arch9wavefront6targetE0EEEvT1_.kd
    .uniform_work_group_size: 1
    .uses_dynamic_stack: false
    .vgpr_count:     0
    .vgpr_spill_count: 0
    .wavefront_size: 32
    .workgroup_processor_mode: 1
  - .args:
      - .offset:         0
        .size:           136
        .value_kind:     by_value
    .group_segment_fixed_size: 0
    .kernarg_segment_align: 8
    .kernarg_segment_size: 136
    .language:       OpenCL C
    .language_version:
      - 2
      - 0
    .max_flat_workgroup_size: 192
    .name:           _ZN7rocprim17ROCPRIM_400000_NS6detail17trampoline_kernelINS0_14default_configENS1_25partition_config_selectorILNS1_17partition_subalgoE5ElNS0_10empty_typeEbEEZZNS1_14partition_implILS5_5ELb0ES3_mN6hipcub16HIPCUB_304000_NS21CountingInputIteratorIllEEPS6_NSA_22TransformInputIteratorIbN2at6native12_GLOBAL__N_19NonZeroOpIsEEPKslEENS0_5tupleIJPlS6_EEENSN_IJSD_SD_EEES6_PiJS6_EEE10hipError_tPvRmT3_T4_T5_T6_T7_T9_mT8_P12ihipStream_tbDpT10_ENKUlT_T0_E_clISt17integral_constantIbLb1EES1B_EEDaS16_S17_EUlS16_E_NS1_11comp_targetILNS1_3genE4ELNS1_11target_archE910ELNS1_3gpuE8ELNS1_3repE0EEENS1_30default_config_static_selectorELNS0_4arch9wavefront6targetE0EEEvT1_
    .private_segment_fixed_size: 0
    .sgpr_count:     0
    .sgpr_spill_count: 0
    .symbol:         _ZN7rocprim17ROCPRIM_400000_NS6detail17trampoline_kernelINS0_14default_configENS1_25partition_config_selectorILNS1_17partition_subalgoE5ElNS0_10empty_typeEbEEZZNS1_14partition_implILS5_5ELb0ES3_mN6hipcub16HIPCUB_304000_NS21CountingInputIteratorIllEEPS6_NSA_22TransformInputIteratorIbN2at6native12_GLOBAL__N_19NonZeroOpIsEEPKslEENS0_5tupleIJPlS6_EEENSN_IJSD_SD_EEES6_PiJS6_EEE10hipError_tPvRmT3_T4_T5_T6_T7_T9_mT8_P12ihipStream_tbDpT10_ENKUlT_T0_E_clISt17integral_constantIbLb1EES1B_EEDaS16_S17_EUlS16_E_NS1_11comp_targetILNS1_3genE4ELNS1_11target_archE910ELNS1_3gpuE8ELNS1_3repE0EEENS1_30default_config_static_selectorELNS0_4arch9wavefront6targetE0EEEvT1_.kd
    .uniform_work_group_size: 1
    .uses_dynamic_stack: false
    .vgpr_count:     0
    .vgpr_spill_count: 0
    .wavefront_size: 32
    .workgroup_processor_mode: 1
  - .args:
      - .offset:         0
        .size:           136
        .value_kind:     by_value
    .group_segment_fixed_size: 0
    .kernarg_segment_align: 8
    .kernarg_segment_size: 136
    .language:       OpenCL C
    .language_version:
      - 2
      - 0
    .max_flat_workgroup_size: 128
    .name:           _ZN7rocprim17ROCPRIM_400000_NS6detail17trampoline_kernelINS0_14default_configENS1_25partition_config_selectorILNS1_17partition_subalgoE5ElNS0_10empty_typeEbEEZZNS1_14partition_implILS5_5ELb0ES3_mN6hipcub16HIPCUB_304000_NS21CountingInputIteratorIllEEPS6_NSA_22TransformInputIteratorIbN2at6native12_GLOBAL__N_19NonZeroOpIsEEPKslEENS0_5tupleIJPlS6_EEENSN_IJSD_SD_EEES6_PiJS6_EEE10hipError_tPvRmT3_T4_T5_T6_T7_T9_mT8_P12ihipStream_tbDpT10_ENKUlT_T0_E_clISt17integral_constantIbLb1EES1B_EEDaS16_S17_EUlS16_E_NS1_11comp_targetILNS1_3genE3ELNS1_11target_archE908ELNS1_3gpuE7ELNS1_3repE0EEENS1_30default_config_static_selectorELNS0_4arch9wavefront6targetE0EEEvT1_
    .private_segment_fixed_size: 0
    .sgpr_count:     0
    .sgpr_spill_count: 0
    .symbol:         _ZN7rocprim17ROCPRIM_400000_NS6detail17trampoline_kernelINS0_14default_configENS1_25partition_config_selectorILNS1_17partition_subalgoE5ElNS0_10empty_typeEbEEZZNS1_14partition_implILS5_5ELb0ES3_mN6hipcub16HIPCUB_304000_NS21CountingInputIteratorIllEEPS6_NSA_22TransformInputIteratorIbN2at6native12_GLOBAL__N_19NonZeroOpIsEEPKslEENS0_5tupleIJPlS6_EEENSN_IJSD_SD_EEES6_PiJS6_EEE10hipError_tPvRmT3_T4_T5_T6_T7_T9_mT8_P12ihipStream_tbDpT10_ENKUlT_T0_E_clISt17integral_constantIbLb1EES1B_EEDaS16_S17_EUlS16_E_NS1_11comp_targetILNS1_3genE3ELNS1_11target_archE908ELNS1_3gpuE7ELNS1_3repE0EEENS1_30default_config_static_selectorELNS0_4arch9wavefront6targetE0EEEvT1_.kd
    .uniform_work_group_size: 1
    .uses_dynamic_stack: false
    .vgpr_count:     0
    .vgpr_spill_count: 0
    .wavefront_size: 32
    .workgroup_processor_mode: 1
  - .args:
      - .offset:         0
        .size:           136
        .value_kind:     by_value
    .group_segment_fixed_size: 0
    .kernarg_segment_align: 8
    .kernarg_segment_size: 136
    .language:       OpenCL C
    .language_version:
      - 2
      - 0
    .max_flat_workgroup_size: 256
    .name:           _ZN7rocprim17ROCPRIM_400000_NS6detail17trampoline_kernelINS0_14default_configENS1_25partition_config_selectorILNS1_17partition_subalgoE5ElNS0_10empty_typeEbEEZZNS1_14partition_implILS5_5ELb0ES3_mN6hipcub16HIPCUB_304000_NS21CountingInputIteratorIllEEPS6_NSA_22TransformInputIteratorIbN2at6native12_GLOBAL__N_19NonZeroOpIsEEPKslEENS0_5tupleIJPlS6_EEENSN_IJSD_SD_EEES6_PiJS6_EEE10hipError_tPvRmT3_T4_T5_T6_T7_T9_mT8_P12ihipStream_tbDpT10_ENKUlT_T0_E_clISt17integral_constantIbLb1EES1B_EEDaS16_S17_EUlS16_E_NS1_11comp_targetILNS1_3genE2ELNS1_11target_archE906ELNS1_3gpuE6ELNS1_3repE0EEENS1_30default_config_static_selectorELNS0_4arch9wavefront6targetE0EEEvT1_
    .private_segment_fixed_size: 0
    .sgpr_count:     0
    .sgpr_spill_count: 0
    .symbol:         _ZN7rocprim17ROCPRIM_400000_NS6detail17trampoline_kernelINS0_14default_configENS1_25partition_config_selectorILNS1_17partition_subalgoE5ElNS0_10empty_typeEbEEZZNS1_14partition_implILS5_5ELb0ES3_mN6hipcub16HIPCUB_304000_NS21CountingInputIteratorIllEEPS6_NSA_22TransformInputIteratorIbN2at6native12_GLOBAL__N_19NonZeroOpIsEEPKslEENS0_5tupleIJPlS6_EEENSN_IJSD_SD_EEES6_PiJS6_EEE10hipError_tPvRmT3_T4_T5_T6_T7_T9_mT8_P12ihipStream_tbDpT10_ENKUlT_T0_E_clISt17integral_constantIbLb1EES1B_EEDaS16_S17_EUlS16_E_NS1_11comp_targetILNS1_3genE2ELNS1_11target_archE906ELNS1_3gpuE6ELNS1_3repE0EEENS1_30default_config_static_selectorELNS0_4arch9wavefront6targetE0EEEvT1_.kd
    .uniform_work_group_size: 1
    .uses_dynamic_stack: false
    .vgpr_count:     0
    .vgpr_spill_count: 0
    .wavefront_size: 32
    .workgroup_processor_mode: 1
  - .args:
      - .offset:         0
        .size:           136
        .value_kind:     by_value
    .group_segment_fixed_size: 0
    .kernarg_segment_align: 8
    .kernarg_segment_size: 136
    .language:       OpenCL C
    .language_version:
      - 2
      - 0
    .max_flat_workgroup_size: 256
    .name:           _ZN7rocprim17ROCPRIM_400000_NS6detail17trampoline_kernelINS0_14default_configENS1_25partition_config_selectorILNS1_17partition_subalgoE5ElNS0_10empty_typeEbEEZZNS1_14partition_implILS5_5ELb0ES3_mN6hipcub16HIPCUB_304000_NS21CountingInputIteratorIllEEPS6_NSA_22TransformInputIteratorIbN2at6native12_GLOBAL__N_19NonZeroOpIsEEPKslEENS0_5tupleIJPlS6_EEENSN_IJSD_SD_EEES6_PiJS6_EEE10hipError_tPvRmT3_T4_T5_T6_T7_T9_mT8_P12ihipStream_tbDpT10_ENKUlT_T0_E_clISt17integral_constantIbLb1EES1B_EEDaS16_S17_EUlS16_E_NS1_11comp_targetILNS1_3genE10ELNS1_11target_archE1200ELNS1_3gpuE4ELNS1_3repE0EEENS1_30default_config_static_selectorELNS0_4arch9wavefront6targetE0EEEvT1_
    .private_segment_fixed_size: 0
    .sgpr_count:     0
    .sgpr_spill_count: 0
    .symbol:         _ZN7rocprim17ROCPRIM_400000_NS6detail17trampoline_kernelINS0_14default_configENS1_25partition_config_selectorILNS1_17partition_subalgoE5ElNS0_10empty_typeEbEEZZNS1_14partition_implILS5_5ELb0ES3_mN6hipcub16HIPCUB_304000_NS21CountingInputIteratorIllEEPS6_NSA_22TransformInputIteratorIbN2at6native12_GLOBAL__N_19NonZeroOpIsEEPKslEENS0_5tupleIJPlS6_EEENSN_IJSD_SD_EEES6_PiJS6_EEE10hipError_tPvRmT3_T4_T5_T6_T7_T9_mT8_P12ihipStream_tbDpT10_ENKUlT_T0_E_clISt17integral_constantIbLb1EES1B_EEDaS16_S17_EUlS16_E_NS1_11comp_targetILNS1_3genE10ELNS1_11target_archE1200ELNS1_3gpuE4ELNS1_3repE0EEENS1_30default_config_static_selectorELNS0_4arch9wavefront6targetE0EEEvT1_.kd
    .uniform_work_group_size: 1
    .uses_dynamic_stack: false
    .vgpr_count:     0
    .vgpr_spill_count: 0
    .wavefront_size: 32
    .workgroup_processor_mode: 1
  - .args:
      - .offset:         0
        .size:           136
        .value_kind:     by_value
    .group_segment_fixed_size: 6160
    .kernarg_segment_align: 8
    .kernarg_segment_size: 136
    .language:       OpenCL C
    .language_version:
      - 2
      - 0
    .max_flat_workgroup_size: 128
    .name:           _ZN7rocprim17ROCPRIM_400000_NS6detail17trampoline_kernelINS0_14default_configENS1_25partition_config_selectorILNS1_17partition_subalgoE5ElNS0_10empty_typeEbEEZZNS1_14partition_implILS5_5ELb0ES3_mN6hipcub16HIPCUB_304000_NS21CountingInputIteratorIllEEPS6_NSA_22TransformInputIteratorIbN2at6native12_GLOBAL__N_19NonZeroOpIsEEPKslEENS0_5tupleIJPlS6_EEENSN_IJSD_SD_EEES6_PiJS6_EEE10hipError_tPvRmT3_T4_T5_T6_T7_T9_mT8_P12ihipStream_tbDpT10_ENKUlT_T0_E_clISt17integral_constantIbLb1EES1B_EEDaS16_S17_EUlS16_E_NS1_11comp_targetILNS1_3genE9ELNS1_11target_archE1100ELNS1_3gpuE3ELNS1_3repE0EEENS1_30default_config_static_selectorELNS0_4arch9wavefront6targetE0EEEvT1_
    .private_segment_fixed_size: 0
    .sgpr_count:     26
    .sgpr_spill_count: 0
    .symbol:         _ZN7rocprim17ROCPRIM_400000_NS6detail17trampoline_kernelINS0_14default_configENS1_25partition_config_selectorILNS1_17partition_subalgoE5ElNS0_10empty_typeEbEEZZNS1_14partition_implILS5_5ELb0ES3_mN6hipcub16HIPCUB_304000_NS21CountingInputIteratorIllEEPS6_NSA_22TransformInputIteratorIbN2at6native12_GLOBAL__N_19NonZeroOpIsEEPKslEENS0_5tupleIJPlS6_EEENSN_IJSD_SD_EEES6_PiJS6_EEE10hipError_tPvRmT3_T4_T5_T6_T7_T9_mT8_P12ihipStream_tbDpT10_ENKUlT_T0_E_clISt17integral_constantIbLb1EES1B_EEDaS16_S17_EUlS16_E_NS1_11comp_targetILNS1_3genE9ELNS1_11target_archE1100ELNS1_3gpuE3ELNS1_3repE0EEENS1_30default_config_static_selectorELNS0_4arch9wavefront6targetE0EEEvT1_.kd
    .uniform_work_group_size: 1
    .uses_dynamic_stack: false
    .vgpr_count:     57
    .vgpr_spill_count: 0
    .wavefront_size: 32
    .workgroup_processor_mode: 1
  - .args:
      - .offset:         0
        .size:           136
        .value_kind:     by_value
    .group_segment_fixed_size: 0
    .kernarg_segment_align: 8
    .kernarg_segment_size: 136
    .language:       OpenCL C
    .language_version:
      - 2
      - 0
    .max_flat_workgroup_size: 512
    .name:           _ZN7rocprim17ROCPRIM_400000_NS6detail17trampoline_kernelINS0_14default_configENS1_25partition_config_selectorILNS1_17partition_subalgoE5ElNS0_10empty_typeEbEEZZNS1_14partition_implILS5_5ELb0ES3_mN6hipcub16HIPCUB_304000_NS21CountingInputIteratorIllEEPS6_NSA_22TransformInputIteratorIbN2at6native12_GLOBAL__N_19NonZeroOpIsEEPKslEENS0_5tupleIJPlS6_EEENSN_IJSD_SD_EEES6_PiJS6_EEE10hipError_tPvRmT3_T4_T5_T6_T7_T9_mT8_P12ihipStream_tbDpT10_ENKUlT_T0_E_clISt17integral_constantIbLb1EES1B_EEDaS16_S17_EUlS16_E_NS1_11comp_targetILNS1_3genE8ELNS1_11target_archE1030ELNS1_3gpuE2ELNS1_3repE0EEENS1_30default_config_static_selectorELNS0_4arch9wavefront6targetE0EEEvT1_
    .private_segment_fixed_size: 0
    .sgpr_count:     0
    .sgpr_spill_count: 0
    .symbol:         _ZN7rocprim17ROCPRIM_400000_NS6detail17trampoline_kernelINS0_14default_configENS1_25partition_config_selectorILNS1_17partition_subalgoE5ElNS0_10empty_typeEbEEZZNS1_14partition_implILS5_5ELb0ES3_mN6hipcub16HIPCUB_304000_NS21CountingInputIteratorIllEEPS6_NSA_22TransformInputIteratorIbN2at6native12_GLOBAL__N_19NonZeroOpIsEEPKslEENS0_5tupleIJPlS6_EEENSN_IJSD_SD_EEES6_PiJS6_EEE10hipError_tPvRmT3_T4_T5_T6_T7_T9_mT8_P12ihipStream_tbDpT10_ENKUlT_T0_E_clISt17integral_constantIbLb1EES1B_EEDaS16_S17_EUlS16_E_NS1_11comp_targetILNS1_3genE8ELNS1_11target_archE1030ELNS1_3gpuE2ELNS1_3repE0EEENS1_30default_config_static_selectorELNS0_4arch9wavefront6targetE0EEEvT1_.kd
    .uniform_work_group_size: 1
    .uses_dynamic_stack: false
    .vgpr_count:     0
    .vgpr_spill_count: 0
    .wavefront_size: 32
    .workgroup_processor_mode: 1
  - .args:
      - .offset:         0
        .size:           120
        .value_kind:     by_value
    .group_segment_fixed_size: 0
    .kernarg_segment_align: 8
    .kernarg_segment_size: 120
    .language:       OpenCL C
    .language_version:
      - 2
      - 0
    .max_flat_workgroup_size: 128
    .name:           _ZN7rocprim17ROCPRIM_400000_NS6detail17trampoline_kernelINS0_14default_configENS1_25partition_config_selectorILNS1_17partition_subalgoE5ElNS0_10empty_typeEbEEZZNS1_14partition_implILS5_5ELb0ES3_mN6hipcub16HIPCUB_304000_NS21CountingInputIteratorIllEEPS6_NSA_22TransformInputIteratorIbN2at6native12_GLOBAL__N_19NonZeroOpIsEEPKslEENS0_5tupleIJPlS6_EEENSN_IJSD_SD_EEES6_PiJS6_EEE10hipError_tPvRmT3_T4_T5_T6_T7_T9_mT8_P12ihipStream_tbDpT10_ENKUlT_T0_E_clISt17integral_constantIbLb1EES1A_IbLb0EEEEDaS16_S17_EUlS16_E_NS1_11comp_targetILNS1_3genE0ELNS1_11target_archE4294967295ELNS1_3gpuE0ELNS1_3repE0EEENS1_30default_config_static_selectorELNS0_4arch9wavefront6targetE0EEEvT1_
    .private_segment_fixed_size: 0
    .sgpr_count:     0
    .sgpr_spill_count: 0
    .symbol:         _ZN7rocprim17ROCPRIM_400000_NS6detail17trampoline_kernelINS0_14default_configENS1_25partition_config_selectorILNS1_17partition_subalgoE5ElNS0_10empty_typeEbEEZZNS1_14partition_implILS5_5ELb0ES3_mN6hipcub16HIPCUB_304000_NS21CountingInputIteratorIllEEPS6_NSA_22TransformInputIteratorIbN2at6native12_GLOBAL__N_19NonZeroOpIsEEPKslEENS0_5tupleIJPlS6_EEENSN_IJSD_SD_EEES6_PiJS6_EEE10hipError_tPvRmT3_T4_T5_T6_T7_T9_mT8_P12ihipStream_tbDpT10_ENKUlT_T0_E_clISt17integral_constantIbLb1EES1A_IbLb0EEEEDaS16_S17_EUlS16_E_NS1_11comp_targetILNS1_3genE0ELNS1_11target_archE4294967295ELNS1_3gpuE0ELNS1_3repE0EEENS1_30default_config_static_selectorELNS0_4arch9wavefront6targetE0EEEvT1_.kd
    .uniform_work_group_size: 1
    .uses_dynamic_stack: false
    .vgpr_count:     0
    .vgpr_spill_count: 0
    .wavefront_size: 32
    .workgroup_processor_mode: 1
  - .args:
      - .offset:         0
        .size:           120
        .value_kind:     by_value
    .group_segment_fixed_size: 0
    .kernarg_segment_align: 8
    .kernarg_segment_size: 120
    .language:       OpenCL C
    .language_version:
      - 2
      - 0
    .max_flat_workgroup_size: 512
    .name:           _ZN7rocprim17ROCPRIM_400000_NS6detail17trampoline_kernelINS0_14default_configENS1_25partition_config_selectorILNS1_17partition_subalgoE5ElNS0_10empty_typeEbEEZZNS1_14partition_implILS5_5ELb0ES3_mN6hipcub16HIPCUB_304000_NS21CountingInputIteratorIllEEPS6_NSA_22TransformInputIteratorIbN2at6native12_GLOBAL__N_19NonZeroOpIsEEPKslEENS0_5tupleIJPlS6_EEENSN_IJSD_SD_EEES6_PiJS6_EEE10hipError_tPvRmT3_T4_T5_T6_T7_T9_mT8_P12ihipStream_tbDpT10_ENKUlT_T0_E_clISt17integral_constantIbLb1EES1A_IbLb0EEEEDaS16_S17_EUlS16_E_NS1_11comp_targetILNS1_3genE5ELNS1_11target_archE942ELNS1_3gpuE9ELNS1_3repE0EEENS1_30default_config_static_selectorELNS0_4arch9wavefront6targetE0EEEvT1_
    .private_segment_fixed_size: 0
    .sgpr_count:     0
    .sgpr_spill_count: 0
    .symbol:         _ZN7rocprim17ROCPRIM_400000_NS6detail17trampoline_kernelINS0_14default_configENS1_25partition_config_selectorILNS1_17partition_subalgoE5ElNS0_10empty_typeEbEEZZNS1_14partition_implILS5_5ELb0ES3_mN6hipcub16HIPCUB_304000_NS21CountingInputIteratorIllEEPS6_NSA_22TransformInputIteratorIbN2at6native12_GLOBAL__N_19NonZeroOpIsEEPKslEENS0_5tupleIJPlS6_EEENSN_IJSD_SD_EEES6_PiJS6_EEE10hipError_tPvRmT3_T4_T5_T6_T7_T9_mT8_P12ihipStream_tbDpT10_ENKUlT_T0_E_clISt17integral_constantIbLb1EES1A_IbLb0EEEEDaS16_S17_EUlS16_E_NS1_11comp_targetILNS1_3genE5ELNS1_11target_archE942ELNS1_3gpuE9ELNS1_3repE0EEENS1_30default_config_static_selectorELNS0_4arch9wavefront6targetE0EEEvT1_.kd
    .uniform_work_group_size: 1
    .uses_dynamic_stack: false
    .vgpr_count:     0
    .vgpr_spill_count: 0
    .wavefront_size: 32
    .workgroup_processor_mode: 1
  - .args:
      - .offset:         0
        .size:           120
        .value_kind:     by_value
    .group_segment_fixed_size: 0
    .kernarg_segment_align: 8
    .kernarg_segment_size: 120
    .language:       OpenCL C
    .language_version:
      - 2
      - 0
    .max_flat_workgroup_size: 192
    .name:           _ZN7rocprim17ROCPRIM_400000_NS6detail17trampoline_kernelINS0_14default_configENS1_25partition_config_selectorILNS1_17partition_subalgoE5ElNS0_10empty_typeEbEEZZNS1_14partition_implILS5_5ELb0ES3_mN6hipcub16HIPCUB_304000_NS21CountingInputIteratorIllEEPS6_NSA_22TransformInputIteratorIbN2at6native12_GLOBAL__N_19NonZeroOpIsEEPKslEENS0_5tupleIJPlS6_EEENSN_IJSD_SD_EEES6_PiJS6_EEE10hipError_tPvRmT3_T4_T5_T6_T7_T9_mT8_P12ihipStream_tbDpT10_ENKUlT_T0_E_clISt17integral_constantIbLb1EES1A_IbLb0EEEEDaS16_S17_EUlS16_E_NS1_11comp_targetILNS1_3genE4ELNS1_11target_archE910ELNS1_3gpuE8ELNS1_3repE0EEENS1_30default_config_static_selectorELNS0_4arch9wavefront6targetE0EEEvT1_
    .private_segment_fixed_size: 0
    .sgpr_count:     0
    .sgpr_spill_count: 0
    .symbol:         _ZN7rocprim17ROCPRIM_400000_NS6detail17trampoline_kernelINS0_14default_configENS1_25partition_config_selectorILNS1_17partition_subalgoE5ElNS0_10empty_typeEbEEZZNS1_14partition_implILS5_5ELb0ES3_mN6hipcub16HIPCUB_304000_NS21CountingInputIteratorIllEEPS6_NSA_22TransformInputIteratorIbN2at6native12_GLOBAL__N_19NonZeroOpIsEEPKslEENS0_5tupleIJPlS6_EEENSN_IJSD_SD_EEES6_PiJS6_EEE10hipError_tPvRmT3_T4_T5_T6_T7_T9_mT8_P12ihipStream_tbDpT10_ENKUlT_T0_E_clISt17integral_constantIbLb1EES1A_IbLb0EEEEDaS16_S17_EUlS16_E_NS1_11comp_targetILNS1_3genE4ELNS1_11target_archE910ELNS1_3gpuE8ELNS1_3repE0EEENS1_30default_config_static_selectorELNS0_4arch9wavefront6targetE0EEEvT1_.kd
    .uniform_work_group_size: 1
    .uses_dynamic_stack: false
    .vgpr_count:     0
    .vgpr_spill_count: 0
    .wavefront_size: 32
    .workgroup_processor_mode: 1
  - .args:
      - .offset:         0
        .size:           120
        .value_kind:     by_value
    .group_segment_fixed_size: 0
    .kernarg_segment_align: 8
    .kernarg_segment_size: 120
    .language:       OpenCL C
    .language_version:
      - 2
      - 0
    .max_flat_workgroup_size: 128
    .name:           _ZN7rocprim17ROCPRIM_400000_NS6detail17trampoline_kernelINS0_14default_configENS1_25partition_config_selectorILNS1_17partition_subalgoE5ElNS0_10empty_typeEbEEZZNS1_14partition_implILS5_5ELb0ES3_mN6hipcub16HIPCUB_304000_NS21CountingInputIteratorIllEEPS6_NSA_22TransformInputIteratorIbN2at6native12_GLOBAL__N_19NonZeroOpIsEEPKslEENS0_5tupleIJPlS6_EEENSN_IJSD_SD_EEES6_PiJS6_EEE10hipError_tPvRmT3_T4_T5_T6_T7_T9_mT8_P12ihipStream_tbDpT10_ENKUlT_T0_E_clISt17integral_constantIbLb1EES1A_IbLb0EEEEDaS16_S17_EUlS16_E_NS1_11comp_targetILNS1_3genE3ELNS1_11target_archE908ELNS1_3gpuE7ELNS1_3repE0EEENS1_30default_config_static_selectorELNS0_4arch9wavefront6targetE0EEEvT1_
    .private_segment_fixed_size: 0
    .sgpr_count:     0
    .sgpr_spill_count: 0
    .symbol:         _ZN7rocprim17ROCPRIM_400000_NS6detail17trampoline_kernelINS0_14default_configENS1_25partition_config_selectorILNS1_17partition_subalgoE5ElNS0_10empty_typeEbEEZZNS1_14partition_implILS5_5ELb0ES3_mN6hipcub16HIPCUB_304000_NS21CountingInputIteratorIllEEPS6_NSA_22TransformInputIteratorIbN2at6native12_GLOBAL__N_19NonZeroOpIsEEPKslEENS0_5tupleIJPlS6_EEENSN_IJSD_SD_EEES6_PiJS6_EEE10hipError_tPvRmT3_T4_T5_T6_T7_T9_mT8_P12ihipStream_tbDpT10_ENKUlT_T0_E_clISt17integral_constantIbLb1EES1A_IbLb0EEEEDaS16_S17_EUlS16_E_NS1_11comp_targetILNS1_3genE3ELNS1_11target_archE908ELNS1_3gpuE7ELNS1_3repE0EEENS1_30default_config_static_selectorELNS0_4arch9wavefront6targetE0EEEvT1_.kd
    .uniform_work_group_size: 1
    .uses_dynamic_stack: false
    .vgpr_count:     0
    .vgpr_spill_count: 0
    .wavefront_size: 32
    .workgroup_processor_mode: 1
  - .args:
      - .offset:         0
        .size:           120
        .value_kind:     by_value
    .group_segment_fixed_size: 0
    .kernarg_segment_align: 8
    .kernarg_segment_size: 120
    .language:       OpenCL C
    .language_version:
      - 2
      - 0
    .max_flat_workgroup_size: 256
    .name:           _ZN7rocprim17ROCPRIM_400000_NS6detail17trampoline_kernelINS0_14default_configENS1_25partition_config_selectorILNS1_17partition_subalgoE5ElNS0_10empty_typeEbEEZZNS1_14partition_implILS5_5ELb0ES3_mN6hipcub16HIPCUB_304000_NS21CountingInputIteratorIllEEPS6_NSA_22TransformInputIteratorIbN2at6native12_GLOBAL__N_19NonZeroOpIsEEPKslEENS0_5tupleIJPlS6_EEENSN_IJSD_SD_EEES6_PiJS6_EEE10hipError_tPvRmT3_T4_T5_T6_T7_T9_mT8_P12ihipStream_tbDpT10_ENKUlT_T0_E_clISt17integral_constantIbLb1EES1A_IbLb0EEEEDaS16_S17_EUlS16_E_NS1_11comp_targetILNS1_3genE2ELNS1_11target_archE906ELNS1_3gpuE6ELNS1_3repE0EEENS1_30default_config_static_selectorELNS0_4arch9wavefront6targetE0EEEvT1_
    .private_segment_fixed_size: 0
    .sgpr_count:     0
    .sgpr_spill_count: 0
    .symbol:         _ZN7rocprim17ROCPRIM_400000_NS6detail17trampoline_kernelINS0_14default_configENS1_25partition_config_selectorILNS1_17partition_subalgoE5ElNS0_10empty_typeEbEEZZNS1_14partition_implILS5_5ELb0ES3_mN6hipcub16HIPCUB_304000_NS21CountingInputIteratorIllEEPS6_NSA_22TransformInputIteratorIbN2at6native12_GLOBAL__N_19NonZeroOpIsEEPKslEENS0_5tupleIJPlS6_EEENSN_IJSD_SD_EEES6_PiJS6_EEE10hipError_tPvRmT3_T4_T5_T6_T7_T9_mT8_P12ihipStream_tbDpT10_ENKUlT_T0_E_clISt17integral_constantIbLb1EES1A_IbLb0EEEEDaS16_S17_EUlS16_E_NS1_11comp_targetILNS1_3genE2ELNS1_11target_archE906ELNS1_3gpuE6ELNS1_3repE0EEENS1_30default_config_static_selectorELNS0_4arch9wavefront6targetE0EEEvT1_.kd
    .uniform_work_group_size: 1
    .uses_dynamic_stack: false
    .vgpr_count:     0
    .vgpr_spill_count: 0
    .wavefront_size: 32
    .workgroup_processor_mode: 1
  - .args:
      - .offset:         0
        .size:           120
        .value_kind:     by_value
    .group_segment_fixed_size: 0
    .kernarg_segment_align: 8
    .kernarg_segment_size: 120
    .language:       OpenCL C
    .language_version:
      - 2
      - 0
    .max_flat_workgroup_size: 256
    .name:           _ZN7rocprim17ROCPRIM_400000_NS6detail17trampoline_kernelINS0_14default_configENS1_25partition_config_selectorILNS1_17partition_subalgoE5ElNS0_10empty_typeEbEEZZNS1_14partition_implILS5_5ELb0ES3_mN6hipcub16HIPCUB_304000_NS21CountingInputIteratorIllEEPS6_NSA_22TransformInputIteratorIbN2at6native12_GLOBAL__N_19NonZeroOpIsEEPKslEENS0_5tupleIJPlS6_EEENSN_IJSD_SD_EEES6_PiJS6_EEE10hipError_tPvRmT3_T4_T5_T6_T7_T9_mT8_P12ihipStream_tbDpT10_ENKUlT_T0_E_clISt17integral_constantIbLb1EES1A_IbLb0EEEEDaS16_S17_EUlS16_E_NS1_11comp_targetILNS1_3genE10ELNS1_11target_archE1200ELNS1_3gpuE4ELNS1_3repE0EEENS1_30default_config_static_selectorELNS0_4arch9wavefront6targetE0EEEvT1_
    .private_segment_fixed_size: 0
    .sgpr_count:     0
    .sgpr_spill_count: 0
    .symbol:         _ZN7rocprim17ROCPRIM_400000_NS6detail17trampoline_kernelINS0_14default_configENS1_25partition_config_selectorILNS1_17partition_subalgoE5ElNS0_10empty_typeEbEEZZNS1_14partition_implILS5_5ELb0ES3_mN6hipcub16HIPCUB_304000_NS21CountingInputIteratorIllEEPS6_NSA_22TransformInputIteratorIbN2at6native12_GLOBAL__N_19NonZeroOpIsEEPKslEENS0_5tupleIJPlS6_EEENSN_IJSD_SD_EEES6_PiJS6_EEE10hipError_tPvRmT3_T4_T5_T6_T7_T9_mT8_P12ihipStream_tbDpT10_ENKUlT_T0_E_clISt17integral_constantIbLb1EES1A_IbLb0EEEEDaS16_S17_EUlS16_E_NS1_11comp_targetILNS1_3genE10ELNS1_11target_archE1200ELNS1_3gpuE4ELNS1_3repE0EEENS1_30default_config_static_selectorELNS0_4arch9wavefront6targetE0EEEvT1_.kd
    .uniform_work_group_size: 1
    .uses_dynamic_stack: false
    .vgpr_count:     0
    .vgpr_spill_count: 0
    .wavefront_size: 32
    .workgroup_processor_mode: 1
  - .args:
      - .offset:         0
        .size:           120
        .value_kind:     by_value
    .group_segment_fixed_size: 6160
    .kernarg_segment_align: 8
    .kernarg_segment_size: 120
    .language:       OpenCL C
    .language_version:
      - 2
      - 0
    .max_flat_workgroup_size: 128
    .name:           _ZN7rocprim17ROCPRIM_400000_NS6detail17trampoline_kernelINS0_14default_configENS1_25partition_config_selectorILNS1_17partition_subalgoE5ElNS0_10empty_typeEbEEZZNS1_14partition_implILS5_5ELb0ES3_mN6hipcub16HIPCUB_304000_NS21CountingInputIteratorIllEEPS6_NSA_22TransformInputIteratorIbN2at6native12_GLOBAL__N_19NonZeroOpIsEEPKslEENS0_5tupleIJPlS6_EEENSN_IJSD_SD_EEES6_PiJS6_EEE10hipError_tPvRmT3_T4_T5_T6_T7_T9_mT8_P12ihipStream_tbDpT10_ENKUlT_T0_E_clISt17integral_constantIbLb1EES1A_IbLb0EEEEDaS16_S17_EUlS16_E_NS1_11comp_targetILNS1_3genE9ELNS1_11target_archE1100ELNS1_3gpuE3ELNS1_3repE0EEENS1_30default_config_static_selectorELNS0_4arch9wavefront6targetE0EEEvT1_
    .private_segment_fixed_size: 0
    .sgpr_count:     23
    .sgpr_spill_count: 0
    .symbol:         _ZN7rocprim17ROCPRIM_400000_NS6detail17trampoline_kernelINS0_14default_configENS1_25partition_config_selectorILNS1_17partition_subalgoE5ElNS0_10empty_typeEbEEZZNS1_14partition_implILS5_5ELb0ES3_mN6hipcub16HIPCUB_304000_NS21CountingInputIteratorIllEEPS6_NSA_22TransformInputIteratorIbN2at6native12_GLOBAL__N_19NonZeroOpIsEEPKslEENS0_5tupleIJPlS6_EEENSN_IJSD_SD_EEES6_PiJS6_EEE10hipError_tPvRmT3_T4_T5_T6_T7_T9_mT8_P12ihipStream_tbDpT10_ENKUlT_T0_E_clISt17integral_constantIbLb1EES1A_IbLb0EEEEDaS16_S17_EUlS16_E_NS1_11comp_targetILNS1_3genE9ELNS1_11target_archE1100ELNS1_3gpuE3ELNS1_3repE0EEENS1_30default_config_static_selectorELNS0_4arch9wavefront6targetE0EEEvT1_.kd
    .uniform_work_group_size: 1
    .uses_dynamic_stack: false
    .vgpr_count:     57
    .vgpr_spill_count: 0
    .wavefront_size: 32
    .workgroup_processor_mode: 1
  - .args:
      - .offset:         0
        .size:           120
        .value_kind:     by_value
    .group_segment_fixed_size: 0
    .kernarg_segment_align: 8
    .kernarg_segment_size: 120
    .language:       OpenCL C
    .language_version:
      - 2
      - 0
    .max_flat_workgroup_size: 512
    .name:           _ZN7rocprim17ROCPRIM_400000_NS6detail17trampoline_kernelINS0_14default_configENS1_25partition_config_selectorILNS1_17partition_subalgoE5ElNS0_10empty_typeEbEEZZNS1_14partition_implILS5_5ELb0ES3_mN6hipcub16HIPCUB_304000_NS21CountingInputIteratorIllEEPS6_NSA_22TransformInputIteratorIbN2at6native12_GLOBAL__N_19NonZeroOpIsEEPKslEENS0_5tupleIJPlS6_EEENSN_IJSD_SD_EEES6_PiJS6_EEE10hipError_tPvRmT3_T4_T5_T6_T7_T9_mT8_P12ihipStream_tbDpT10_ENKUlT_T0_E_clISt17integral_constantIbLb1EES1A_IbLb0EEEEDaS16_S17_EUlS16_E_NS1_11comp_targetILNS1_3genE8ELNS1_11target_archE1030ELNS1_3gpuE2ELNS1_3repE0EEENS1_30default_config_static_selectorELNS0_4arch9wavefront6targetE0EEEvT1_
    .private_segment_fixed_size: 0
    .sgpr_count:     0
    .sgpr_spill_count: 0
    .symbol:         _ZN7rocprim17ROCPRIM_400000_NS6detail17trampoline_kernelINS0_14default_configENS1_25partition_config_selectorILNS1_17partition_subalgoE5ElNS0_10empty_typeEbEEZZNS1_14partition_implILS5_5ELb0ES3_mN6hipcub16HIPCUB_304000_NS21CountingInputIteratorIllEEPS6_NSA_22TransformInputIteratorIbN2at6native12_GLOBAL__N_19NonZeroOpIsEEPKslEENS0_5tupleIJPlS6_EEENSN_IJSD_SD_EEES6_PiJS6_EEE10hipError_tPvRmT3_T4_T5_T6_T7_T9_mT8_P12ihipStream_tbDpT10_ENKUlT_T0_E_clISt17integral_constantIbLb1EES1A_IbLb0EEEEDaS16_S17_EUlS16_E_NS1_11comp_targetILNS1_3genE8ELNS1_11target_archE1030ELNS1_3gpuE2ELNS1_3repE0EEENS1_30default_config_static_selectorELNS0_4arch9wavefront6targetE0EEEvT1_.kd
    .uniform_work_group_size: 1
    .uses_dynamic_stack: false
    .vgpr_count:     0
    .vgpr_spill_count: 0
    .wavefront_size: 32
    .workgroup_processor_mode: 1
  - .args:
      - .offset:         0
        .size:           136
        .value_kind:     by_value
    .group_segment_fixed_size: 0
    .kernarg_segment_align: 8
    .kernarg_segment_size: 136
    .language:       OpenCL C
    .language_version:
      - 2
      - 0
    .max_flat_workgroup_size: 128
    .name:           _ZN7rocprim17ROCPRIM_400000_NS6detail17trampoline_kernelINS0_14default_configENS1_25partition_config_selectorILNS1_17partition_subalgoE5ElNS0_10empty_typeEbEEZZNS1_14partition_implILS5_5ELb0ES3_mN6hipcub16HIPCUB_304000_NS21CountingInputIteratorIllEEPS6_NSA_22TransformInputIteratorIbN2at6native12_GLOBAL__N_19NonZeroOpIsEEPKslEENS0_5tupleIJPlS6_EEENSN_IJSD_SD_EEES6_PiJS6_EEE10hipError_tPvRmT3_T4_T5_T6_T7_T9_mT8_P12ihipStream_tbDpT10_ENKUlT_T0_E_clISt17integral_constantIbLb0EES1A_IbLb1EEEEDaS16_S17_EUlS16_E_NS1_11comp_targetILNS1_3genE0ELNS1_11target_archE4294967295ELNS1_3gpuE0ELNS1_3repE0EEENS1_30default_config_static_selectorELNS0_4arch9wavefront6targetE0EEEvT1_
    .private_segment_fixed_size: 0
    .sgpr_count:     0
    .sgpr_spill_count: 0
    .symbol:         _ZN7rocprim17ROCPRIM_400000_NS6detail17trampoline_kernelINS0_14default_configENS1_25partition_config_selectorILNS1_17partition_subalgoE5ElNS0_10empty_typeEbEEZZNS1_14partition_implILS5_5ELb0ES3_mN6hipcub16HIPCUB_304000_NS21CountingInputIteratorIllEEPS6_NSA_22TransformInputIteratorIbN2at6native12_GLOBAL__N_19NonZeroOpIsEEPKslEENS0_5tupleIJPlS6_EEENSN_IJSD_SD_EEES6_PiJS6_EEE10hipError_tPvRmT3_T4_T5_T6_T7_T9_mT8_P12ihipStream_tbDpT10_ENKUlT_T0_E_clISt17integral_constantIbLb0EES1A_IbLb1EEEEDaS16_S17_EUlS16_E_NS1_11comp_targetILNS1_3genE0ELNS1_11target_archE4294967295ELNS1_3gpuE0ELNS1_3repE0EEENS1_30default_config_static_selectorELNS0_4arch9wavefront6targetE0EEEvT1_.kd
    .uniform_work_group_size: 1
    .uses_dynamic_stack: false
    .vgpr_count:     0
    .vgpr_spill_count: 0
    .wavefront_size: 32
    .workgroup_processor_mode: 1
  - .args:
      - .offset:         0
        .size:           136
        .value_kind:     by_value
    .group_segment_fixed_size: 0
    .kernarg_segment_align: 8
    .kernarg_segment_size: 136
    .language:       OpenCL C
    .language_version:
      - 2
      - 0
    .max_flat_workgroup_size: 512
    .name:           _ZN7rocprim17ROCPRIM_400000_NS6detail17trampoline_kernelINS0_14default_configENS1_25partition_config_selectorILNS1_17partition_subalgoE5ElNS0_10empty_typeEbEEZZNS1_14partition_implILS5_5ELb0ES3_mN6hipcub16HIPCUB_304000_NS21CountingInputIteratorIllEEPS6_NSA_22TransformInputIteratorIbN2at6native12_GLOBAL__N_19NonZeroOpIsEEPKslEENS0_5tupleIJPlS6_EEENSN_IJSD_SD_EEES6_PiJS6_EEE10hipError_tPvRmT3_T4_T5_T6_T7_T9_mT8_P12ihipStream_tbDpT10_ENKUlT_T0_E_clISt17integral_constantIbLb0EES1A_IbLb1EEEEDaS16_S17_EUlS16_E_NS1_11comp_targetILNS1_3genE5ELNS1_11target_archE942ELNS1_3gpuE9ELNS1_3repE0EEENS1_30default_config_static_selectorELNS0_4arch9wavefront6targetE0EEEvT1_
    .private_segment_fixed_size: 0
    .sgpr_count:     0
    .sgpr_spill_count: 0
    .symbol:         _ZN7rocprim17ROCPRIM_400000_NS6detail17trampoline_kernelINS0_14default_configENS1_25partition_config_selectorILNS1_17partition_subalgoE5ElNS0_10empty_typeEbEEZZNS1_14partition_implILS5_5ELb0ES3_mN6hipcub16HIPCUB_304000_NS21CountingInputIteratorIllEEPS6_NSA_22TransformInputIteratorIbN2at6native12_GLOBAL__N_19NonZeroOpIsEEPKslEENS0_5tupleIJPlS6_EEENSN_IJSD_SD_EEES6_PiJS6_EEE10hipError_tPvRmT3_T4_T5_T6_T7_T9_mT8_P12ihipStream_tbDpT10_ENKUlT_T0_E_clISt17integral_constantIbLb0EES1A_IbLb1EEEEDaS16_S17_EUlS16_E_NS1_11comp_targetILNS1_3genE5ELNS1_11target_archE942ELNS1_3gpuE9ELNS1_3repE0EEENS1_30default_config_static_selectorELNS0_4arch9wavefront6targetE0EEEvT1_.kd
    .uniform_work_group_size: 1
    .uses_dynamic_stack: false
    .vgpr_count:     0
    .vgpr_spill_count: 0
    .wavefront_size: 32
    .workgroup_processor_mode: 1
  - .args:
      - .offset:         0
        .size:           136
        .value_kind:     by_value
    .group_segment_fixed_size: 0
    .kernarg_segment_align: 8
    .kernarg_segment_size: 136
    .language:       OpenCL C
    .language_version:
      - 2
      - 0
    .max_flat_workgroup_size: 192
    .name:           _ZN7rocprim17ROCPRIM_400000_NS6detail17trampoline_kernelINS0_14default_configENS1_25partition_config_selectorILNS1_17partition_subalgoE5ElNS0_10empty_typeEbEEZZNS1_14partition_implILS5_5ELb0ES3_mN6hipcub16HIPCUB_304000_NS21CountingInputIteratorIllEEPS6_NSA_22TransformInputIteratorIbN2at6native12_GLOBAL__N_19NonZeroOpIsEEPKslEENS0_5tupleIJPlS6_EEENSN_IJSD_SD_EEES6_PiJS6_EEE10hipError_tPvRmT3_T4_T5_T6_T7_T9_mT8_P12ihipStream_tbDpT10_ENKUlT_T0_E_clISt17integral_constantIbLb0EES1A_IbLb1EEEEDaS16_S17_EUlS16_E_NS1_11comp_targetILNS1_3genE4ELNS1_11target_archE910ELNS1_3gpuE8ELNS1_3repE0EEENS1_30default_config_static_selectorELNS0_4arch9wavefront6targetE0EEEvT1_
    .private_segment_fixed_size: 0
    .sgpr_count:     0
    .sgpr_spill_count: 0
    .symbol:         _ZN7rocprim17ROCPRIM_400000_NS6detail17trampoline_kernelINS0_14default_configENS1_25partition_config_selectorILNS1_17partition_subalgoE5ElNS0_10empty_typeEbEEZZNS1_14partition_implILS5_5ELb0ES3_mN6hipcub16HIPCUB_304000_NS21CountingInputIteratorIllEEPS6_NSA_22TransformInputIteratorIbN2at6native12_GLOBAL__N_19NonZeroOpIsEEPKslEENS0_5tupleIJPlS6_EEENSN_IJSD_SD_EEES6_PiJS6_EEE10hipError_tPvRmT3_T4_T5_T6_T7_T9_mT8_P12ihipStream_tbDpT10_ENKUlT_T0_E_clISt17integral_constantIbLb0EES1A_IbLb1EEEEDaS16_S17_EUlS16_E_NS1_11comp_targetILNS1_3genE4ELNS1_11target_archE910ELNS1_3gpuE8ELNS1_3repE0EEENS1_30default_config_static_selectorELNS0_4arch9wavefront6targetE0EEEvT1_.kd
    .uniform_work_group_size: 1
    .uses_dynamic_stack: false
    .vgpr_count:     0
    .vgpr_spill_count: 0
    .wavefront_size: 32
    .workgroup_processor_mode: 1
  - .args:
      - .offset:         0
        .size:           136
        .value_kind:     by_value
    .group_segment_fixed_size: 0
    .kernarg_segment_align: 8
    .kernarg_segment_size: 136
    .language:       OpenCL C
    .language_version:
      - 2
      - 0
    .max_flat_workgroup_size: 128
    .name:           _ZN7rocprim17ROCPRIM_400000_NS6detail17trampoline_kernelINS0_14default_configENS1_25partition_config_selectorILNS1_17partition_subalgoE5ElNS0_10empty_typeEbEEZZNS1_14partition_implILS5_5ELb0ES3_mN6hipcub16HIPCUB_304000_NS21CountingInputIteratorIllEEPS6_NSA_22TransformInputIteratorIbN2at6native12_GLOBAL__N_19NonZeroOpIsEEPKslEENS0_5tupleIJPlS6_EEENSN_IJSD_SD_EEES6_PiJS6_EEE10hipError_tPvRmT3_T4_T5_T6_T7_T9_mT8_P12ihipStream_tbDpT10_ENKUlT_T0_E_clISt17integral_constantIbLb0EES1A_IbLb1EEEEDaS16_S17_EUlS16_E_NS1_11comp_targetILNS1_3genE3ELNS1_11target_archE908ELNS1_3gpuE7ELNS1_3repE0EEENS1_30default_config_static_selectorELNS0_4arch9wavefront6targetE0EEEvT1_
    .private_segment_fixed_size: 0
    .sgpr_count:     0
    .sgpr_spill_count: 0
    .symbol:         _ZN7rocprim17ROCPRIM_400000_NS6detail17trampoline_kernelINS0_14default_configENS1_25partition_config_selectorILNS1_17partition_subalgoE5ElNS0_10empty_typeEbEEZZNS1_14partition_implILS5_5ELb0ES3_mN6hipcub16HIPCUB_304000_NS21CountingInputIteratorIllEEPS6_NSA_22TransformInputIteratorIbN2at6native12_GLOBAL__N_19NonZeroOpIsEEPKslEENS0_5tupleIJPlS6_EEENSN_IJSD_SD_EEES6_PiJS6_EEE10hipError_tPvRmT3_T4_T5_T6_T7_T9_mT8_P12ihipStream_tbDpT10_ENKUlT_T0_E_clISt17integral_constantIbLb0EES1A_IbLb1EEEEDaS16_S17_EUlS16_E_NS1_11comp_targetILNS1_3genE3ELNS1_11target_archE908ELNS1_3gpuE7ELNS1_3repE0EEENS1_30default_config_static_selectorELNS0_4arch9wavefront6targetE0EEEvT1_.kd
    .uniform_work_group_size: 1
    .uses_dynamic_stack: false
    .vgpr_count:     0
    .vgpr_spill_count: 0
    .wavefront_size: 32
    .workgroup_processor_mode: 1
  - .args:
      - .offset:         0
        .size:           136
        .value_kind:     by_value
    .group_segment_fixed_size: 0
    .kernarg_segment_align: 8
    .kernarg_segment_size: 136
    .language:       OpenCL C
    .language_version:
      - 2
      - 0
    .max_flat_workgroup_size: 256
    .name:           _ZN7rocprim17ROCPRIM_400000_NS6detail17trampoline_kernelINS0_14default_configENS1_25partition_config_selectorILNS1_17partition_subalgoE5ElNS0_10empty_typeEbEEZZNS1_14partition_implILS5_5ELb0ES3_mN6hipcub16HIPCUB_304000_NS21CountingInputIteratorIllEEPS6_NSA_22TransformInputIteratorIbN2at6native12_GLOBAL__N_19NonZeroOpIsEEPKslEENS0_5tupleIJPlS6_EEENSN_IJSD_SD_EEES6_PiJS6_EEE10hipError_tPvRmT3_T4_T5_T6_T7_T9_mT8_P12ihipStream_tbDpT10_ENKUlT_T0_E_clISt17integral_constantIbLb0EES1A_IbLb1EEEEDaS16_S17_EUlS16_E_NS1_11comp_targetILNS1_3genE2ELNS1_11target_archE906ELNS1_3gpuE6ELNS1_3repE0EEENS1_30default_config_static_selectorELNS0_4arch9wavefront6targetE0EEEvT1_
    .private_segment_fixed_size: 0
    .sgpr_count:     0
    .sgpr_spill_count: 0
    .symbol:         _ZN7rocprim17ROCPRIM_400000_NS6detail17trampoline_kernelINS0_14default_configENS1_25partition_config_selectorILNS1_17partition_subalgoE5ElNS0_10empty_typeEbEEZZNS1_14partition_implILS5_5ELb0ES3_mN6hipcub16HIPCUB_304000_NS21CountingInputIteratorIllEEPS6_NSA_22TransformInputIteratorIbN2at6native12_GLOBAL__N_19NonZeroOpIsEEPKslEENS0_5tupleIJPlS6_EEENSN_IJSD_SD_EEES6_PiJS6_EEE10hipError_tPvRmT3_T4_T5_T6_T7_T9_mT8_P12ihipStream_tbDpT10_ENKUlT_T0_E_clISt17integral_constantIbLb0EES1A_IbLb1EEEEDaS16_S17_EUlS16_E_NS1_11comp_targetILNS1_3genE2ELNS1_11target_archE906ELNS1_3gpuE6ELNS1_3repE0EEENS1_30default_config_static_selectorELNS0_4arch9wavefront6targetE0EEEvT1_.kd
    .uniform_work_group_size: 1
    .uses_dynamic_stack: false
    .vgpr_count:     0
    .vgpr_spill_count: 0
    .wavefront_size: 32
    .workgroup_processor_mode: 1
  - .args:
      - .offset:         0
        .size:           136
        .value_kind:     by_value
    .group_segment_fixed_size: 0
    .kernarg_segment_align: 8
    .kernarg_segment_size: 136
    .language:       OpenCL C
    .language_version:
      - 2
      - 0
    .max_flat_workgroup_size: 256
    .name:           _ZN7rocprim17ROCPRIM_400000_NS6detail17trampoline_kernelINS0_14default_configENS1_25partition_config_selectorILNS1_17partition_subalgoE5ElNS0_10empty_typeEbEEZZNS1_14partition_implILS5_5ELb0ES3_mN6hipcub16HIPCUB_304000_NS21CountingInputIteratorIllEEPS6_NSA_22TransformInputIteratorIbN2at6native12_GLOBAL__N_19NonZeroOpIsEEPKslEENS0_5tupleIJPlS6_EEENSN_IJSD_SD_EEES6_PiJS6_EEE10hipError_tPvRmT3_T4_T5_T6_T7_T9_mT8_P12ihipStream_tbDpT10_ENKUlT_T0_E_clISt17integral_constantIbLb0EES1A_IbLb1EEEEDaS16_S17_EUlS16_E_NS1_11comp_targetILNS1_3genE10ELNS1_11target_archE1200ELNS1_3gpuE4ELNS1_3repE0EEENS1_30default_config_static_selectorELNS0_4arch9wavefront6targetE0EEEvT1_
    .private_segment_fixed_size: 0
    .sgpr_count:     0
    .sgpr_spill_count: 0
    .symbol:         _ZN7rocprim17ROCPRIM_400000_NS6detail17trampoline_kernelINS0_14default_configENS1_25partition_config_selectorILNS1_17partition_subalgoE5ElNS0_10empty_typeEbEEZZNS1_14partition_implILS5_5ELb0ES3_mN6hipcub16HIPCUB_304000_NS21CountingInputIteratorIllEEPS6_NSA_22TransformInputIteratorIbN2at6native12_GLOBAL__N_19NonZeroOpIsEEPKslEENS0_5tupleIJPlS6_EEENSN_IJSD_SD_EEES6_PiJS6_EEE10hipError_tPvRmT3_T4_T5_T6_T7_T9_mT8_P12ihipStream_tbDpT10_ENKUlT_T0_E_clISt17integral_constantIbLb0EES1A_IbLb1EEEEDaS16_S17_EUlS16_E_NS1_11comp_targetILNS1_3genE10ELNS1_11target_archE1200ELNS1_3gpuE4ELNS1_3repE0EEENS1_30default_config_static_selectorELNS0_4arch9wavefront6targetE0EEEvT1_.kd
    .uniform_work_group_size: 1
    .uses_dynamic_stack: false
    .vgpr_count:     0
    .vgpr_spill_count: 0
    .wavefront_size: 32
    .workgroup_processor_mode: 1
  - .args:
      - .offset:         0
        .size:           136
        .value_kind:     by_value
    .group_segment_fixed_size: 6160
    .kernarg_segment_align: 8
    .kernarg_segment_size: 136
    .language:       OpenCL C
    .language_version:
      - 2
      - 0
    .max_flat_workgroup_size: 128
    .name:           _ZN7rocprim17ROCPRIM_400000_NS6detail17trampoline_kernelINS0_14default_configENS1_25partition_config_selectorILNS1_17partition_subalgoE5ElNS0_10empty_typeEbEEZZNS1_14partition_implILS5_5ELb0ES3_mN6hipcub16HIPCUB_304000_NS21CountingInputIteratorIllEEPS6_NSA_22TransformInputIteratorIbN2at6native12_GLOBAL__N_19NonZeroOpIsEEPKslEENS0_5tupleIJPlS6_EEENSN_IJSD_SD_EEES6_PiJS6_EEE10hipError_tPvRmT3_T4_T5_T6_T7_T9_mT8_P12ihipStream_tbDpT10_ENKUlT_T0_E_clISt17integral_constantIbLb0EES1A_IbLb1EEEEDaS16_S17_EUlS16_E_NS1_11comp_targetILNS1_3genE9ELNS1_11target_archE1100ELNS1_3gpuE3ELNS1_3repE0EEENS1_30default_config_static_selectorELNS0_4arch9wavefront6targetE0EEEvT1_
    .private_segment_fixed_size: 0
    .sgpr_count:     26
    .sgpr_spill_count: 0
    .symbol:         _ZN7rocprim17ROCPRIM_400000_NS6detail17trampoline_kernelINS0_14default_configENS1_25partition_config_selectorILNS1_17partition_subalgoE5ElNS0_10empty_typeEbEEZZNS1_14partition_implILS5_5ELb0ES3_mN6hipcub16HIPCUB_304000_NS21CountingInputIteratorIllEEPS6_NSA_22TransformInputIteratorIbN2at6native12_GLOBAL__N_19NonZeroOpIsEEPKslEENS0_5tupleIJPlS6_EEENSN_IJSD_SD_EEES6_PiJS6_EEE10hipError_tPvRmT3_T4_T5_T6_T7_T9_mT8_P12ihipStream_tbDpT10_ENKUlT_T0_E_clISt17integral_constantIbLb0EES1A_IbLb1EEEEDaS16_S17_EUlS16_E_NS1_11comp_targetILNS1_3genE9ELNS1_11target_archE1100ELNS1_3gpuE3ELNS1_3repE0EEENS1_30default_config_static_selectorELNS0_4arch9wavefront6targetE0EEEvT1_.kd
    .uniform_work_group_size: 1
    .uses_dynamic_stack: false
    .vgpr_count:     57
    .vgpr_spill_count: 0
    .wavefront_size: 32
    .workgroup_processor_mode: 1
  - .args:
      - .offset:         0
        .size:           136
        .value_kind:     by_value
    .group_segment_fixed_size: 0
    .kernarg_segment_align: 8
    .kernarg_segment_size: 136
    .language:       OpenCL C
    .language_version:
      - 2
      - 0
    .max_flat_workgroup_size: 512
    .name:           _ZN7rocprim17ROCPRIM_400000_NS6detail17trampoline_kernelINS0_14default_configENS1_25partition_config_selectorILNS1_17partition_subalgoE5ElNS0_10empty_typeEbEEZZNS1_14partition_implILS5_5ELb0ES3_mN6hipcub16HIPCUB_304000_NS21CountingInputIteratorIllEEPS6_NSA_22TransformInputIteratorIbN2at6native12_GLOBAL__N_19NonZeroOpIsEEPKslEENS0_5tupleIJPlS6_EEENSN_IJSD_SD_EEES6_PiJS6_EEE10hipError_tPvRmT3_T4_T5_T6_T7_T9_mT8_P12ihipStream_tbDpT10_ENKUlT_T0_E_clISt17integral_constantIbLb0EES1A_IbLb1EEEEDaS16_S17_EUlS16_E_NS1_11comp_targetILNS1_3genE8ELNS1_11target_archE1030ELNS1_3gpuE2ELNS1_3repE0EEENS1_30default_config_static_selectorELNS0_4arch9wavefront6targetE0EEEvT1_
    .private_segment_fixed_size: 0
    .sgpr_count:     0
    .sgpr_spill_count: 0
    .symbol:         _ZN7rocprim17ROCPRIM_400000_NS6detail17trampoline_kernelINS0_14default_configENS1_25partition_config_selectorILNS1_17partition_subalgoE5ElNS0_10empty_typeEbEEZZNS1_14partition_implILS5_5ELb0ES3_mN6hipcub16HIPCUB_304000_NS21CountingInputIteratorIllEEPS6_NSA_22TransformInputIteratorIbN2at6native12_GLOBAL__N_19NonZeroOpIsEEPKslEENS0_5tupleIJPlS6_EEENSN_IJSD_SD_EEES6_PiJS6_EEE10hipError_tPvRmT3_T4_T5_T6_T7_T9_mT8_P12ihipStream_tbDpT10_ENKUlT_T0_E_clISt17integral_constantIbLb0EES1A_IbLb1EEEEDaS16_S17_EUlS16_E_NS1_11comp_targetILNS1_3genE8ELNS1_11target_archE1030ELNS1_3gpuE2ELNS1_3repE0EEENS1_30default_config_static_selectorELNS0_4arch9wavefront6targetE0EEEvT1_.kd
    .uniform_work_group_size: 1
    .uses_dynamic_stack: false
    .vgpr_count:     0
    .vgpr_spill_count: 0
    .wavefront_size: 32
    .workgroup_processor_mode: 1
  - .args:
      - .offset:         0
        .size:           56
        .value_kind:     by_value
    .group_segment_fixed_size: 0
    .kernarg_segment_align: 8
    .kernarg_segment_size: 56
    .language:       OpenCL C
    .language_version:
      - 2
      - 0
    .max_flat_workgroup_size: 256
    .name:           _ZN7rocprim17ROCPRIM_400000_NS6detail17trampoline_kernelINS0_14default_configENS1_22reduce_config_selectorIiEEZNS1_11reduce_implILb1ES3_PiS7_iN6hipcub16HIPCUB_304000_NS6detail34convert_binary_result_type_wrapperINS9_3SumENS9_22TransformInputIteratorIbN2at6native12_GLOBAL__N_19NonZeroOpIdEEPKdlEEiEEEE10hipError_tPvRmT1_T2_T3_mT4_P12ihipStream_tbEUlT_E0_NS1_11comp_targetILNS1_3genE0ELNS1_11target_archE4294967295ELNS1_3gpuE0ELNS1_3repE0EEENS1_30default_config_static_selectorELNS0_4arch9wavefront6targetE0EEEvSQ_
    .private_segment_fixed_size: 0
    .sgpr_count:     0
    .sgpr_spill_count: 0
    .symbol:         _ZN7rocprim17ROCPRIM_400000_NS6detail17trampoline_kernelINS0_14default_configENS1_22reduce_config_selectorIiEEZNS1_11reduce_implILb1ES3_PiS7_iN6hipcub16HIPCUB_304000_NS6detail34convert_binary_result_type_wrapperINS9_3SumENS9_22TransformInputIteratorIbN2at6native12_GLOBAL__N_19NonZeroOpIdEEPKdlEEiEEEE10hipError_tPvRmT1_T2_T3_mT4_P12ihipStream_tbEUlT_E0_NS1_11comp_targetILNS1_3genE0ELNS1_11target_archE4294967295ELNS1_3gpuE0ELNS1_3repE0EEENS1_30default_config_static_selectorELNS0_4arch9wavefront6targetE0EEEvSQ_.kd
    .uniform_work_group_size: 1
    .uses_dynamic_stack: false
    .vgpr_count:     0
    .vgpr_spill_count: 0
    .wavefront_size: 32
    .workgroup_processor_mode: 1
  - .args:
      - .offset:         0
        .size:           56
        .value_kind:     by_value
    .group_segment_fixed_size: 0
    .kernarg_segment_align: 8
    .kernarg_segment_size: 56
    .language:       OpenCL C
    .language_version:
      - 2
      - 0
    .max_flat_workgroup_size: 256
    .name:           _ZN7rocprim17ROCPRIM_400000_NS6detail17trampoline_kernelINS0_14default_configENS1_22reduce_config_selectorIiEEZNS1_11reduce_implILb1ES3_PiS7_iN6hipcub16HIPCUB_304000_NS6detail34convert_binary_result_type_wrapperINS9_3SumENS9_22TransformInputIteratorIbN2at6native12_GLOBAL__N_19NonZeroOpIdEEPKdlEEiEEEE10hipError_tPvRmT1_T2_T3_mT4_P12ihipStream_tbEUlT_E0_NS1_11comp_targetILNS1_3genE5ELNS1_11target_archE942ELNS1_3gpuE9ELNS1_3repE0EEENS1_30default_config_static_selectorELNS0_4arch9wavefront6targetE0EEEvSQ_
    .private_segment_fixed_size: 0
    .sgpr_count:     0
    .sgpr_spill_count: 0
    .symbol:         _ZN7rocprim17ROCPRIM_400000_NS6detail17trampoline_kernelINS0_14default_configENS1_22reduce_config_selectorIiEEZNS1_11reduce_implILb1ES3_PiS7_iN6hipcub16HIPCUB_304000_NS6detail34convert_binary_result_type_wrapperINS9_3SumENS9_22TransformInputIteratorIbN2at6native12_GLOBAL__N_19NonZeroOpIdEEPKdlEEiEEEE10hipError_tPvRmT1_T2_T3_mT4_P12ihipStream_tbEUlT_E0_NS1_11comp_targetILNS1_3genE5ELNS1_11target_archE942ELNS1_3gpuE9ELNS1_3repE0EEENS1_30default_config_static_selectorELNS0_4arch9wavefront6targetE0EEEvSQ_.kd
    .uniform_work_group_size: 1
    .uses_dynamic_stack: false
    .vgpr_count:     0
    .vgpr_spill_count: 0
    .wavefront_size: 32
    .workgroup_processor_mode: 1
  - .args:
      - .offset:         0
        .size:           56
        .value_kind:     by_value
    .group_segment_fixed_size: 0
    .kernarg_segment_align: 8
    .kernarg_segment_size: 56
    .language:       OpenCL C
    .language_version:
      - 2
      - 0
    .max_flat_workgroup_size: 128
    .name:           _ZN7rocprim17ROCPRIM_400000_NS6detail17trampoline_kernelINS0_14default_configENS1_22reduce_config_selectorIiEEZNS1_11reduce_implILb1ES3_PiS7_iN6hipcub16HIPCUB_304000_NS6detail34convert_binary_result_type_wrapperINS9_3SumENS9_22TransformInputIteratorIbN2at6native12_GLOBAL__N_19NonZeroOpIdEEPKdlEEiEEEE10hipError_tPvRmT1_T2_T3_mT4_P12ihipStream_tbEUlT_E0_NS1_11comp_targetILNS1_3genE4ELNS1_11target_archE910ELNS1_3gpuE8ELNS1_3repE0EEENS1_30default_config_static_selectorELNS0_4arch9wavefront6targetE0EEEvSQ_
    .private_segment_fixed_size: 0
    .sgpr_count:     0
    .sgpr_spill_count: 0
    .symbol:         _ZN7rocprim17ROCPRIM_400000_NS6detail17trampoline_kernelINS0_14default_configENS1_22reduce_config_selectorIiEEZNS1_11reduce_implILb1ES3_PiS7_iN6hipcub16HIPCUB_304000_NS6detail34convert_binary_result_type_wrapperINS9_3SumENS9_22TransformInputIteratorIbN2at6native12_GLOBAL__N_19NonZeroOpIdEEPKdlEEiEEEE10hipError_tPvRmT1_T2_T3_mT4_P12ihipStream_tbEUlT_E0_NS1_11comp_targetILNS1_3genE4ELNS1_11target_archE910ELNS1_3gpuE8ELNS1_3repE0EEENS1_30default_config_static_selectorELNS0_4arch9wavefront6targetE0EEEvSQ_.kd
    .uniform_work_group_size: 1
    .uses_dynamic_stack: false
    .vgpr_count:     0
    .vgpr_spill_count: 0
    .wavefront_size: 32
    .workgroup_processor_mode: 1
  - .args:
      - .offset:         0
        .size:           56
        .value_kind:     by_value
    .group_segment_fixed_size: 0
    .kernarg_segment_align: 8
    .kernarg_segment_size: 56
    .language:       OpenCL C
    .language_version:
      - 2
      - 0
    .max_flat_workgroup_size: 256
    .name:           _ZN7rocprim17ROCPRIM_400000_NS6detail17trampoline_kernelINS0_14default_configENS1_22reduce_config_selectorIiEEZNS1_11reduce_implILb1ES3_PiS7_iN6hipcub16HIPCUB_304000_NS6detail34convert_binary_result_type_wrapperINS9_3SumENS9_22TransformInputIteratorIbN2at6native12_GLOBAL__N_19NonZeroOpIdEEPKdlEEiEEEE10hipError_tPvRmT1_T2_T3_mT4_P12ihipStream_tbEUlT_E0_NS1_11comp_targetILNS1_3genE3ELNS1_11target_archE908ELNS1_3gpuE7ELNS1_3repE0EEENS1_30default_config_static_selectorELNS0_4arch9wavefront6targetE0EEEvSQ_
    .private_segment_fixed_size: 0
    .sgpr_count:     0
    .sgpr_spill_count: 0
    .symbol:         _ZN7rocprim17ROCPRIM_400000_NS6detail17trampoline_kernelINS0_14default_configENS1_22reduce_config_selectorIiEEZNS1_11reduce_implILb1ES3_PiS7_iN6hipcub16HIPCUB_304000_NS6detail34convert_binary_result_type_wrapperINS9_3SumENS9_22TransformInputIteratorIbN2at6native12_GLOBAL__N_19NonZeroOpIdEEPKdlEEiEEEE10hipError_tPvRmT1_T2_T3_mT4_P12ihipStream_tbEUlT_E0_NS1_11comp_targetILNS1_3genE3ELNS1_11target_archE908ELNS1_3gpuE7ELNS1_3repE0EEENS1_30default_config_static_selectorELNS0_4arch9wavefront6targetE0EEEvSQ_.kd
    .uniform_work_group_size: 1
    .uses_dynamic_stack: false
    .vgpr_count:     0
    .vgpr_spill_count: 0
    .wavefront_size: 32
    .workgroup_processor_mode: 1
  - .args:
      - .offset:         0
        .size:           56
        .value_kind:     by_value
    .group_segment_fixed_size: 0
    .kernarg_segment_align: 8
    .kernarg_segment_size: 56
    .language:       OpenCL C
    .language_version:
      - 2
      - 0
    .max_flat_workgroup_size: 256
    .name:           _ZN7rocprim17ROCPRIM_400000_NS6detail17trampoline_kernelINS0_14default_configENS1_22reduce_config_selectorIiEEZNS1_11reduce_implILb1ES3_PiS7_iN6hipcub16HIPCUB_304000_NS6detail34convert_binary_result_type_wrapperINS9_3SumENS9_22TransformInputIteratorIbN2at6native12_GLOBAL__N_19NonZeroOpIdEEPKdlEEiEEEE10hipError_tPvRmT1_T2_T3_mT4_P12ihipStream_tbEUlT_E0_NS1_11comp_targetILNS1_3genE2ELNS1_11target_archE906ELNS1_3gpuE6ELNS1_3repE0EEENS1_30default_config_static_selectorELNS0_4arch9wavefront6targetE0EEEvSQ_
    .private_segment_fixed_size: 0
    .sgpr_count:     0
    .sgpr_spill_count: 0
    .symbol:         _ZN7rocprim17ROCPRIM_400000_NS6detail17trampoline_kernelINS0_14default_configENS1_22reduce_config_selectorIiEEZNS1_11reduce_implILb1ES3_PiS7_iN6hipcub16HIPCUB_304000_NS6detail34convert_binary_result_type_wrapperINS9_3SumENS9_22TransformInputIteratorIbN2at6native12_GLOBAL__N_19NonZeroOpIdEEPKdlEEiEEEE10hipError_tPvRmT1_T2_T3_mT4_P12ihipStream_tbEUlT_E0_NS1_11comp_targetILNS1_3genE2ELNS1_11target_archE906ELNS1_3gpuE6ELNS1_3repE0EEENS1_30default_config_static_selectorELNS0_4arch9wavefront6targetE0EEEvSQ_.kd
    .uniform_work_group_size: 1
    .uses_dynamic_stack: false
    .vgpr_count:     0
    .vgpr_spill_count: 0
    .wavefront_size: 32
    .workgroup_processor_mode: 1
  - .args:
      - .offset:         0
        .size:           56
        .value_kind:     by_value
    .group_segment_fixed_size: 0
    .kernarg_segment_align: 8
    .kernarg_segment_size: 56
    .language:       OpenCL C
    .language_version:
      - 2
      - 0
    .max_flat_workgroup_size: 256
    .name:           _ZN7rocprim17ROCPRIM_400000_NS6detail17trampoline_kernelINS0_14default_configENS1_22reduce_config_selectorIiEEZNS1_11reduce_implILb1ES3_PiS7_iN6hipcub16HIPCUB_304000_NS6detail34convert_binary_result_type_wrapperINS9_3SumENS9_22TransformInputIteratorIbN2at6native12_GLOBAL__N_19NonZeroOpIdEEPKdlEEiEEEE10hipError_tPvRmT1_T2_T3_mT4_P12ihipStream_tbEUlT_E0_NS1_11comp_targetILNS1_3genE10ELNS1_11target_archE1201ELNS1_3gpuE5ELNS1_3repE0EEENS1_30default_config_static_selectorELNS0_4arch9wavefront6targetE0EEEvSQ_
    .private_segment_fixed_size: 0
    .sgpr_count:     0
    .sgpr_spill_count: 0
    .symbol:         _ZN7rocprim17ROCPRIM_400000_NS6detail17trampoline_kernelINS0_14default_configENS1_22reduce_config_selectorIiEEZNS1_11reduce_implILb1ES3_PiS7_iN6hipcub16HIPCUB_304000_NS6detail34convert_binary_result_type_wrapperINS9_3SumENS9_22TransformInputIteratorIbN2at6native12_GLOBAL__N_19NonZeroOpIdEEPKdlEEiEEEE10hipError_tPvRmT1_T2_T3_mT4_P12ihipStream_tbEUlT_E0_NS1_11comp_targetILNS1_3genE10ELNS1_11target_archE1201ELNS1_3gpuE5ELNS1_3repE0EEENS1_30default_config_static_selectorELNS0_4arch9wavefront6targetE0EEEvSQ_.kd
    .uniform_work_group_size: 1
    .uses_dynamic_stack: false
    .vgpr_count:     0
    .vgpr_spill_count: 0
    .wavefront_size: 32
    .workgroup_processor_mode: 1
  - .args:
      - .offset:         0
        .size:           56
        .value_kind:     by_value
    .group_segment_fixed_size: 0
    .kernarg_segment_align: 8
    .kernarg_segment_size: 56
    .language:       OpenCL C
    .language_version:
      - 2
      - 0
    .max_flat_workgroup_size: 256
    .name:           _ZN7rocprim17ROCPRIM_400000_NS6detail17trampoline_kernelINS0_14default_configENS1_22reduce_config_selectorIiEEZNS1_11reduce_implILb1ES3_PiS7_iN6hipcub16HIPCUB_304000_NS6detail34convert_binary_result_type_wrapperINS9_3SumENS9_22TransformInputIteratorIbN2at6native12_GLOBAL__N_19NonZeroOpIdEEPKdlEEiEEEE10hipError_tPvRmT1_T2_T3_mT4_P12ihipStream_tbEUlT_E0_NS1_11comp_targetILNS1_3genE10ELNS1_11target_archE1200ELNS1_3gpuE4ELNS1_3repE0EEENS1_30default_config_static_selectorELNS0_4arch9wavefront6targetE0EEEvSQ_
    .private_segment_fixed_size: 0
    .sgpr_count:     0
    .sgpr_spill_count: 0
    .symbol:         _ZN7rocprim17ROCPRIM_400000_NS6detail17trampoline_kernelINS0_14default_configENS1_22reduce_config_selectorIiEEZNS1_11reduce_implILb1ES3_PiS7_iN6hipcub16HIPCUB_304000_NS6detail34convert_binary_result_type_wrapperINS9_3SumENS9_22TransformInputIteratorIbN2at6native12_GLOBAL__N_19NonZeroOpIdEEPKdlEEiEEEE10hipError_tPvRmT1_T2_T3_mT4_P12ihipStream_tbEUlT_E0_NS1_11comp_targetILNS1_3genE10ELNS1_11target_archE1200ELNS1_3gpuE4ELNS1_3repE0EEENS1_30default_config_static_selectorELNS0_4arch9wavefront6targetE0EEEvSQ_.kd
    .uniform_work_group_size: 1
    .uses_dynamic_stack: false
    .vgpr_count:     0
    .vgpr_spill_count: 0
    .wavefront_size: 32
    .workgroup_processor_mode: 1
  - .args:
      - .offset:         0
        .size:           56
        .value_kind:     by_value
    .group_segment_fixed_size: 64
    .kernarg_segment_align: 8
    .kernarg_segment_size: 56
    .language:       OpenCL C
    .language_version:
      - 2
      - 0
    .max_flat_workgroup_size: 256
    .name:           _ZN7rocprim17ROCPRIM_400000_NS6detail17trampoline_kernelINS0_14default_configENS1_22reduce_config_selectorIiEEZNS1_11reduce_implILb1ES3_PiS7_iN6hipcub16HIPCUB_304000_NS6detail34convert_binary_result_type_wrapperINS9_3SumENS9_22TransformInputIteratorIbN2at6native12_GLOBAL__N_19NonZeroOpIdEEPKdlEEiEEEE10hipError_tPvRmT1_T2_T3_mT4_P12ihipStream_tbEUlT_E0_NS1_11comp_targetILNS1_3genE9ELNS1_11target_archE1100ELNS1_3gpuE3ELNS1_3repE0EEENS1_30default_config_static_selectorELNS0_4arch9wavefront6targetE0EEEvSQ_
    .private_segment_fixed_size: 0
    .sgpr_count:     24
    .sgpr_spill_count: 0
    .symbol:         _ZN7rocprim17ROCPRIM_400000_NS6detail17trampoline_kernelINS0_14default_configENS1_22reduce_config_selectorIiEEZNS1_11reduce_implILb1ES3_PiS7_iN6hipcub16HIPCUB_304000_NS6detail34convert_binary_result_type_wrapperINS9_3SumENS9_22TransformInputIteratorIbN2at6native12_GLOBAL__N_19NonZeroOpIdEEPKdlEEiEEEE10hipError_tPvRmT1_T2_T3_mT4_P12ihipStream_tbEUlT_E0_NS1_11comp_targetILNS1_3genE9ELNS1_11target_archE1100ELNS1_3gpuE3ELNS1_3repE0EEENS1_30default_config_static_selectorELNS0_4arch9wavefront6targetE0EEEvSQ_.kd
    .uniform_work_group_size: 1
    .uses_dynamic_stack: false
    .vgpr_count:     12
    .vgpr_spill_count: 0
    .wavefront_size: 32
    .workgroup_processor_mode: 1
  - .args:
      - .offset:         0
        .size:           56
        .value_kind:     by_value
    .group_segment_fixed_size: 0
    .kernarg_segment_align: 8
    .kernarg_segment_size: 56
    .language:       OpenCL C
    .language_version:
      - 2
      - 0
    .max_flat_workgroup_size: 256
    .name:           _ZN7rocprim17ROCPRIM_400000_NS6detail17trampoline_kernelINS0_14default_configENS1_22reduce_config_selectorIiEEZNS1_11reduce_implILb1ES3_PiS7_iN6hipcub16HIPCUB_304000_NS6detail34convert_binary_result_type_wrapperINS9_3SumENS9_22TransformInputIteratorIbN2at6native12_GLOBAL__N_19NonZeroOpIdEEPKdlEEiEEEE10hipError_tPvRmT1_T2_T3_mT4_P12ihipStream_tbEUlT_E0_NS1_11comp_targetILNS1_3genE8ELNS1_11target_archE1030ELNS1_3gpuE2ELNS1_3repE0EEENS1_30default_config_static_selectorELNS0_4arch9wavefront6targetE0EEEvSQ_
    .private_segment_fixed_size: 0
    .sgpr_count:     0
    .sgpr_spill_count: 0
    .symbol:         _ZN7rocprim17ROCPRIM_400000_NS6detail17trampoline_kernelINS0_14default_configENS1_22reduce_config_selectorIiEEZNS1_11reduce_implILb1ES3_PiS7_iN6hipcub16HIPCUB_304000_NS6detail34convert_binary_result_type_wrapperINS9_3SumENS9_22TransformInputIteratorIbN2at6native12_GLOBAL__N_19NonZeroOpIdEEPKdlEEiEEEE10hipError_tPvRmT1_T2_T3_mT4_P12ihipStream_tbEUlT_E0_NS1_11comp_targetILNS1_3genE8ELNS1_11target_archE1030ELNS1_3gpuE2ELNS1_3repE0EEENS1_30default_config_static_selectorELNS0_4arch9wavefront6targetE0EEEvSQ_.kd
    .uniform_work_group_size: 1
    .uses_dynamic_stack: false
    .vgpr_count:     0
    .vgpr_spill_count: 0
    .wavefront_size: 32
    .workgroup_processor_mode: 1
  - .args:
      - .offset:         0
        .size:           40
        .value_kind:     by_value
    .group_segment_fixed_size: 0
    .kernarg_segment_align: 8
    .kernarg_segment_size: 40
    .language:       OpenCL C
    .language_version:
      - 2
      - 0
    .max_flat_workgroup_size: 256
    .name:           _ZN7rocprim17ROCPRIM_400000_NS6detail17trampoline_kernelINS0_14default_configENS1_22reduce_config_selectorIiEEZNS1_11reduce_implILb1ES3_PiS7_iN6hipcub16HIPCUB_304000_NS6detail34convert_binary_result_type_wrapperINS9_3SumENS9_22TransformInputIteratorIbN2at6native12_GLOBAL__N_19NonZeroOpIdEEPKdlEEiEEEE10hipError_tPvRmT1_T2_T3_mT4_P12ihipStream_tbEUlT_E1_NS1_11comp_targetILNS1_3genE0ELNS1_11target_archE4294967295ELNS1_3gpuE0ELNS1_3repE0EEENS1_30default_config_static_selectorELNS0_4arch9wavefront6targetE0EEEvSQ_
    .private_segment_fixed_size: 0
    .sgpr_count:     0
    .sgpr_spill_count: 0
    .symbol:         _ZN7rocprim17ROCPRIM_400000_NS6detail17trampoline_kernelINS0_14default_configENS1_22reduce_config_selectorIiEEZNS1_11reduce_implILb1ES3_PiS7_iN6hipcub16HIPCUB_304000_NS6detail34convert_binary_result_type_wrapperINS9_3SumENS9_22TransformInputIteratorIbN2at6native12_GLOBAL__N_19NonZeroOpIdEEPKdlEEiEEEE10hipError_tPvRmT1_T2_T3_mT4_P12ihipStream_tbEUlT_E1_NS1_11comp_targetILNS1_3genE0ELNS1_11target_archE4294967295ELNS1_3gpuE0ELNS1_3repE0EEENS1_30default_config_static_selectorELNS0_4arch9wavefront6targetE0EEEvSQ_.kd
    .uniform_work_group_size: 1
    .uses_dynamic_stack: false
    .vgpr_count:     0
    .vgpr_spill_count: 0
    .wavefront_size: 32
    .workgroup_processor_mode: 1
  - .args:
      - .offset:         0
        .size:           40
        .value_kind:     by_value
    .group_segment_fixed_size: 0
    .kernarg_segment_align: 8
    .kernarg_segment_size: 40
    .language:       OpenCL C
    .language_version:
      - 2
      - 0
    .max_flat_workgroup_size: 256
    .name:           _ZN7rocprim17ROCPRIM_400000_NS6detail17trampoline_kernelINS0_14default_configENS1_22reduce_config_selectorIiEEZNS1_11reduce_implILb1ES3_PiS7_iN6hipcub16HIPCUB_304000_NS6detail34convert_binary_result_type_wrapperINS9_3SumENS9_22TransformInputIteratorIbN2at6native12_GLOBAL__N_19NonZeroOpIdEEPKdlEEiEEEE10hipError_tPvRmT1_T2_T3_mT4_P12ihipStream_tbEUlT_E1_NS1_11comp_targetILNS1_3genE5ELNS1_11target_archE942ELNS1_3gpuE9ELNS1_3repE0EEENS1_30default_config_static_selectorELNS0_4arch9wavefront6targetE0EEEvSQ_
    .private_segment_fixed_size: 0
    .sgpr_count:     0
    .sgpr_spill_count: 0
    .symbol:         _ZN7rocprim17ROCPRIM_400000_NS6detail17trampoline_kernelINS0_14default_configENS1_22reduce_config_selectorIiEEZNS1_11reduce_implILb1ES3_PiS7_iN6hipcub16HIPCUB_304000_NS6detail34convert_binary_result_type_wrapperINS9_3SumENS9_22TransformInputIteratorIbN2at6native12_GLOBAL__N_19NonZeroOpIdEEPKdlEEiEEEE10hipError_tPvRmT1_T2_T3_mT4_P12ihipStream_tbEUlT_E1_NS1_11comp_targetILNS1_3genE5ELNS1_11target_archE942ELNS1_3gpuE9ELNS1_3repE0EEENS1_30default_config_static_selectorELNS0_4arch9wavefront6targetE0EEEvSQ_.kd
    .uniform_work_group_size: 1
    .uses_dynamic_stack: false
    .vgpr_count:     0
    .vgpr_spill_count: 0
    .wavefront_size: 32
    .workgroup_processor_mode: 1
  - .args:
      - .offset:         0
        .size:           40
        .value_kind:     by_value
    .group_segment_fixed_size: 0
    .kernarg_segment_align: 8
    .kernarg_segment_size: 40
    .language:       OpenCL C
    .language_version:
      - 2
      - 0
    .max_flat_workgroup_size: 128
    .name:           _ZN7rocprim17ROCPRIM_400000_NS6detail17trampoline_kernelINS0_14default_configENS1_22reduce_config_selectorIiEEZNS1_11reduce_implILb1ES3_PiS7_iN6hipcub16HIPCUB_304000_NS6detail34convert_binary_result_type_wrapperINS9_3SumENS9_22TransformInputIteratorIbN2at6native12_GLOBAL__N_19NonZeroOpIdEEPKdlEEiEEEE10hipError_tPvRmT1_T2_T3_mT4_P12ihipStream_tbEUlT_E1_NS1_11comp_targetILNS1_3genE4ELNS1_11target_archE910ELNS1_3gpuE8ELNS1_3repE0EEENS1_30default_config_static_selectorELNS0_4arch9wavefront6targetE0EEEvSQ_
    .private_segment_fixed_size: 0
    .sgpr_count:     0
    .sgpr_spill_count: 0
    .symbol:         _ZN7rocprim17ROCPRIM_400000_NS6detail17trampoline_kernelINS0_14default_configENS1_22reduce_config_selectorIiEEZNS1_11reduce_implILb1ES3_PiS7_iN6hipcub16HIPCUB_304000_NS6detail34convert_binary_result_type_wrapperINS9_3SumENS9_22TransformInputIteratorIbN2at6native12_GLOBAL__N_19NonZeroOpIdEEPKdlEEiEEEE10hipError_tPvRmT1_T2_T3_mT4_P12ihipStream_tbEUlT_E1_NS1_11comp_targetILNS1_3genE4ELNS1_11target_archE910ELNS1_3gpuE8ELNS1_3repE0EEENS1_30default_config_static_selectorELNS0_4arch9wavefront6targetE0EEEvSQ_.kd
    .uniform_work_group_size: 1
    .uses_dynamic_stack: false
    .vgpr_count:     0
    .vgpr_spill_count: 0
    .wavefront_size: 32
    .workgroup_processor_mode: 1
  - .args:
      - .offset:         0
        .size:           40
        .value_kind:     by_value
    .group_segment_fixed_size: 0
    .kernarg_segment_align: 8
    .kernarg_segment_size: 40
    .language:       OpenCL C
    .language_version:
      - 2
      - 0
    .max_flat_workgroup_size: 256
    .name:           _ZN7rocprim17ROCPRIM_400000_NS6detail17trampoline_kernelINS0_14default_configENS1_22reduce_config_selectorIiEEZNS1_11reduce_implILb1ES3_PiS7_iN6hipcub16HIPCUB_304000_NS6detail34convert_binary_result_type_wrapperINS9_3SumENS9_22TransformInputIteratorIbN2at6native12_GLOBAL__N_19NonZeroOpIdEEPKdlEEiEEEE10hipError_tPvRmT1_T2_T3_mT4_P12ihipStream_tbEUlT_E1_NS1_11comp_targetILNS1_3genE3ELNS1_11target_archE908ELNS1_3gpuE7ELNS1_3repE0EEENS1_30default_config_static_selectorELNS0_4arch9wavefront6targetE0EEEvSQ_
    .private_segment_fixed_size: 0
    .sgpr_count:     0
    .sgpr_spill_count: 0
    .symbol:         _ZN7rocprim17ROCPRIM_400000_NS6detail17trampoline_kernelINS0_14default_configENS1_22reduce_config_selectorIiEEZNS1_11reduce_implILb1ES3_PiS7_iN6hipcub16HIPCUB_304000_NS6detail34convert_binary_result_type_wrapperINS9_3SumENS9_22TransformInputIteratorIbN2at6native12_GLOBAL__N_19NonZeroOpIdEEPKdlEEiEEEE10hipError_tPvRmT1_T2_T3_mT4_P12ihipStream_tbEUlT_E1_NS1_11comp_targetILNS1_3genE3ELNS1_11target_archE908ELNS1_3gpuE7ELNS1_3repE0EEENS1_30default_config_static_selectorELNS0_4arch9wavefront6targetE0EEEvSQ_.kd
    .uniform_work_group_size: 1
    .uses_dynamic_stack: false
    .vgpr_count:     0
    .vgpr_spill_count: 0
    .wavefront_size: 32
    .workgroup_processor_mode: 1
  - .args:
      - .offset:         0
        .size:           40
        .value_kind:     by_value
    .group_segment_fixed_size: 0
    .kernarg_segment_align: 8
    .kernarg_segment_size: 40
    .language:       OpenCL C
    .language_version:
      - 2
      - 0
    .max_flat_workgroup_size: 256
    .name:           _ZN7rocprim17ROCPRIM_400000_NS6detail17trampoline_kernelINS0_14default_configENS1_22reduce_config_selectorIiEEZNS1_11reduce_implILb1ES3_PiS7_iN6hipcub16HIPCUB_304000_NS6detail34convert_binary_result_type_wrapperINS9_3SumENS9_22TransformInputIteratorIbN2at6native12_GLOBAL__N_19NonZeroOpIdEEPKdlEEiEEEE10hipError_tPvRmT1_T2_T3_mT4_P12ihipStream_tbEUlT_E1_NS1_11comp_targetILNS1_3genE2ELNS1_11target_archE906ELNS1_3gpuE6ELNS1_3repE0EEENS1_30default_config_static_selectorELNS0_4arch9wavefront6targetE0EEEvSQ_
    .private_segment_fixed_size: 0
    .sgpr_count:     0
    .sgpr_spill_count: 0
    .symbol:         _ZN7rocprim17ROCPRIM_400000_NS6detail17trampoline_kernelINS0_14default_configENS1_22reduce_config_selectorIiEEZNS1_11reduce_implILb1ES3_PiS7_iN6hipcub16HIPCUB_304000_NS6detail34convert_binary_result_type_wrapperINS9_3SumENS9_22TransformInputIteratorIbN2at6native12_GLOBAL__N_19NonZeroOpIdEEPKdlEEiEEEE10hipError_tPvRmT1_T2_T3_mT4_P12ihipStream_tbEUlT_E1_NS1_11comp_targetILNS1_3genE2ELNS1_11target_archE906ELNS1_3gpuE6ELNS1_3repE0EEENS1_30default_config_static_selectorELNS0_4arch9wavefront6targetE0EEEvSQ_.kd
    .uniform_work_group_size: 1
    .uses_dynamic_stack: false
    .vgpr_count:     0
    .vgpr_spill_count: 0
    .wavefront_size: 32
    .workgroup_processor_mode: 1
  - .args:
      - .offset:         0
        .size:           40
        .value_kind:     by_value
    .group_segment_fixed_size: 0
    .kernarg_segment_align: 8
    .kernarg_segment_size: 40
    .language:       OpenCL C
    .language_version:
      - 2
      - 0
    .max_flat_workgroup_size: 256
    .name:           _ZN7rocprim17ROCPRIM_400000_NS6detail17trampoline_kernelINS0_14default_configENS1_22reduce_config_selectorIiEEZNS1_11reduce_implILb1ES3_PiS7_iN6hipcub16HIPCUB_304000_NS6detail34convert_binary_result_type_wrapperINS9_3SumENS9_22TransformInputIteratorIbN2at6native12_GLOBAL__N_19NonZeroOpIdEEPKdlEEiEEEE10hipError_tPvRmT1_T2_T3_mT4_P12ihipStream_tbEUlT_E1_NS1_11comp_targetILNS1_3genE10ELNS1_11target_archE1201ELNS1_3gpuE5ELNS1_3repE0EEENS1_30default_config_static_selectorELNS0_4arch9wavefront6targetE0EEEvSQ_
    .private_segment_fixed_size: 0
    .sgpr_count:     0
    .sgpr_spill_count: 0
    .symbol:         _ZN7rocprim17ROCPRIM_400000_NS6detail17trampoline_kernelINS0_14default_configENS1_22reduce_config_selectorIiEEZNS1_11reduce_implILb1ES3_PiS7_iN6hipcub16HIPCUB_304000_NS6detail34convert_binary_result_type_wrapperINS9_3SumENS9_22TransformInputIteratorIbN2at6native12_GLOBAL__N_19NonZeroOpIdEEPKdlEEiEEEE10hipError_tPvRmT1_T2_T3_mT4_P12ihipStream_tbEUlT_E1_NS1_11comp_targetILNS1_3genE10ELNS1_11target_archE1201ELNS1_3gpuE5ELNS1_3repE0EEENS1_30default_config_static_selectorELNS0_4arch9wavefront6targetE0EEEvSQ_.kd
    .uniform_work_group_size: 1
    .uses_dynamic_stack: false
    .vgpr_count:     0
    .vgpr_spill_count: 0
    .wavefront_size: 32
    .workgroup_processor_mode: 1
  - .args:
      - .offset:         0
        .size:           40
        .value_kind:     by_value
    .group_segment_fixed_size: 0
    .kernarg_segment_align: 8
    .kernarg_segment_size: 40
    .language:       OpenCL C
    .language_version:
      - 2
      - 0
    .max_flat_workgroup_size: 256
    .name:           _ZN7rocprim17ROCPRIM_400000_NS6detail17trampoline_kernelINS0_14default_configENS1_22reduce_config_selectorIiEEZNS1_11reduce_implILb1ES3_PiS7_iN6hipcub16HIPCUB_304000_NS6detail34convert_binary_result_type_wrapperINS9_3SumENS9_22TransformInputIteratorIbN2at6native12_GLOBAL__N_19NonZeroOpIdEEPKdlEEiEEEE10hipError_tPvRmT1_T2_T3_mT4_P12ihipStream_tbEUlT_E1_NS1_11comp_targetILNS1_3genE10ELNS1_11target_archE1200ELNS1_3gpuE4ELNS1_3repE0EEENS1_30default_config_static_selectorELNS0_4arch9wavefront6targetE0EEEvSQ_
    .private_segment_fixed_size: 0
    .sgpr_count:     0
    .sgpr_spill_count: 0
    .symbol:         _ZN7rocprim17ROCPRIM_400000_NS6detail17trampoline_kernelINS0_14default_configENS1_22reduce_config_selectorIiEEZNS1_11reduce_implILb1ES3_PiS7_iN6hipcub16HIPCUB_304000_NS6detail34convert_binary_result_type_wrapperINS9_3SumENS9_22TransformInputIteratorIbN2at6native12_GLOBAL__N_19NonZeroOpIdEEPKdlEEiEEEE10hipError_tPvRmT1_T2_T3_mT4_P12ihipStream_tbEUlT_E1_NS1_11comp_targetILNS1_3genE10ELNS1_11target_archE1200ELNS1_3gpuE4ELNS1_3repE0EEENS1_30default_config_static_selectorELNS0_4arch9wavefront6targetE0EEEvSQ_.kd
    .uniform_work_group_size: 1
    .uses_dynamic_stack: false
    .vgpr_count:     0
    .vgpr_spill_count: 0
    .wavefront_size: 32
    .workgroup_processor_mode: 1
  - .args:
      - .offset:         0
        .size:           40
        .value_kind:     by_value
    .group_segment_fixed_size: 224
    .kernarg_segment_align: 8
    .kernarg_segment_size: 40
    .language:       OpenCL C
    .language_version:
      - 2
      - 0
    .max_flat_workgroup_size: 256
    .name:           _ZN7rocprim17ROCPRIM_400000_NS6detail17trampoline_kernelINS0_14default_configENS1_22reduce_config_selectorIiEEZNS1_11reduce_implILb1ES3_PiS7_iN6hipcub16HIPCUB_304000_NS6detail34convert_binary_result_type_wrapperINS9_3SumENS9_22TransformInputIteratorIbN2at6native12_GLOBAL__N_19NonZeroOpIdEEPKdlEEiEEEE10hipError_tPvRmT1_T2_T3_mT4_P12ihipStream_tbEUlT_E1_NS1_11comp_targetILNS1_3genE9ELNS1_11target_archE1100ELNS1_3gpuE3ELNS1_3repE0EEENS1_30default_config_static_selectorELNS0_4arch9wavefront6targetE0EEEvSQ_
    .private_segment_fixed_size: 0
    .sgpr_count:     29
    .sgpr_spill_count: 0
    .symbol:         _ZN7rocprim17ROCPRIM_400000_NS6detail17trampoline_kernelINS0_14default_configENS1_22reduce_config_selectorIiEEZNS1_11reduce_implILb1ES3_PiS7_iN6hipcub16HIPCUB_304000_NS6detail34convert_binary_result_type_wrapperINS9_3SumENS9_22TransformInputIteratorIbN2at6native12_GLOBAL__N_19NonZeroOpIdEEPKdlEEiEEEE10hipError_tPvRmT1_T2_T3_mT4_P12ihipStream_tbEUlT_E1_NS1_11comp_targetILNS1_3genE9ELNS1_11target_archE1100ELNS1_3gpuE3ELNS1_3repE0EEENS1_30default_config_static_selectorELNS0_4arch9wavefront6targetE0EEEvSQ_.kd
    .uniform_work_group_size: 1
    .uses_dynamic_stack: false
    .vgpr_count:     34
    .vgpr_spill_count: 0
    .wavefront_size: 32
    .workgroup_processor_mode: 1
  - .args:
      - .offset:         0
        .size:           40
        .value_kind:     by_value
    .group_segment_fixed_size: 0
    .kernarg_segment_align: 8
    .kernarg_segment_size: 40
    .language:       OpenCL C
    .language_version:
      - 2
      - 0
    .max_flat_workgroup_size: 256
    .name:           _ZN7rocprim17ROCPRIM_400000_NS6detail17trampoline_kernelINS0_14default_configENS1_22reduce_config_selectorIiEEZNS1_11reduce_implILb1ES3_PiS7_iN6hipcub16HIPCUB_304000_NS6detail34convert_binary_result_type_wrapperINS9_3SumENS9_22TransformInputIteratorIbN2at6native12_GLOBAL__N_19NonZeroOpIdEEPKdlEEiEEEE10hipError_tPvRmT1_T2_T3_mT4_P12ihipStream_tbEUlT_E1_NS1_11comp_targetILNS1_3genE8ELNS1_11target_archE1030ELNS1_3gpuE2ELNS1_3repE0EEENS1_30default_config_static_selectorELNS0_4arch9wavefront6targetE0EEEvSQ_
    .private_segment_fixed_size: 0
    .sgpr_count:     0
    .sgpr_spill_count: 0
    .symbol:         _ZN7rocprim17ROCPRIM_400000_NS6detail17trampoline_kernelINS0_14default_configENS1_22reduce_config_selectorIiEEZNS1_11reduce_implILb1ES3_PiS7_iN6hipcub16HIPCUB_304000_NS6detail34convert_binary_result_type_wrapperINS9_3SumENS9_22TransformInputIteratorIbN2at6native12_GLOBAL__N_19NonZeroOpIdEEPKdlEEiEEEE10hipError_tPvRmT1_T2_T3_mT4_P12ihipStream_tbEUlT_E1_NS1_11comp_targetILNS1_3genE8ELNS1_11target_archE1030ELNS1_3gpuE2ELNS1_3repE0EEENS1_30default_config_static_selectorELNS0_4arch9wavefront6targetE0EEEvSQ_.kd
    .uniform_work_group_size: 1
    .uses_dynamic_stack: false
    .vgpr_count:     0
    .vgpr_spill_count: 0
    .wavefront_size: 32
    .workgroup_processor_mode: 1
  - .args:
      - .offset:         0
        .size:           64
        .value_kind:     by_value
    .group_segment_fixed_size: 0
    .kernarg_segment_align: 8
    .kernarg_segment_size: 64
    .language:       OpenCL C
    .language_version:
      - 2
      - 0
    .max_flat_workgroup_size: 256
    .name:           _ZN7rocprim17ROCPRIM_400000_NS6detail17trampoline_kernelINS0_14default_configENS1_22reduce_config_selectorIbEEZNS1_11reduce_implILb1ES3_N6hipcub16HIPCUB_304000_NS22TransformInputIteratorIbN2at6native12_GLOBAL__N_19NonZeroOpIdEEPKdlEEPiiNS8_6detail34convert_binary_result_type_wrapperINS8_3SumESH_iEEEE10hipError_tPvRmT1_T2_T3_mT4_P12ihipStream_tbEUlT_E0_NS1_11comp_targetILNS1_3genE0ELNS1_11target_archE4294967295ELNS1_3gpuE0ELNS1_3repE0EEENS1_30default_config_static_selectorELNS0_4arch9wavefront6targetE0EEEvSQ_
    .private_segment_fixed_size: 0
    .sgpr_count:     0
    .sgpr_spill_count: 0
    .symbol:         _ZN7rocprim17ROCPRIM_400000_NS6detail17trampoline_kernelINS0_14default_configENS1_22reduce_config_selectorIbEEZNS1_11reduce_implILb1ES3_N6hipcub16HIPCUB_304000_NS22TransformInputIteratorIbN2at6native12_GLOBAL__N_19NonZeroOpIdEEPKdlEEPiiNS8_6detail34convert_binary_result_type_wrapperINS8_3SumESH_iEEEE10hipError_tPvRmT1_T2_T3_mT4_P12ihipStream_tbEUlT_E0_NS1_11comp_targetILNS1_3genE0ELNS1_11target_archE4294967295ELNS1_3gpuE0ELNS1_3repE0EEENS1_30default_config_static_selectorELNS0_4arch9wavefront6targetE0EEEvSQ_.kd
    .uniform_work_group_size: 1
    .uses_dynamic_stack: false
    .vgpr_count:     0
    .vgpr_spill_count: 0
    .wavefront_size: 32
    .workgroup_processor_mode: 1
  - .args:
      - .offset:         0
        .size:           64
        .value_kind:     by_value
    .group_segment_fixed_size: 0
    .kernarg_segment_align: 8
    .kernarg_segment_size: 64
    .language:       OpenCL C
    .language_version:
      - 2
      - 0
    .max_flat_workgroup_size: 256
    .name:           _ZN7rocprim17ROCPRIM_400000_NS6detail17trampoline_kernelINS0_14default_configENS1_22reduce_config_selectorIbEEZNS1_11reduce_implILb1ES3_N6hipcub16HIPCUB_304000_NS22TransformInputIteratorIbN2at6native12_GLOBAL__N_19NonZeroOpIdEEPKdlEEPiiNS8_6detail34convert_binary_result_type_wrapperINS8_3SumESH_iEEEE10hipError_tPvRmT1_T2_T3_mT4_P12ihipStream_tbEUlT_E0_NS1_11comp_targetILNS1_3genE5ELNS1_11target_archE942ELNS1_3gpuE9ELNS1_3repE0EEENS1_30default_config_static_selectorELNS0_4arch9wavefront6targetE0EEEvSQ_
    .private_segment_fixed_size: 0
    .sgpr_count:     0
    .sgpr_spill_count: 0
    .symbol:         _ZN7rocprim17ROCPRIM_400000_NS6detail17trampoline_kernelINS0_14default_configENS1_22reduce_config_selectorIbEEZNS1_11reduce_implILb1ES3_N6hipcub16HIPCUB_304000_NS22TransformInputIteratorIbN2at6native12_GLOBAL__N_19NonZeroOpIdEEPKdlEEPiiNS8_6detail34convert_binary_result_type_wrapperINS8_3SumESH_iEEEE10hipError_tPvRmT1_T2_T3_mT4_P12ihipStream_tbEUlT_E0_NS1_11comp_targetILNS1_3genE5ELNS1_11target_archE942ELNS1_3gpuE9ELNS1_3repE0EEENS1_30default_config_static_selectorELNS0_4arch9wavefront6targetE0EEEvSQ_.kd
    .uniform_work_group_size: 1
    .uses_dynamic_stack: false
    .vgpr_count:     0
    .vgpr_spill_count: 0
    .wavefront_size: 32
    .workgroup_processor_mode: 1
  - .args:
      - .offset:         0
        .size:           64
        .value_kind:     by_value
    .group_segment_fixed_size: 0
    .kernarg_segment_align: 8
    .kernarg_segment_size: 64
    .language:       OpenCL C
    .language_version:
      - 2
      - 0
    .max_flat_workgroup_size: 128
    .name:           _ZN7rocprim17ROCPRIM_400000_NS6detail17trampoline_kernelINS0_14default_configENS1_22reduce_config_selectorIbEEZNS1_11reduce_implILb1ES3_N6hipcub16HIPCUB_304000_NS22TransformInputIteratorIbN2at6native12_GLOBAL__N_19NonZeroOpIdEEPKdlEEPiiNS8_6detail34convert_binary_result_type_wrapperINS8_3SumESH_iEEEE10hipError_tPvRmT1_T2_T3_mT4_P12ihipStream_tbEUlT_E0_NS1_11comp_targetILNS1_3genE4ELNS1_11target_archE910ELNS1_3gpuE8ELNS1_3repE0EEENS1_30default_config_static_selectorELNS0_4arch9wavefront6targetE0EEEvSQ_
    .private_segment_fixed_size: 0
    .sgpr_count:     0
    .sgpr_spill_count: 0
    .symbol:         _ZN7rocprim17ROCPRIM_400000_NS6detail17trampoline_kernelINS0_14default_configENS1_22reduce_config_selectorIbEEZNS1_11reduce_implILb1ES3_N6hipcub16HIPCUB_304000_NS22TransformInputIteratorIbN2at6native12_GLOBAL__N_19NonZeroOpIdEEPKdlEEPiiNS8_6detail34convert_binary_result_type_wrapperINS8_3SumESH_iEEEE10hipError_tPvRmT1_T2_T3_mT4_P12ihipStream_tbEUlT_E0_NS1_11comp_targetILNS1_3genE4ELNS1_11target_archE910ELNS1_3gpuE8ELNS1_3repE0EEENS1_30default_config_static_selectorELNS0_4arch9wavefront6targetE0EEEvSQ_.kd
    .uniform_work_group_size: 1
    .uses_dynamic_stack: false
    .vgpr_count:     0
    .vgpr_spill_count: 0
    .wavefront_size: 32
    .workgroup_processor_mode: 1
  - .args:
      - .offset:         0
        .size:           64
        .value_kind:     by_value
    .group_segment_fixed_size: 0
    .kernarg_segment_align: 8
    .kernarg_segment_size: 64
    .language:       OpenCL C
    .language_version:
      - 2
      - 0
    .max_flat_workgroup_size: 256
    .name:           _ZN7rocprim17ROCPRIM_400000_NS6detail17trampoline_kernelINS0_14default_configENS1_22reduce_config_selectorIbEEZNS1_11reduce_implILb1ES3_N6hipcub16HIPCUB_304000_NS22TransformInputIteratorIbN2at6native12_GLOBAL__N_19NonZeroOpIdEEPKdlEEPiiNS8_6detail34convert_binary_result_type_wrapperINS8_3SumESH_iEEEE10hipError_tPvRmT1_T2_T3_mT4_P12ihipStream_tbEUlT_E0_NS1_11comp_targetILNS1_3genE3ELNS1_11target_archE908ELNS1_3gpuE7ELNS1_3repE0EEENS1_30default_config_static_selectorELNS0_4arch9wavefront6targetE0EEEvSQ_
    .private_segment_fixed_size: 0
    .sgpr_count:     0
    .sgpr_spill_count: 0
    .symbol:         _ZN7rocprim17ROCPRIM_400000_NS6detail17trampoline_kernelINS0_14default_configENS1_22reduce_config_selectorIbEEZNS1_11reduce_implILb1ES3_N6hipcub16HIPCUB_304000_NS22TransformInputIteratorIbN2at6native12_GLOBAL__N_19NonZeroOpIdEEPKdlEEPiiNS8_6detail34convert_binary_result_type_wrapperINS8_3SumESH_iEEEE10hipError_tPvRmT1_T2_T3_mT4_P12ihipStream_tbEUlT_E0_NS1_11comp_targetILNS1_3genE3ELNS1_11target_archE908ELNS1_3gpuE7ELNS1_3repE0EEENS1_30default_config_static_selectorELNS0_4arch9wavefront6targetE0EEEvSQ_.kd
    .uniform_work_group_size: 1
    .uses_dynamic_stack: false
    .vgpr_count:     0
    .vgpr_spill_count: 0
    .wavefront_size: 32
    .workgroup_processor_mode: 1
  - .args:
      - .offset:         0
        .size:           64
        .value_kind:     by_value
    .group_segment_fixed_size: 0
    .kernarg_segment_align: 8
    .kernarg_segment_size: 64
    .language:       OpenCL C
    .language_version:
      - 2
      - 0
    .max_flat_workgroup_size: 128
    .name:           _ZN7rocprim17ROCPRIM_400000_NS6detail17trampoline_kernelINS0_14default_configENS1_22reduce_config_selectorIbEEZNS1_11reduce_implILb1ES3_N6hipcub16HIPCUB_304000_NS22TransformInputIteratorIbN2at6native12_GLOBAL__N_19NonZeroOpIdEEPKdlEEPiiNS8_6detail34convert_binary_result_type_wrapperINS8_3SumESH_iEEEE10hipError_tPvRmT1_T2_T3_mT4_P12ihipStream_tbEUlT_E0_NS1_11comp_targetILNS1_3genE2ELNS1_11target_archE906ELNS1_3gpuE6ELNS1_3repE0EEENS1_30default_config_static_selectorELNS0_4arch9wavefront6targetE0EEEvSQ_
    .private_segment_fixed_size: 0
    .sgpr_count:     0
    .sgpr_spill_count: 0
    .symbol:         _ZN7rocprim17ROCPRIM_400000_NS6detail17trampoline_kernelINS0_14default_configENS1_22reduce_config_selectorIbEEZNS1_11reduce_implILb1ES3_N6hipcub16HIPCUB_304000_NS22TransformInputIteratorIbN2at6native12_GLOBAL__N_19NonZeroOpIdEEPKdlEEPiiNS8_6detail34convert_binary_result_type_wrapperINS8_3SumESH_iEEEE10hipError_tPvRmT1_T2_T3_mT4_P12ihipStream_tbEUlT_E0_NS1_11comp_targetILNS1_3genE2ELNS1_11target_archE906ELNS1_3gpuE6ELNS1_3repE0EEENS1_30default_config_static_selectorELNS0_4arch9wavefront6targetE0EEEvSQ_.kd
    .uniform_work_group_size: 1
    .uses_dynamic_stack: false
    .vgpr_count:     0
    .vgpr_spill_count: 0
    .wavefront_size: 32
    .workgroup_processor_mode: 1
  - .args:
      - .offset:         0
        .size:           64
        .value_kind:     by_value
    .group_segment_fixed_size: 0
    .kernarg_segment_align: 8
    .kernarg_segment_size: 64
    .language:       OpenCL C
    .language_version:
      - 2
      - 0
    .max_flat_workgroup_size: 256
    .name:           _ZN7rocprim17ROCPRIM_400000_NS6detail17trampoline_kernelINS0_14default_configENS1_22reduce_config_selectorIbEEZNS1_11reduce_implILb1ES3_N6hipcub16HIPCUB_304000_NS22TransformInputIteratorIbN2at6native12_GLOBAL__N_19NonZeroOpIdEEPKdlEEPiiNS8_6detail34convert_binary_result_type_wrapperINS8_3SumESH_iEEEE10hipError_tPvRmT1_T2_T3_mT4_P12ihipStream_tbEUlT_E0_NS1_11comp_targetILNS1_3genE10ELNS1_11target_archE1201ELNS1_3gpuE5ELNS1_3repE0EEENS1_30default_config_static_selectorELNS0_4arch9wavefront6targetE0EEEvSQ_
    .private_segment_fixed_size: 0
    .sgpr_count:     0
    .sgpr_spill_count: 0
    .symbol:         _ZN7rocprim17ROCPRIM_400000_NS6detail17trampoline_kernelINS0_14default_configENS1_22reduce_config_selectorIbEEZNS1_11reduce_implILb1ES3_N6hipcub16HIPCUB_304000_NS22TransformInputIteratorIbN2at6native12_GLOBAL__N_19NonZeroOpIdEEPKdlEEPiiNS8_6detail34convert_binary_result_type_wrapperINS8_3SumESH_iEEEE10hipError_tPvRmT1_T2_T3_mT4_P12ihipStream_tbEUlT_E0_NS1_11comp_targetILNS1_3genE10ELNS1_11target_archE1201ELNS1_3gpuE5ELNS1_3repE0EEENS1_30default_config_static_selectorELNS0_4arch9wavefront6targetE0EEEvSQ_.kd
    .uniform_work_group_size: 1
    .uses_dynamic_stack: false
    .vgpr_count:     0
    .vgpr_spill_count: 0
    .wavefront_size: 32
    .workgroup_processor_mode: 1
  - .args:
      - .offset:         0
        .size:           64
        .value_kind:     by_value
    .group_segment_fixed_size: 0
    .kernarg_segment_align: 8
    .kernarg_segment_size: 64
    .language:       OpenCL C
    .language_version:
      - 2
      - 0
    .max_flat_workgroup_size: 256
    .name:           _ZN7rocprim17ROCPRIM_400000_NS6detail17trampoline_kernelINS0_14default_configENS1_22reduce_config_selectorIbEEZNS1_11reduce_implILb1ES3_N6hipcub16HIPCUB_304000_NS22TransformInputIteratorIbN2at6native12_GLOBAL__N_19NonZeroOpIdEEPKdlEEPiiNS8_6detail34convert_binary_result_type_wrapperINS8_3SumESH_iEEEE10hipError_tPvRmT1_T2_T3_mT4_P12ihipStream_tbEUlT_E0_NS1_11comp_targetILNS1_3genE10ELNS1_11target_archE1200ELNS1_3gpuE4ELNS1_3repE0EEENS1_30default_config_static_selectorELNS0_4arch9wavefront6targetE0EEEvSQ_
    .private_segment_fixed_size: 0
    .sgpr_count:     0
    .sgpr_spill_count: 0
    .symbol:         _ZN7rocprim17ROCPRIM_400000_NS6detail17trampoline_kernelINS0_14default_configENS1_22reduce_config_selectorIbEEZNS1_11reduce_implILb1ES3_N6hipcub16HIPCUB_304000_NS22TransformInputIteratorIbN2at6native12_GLOBAL__N_19NonZeroOpIdEEPKdlEEPiiNS8_6detail34convert_binary_result_type_wrapperINS8_3SumESH_iEEEE10hipError_tPvRmT1_T2_T3_mT4_P12ihipStream_tbEUlT_E0_NS1_11comp_targetILNS1_3genE10ELNS1_11target_archE1200ELNS1_3gpuE4ELNS1_3repE0EEENS1_30default_config_static_selectorELNS0_4arch9wavefront6targetE0EEEvSQ_.kd
    .uniform_work_group_size: 1
    .uses_dynamic_stack: false
    .vgpr_count:     0
    .vgpr_spill_count: 0
    .wavefront_size: 32
    .workgroup_processor_mode: 1
  - .args:
      - .offset:         0
        .size:           64
        .value_kind:     by_value
    .group_segment_fixed_size: 32
    .kernarg_segment_align: 8
    .kernarg_segment_size: 64
    .language:       OpenCL C
    .language_version:
      - 2
      - 0
    .max_flat_workgroup_size: 128
    .name:           _ZN7rocprim17ROCPRIM_400000_NS6detail17trampoline_kernelINS0_14default_configENS1_22reduce_config_selectorIbEEZNS1_11reduce_implILb1ES3_N6hipcub16HIPCUB_304000_NS22TransformInputIteratorIbN2at6native12_GLOBAL__N_19NonZeroOpIdEEPKdlEEPiiNS8_6detail34convert_binary_result_type_wrapperINS8_3SumESH_iEEEE10hipError_tPvRmT1_T2_T3_mT4_P12ihipStream_tbEUlT_E0_NS1_11comp_targetILNS1_3genE9ELNS1_11target_archE1100ELNS1_3gpuE3ELNS1_3repE0EEENS1_30default_config_static_selectorELNS0_4arch9wavefront6targetE0EEEvSQ_
    .private_segment_fixed_size: 0
    .sgpr_count:     32
    .sgpr_spill_count: 0
    .symbol:         _ZN7rocprim17ROCPRIM_400000_NS6detail17trampoline_kernelINS0_14default_configENS1_22reduce_config_selectorIbEEZNS1_11reduce_implILb1ES3_N6hipcub16HIPCUB_304000_NS22TransformInputIteratorIbN2at6native12_GLOBAL__N_19NonZeroOpIdEEPKdlEEPiiNS8_6detail34convert_binary_result_type_wrapperINS8_3SumESH_iEEEE10hipError_tPvRmT1_T2_T3_mT4_P12ihipStream_tbEUlT_E0_NS1_11comp_targetILNS1_3genE9ELNS1_11target_archE1100ELNS1_3gpuE3ELNS1_3repE0EEENS1_30default_config_static_selectorELNS0_4arch9wavefront6targetE0EEEvSQ_.kd
    .uniform_work_group_size: 1
    .uses_dynamic_stack: false
    .vgpr_count:     35
    .vgpr_spill_count: 0
    .wavefront_size: 32
    .workgroup_processor_mode: 1
  - .args:
      - .offset:         0
        .size:           64
        .value_kind:     by_value
    .group_segment_fixed_size: 0
    .kernarg_segment_align: 8
    .kernarg_segment_size: 64
    .language:       OpenCL C
    .language_version:
      - 2
      - 0
    .max_flat_workgroup_size: 256
    .name:           _ZN7rocprim17ROCPRIM_400000_NS6detail17trampoline_kernelINS0_14default_configENS1_22reduce_config_selectorIbEEZNS1_11reduce_implILb1ES3_N6hipcub16HIPCUB_304000_NS22TransformInputIteratorIbN2at6native12_GLOBAL__N_19NonZeroOpIdEEPKdlEEPiiNS8_6detail34convert_binary_result_type_wrapperINS8_3SumESH_iEEEE10hipError_tPvRmT1_T2_T3_mT4_P12ihipStream_tbEUlT_E0_NS1_11comp_targetILNS1_3genE8ELNS1_11target_archE1030ELNS1_3gpuE2ELNS1_3repE0EEENS1_30default_config_static_selectorELNS0_4arch9wavefront6targetE0EEEvSQ_
    .private_segment_fixed_size: 0
    .sgpr_count:     0
    .sgpr_spill_count: 0
    .symbol:         _ZN7rocprim17ROCPRIM_400000_NS6detail17trampoline_kernelINS0_14default_configENS1_22reduce_config_selectorIbEEZNS1_11reduce_implILb1ES3_N6hipcub16HIPCUB_304000_NS22TransformInputIteratorIbN2at6native12_GLOBAL__N_19NonZeroOpIdEEPKdlEEPiiNS8_6detail34convert_binary_result_type_wrapperINS8_3SumESH_iEEEE10hipError_tPvRmT1_T2_T3_mT4_P12ihipStream_tbEUlT_E0_NS1_11comp_targetILNS1_3genE8ELNS1_11target_archE1030ELNS1_3gpuE2ELNS1_3repE0EEENS1_30default_config_static_selectorELNS0_4arch9wavefront6targetE0EEEvSQ_.kd
    .uniform_work_group_size: 1
    .uses_dynamic_stack: false
    .vgpr_count:     0
    .vgpr_spill_count: 0
    .wavefront_size: 32
    .workgroup_processor_mode: 1
  - .args:
      - .offset:         0
        .size:           48
        .value_kind:     by_value
    .group_segment_fixed_size: 0
    .kernarg_segment_align: 8
    .kernarg_segment_size: 48
    .language:       OpenCL C
    .language_version:
      - 2
      - 0
    .max_flat_workgroup_size: 256
    .name:           _ZN7rocprim17ROCPRIM_400000_NS6detail17trampoline_kernelINS0_14default_configENS1_22reduce_config_selectorIbEEZNS1_11reduce_implILb1ES3_N6hipcub16HIPCUB_304000_NS22TransformInputIteratorIbN2at6native12_GLOBAL__N_19NonZeroOpIdEEPKdlEEPiiNS8_6detail34convert_binary_result_type_wrapperINS8_3SumESH_iEEEE10hipError_tPvRmT1_T2_T3_mT4_P12ihipStream_tbEUlT_E1_NS1_11comp_targetILNS1_3genE0ELNS1_11target_archE4294967295ELNS1_3gpuE0ELNS1_3repE0EEENS1_30default_config_static_selectorELNS0_4arch9wavefront6targetE0EEEvSQ_
    .private_segment_fixed_size: 0
    .sgpr_count:     0
    .sgpr_spill_count: 0
    .symbol:         _ZN7rocprim17ROCPRIM_400000_NS6detail17trampoline_kernelINS0_14default_configENS1_22reduce_config_selectorIbEEZNS1_11reduce_implILb1ES3_N6hipcub16HIPCUB_304000_NS22TransformInputIteratorIbN2at6native12_GLOBAL__N_19NonZeroOpIdEEPKdlEEPiiNS8_6detail34convert_binary_result_type_wrapperINS8_3SumESH_iEEEE10hipError_tPvRmT1_T2_T3_mT4_P12ihipStream_tbEUlT_E1_NS1_11comp_targetILNS1_3genE0ELNS1_11target_archE4294967295ELNS1_3gpuE0ELNS1_3repE0EEENS1_30default_config_static_selectorELNS0_4arch9wavefront6targetE0EEEvSQ_.kd
    .uniform_work_group_size: 1
    .uses_dynamic_stack: false
    .vgpr_count:     0
    .vgpr_spill_count: 0
    .wavefront_size: 32
    .workgroup_processor_mode: 1
  - .args:
      - .offset:         0
        .size:           48
        .value_kind:     by_value
    .group_segment_fixed_size: 0
    .kernarg_segment_align: 8
    .kernarg_segment_size: 48
    .language:       OpenCL C
    .language_version:
      - 2
      - 0
    .max_flat_workgroup_size: 256
    .name:           _ZN7rocprim17ROCPRIM_400000_NS6detail17trampoline_kernelINS0_14default_configENS1_22reduce_config_selectorIbEEZNS1_11reduce_implILb1ES3_N6hipcub16HIPCUB_304000_NS22TransformInputIteratorIbN2at6native12_GLOBAL__N_19NonZeroOpIdEEPKdlEEPiiNS8_6detail34convert_binary_result_type_wrapperINS8_3SumESH_iEEEE10hipError_tPvRmT1_T2_T3_mT4_P12ihipStream_tbEUlT_E1_NS1_11comp_targetILNS1_3genE5ELNS1_11target_archE942ELNS1_3gpuE9ELNS1_3repE0EEENS1_30default_config_static_selectorELNS0_4arch9wavefront6targetE0EEEvSQ_
    .private_segment_fixed_size: 0
    .sgpr_count:     0
    .sgpr_spill_count: 0
    .symbol:         _ZN7rocprim17ROCPRIM_400000_NS6detail17trampoline_kernelINS0_14default_configENS1_22reduce_config_selectorIbEEZNS1_11reduce_implILb1ES3_N6hipcub16HIPCUB_304000_NS22TransformInputIteratorIbN2at6native12_GLOBAL__N_19NonZeroOpIdEEPKdlEEPiiNS8_6detail34convert_binary_result_type_wrapperINS8_3SumESH_iEEEE10hipError_tPvRmT1_T2_T3_mT4_P12ihipStream_tbEUlT_E1_NS1_11comp_targetILNS1_3genE5ELNS1_11target_archE942ELNS1_3gpuE9ELNS1_3repE0EEENS1_30default_config_static_selectorELNS0_4arch9wavefront6targetE0EEEvSQ_.kd
    .uniform_work_group_size: 1
    .uses_dynamic_stack: false
    .vgpr_count:     0
    .vgpr_spill_count: 0
    .wavefront_size: 32
    .workgroup_processor_mode: 1
  - .args:
      - .offset:         0
        .size:           48
        .value_kind:     by_value
    .group_segment_fixed_size: 0
    .kernarg_segment_align: 8
    .kernarg_segment_size: 48
    .language:       OpenCL C
    .language_version:
      - 2
      - 0
    .max_flat_workgroup_size: 128
    .name:           _ZN7rocprim17ROCPRIM_400000_NS6detail17trampoline_kernelINS0_14default_configENS1_22reduce_config_selectorIbEEZNS1_11reduce_implILb1ES3_N6hipcub16HIPCUB_304000_NS22TransformInputIteratorIbN2at6native12_GLOBAL__N_19NonZeroOpIdEEPKdlEEPiiNS8_6detail34convert_binary_result_type_wrapperINS8_3SumESH_iEEEE10hipError_tPvRmT1_T2_T3_mT4_P12ihipStream_tbEUlT_E1_NS1_11comp_targetILNS1_3genE4ELNS1_11target_archE910ELNS1_3gpuE8ELNS1_3repE0EEENS1_30default_config_static_selectorELNS0_4arch9wavefront6targetE0EEEvSQ_
    .private_segment_fixed_size: 0
    .sgpr_count:     0
    .sgpr_spill_count: 0
    .symbol:         _ZN7rocprim17ROCPRIM_400000_NS6detail17trampoline_kernelINS0_14default_configENS1_22reduce_config_selectorIbEEZNS1_11reduce_implILb1ES3_N6hipcub16HIPCUB_304000_NS22TransformInputIteratorIbN2at6native12_GLOBAL__N_19NonZeroOpIdEEPKdlEEPiiNS8_6detail34convert_binary_result_type_wrapperINS8_3SumESH_iEEEE10hipError_tPvRmT1_T2_T3_mT4_P12ihipStream_tbEUlT_E1_NS1_11comp_targetILNS1_3genE4ELNS1_11target_archE910ELNS1_3gpuE8ELNS1_3repE0EEENS1_30default_config_static_selectorELNS0_4arch9wavefront6targetE0EEEvSQ_.kd
    .uniform_work_group_size: 1
    .uses_dynamic_stack: false
    .vgpr_count:     0
    .vgpr_spill_count: 0
    .wavefront_size: 32
    .workgroup_processor_mode: 1
  - .args:
      - .offset:         0
        .size:           48
        .value_kind:     by_value
    .group_segment_fixed_size: 0
    .kernarg_segment_align: 8
    .kernarg_segment_size: 48
    .language:       OpenCL C
    .language_version:
      - 2
      - 0
    .max_flat_workgroup_size: 256
    .name:           _ZN7rocprim17ROCPRIM_400000_NS6detail17trampoline_kernelINS0_14default_configENS1_22reduce_config_selectorIbEEZNS1_11reduce_implILb1ES3_N6hipcub16HIPCUB_304000_NS22TransformInputIteratorIbN2at6native12_GLOBAL__N_19NonZeroOpIdEEPKdlEEPiiNS8_6detail34convert_binary_result_type_wrapperINS8_3SumESH_iEEEE10hipError_tPvRmT1_T2_T3_mT4_P12ihipStream_tbEUlT_E1_NS1_11comp_targetILNS1_3genE3ELNS1_11target_archE908ELNS1_3gpuE7ELNS1_3repE0EEENS1_30default_config_static_selectorELNS0_4arch9wavefront6targetE0EEEvSQ_
    .private_segment_fixed_size: 0
    .sgpr_count:     0
    .sgpr_spill_count: 0
    .symbol:         _ZN7rocprim17ROCPRIM_400000_NS6detail17trampoline_kernelINS0_14default_configENS1_22reduce_config_selectorIbEEZNS1_11reduce_implILb1ES3_N6hipcub16HIPCUB_304000_NS22TransformInputIteratorIbN2at6native12_GLOBAL__N_19NonZeroOpIdEEPKdlEEPiiNS8_6detail34convert_binary_result_type_wrapperINS8_3SumESH_iEEEE10hipError_tPvRmT1_T2_T3_mT4_P12ihipStream_tbEUlT_E1_NS1_11comp_targetILNS1_3genE3ELNS1_11target_archE908ELNS1_3gpuE7ELNS1_3repE0EEENS1_30default_config_static_selectorELNS0_4arch9wavefront6targetE0EEEvSQ_.kd
    .uniform_work_group_size: 1
    .uses_dynamic_stack: false
    .vgpr_count:     0
    .vgpr_spill_count: 0
    .wavefront_size: 32
    .workgroup_processor_mode: 1
  - .args:
      - .offset:         0
        .size:           48
        .value_kind:     by_value
    .group_segment_fixed_size: 0
    .kernarg_segment_align: 8
    .kernarg_segment_size: 48
    .language:       OpenCL C
    .language_version:
      - 2
      - 0
    .max_flat_workgroup_size: 128
    .name:           _ZN7rocprim17ROCPRIM_400000_NS6detail17trampoline_kernelINS0_14default_configENS1_22reduce_config_selectorIbEEZNS1_11reduce_implILb1ES3_N6hipcub16HIPCUB_304000_NS22TransformInputIteratorIbN2at6native12_GLOBAL__N_19NonZeroOpIdEEPKdlEEPiiNS8_6detail34convert_binary_result_type_wrapperINS8_3SumESH_iEEEE10hipError_tPvRmT1_T2_T3_mT4_P12ihipStream_tbEUlT_E1_NS1_11comp_targetILNS1_3genE2ELNS1_11target_archE906ELNS1_3gpuE6ELNS1_3repE0EEENS1_30default_config_static_selectorELNS0_4arch9wavefront6targetE0EEEvSQ_
    .private_segment_fixed_size: 0
    .sgpr_count:     0
    .sgpr_spill_count: 0
    .symbol:         _ZN7rocprim17ROCPRIM_400000_NS6detail17trampoline_kernelINS0_14default_configENS1_22reduce_config_selectorIbEEZNS1_11reduce_implILb1ES3_N6hipcub16HIPCUB_304000_NS22TransformInputIteratorIbN2at6native12_GLOBAL__N_19NonZeroOpIdEEPKdlEEPiiNS8_6detail34convert_binary_result_type_wrapperINS8_3SumESH_iEEEE10hipError_tPvRmT1_T2_T3_mT4_P12ihipStream_tbEUlT_E1_NS1_11comp_targetILNS1_3genE2ELNS1_11target_archE906ELNS1_3gpuE6ELNS1_3repE0EEENS1_30default_config_static_selectorELNS0_4arch9wavefront6targetE0EEEvSQ_.kd
    .uniform_work_group_size: 1
    .uses_dynamic_stack: false
    .vgpr_count:     0
    .vgpr_spill_count: 0
    .wavefront_size: 32
    .workgroup_processor_mode: 1
  - .args:
      - .offset:         0
        .size:           48
        .value_kind:     by_value
    .group_segment_fixed_size: 0
    .kernarg_segment_align: 8
    .kernarg_segment_size: 48
    .language:       OpenCL C
    .language_version:
      - 2
      - 0
    .max_flat_workgroup_size: 256
    .name:           _ZN7rocprim17ROCPRIM_400000_NS6detail17trampoline_kernelINS0_14default_configENS1_22reduce_config_selectorIbEEZNS1_11reduce_implILb1ES3_N6hipcub16HIPCUB_304000_NS22TransformInputIteratorIbN2at6native12_GLOBAL__N_19NonZeroOpIdEEPKdlEEPiiNS8_6detail34convert_binary_result_type_wrapperINS8_3SumESH_iEEEE10hipError_tPvRmT1_T2_T3_mT4_P12ihipStream_tbEUlT_E1_NS1_11comp_targetILNS1_3genE10ELNS1_11target_archE1201ELNS1_3gpuE5ELNS1_3repE0EEENS1_30default_config_static_selectorELNS0_4arch9wavefront6targetE0EEEvSQ_
    .private_segment_fixed_size: 0
    .sgpr_count:     0
    .sgpr_spill_count: 0
    .symbol:         _ZN7rocprim17ROCPRIM_400000_NS6detail17trampoline_kernelINS0_14default_configENS1_22reduce_config_selectorIbEEZNS1_11reduce_implILb1ES3_N6hipcub16HIPCUB_304000_NS22TransformInputIteratorIbN2at6native12_GLOBAL__N_19NonZeroOpIdEEPKdlEEPiiNS8_6detail34convert_binary_result_type_wrapperINS8_3SumESH_iEEEE10hipError_tPvRmT1_T2_T3_mT4_P12ihipStream_tbEUlT_E1_NS1_11comp_targetILNS1_3genE10ELNS1_11target_archE1201ELNS1_3gpuE5ELNS1_3repE0EEENS1_30default_config_static_selectorELNS0_4arch9wavefront6targetE0EEEvSQ_.kd
    .uniform_work_group_size: 1
    .uses_dynamic_stack: false
    .vgpr_count:     0
    .vgpr_spill_count: 0
    .wavefront_size: 32
    .workgroup_processor_mode: 1
  - .args:
      - .offset:         0
        .size:           48
        .value_kind:     by_value
    .group_segment_fixed_size: 0
    .kernarg_segment_align: 8
    .kernarg_segment_size: 48
    .language:       OpenCL C
    .language_version:
      - 2
      - 0
    .max_flat_workgroup_size: 256
    .name:           _ZN7rocprim17ROCPRIM_400000_NS6detail17trampoline_kernelINS0_14default_configENS1_22reduce_config_selectorIbEEZNS1_11reduce_implILb1ES3_N6hipcub16HIPCUB_304000_NS22TransformInputIteratorIbN2at6native12_GLOBAL__N_19NonZeroOpIdEEPKdlEEPiiNS8_6detail34convert_binary_result_type_wrapperINS8_3SumESH_iEEEE10hipError_tPvRmT1_T2_T3_mT4_P12ihipStream_tbEUlT_E1_NS1_11comp_targetILNS1_3genE10ELNS1_11target_archE1200ELNS1_3gpuE4ELNS1_3repE0EEENS1_30default_config_static_selectorELNS0_4arch9wavefront6targetE0EEEvSQ_
    .private_segment_fixed_size: 0
    .sgpr_count:     0
    .sgpr_spill_count: 0
    .symbol:         _ZN7rocprim17ROCPRIM_400000_NS6detail17trampoline_kernelINS0_14default_configENS1_22reduce_config_selectorIbEEZNS1_11reduce_implILb1ES3_N6hipcub16HIPCUB_304000_NS22TransformInputIteratorIbN2at6native12_GLOBAL__N_19NonZeroOpIdEEPKdlEEPiiNS8_6detail34convert_binary_result_type_wrapperINS8_3SumESH_iEEEE10hipError_tPvRmT1_T2_T3_mT4_P12ihipStream_tbEUlT_E1_NS1_11comp_targetILNS1_3genE10ELNS1_11target_archE1200ELNS1_3gpuE4ELNS1_3repE0EEENS1_30default_config_static_selectorELNS0_4arch9wavefront6targetE0EEEvSQ_.kd
    .uniform_work_group_size: 1
    .uses_dynamic_stack: false
    .vgpr_count:     0
    .vgpr_spill_count: 0
    .wavefront_size: 32
    .workgroup_processor_mode: 1
  - .args:
      - .offset:         0
        .size:           48
        .value_kind:     by_value
    .group_segment_fixed_size: 144
    .kernarg_segment_align: 8
    .kernarg_segment_size: 48
    .language:       OpenCL C
    .language_version:
      - 2
      - 0
    .max_flat_workgroup_size: 128
    .name:           _ZN7rocprim17ROCPRIM_400000_NS6detail17trampoline_kernelINS0_14default_configENS1_22reduce_config_selectorIbEEZNS1_11reduce_implILb1ES3_N6hipcub16HIPCUB_304000_NS22TransformInputIteratorIbN2at6native12_GLOBAL__N_19NonZeroOpIdEEPKdlEEPiiNS8_6detail34convert_binary_result_type_wrapperINS8_3SumESH_iEEEE10hipError_tPvRmT1_T2_T3_mT4_P12ihipStream_tbEUlT_E1_NS1_11comp_targetILNS1_3genE9ELNS1_11target_archE1100ELNS1_3gpuE3ELNS1_3repE0EEENS1_30default_config_static_selectorELNS0_4arch9wavefront6targetE0EEEvSQ_
    .private_segment_fixed_size: 0
    .sgpr_count:     36
    .sgpr_spill_count: 0
    .symbol:         _ZN7rocprim17ROCPRIM_400000_NS6detail17trampoline_kernelINS0_14default_configENS1_22reduce_config_selectorIbEEZNS1_11reduce_implILb1ES3_N6hipcub16HIPCUB_304000_NS22TransformInputIteratorIbN2at6native12_GLOBAL__N_19NonZeroOpIdEEPKdlEEPiiNS8_6detail34convert_binary_result_type_wrapperINS8_3SumESH_iEEEE10hipError_tPvRmT1_T2_T3_mT4_P12ihipStream_tbEUlT_E1_NS1_11comp_targetILNS1_3genE9ELNS1_11target_archE1100ELNS1_3gpuE3ELNS1_3repE0EEENS1_30default_config_static_selectorELNS0_4arch9wavefront6targetE0EEEvSQ_.kd
    .uniform_work_group_size: 1
    .uses_dynamic_stack: false
    .vgpr_count:     142
    .vgpr_spill_count: 0
    .wavefront_size: 32
    .workgroup_processor_mode: 1
  - .args:
      - .offset:         0
        .size:           48
        .value_kind:     by_value
    .group_segment_fixed_size: 0
    .kernarg_segment_align: 8
    .kernarg_segment_size: 48
    .language:       OpenCL C
    .language_version:
      - 2
      - 0
    .max_flat_workgroup_size: 256
    .name:           _ZN7rocprim17ROCPRIM_400000_NS6detail17trampoline_kernelINS0_14default_configENS1_22reduce_config_selectorIbEEZNS1_11reduce_implILb1ES3_N6hipcub16HIPCUB_304000_NS22TransformInputIteratorIbN2at6native12_GLOBAL__N_19NonZeroOpIdEEPKdlEEPiiNS8_6detail34convert_binary_result_type_wrapperINS8_3SumESH_iEEEE10hipError_tPvRmT1_T2_T3_mT4_P12ihipStream_tbEUlT_E1_NS1_11comp_targetILNS1_3genE8ELNS1_11target_archE1030ELNS1_3gpuE2ELNS1_3repE0EEENS1_30default_config_static_selectorELNS0_4arch9wavefront6targetE0EEEvSQ_
    .private_segment_fixed_size: 0
    .sgpr_count:     0
    .sgpr_spill_count: 0
    .symbol:         _ZN7rocprim17ROCPRIM_400000_NS6detail17trampoline_kernelINS0_14default_configENS1_22reduce_config_selectorIbEEZNS1_11reduce_implILb1ES3_N6hipcub16HIPCUB_304000_NS22TransformInputIteratorIbN2at6native12_GLOBAL__N_19NonZeroOpIdEEPKdlEEPiiNS8_6detail34convert_binary_result_type_wrapperINS8_3SumESH_iEEEE10hipError_tPvRmT1_T2_T3_mT4_P12ihipStream_tbEUlT_E1_NS1_11comp_targetILNS1_3genE8ELNS1_11target_archE1030ELNS1_3gpuE2ELNS1_3repE0EEENS1_30default_config_static_selectorELNS0_4arch9wavefront6targetE0EEEvSQ_.kd
    .uniform_work_group_size: 1
    .uses_dynamic_stack: false
    .vgpr_count:     0
    .vgpr_spill_count: 0
    .wavefront_size: 32
    .workgroup_processor_mode: 1
  - .args:
      - .offset:         0
        .size:           120
        .value_kind:     by_value
    .group_segment_fixed_size: 0
    .kernarg_segment_align: 8
    .kernarg_segment_size: 120
    .language:       OpenCL C
    .language_version:
      - 2
      - 0
    .max_flat_workgroup_size: 128
    .name:           _ZN7rocprim17ROCPRIM_400000_NS6detail17trampoline_kernelINS0_14default_configENS1_25partition_config_selectorILNS1_17partition_subalgoE5ElNS0_10empty_typeEbEEZZNS1_14partition_implILS5_5ELb0ES3_mN6hipcub16HIPCUB_304000_NS21CountingInputIteratorIllEEPS6_NSA_22TransformInputIteratorIbN2at6native12_GLOBAL__N_19NonZeroOpIdEEPKdlEENS0_5tupleIJPlS6_EEENSN_IJSD_SD_EEES6_PiJS6_EEE10hipError_tPvRmT3_T4_T5_T6_T7_T9_mT8_P12ihipStream_tbDpT10_ENKUlT_T0_E_clISt17integral_constantIbLb0EES1B_EEDaS16_S17_EUlS16_E_NS1_11comp_targetILNS1_3genE0ELNS1_11target_archE4294967295ELNS1_3gpuE0ELNS1_3repE0EEENS1_30default_config_static_selectorELNS0_4arch9wavefront6targetE0EEEvT1_
    .private_segment_fixed_size: 0
    .sgpr_count:     0
    .sgpr_spill_count: 0
    .symbol:         _ZN7rocprim17ROCPRIM_400000_NS6detail17trampoline_kernelINS0_14default_configENS1_25partition_config_selectorILNS1_17partition_subalgoE5ElNS0_10empty_typeEbEEZZNS1_14partition_implILS5_5ELb0ES3_mN6hipcub16HIPCUB_304000_NS21CountingInputIteratorIllEEPS6_NSA_22TransformInputIteratorIbN2at6native12_GLOBAL__N_19NonZeroOpIdEEPKdlEENS0_5tupleIJPlS6_EEENSN_IJSD_SD_EEES6_PiJS6_EEE10hipError_tPvRmT3_T4_T5_T6_T7_T9_mT8_P12ihipStream_tbDpT10_ENKUlT_T0_E_clISt17integral_constantIbLb0EES1B_EEDaS16_S17_EUlS16_E_NS1_11comp_targetILNS1_3genE0ELNS1_11target_archE4294967295ELNS1_3gpuE0ELNS1_3repE0EEENS1_30default_config_static_selectorELNS0_4arch9wavefront6targetE0EEEvT1_.kd
    .uniform_work_group_size: 1
    .uses_dynamic_stack: false
    .vgpr_count:     0
    .vgpr_spill_count: 0
    .wavefront_size: 32
    .workgroup_processor_mode: 1
  - .args:
      - .offset:         0
        .size:           120
        .value_kind:     by_value
    .group_segment_fixed_size: 0
    .kernarg_segment_align: 8
    .kernarg_segment_size: 120
    .language:       OpenCL C
    .language_version:
      - 2
      - 0
    .max_flat_workgroup_size: 512
    .name:           _ZN7rocprim17ROCPRIM_400000_NS6detail17trampoline_kernelINS0_14default_configENS1_25partition_config_selectorILNS1_17partition_subalgoE5ElNS0_10empty_typeEbEEZZNS1_14partition_implILS5_5ELb0ES3_mN6hipcub16HIPCUB_304000_NS21CountingInputIteratorIllEEPS6_NSA_22TransformInputIteratorIbN2at6native12_GLOBAL__N_19NonZeroOpIdEEPKdlEENS0_5tupleIJPlS6_EEENSN_IJSD_SD_EEES6_PiJS6_EEE10hipError_tPvRmT3_T4_T5_T6_T7_T9_mT8_P12ihipStream_tbDpT10_ENKUlT_T0_E_clISt17integral_constantIbLb0EES1B_EEDaS16_S17_EUlS16_E_NS1_11comp_targetILNS1_3genE5ELNS1_11target_archE942ELNS1_3gpuE9ELNS1_3repE0EEENS1_30default_config_static_selectorELNS0_4arch9wavefront6targetE0EEEvT1_
    .private_segment_fixed_size: 0
    .sgpr_count:     0
    .sgpr_spill_count: 0
    .symbol:         _ZN7rocprim17ROCPRIM_400000_NS6detail17trampoline_kernelINS0_14default_configENS1_25partition_config_selectorILNS1_17partition_subalgoE5ElNS0_10empty_typeEbEEZZNS1_14partition_implILS5_5ELb0ES3_mN6hipcub16HIPCUB_304000_NS21CountingInputIteratorIllEEPS6_NSA_22TransformInputIteratorIbN2at6native12_GLOBAL__N_19NonZeroOpIdEEPKdlEENS0_5tupleIJPlS6_EEENSN_IJSD_SD_EEES6_PiJS6_EEE10hipError_tPvRmT3_T4_T5_T6_T7_T9_mT8_P12ihipStream_tbDpT10_ENKUlT_T0_E_clISt17integral_constantIbLb0EES1B_EEDaS16_S17_EUlS16_E_NS1_11comp_targetILNS1_3genE5ELNS1_11target_archE942ELNS1_3gpuE9ELNS1_3repE0EEENS1_30default_config_static_selectorELNS0_4arch9wavefront6targetE0EEEvT1_.kd
    .uniform_work_group_size: 1
    .uses_dynamic_stack: false
    .vgpr_count:     0
    .vgpr_spill_count: 0
    .wavefront_size: 32
    .workgroup_processor_mode: 1
  - .args:
      - .offset:         0
        .size:           120
        .value_kind:     by_value
    .group_segment_fixed_size: 0
    .kernarg_segment_align: 8
    .kernarg_segment_size: 120
    .language:       OpenCL C
    .language_version:
      - 2
      - 0
    .max_flat_workgroup_size: 192
    .name:           _ZN7rocprim17ROCPRIM_400000_NS6detail17trampoline_kernelINS0_14default_configENS1_25partition_config_selectorILNS1_17partition_subalgoE5ElNS0_10empty_typeEbEEZZNS1_14partition_implILS5_5ELb0ES3_mN6hipcub16HIPCUB_304000_NS21CountingInputIteratorIllEEPS6_NSA_22TransformInputIteratorIbN2at6native12_GLOBAL__N_19NonZeroOpIdEEPKdlEENS0_5tupleIJPlS6_EEENSN_IJSD_SD_EEES6_PiJS6_EEE10hipError_tPvRmT3_T4_T5_T6_T7_T9_mT8_P12ihipStream_tbDpT10_ENKUlT_T0_E_clISt17integral_constantIbLb0EES1B_EEDaS16_S17_EUlS16_E_NS1_11comp_targetILNS1_3genE4ELNS1_11target_archE910ELNS1_3gpuE8ELNS1_3repE0EEENS1_30default_config_static_selectorELNS0_4arch9wavefront6targetE0EEEvT1_
    .private_segment_fixed_size: 0
    .sgpr_count:     0
    .sgpr_spill_count: 0
    .symbol:         _ZN7rocprim17ROCPRIM_400000_NS6detail17trampoline_kernelINS0_14default_configENS1_25partition_config_selectorILNS1_17partition_subalgoE5ElNS0_10empty_typeEbEEZZNS1_14partition_implILS5_5ELb0ES3_mN6hipcub16HIPCUB_304000_NS21CountingInputIteratorIllEEPS6_NSA_22TransformInputIteratorIbN2at6native12_GLOBAL__N_19NonZeroOpIdEEPKdlEENS0_5tupleIJPlS6_EEENSN_IJSD_SD_EEES6_PiJS6_EEE10hipError_tPvRmT3_T4_T5_T6_T7_T9_mT8_P12ihipStream_tbDpT10_ENKUlT_T0_E_clISt17integral_constantIbLb0EES1B_EEDaS16_S17_EUlS16_E_NS1_11comp_targetILNS1_3genE4ELNS1_11target_archE910ELNS1_3gpuE8ELNS1_3repE0EEENS1_30default_config_static_selectorELNS0_4arch9wavefront6targetE0EEEvT1_.kd
    .uniform_work_group_size: 1
    .uses_dynamic_stack: false
    .vgpr_count:     0
    .vgpr_spill_count: 0
    .wavefront_size: 32
    .workgroup_processor_mode: 1
  - .args:
      - .offset:         0
        .size:           120
        .value_kind:     by_value
    .group_segment_fixed_size: 0
    .kernarg_segment_align: 8
    .kernarg_segment_size: 120
    .language:       OpenCL C
    .language_version:
      - 2
      - 0
    .max_flat_workgroup_size: 128
    .name:           _ZN7rocprim17ROCPRIM_400000_NS6detail17trampoline_kernelINS0_14default_configENS1_25partition_config_selectorILNS1_17partition_subalgoE5ElNS0_10empty_typeEbEEZZNS1_14partition_implILS5_5ELb0ES3_mN6hipcub16HIPCUB_304000_NS21CountingInputIteratorIllEEPS6_NSA_22TransformInputIteratorIbN2at6native12_GLOBAL__N_19NonZeroOpIdEEPKdlEENS0_5tupleIJPlS6_EEENSN_IJSD_SD_EEES6_PiJS6_EEE10hipError_tPvRmT3_T4_T5_T6_T7_T9_mT8_P12ihipStream_tbDpT10_ENKUlT_T0_E_clISt17integral_constantIbLb0EES1B_EEDaS16_S17_EUlS16_E_NS1_11comp_targetILNS1_3genE3ELNS1_11target_archE908ELNS1_3gpuE7ELNS1_3repE0EEENS1_30default_config_static_selectorELNS0_4arch9wavefront6targetE0EEEvT1_
    .private_segment_fixed_size: 0
    .sgpr_count:     0
    .sgpr_spill_count: 0
    .symbol:         _ZN7rocprim17ROCPRIM_400000_NS6detail17trampoline_kernelINS0_14default_configENS1_25partition_config_selectorILNS1_17partition_subalgoE5ElNS0_10empty_typeEbEEZZNS1_14partition_implILS5_5ELb0ES3_mN6hipcub16HIPCUB_304000_NS21CountingInputIteratorIllEEPS6_NSA_22TransformInputIteratorIbN2at6native12_GLOBAL__N_19NonZeroOpIdEEPKdlEENS0_5tupleIJPlS6_EEENSN_IJSD_SD_EEES6_PiJS6_EEE10hipError_tPvRmT3_T4_T5_T6_T7_T9_mT8_P12ihipStream_tbDpT10_ENKUlT_T0_E_clISt17integral_constantIbLb0EES1B_EEDaS16_S17_EUlS16_E_NS1_11comp_targetILNS1_3genE3ELNS1_11target_archE908ELNS1_3gpuE7ELNS1_3repE0EEENS1_30default_config_static_selectorELNS0_4arch9wavefront6targetE0EEEvT1_.kd
    .uniform_work_group_size: 1
    .uses_dynamic_stack: false
    .vgpr_count:     0
    .vgpr_spill_count: 0
    .wavefront_size: 32
    .workgroup_processor_mode: 1
  - .args:
      - .offset:         0
        .size:           120
        .value_kind:     by_value
    .group_segment_fixed_size: 0
    .kernarg_segment_align: 8
    .kernarg_segment_size: 120
    .language:       OpenCL C
    .language_version:
      - 2
      - 0
    .max_flat_workgroup_size: 256
    .name:           _ZN7rocprim17ROCPRIM_400000_NS6detail17trampoline_kernelINS0_14default_configENS1_25partition_config_selectorILNS1_17partition_subalgoE5ElNS0_10empty_typeEbEEZZNS1_14partition_implILS5_5ELb0ES3_mN6hipcub16HIPCUB_304000_NS21CountingInputIteratorIllEEPS6_NSA_22TransformInputIteratorIbN2at6native12_GLOBAL__N_19NonZeroOpIdEEPKdlEENS0_5tupleIJPlS6_EEENSN_IJSD_SD_EEES6_PiJS6_EEE10hipError_tPvRmT3_T4_T5_T6_T7_T9_mT8_P12ihipStream_tbDpT10_ENKUlT_T0_E_clISt17integral_constantIbLb0EES1B_EEDaS16_S17_EUlS16_E_NS1_11comp_targetILNS1_3genE2ELNS1_11target_archE906ELNS1_3gpuE6ELNS1_3repE0EEENS1_30default_config_static_selectorELNS0_4arch9wavefront6targetE0EEEvT1_
    .private_segment_fixed_size: 0
    .sgpr_count:     0
    .sgpr_spill_count: 0
    .symbol:         _ZN7rocprim17ROCPRIM_400000_NS6detail17trampoline_kernelINS0_14default_configENS1_25partition_config_selectorILNS1_17partition_subalgoE5ElNS0_10empty_typeEbEEZZNS1_14partition_implILS5_5ELb0ES3_mN6hipcub16HIPCUB_304000_NS21CountingInputIteratorIllEEPS6_NSA_22TransformInputIteratorIbN2at6native12_GLOBAL__N_19NonZeroOpIdEEPKdlEENS0_5tupleIJPlS6_EEENSN_IJSD_SD_EEES6_PiJS6_EEE10hipError_tPvRmT3_T4_T5_T6_T7_T9_mT8_P12ihipStream_tbDpT10_ENKUlT_T0_E_clISt17integral_constantIbLb0EES1B_EEDaS16_S17_EUlS16_E_NS1_11comp_targetILNS1_3genE2ELNS1_11target_archE906ELNS1_3gpuE6ELNS1_3repE0EEENS1_30default_config_static_selectorELNS0_4arch9wavefront6targetE0EEEvT1_.kd
    .uniform_work_group_size: 1
    .uses_dynamic_stack: false
    .vgpr_count:     0
    .vgpr_spill_count: 0
    .wavefront_size: 32
    .workgroup_processor_mode: 1
  - .args:
      - .offset:         0
        .size:           120
        .value_kind:     by_value
    .group_segment_fixed_size: 0
    .kernarg_segment_align: 8
    .kernarg_segment_size: 120
    .language:       OpenCL C
    .language_version:
      - 2
      - 0
    .max_flat_workgroup_size: 256
    .name:           _ZN7rocprim17ROCPRIM_400000_NS6detail17trampoline_kernelINS0_14default_configENS1_25partition_config_selectorILNS1_17partition_subalgoE5ElNS0_10empty_typeEbEEZZNS1_14partition_implILS5_5ELb0ES3_mN6hipcub16HIPCUB_304000_NS21CountingInputIteratorIllEEPS6_NSA_22TransformInputIteratorIbN2at6native12_GLOBAL__N_19NonZeroOpIdEEPKdlEENS0_5tupleIJPlS6_EEENSN_IJSD_SD_EEES6_PiJS6_EEE10hipError_tPvRmT3_T4_T5_T6_T7_T9_mT8_P12ihipStream_tbDpT10_ENKUlT_T0_E_clISt17integral_constantIbLb0EES1B_EEDaS16_S17_EUlS16_E_NS1_11comp_targetILNS1_3genE10ELNS1_11target_archE1200ELNS1_3gpuE4ELNS1_3repE0EEENS1_30default_config_static_selectorELNS0_4arch9wavefront6targetE0EEEvT1_
    .private_segment_fixed_size: 0
    .sgpr_count:     0
    .sgpr_spill_count: 0
    .symbol:         _ZN7rocprim17ROCPRIM_400000_NS6detail17trampoline_kernelINS0_14default_configENS1_25partition_config_selectorILNS1_17partition_subalgoE5ElNS0_10empty_typeEbEEZZNS1_14partition_implILS5_5ELb0ES3_mN6hipcub16HIPCUB_304000_NS21CountingInputIteratorIllEEPS6_NSA_22TransformInputIteratorIbN2at6native12_GLOBAL__N_19NonZeroOpIdEEPKdlEENS0_5tupleIJPlS6_EEENSN_IJSD_SD_EEES6_PiJS6_EEE10hipError_tPvRmT3_T4_T5_T6_T7_T9_mT8_P12ihipStream_tbDpT10_ENKUlT_T0_E_clISt17integral_constantIbLb0EES1B_EEDaS16_S17_EUlS16_E_NS1_11comp_targetILNS1_3genE10ELNS1_11target_archE1200ELNS1_3gpuE4ELNS1_3repE0EEENS1_30default_config_static_selectorELNS0_4arch9wavefront6targetE0EEEvT1_.kd
    .uniform_work_group_size: 1
    .uses_dynamic_stack: false
    .vgpr_count:     0
    .vgpr_spill_count: 0
    .wavefront_size: 32
    .workgroup_processor_mode: 1
  - .args:
      - .offset:         0
        .size:           120
        .value_kind:     by_value
    .group_segment_fixed_size: 6160
    .kernarg_segment_align: 8
    .kernarg_segment_size: 120
    .language:       OpenCL C
    .language_version:
      - 2
      - 0
    .max_flat_workgroup_size: 128
    .name:           _ZN7rocprim17ROCPRIM_400000_NS6detail17trampoline_kernelINS0_14default_configENS1_25partition_config_selectorILNS1_17partition_subalgoE5ElNS0_10empty_typeEbEEZZNS1_14partition_implILS5_5ELb0ES3_mN6hipcub16HIPCUB_304000_NS21CountingInputIteratorIllEEPS6_NSA_22TransformInputIteratorIbN2at6native12_GLOBAL__N_19NonZeroOpIdEEPKdlEENS0_5tupleIJPlS6_EEENSN_IJSD_SD_EEES6_PiJS6_EEE10hipError_tPvRmT3_T4_T5_T6_T7_T9_mT8_P12ihipStream_tbDpT10_ENKUlT_T0_E_clISt17integral_constantIbLb0EES1B_EEDaS16_S17_EUlS16_E_NS1_11comp_targetILNS1_3genE9ELNS1_11target_archE1100ELNS1_3gpuE3ELNS1_3repE0EEENS1_30default_config_static_selectorELNS0_4arch9wavefront6targetE0EEEvT1_
    .private_segment_fixed_size: 0
    .sgpr_count:     23
    .sgpr_spill_count: 0
    .symbol:         _ZN7rocprim17ROCPRIM_400000_NS6detail17trampoline_kernelINS0_14default_configENS1_25partition_config_selectorILNS1_17partition_subalgoE5ElNS0_10empty_typeEbEEZZNS1_14partition_implILS5_5ELb0ES3_mN6hipcub16HIPCUB_304000_NS21CountingInputIteratorIllEEPS6_NSA_22TransformInputIteratorIbN2at6native12_GLOBAL__N_19NonZeroOpIdEEPKdlEENS0_5tupleIJPlS6_EEENSN_IJSD_SD_EEES6_PiJS6_EEE10hipError_tPvRmT3_T4_T5_T6_T7_T9_mT8_P12ihipStream_tbDpT10_ENKUlT_T0_E_clISt17integral_constantIbLb0EES1B_EEDaS16_S17_EUlS16_E_NS1_11comp_targetILNS1_3genE9ELNS1_11target_archE1100ELNS1_3gpuE3ELNS1_3repE0EEENS1_30default_config_static_selectorELNS0_4arch9wavefront6targetE0EEEvT1_.kd
    .uniform_work_group_size: 1
    .uses_dynamic_stack: false
    .vgpr_count:     57
    .vgpr_spill_count: 0
    .wavefront_size: 32
    .workgroup_processor_mode: 1
  - .args:
      - .offset:         0
        .size:           120
        .value_kind:     by_value
    .group_segment_fixed_size: 0
    .kernarg_segment_align: 8
    .kernarg_segment_size: 120
    .language:       OpenCL C
    .language_version:
      - 2
      - 0
    .max_flat_workgroup_size: 512
    .name:           _ZN7rocprim17ROCPRIM_400000_NS6detail17trampoline_kernelINS0_14default_configENS1_25partition_config_selectorILNS1_17partition_subalgoE5ElNS0_10empty_typeEbEEZZNS1_14partition_implILS5_5ELb0ES3_mN6hipcub16HIPCUB_304000_NS21CountingInputIteratorIllEEPS6_NSA_22TransformInputIteratorIbN2at6native12_GLOBAL__N_19NonZeroOpIdEEPKdlEENS0_5tupleIJPlS6_EEENSN_IJSD_SD_EEES6_PiJS6_EEE10hipError_tPvRmT3_T4_T5_T6_T7_T9_mT8_P12ihipStream_tbDpT10_ENKUlT_T0_E_clISt17integral_constantIbLb0EES1B_EEDaS16_S17_EUlS16_E_NS1_11comp_targetILNS1_3genE8ELNS1_11target_archE1030ELNS1_3gpuE2ELNS1_3repE0EEENS1_30default_config_static_selectorELNS0_4arch9wavefront6targetE0EEEvT1_
    .private_segment_fixed_size: 0
    .sgpr_count:     0
    .sgpr_spill_count: 0
    .symbol:         _ZN7rocprim17ROCPRIM_400000_NS6detail17trampoline_kernelINS0_14default_configENS1_25partition_config_selectorILNS1_17partition_subalgoE5ElNS0_10empty_typeEbEEZZNS1_14partition_implILS5_5ELb0ES3_mN6hipcub16HIPCUB_304000_NS21CountingInputIteratorIllEEPS6_NSA_22TransformInputIteratorIbN2at6native12_GLOBAL__N_19NonZeroOpIdEEPKdlEENS0_5tupleIJPlS6_EEENSN_IJSD_SD_EEES6_PiJS6_EEE10hipError_tPvRmT3_T4_T5_T6_T7_T9_mT8_P12ihipStream_tbDpT10_ENKUlT_T0_E_clISt17integral_constantIbLb0EES1B_EEDaS16_S17_EUlS16_E_NS1_11comp_targetILNS1_3genE8ELNS1_11target_archE1030ELNS1_3gpuE2ELNS1_3repE0EEENS1_30default_config_static_selectorELNS0_4arch9wavefront6targetE0EEEvT1_.kd
    .uniform_work_group_size: 1
    .uses_dynamic_stack: false
    .vgpr_count:     0
    .vgpr_spill_count: 0
    .wavefront_size: 32
    .workgroup_processor_mode: 1
  - .args:
      - .offset:         0
        .size:           136
        .value_kind:     by_value
    .group_segment_fixed_size: 0
    .kernarg_segment_align: 8
    .kernarg_segment_size: 136
    .language:       OpenCL C
    .language_version:
      - 2
      - 0
    .max_flat_workgroup_size: 128
    .name:           _ZN7rocprim17ROCPRIM_400000_NS6detail17trampoline_kernelINS0_14default_configENS1_25partition_config_selectorILNS1_17partition_subalgoE5ElNS0_10empty_typeEbEEZZNS1_14partition_implILS5_5ELb0ES3_mN6hipcub16HIPCUB_304000_NS21CountingInputIteratorIllEEPS6_NSA_22TransformInputIteratorIbN2at6native12_GLOBAL__N_19NonZeroOpIdEEPKdlEENS0_5tupleIJPlS6_EEENSN_IJSD_SD_EEES6_PiJS6_EEE10hipError_tPvRmT3_T4_T5_T6_T7_T9_mT8_P12ihipStream_tbDpT10_ENKUlT_T0_E_clISt17integral_constantIbLb1EES1B_EEDaS16_S17_EUlS16_E_NS1_11comp_targetILNS1_3genE0ELNS1_11target_archE4294967295ELNS1_3gpuE0ELNS1_3repE0EEENS1_30default_config_static_selectorELNS0_4arch9wavefront6targetE0EEEvT1_
    .private_segment_fixed_size: 0
    .sgpr_count:     0
    .sgpr_spill_count: 0
    .symbol:         _ZN7rocprim17ROCPRIM_400000_NS6detail17trampoline_kernelINS0_14default_configENS1_25partition_config_selectorILNS1_17partition_subalgoE5ElNS0_10empty_typeEbEEZZNS1_14partition_implILS5_5ELb0ES3_mN6hipcub16HIPCUB_304000_NS21CountingInputIteratorIllEEPS6_NSA_22TransformInputIteratorIbN2at6native12_GLOBAL__N_19NonZeroOpIdEEPKdlEENS0_5tupleIJPlS6_EEENSN_IJSD_SD_EEES6_PiJS6_EEE10hipError_tPvRmT3_T4_T5_T6_T7_T9_mT8_P12ihipStream_tbDpT10_ENKUlT_T0_E_clISt17integral_constantIbLb1EES1B_EEDaS16_S17_EUlS16_E_NS1_11comp_targetILNS1_3genE0ELNS1_11target_archE4294967295ELNS1_3gpuE0ELNS1_3repE0EEENS1_30default_config_static_selectorELNS0_4arch9wavefront6targetE0EEEvT1_.kd
    .uniform_work_group_size: 1
    .uses_dynamic_stack: false
    .vgpr_count:     0
    .vgpr_spill_count: 0
    .wavefront_size: 32
    .workgroup_processor_mode: 1
  - .args:
      - .offset:         0
        .size:           136
        .value_kind:     by_value
    .group_segment_fixed_size: 0
    .kernarg_segment_align: 8
    .kernarg_segment_size: 136
    .language:       OpenCL C
    .language_version:
      - 2
      - 0
    .max_flat_workgroup_size: 512
    .name:           _ZN7rocprim17ROCPRIM_400000_NS6detail17trampoline_kernelINS0_14default_configENS1_25partition_config_selectorILNS1_17partition_subalgoE5ElNS0_10empty_typeEbEEZZNS1_14partition_implILS5_5ELb0ES3_mN6hipcub16HIPCUB_304000_NS21CountingInputIteratorIllEEPS6_NSA_22TransformInputIteratorIbN2at6native12_GLOBAL__N_19NonZeroOpIdEEPKdlEENS0_5tupleIJPlS6_EEENSN_IJSD_SD_EEES6_PiJS6_EEE10hipError_tPvRmT3_T4_T5_T6_T7_T9_mT8_P12ihipStream_tbDpT10_ENKUlT_T0_E_clISt17integral_constantIbLb1EES1B_EEDaS16_S17_EUlS16_E_NS1_11comp_targetILNS1_3genE5ELNS1_11target_archE942ELNS1_3gpuE9ELNS1_3repE0EEENS1_30default_config_static_selectorELNS0_4arch9wavefront6targetE0EEEvT1_
    .private_segment_fixed_size: 0
    .sgpr_count:     0
    .sgpr_spill_count: 0
    .symbol:         _ZN7rocprim17ROCPRIM_400000_NS6detail17trampoline_kernelINS0_14default_configENS1_25partition_config_selectorILNS1_17partition_subalgoE5ElNS0_10empty_typeEbEEZZNS1_14partition_implILS5_5ELb0ES3_mN6hipcub16HIPCUB_304000_NS21CountingInputIteratorIllEEPS6_NSA_22TransformInputIteratorIbN2at6native12_GLOBAL__N_19NonZeroOpIdEEPKdlEENS0_5tupleIJPlS6_EEENSN_IJSD_SD_EEES6_PiJS6_EEE10hipError_tPvRmT3_T4_T5_T6_T7_T9_mT8_P12ihipStream_tbDpT10_ENKUlT_T0_E_clISt17integral_constantIbLb1EES1B_EEDaS16_S17_EUlS16_E_NS1_11comp_targetILNS1_3genE5ELNS1_11target_archE942ELNS1_3gpuE9ELNS1_3repE0EEENS1_30default_config_static_selectorELNS0_4arch9wavefront6targetE0EEEvT1_.kd
    .uniform_work_group_size: 1
    .uses_dynamic_stack: false
    .vgpr_count:     0
    .vgpr_spill_count: 0
    .wavefront_size: 32
    .workgroup_processor_mode: 1
  - .args:
      - .offset:         0
        .size:           136
        .value_kind:     by_value
    .group_segment_fixed_size: 0
    .kernarg_segment_align: 8
    .kernarg_segment_size: 136
    .language:       OpenCL C
    .language_version:
      - 2
      - 0
    .max_flat_workgroup_size: 192
    .name:           _ZN7rocprim17ROCPRIM_400000_NS6detail17trampoline_kernelINS0_14default_configENS1_25partition_config_selectorILNS1_17partition_subalgoE5ElNS0_10empty_typeEbEEZZNS1_14partition_implILS5_5ELb0ES3_mN6hipcub16HIPCUB_304000_NS21CountingInputIteratorIllEEPS6_NSA_22TransformInputIteratorIbN2at6native12_GLOBAL__N_19NonZeroOpIdEEPKdlEENS0_5tupleIJPlS6_EEENSN_IJSD_SD_EEES6_PiJS6_EEE10hipError_tPvRmT3_T4_T5_T6_T7_T9_mT8_P12ihipStream_tbDpT10_ENKUlT_T0_E_clISt17integral_constantIbLb1EES1B_EEDaS16_S17_EUlS16_E_NS1_11comp_targetILNS1_3genE4ELNS1_11target_archE910ELNS1_3gpuE8ELNS1_3repE0EEENS1_30default_config_static_selectorELNS0_4arch9wavefront6targetE0EEEvT1_
    .private_segment_fixed_size: 0
    .sgpr_count:     0
    .sgpr_spill_count: 0
    .symbol:         _ZN7rocprim17ROCPRIM_400000_NS6detail17trampoline_kernelINS0_14default_configENS1_25partition_config_selectorILNS1_17partition_subalgoE5ElNS0_10empty_typeEbEEZZNS1_14partition_implILS5_5ELb0ES3_mN6hipcub16HIPCUB_304000_NS21CountingInputIteratorIllEEPS6_NSA_22TransformInputIteratorIbN2at6native12_GLOBAL__N_19NonZeroOpIdEEPKdlEENS0_5tupleIJPlS6_EEENSN_IJSD_SD_EEES6_PiJS6_EEE10hipError_tPvRmT3_T4_T5_T6_T7_T9_mT8_P12ihipStream_tbDpT10_ENKUlT_T0_E_clISt17integral_constantIbLb1EES1B_EEDaS16_S17_EUlS16_E_NS1_11comp_targetILNS1_3genE4ELNS1_11target_archE910ELNS1_3gpuE8ELNS1_3repE0EEENS1_30default_config_static_selectorELNS0_4arch9wavefront6targetE0EEEvT1_.kd
    .uniform_work_group_size: 1
    .uses_dynamic_stack: false
    .vgpr_count:     0
    .vgpr_spill_count: 0
    .wavefront_size: 32
    .workgroup_processor_mode: 1
  - .args:
      - .offset:         0
        .size:           136
        .value_kind:     by_value
    .group_segment_fixed_size: 0
    .kernarg_segment_align: 8
    .kernarg_segment_size: 136
    .language:       OpenCL C
    .language_version:
      - 2
      - 0
    .max_flat_workgroup_size: 128
    .name:           _ZN7rocprim17ROCPRIM_400000_NS6detail17trampoline_kernelINS0_14default_configENS1_25partition_config_selectorILNS1_17partition_subalgoE5ElNS0_10empty_typeEbEEZZNS1_14partition_implILS5_5ELb0ES3_mN6hipcub16HIPCUB_304000_NS21CountingInputIteratorIllEEPS6_NSA_22TransformInputIteratorIbN2at6native12_GLOBAL__N_19NonZeroOpIdEEPKdlEENS0_5tupleIJPlS6_EEENSN_IJSD_SD_EEES6_PiJS6_EEE10hipError_tPvRmT3_T4_T5_T6_T7_T9_mT8_P12ihipStream_tbDpT10_ENKUlT_T0_E_clISt17integral_constantIbLb1EES1B_EEDaS16_S17_EUlS16_E_NS1_11comp_targetILNS1_3genE3ELNS1_11target_archE908ELNS1_3gpuE7ELNS1_3repE0EEENS1_30default_config_static_selectorELNS0_4arch9wavefront6targetE0EEEvT1_
    .private_segment_fixed_size: 0
    .sgpr_count:     0
    .sgpr_spill_count: 0
    .symbol:         _ZN7rocprim17ROCPRIM_400000_NS6detail17trampoline_kernelINS0_14default_configENS1_25partition_config_selectorILNS1_17partition_subalgoE5ElNS0_10empty_typeEbEEZZNS1_14partition_implILS5_5ELb0ES3_mN6hipcub16HIPCUB_304000_NS21CountingInputIteratorIllEEPS6_NSA_22TransformInputIteratorIbN2at6native12_GLOBAL__N_19NonZeroOpIdEEPKdlEENS0_5tupleIJPlS6_EEENSN_IJSD_SD_EEES6_PiJS6_EEE10hipError_tPvRmT3_T4_T5_T6_T7_T9_mT8_P12ihipStream_tbDpT10_ENKUlT_T0_E_clISt17integral_constantIbLb1EES1B_EEDaS16_S17_EUlS16_E_NS1_11comp_targetILNS1_3genE3ELNS1_11target_archE908ELNS1_3gpuE7ELNS1_3repE0EEENS1_30default_config_static_selectorELNS0_4arch9wavefront6targetE0EEEvT1_.kd
    .uniform_work_group_size: 1
    .uses_dynamic_stack: false
    .vgpr_count:     0
    .vgpr_spill_count: 0
    .wavefront_size: 32
    .workgroup_processor_mode: 1
  - .args:
      - .offset:         0
        .size:           136
        .value_kind:     by_value
    .group_segment_fixed_size: 0
    .kernarg_segment_align: 8
    .kernarg_segment_size: 136
    .language:       OpenCL C
    .language_version:
      - 2
      - 0
    .max_flat_workgroup_size: 256
    .name:           _ZN7rocprim17ROCPRIM_400000_NS6detail17trampoline_kernelINS0_14default_configENS1_25partition_config_selectorILNS1_17partition_subalgoE5ElNS0_10empty_typeEbEEZZNS1_14partition_implILS5_5ELb0ES3_mN6hipcub16HIPCUB_304000_NS21CountingInputIteratorIllEEPS6_NSA_22TransformInputIteratorIbN2at6native12_GLOBAL__N_19NonZeroOpIdEEPKdlEENS0_5tupleIJPlS6_EEENSN_IJSD_SD_EEES6_PiJS6_EEE10hipError_tPvRmT3_T4_T5_T6_T7_T9_mT8_P12ihipStream_tbDpT10_ENKUlT_T0_E_clISt17integral_constantIbLb1EES1B_EEDaS16_S17_EUlS16_E_NS1_11comp_targetILNS1_3genE2ELNS1_11target_archE906ELNS1_3gpuE6ELNS1_3repE0EEENS1_30default_config_static_selectorELNS0_4arch9wavefront6targetE0EEEvT1_
    .private_segment_fixed_size: 0
    .sgpr_count:     0
    .sgpr_spill_count: 0
    .symbol:         _ZN7rocprim17ROCPRIM_400000_NS6detail17trampoline_kernelINS0_14default_configENS1_25partition_config_selectorILNS1_17partition_subalgoE5ElNS0_10empty_typeEbEEZZNS1_14partition_implILS5_5ELb0ES3_mN6hipcub16HIPCUB_304000_NS21CountingInputIteratorIllEEPS6_NSA_22TransformInputIteratorIbN2at6native12_GLOBAL__N_19NonZeroOpIdEEPKdlEENS0_5tupleIJPlS6_EEENSN_IJSD_SD_EEES6_PiJS6_EEE10hipError_tPvRmT3_T4_T5_T6_T7_T9_mT8_P12ihipStream_tbDpT10_ENKUlT_T0_E_clISt17integral_constantIbLb1EES1B_EEDaS16_S17_EUlS16_E_NS1_11comp_targetILNS1_3genE2ELNS1_11target_archE906ELNS1_3gpuE6ELNS1_3repE0EEENS1_30default_config_static_selectorELNS0_4arch9wavefront6targetE0EEEvT1_.kd
    .uniform_work_group_size: 1
    .uses_dynamic_stack: false
    .vgpr_count:     0
    .vgpr_spill_count: 0
    .wavefront_size: 32
    .workgroup_processor_mode: 1
  - .args:
      - .offset:         0
        .size:           136
        .value_kind:     by_value
    .group_segment_fixed_size: 0
    .kernarg_segment_align: 8
    .kernarg_segment_size: 136
    .language:       OpenCL C
    .language_version:
      - 2
      - 0
    .max_flat_workgroup_size: 256
    .name:           _ZN7rocprim17ROCPRIM_400000_NS6detail17trampoline_kernelINS0_14default_configENS1_25partition_config_selectorILNS1_17partition_subalgoE5ElNS0_10empty_typeEbEEZZNS1_14partition_implILS5_5ELb0ES3_mN6hipcub16HIPCUB_304000_NS21CountingInputIteratorIllEEPS6_NSA_22TransformInputIteratorIbN2at6native12_GLOBAL__N_19NonZeroOpIdEEPKdlEENS0_5tupleIJPlS6_EEENSN_IJSD_SD_EEES6_PiJS6_EEE10hipError_tPvRmT3_T4_T5_T6_T7_T9_mT8_P12ihipStream_tbDpT10_ENKUlT_T0_E_clISt17integral_constantIbLb1EES1B_EEDaS16_S17_EUlS16_E_NS1_11comp_targetILNS1_3genE10ELNS1_11target_archE1200ELNS1_3gpuE4ELNS1_3repE0EEENS1_30default_config_static_selectorELNS0_4arch9wavefront6targetE0EEEvT1_
    .private_segment_fixed_size: 0
    .sgpr_count:     0
    .sgpr_spill_count: 0
    .symbol:         _ZN7rocprim17ROCPRIM_400000_NS6detail17trampoline_kernelINS0_14default_configENS1_25partition_config_selectorILNS1_17partition_subalgoE5ElNS0_10empty_typeEbEEZZNS1_14partition_implILS5_5ELb0ES3_mN6hipcub16HIPCUB_304000_NS21CountingInputIteratorIllEEPS6_NSA_22TransformInputIteratorIbN2at6native12_GLOBAL__N_19NonZeroOpIdEEPKdlEENS0_5tupleIJPlS6_EEENSN_IJSD_SD_EEES6_PiJS6_EEE10hipError_tPvRmT3_T4_T5_T6_T7_T9_mT8_P12ihipStream_tbDpT10_ENKUlT_T0_E_clISt17integral_constantIbLb1EES1B_EEDaS16_S17_EUlS16_E_NS1_11comp_targetILNS1_3genE10ELNS1_11target_archE1200ELNS1_3gpuE4ELNS1_3repE0EEENS1_30default_config_static_selectorELNS0_4arch9wavefront6targetE0EEEvT1_.kd
    .uniform_work_group_size: 1
    .uses_dynamic_stack: false
    .vgpr_count:     0
    .vgpr_spill_count: 0
    .wavefront_size: 32
    .workgroup_processor_mode: 1
  - .args:
      - .offset:         0
        .size:           136
        .value_kind:     by_value
    .group_segment_fixed_size: 6160
    .kernarg_segment_align: 8
    .kernarg_segment_size: 136
    .language:       OpenCL C
    .language_version:
      - 2
      - 0
    .max_flat_workgroup_size: 128
    .name:           _ZN7rocprim17ROCPRIM_400000_NS6detail17trampoline_kernelINS0_14default_configENS1_25partition_config_selectorILNS1_17partition_subalgoE5ElNS0_10empty_typeEbEEZZNS1_14partition_implILS5_5ELb0ES3_mN6hipcub16HIPCUB_304000_NS21CountingInputIteratorIllEEPS6_NSA_22TransformInputIteratorIbN2at6native12_GLOBAL__N_19NonZeroOpIdEEPKdlEENS0_5tupleIJPlS6_EEENSN_IJSD_SD_EEES6_PiJS6_EEE10hipError_tPvRmT3_T4_T5_T6_T7_T9_mT8_P12ihipStream_tbDpT10_ENKUlT_T0_E_clISt17integral_constantIbLb1EES1B_EEDaS16_S17_EUlS16_E_NS1_11comp_targetILNS1_3genE9ELNS1_11target_archE1100ELNS1_3gpuE3ELNS1_3repE0EEENS1_30default_config_static_selectorELNS0_4arch9wavefront6targetE0EEEvT1_
    .private_segment_fixed_size: 0
    .sgpr_count:     26
    .sgpr_spill_count: 0
    .symbol:         _ZN7rocprim17ROCPRIM_400000_NS6detail17trampoline_kernelINS0_14default_configENS1_25partition_config_selectorILNS1_17partition_subalgoE5ElNS0_10empty_typeEbEEZZNS1_14partition_implILS5_5ELb0ES3_mN6hipcub16HIPCUB_304000_NS21CountingInputIteratorIllEEPS6_NSA_22TransformInputIteratorIbN2at6native12_GLOBAL__N_19NonZeroOpIdEEPKdlEENS0_5tupleIJPlS6_EEENSN_IJSD_SD_EEES6_PiJS6_EEE10hipError_tPvRmT3_T4_T5_T6_T7_T9_mT8_P12ihipStream_tbDpT10_ENKUlT_T0_E_clISt17integral_constantIbLb1EES1B_EEDaS16_S17_EUlS16_E_NS1_11comp_targetILNS1_3genE9ELNS1_11target_archE1100ELNS1_3gpuE3ELNS1_3repE0EEENS1_30default_config_static_selectorELNS0_4arch9wavefront6targetE0EEEvT1_.kd
    .uniform_work_group_size: 1
    .uses_dynamic_stack: false
    .vgpr_count:     57
    .vgpr_spill_count: 0
    .wavefront_size: 32
    .workgroup_processor_mode: 1
  - .args:
      - .offset:         0
        .size:           136
        .value_kind:     by_value
    .group_segment_fixed_size: 0
    .kernarg_segment_align: 8
    .kernarg_segment_size: 136
    .language:       OpenCL C
    .language_version:
      - 2
      - 0
    .max_flat_workgroup_size: 512
    .name:           _ZN7rocprim17ROCPRIM_400000_NS6detail17trampoline_kernelINS0_14default_configENS1_25partition_config_selectorILNS1_17partition_subalgoE5ElNS0_10empty_typeEbEEZZNS1_14partition_implILS5_5ELb0ES3_mN6hipcub16HIPCUB_304000_NS21CountingInputIteratorIllEEPS6_NSA_22TransformInputIteratorIbN2at6native12_GLOBAL__N_19NonZeroOpIdEEPKdlEENS0_5tupleIJPlS6_EEENSN_IJSD_SD_EEES6_PiJS6_EEE10hipError_tPvRmT3_T4_T5_T6_T7_T9_mT8_P12ihipStream_tbDpT10_ENKUlT_T0_E_clISt17integral_constantIbLb1EES1B_EEDaS16_S17_EUlS16_E_NS1_11comp_targetILNS1_3genE8ELNS1_11target_archE1030ELNS1_3gpuE2ELNS1_3repE0EEENS1_30default_config_static_selectorELNS0_4arch9wavefront6targetE0EEEvT1_
    .private_segment_fixed_size: 0
    .sgpr_count:     0
    .sgpr_spill_count: 0
    .symbol:         _ZN7rocprim17ROCPRIM_400000_NS6detail17trampoline_kernelINS0_14default_configENS1_25partition_config_selectorILNS1_17partition_subalgoE5ElNS0_10empty_typeEbEEZZNS1_14partition_implILS5_5ELb0ES3_mN6hipcub16HIPCUB_304000_NS21CountingInputIteratorIllEEPS6_NSA_22TransformInputIteratorIbN2at6native12_GLOBAL__N_19NonZeroOpIdEEPKdlEENS0_5tupleIJPlS6_EEENSN_IJSD_SD_EEES6_PiJS6_EEE10hipError_tPvRmT3_T4_T5_T6_T7_T9_mT8_P12ihipStream_tbDpT10_ENKUlT_T0_E_clISt17integral_constantIbLb1EES1B_EEDaS16_S17_EUlS16_E_NS1_11comp_targetILNS1_3genE8ELNS1_11target_archE1030ELNS1_3gpuE2ELNS1_3repE0EEENS1_30default_config_static_selectorELNS0_4arch9wavefront6targetE0EEEvT1_.kd
    .uniform_work_group_size: 1
    .uses_dynamic_stack: false
    .vgpr_count:     0
    .vgpr_spill_count: 0
    .wavefront_size: 32
    .workgroup_processor_mode: 1
  - .args:
      - .offset:         0
        .size:           120
        .value_kind:     by_value
    .group_segment_fixed_size: 0
    .kernarg_segment_align: 8
    .kernarg_segment_size: 120
    .language:       OpenCL C
    .language_version:
      - 2
      - 0
    .max_flat_workgroup_size: 128
    .name:           _ZN7rocprim17ROCPRIM_400000_NS6detail17trampoline_kernelINS0_14default_configENS1_25partition_config_selectorILNS1_17partition_subalgoE5ElNS0_10empty_typeEbEEZZNS1_14partition_implILS5_5ELb0ES3_mN6hipcub16HIPCUB_304000_NS21CountingInputIteratorIllEEPS6_NSA_22TransformInputIteratorIbN2at6native12_GLOBAL__N_19NonZeroOpIdEEPKdlEENS0_5tupleIJPlS6_EEENSN_IJSD_SD_EEES6_PiJS6_EEE10hipError_tPvRmT3_T4_T5_T6_T7_T9_mT8_P12ihipStream_tbDpT10_ENKUlT_T0_E_clISt17integral_constantIbLb1EES1A_IbLb0EEEEDaS16_S17_EUlS16_E_NS1_11comp_targetILNS1_3genE0ELNS1_11target_archE4294967295ELNS1_3gpuE0ELNS1_3repE0EEENS1_30default_config_static_selectorELNS0_4arch9wavefront6targetE0EEEvT1_
    .private_segment_fixed_size: 0
    .sgpr_count:     0
    .sgpr_spill_count: 0
    .symbol:         _ZN7rocprim17ROCPRIM_400000_NS6detail17trampoline_kernelINS0_14default_configENS1_25partition_config_selectorILNS1_17partition_subalgoE5ElNS0_10empty_typeEbEEZZNS1_14partition_implILS5_5ELb0ES3_mN6hipcub16HIPCUB_304000_NS21CountingInputIteratorIllEEPS6_NSA_22TransformInputIteratorIbN2at6native12_GLOBAL__N_19NonZeroOpIdEEPKdlEENS0_5tupleIJPlS6_EEENSN_IJSD_SD_EEES6_PiJS6_EEE10hipError_tPvRmT3_T4_T5_T6_T7_T9_mT8_P12ihipStream_tbDpT10_ENKUlT_T0_E_clISt17integral_constantIbLb1EES1A_IbLb0EEEEDaS16_S17_EUlS16_E_NS1_11comp_targetILNS1_3genE0ELNS1_11target_archE4294967295ELNS1_3gpuE0ELNS1_3repE0EEENS1_30default_config_static_selectorELNS0_4arch9wavefront6targetE0EEEvT1_.kd
    .uniform_work_group_size: 1
    .uses_dynamic_stack: false
    .vgpr_count:     0
    .vgpr_spill_count: 0
    .wavefront_size: 32
    .workgroup_processor_mode: 1
  - .args:
      - .offset:         0
        .size:           120
        .value_kind:     by_value
    .group_segment_fixed_size: 0
    .kernarg_segment_align: 8
    .kernarg_segment_size: 120
    .language:       OpenCL C
    .language_version:
      - 2
      - 0
    .max_flat_workgroup_size: 512
    .name:           _ZN7rocprim17ROCPRIM_400000_NS6detail17trampoline_kernelINS0_14default_configENS1_25partition_config_selectorILNS1_17partition_subalgoE5ElNS0_10empty_typeEbEEZZNS1_14partition_implILS5_5ELb0ES3_mN6hipcub16HIPCUB_304000_NS21CountingInputIteratorIllEEPS6_NSA_22TransformInputIteratorIbN2at6native12_GLOBAL__N_19NonZeroOpIdEEPKdlEENS0_5tupleIJPlS6_EEENSN_IJSD_SD_EEES6_PiJS6_EEE10hipError_tPvRmT3_T4_T5_T6_T7_T9_mT8_P12ihipStream_tbDpT10_ENKUlT_T0_E_clISt17integral_constantIbLb1EES1A_IbLb0EEEEDaS16_S17_EUlS16_E_NS1_11comp_targetILNS1_3genE5ELNS1_11target_archE942ELNS1_3gpuE9ELNS1_3repE0EEENS1_30default_config_static_selectorELNS0_4arch9wavefront6targetE0EEEvT1_
    .private_segment_fixed_size: 0
    .sgpr_count:     0
    .sgpr_spill_count: 0
    .symbol:         _ZN7rocprim17ROCPRIM_400000_NS6detail17trampoline_kernelINS0_14default_configENS1_25partition_config_selectorILNS1_17partition_subalgoE5ElNS0_10empty_typeEbEEZZNS1_14partition_implILS5_5ELb0ES3_mN6hipcub16HIPCUB_304000_NS21CountingInputIteratorIllEEPS6_NSA_22TransformInputIteratorIbN2at6native12_GLOBAL__N_19NonZeroOpIdEEPKdlEENS0_5tupleIJPlS6_EEENSN_IJSD_SD_EEES6_PiJS6_EEE10hipError_tPvRmT3_T4_T5_T6_T7_T9_mT8_P12ihipStream_tbDpT10_ENKUlT_T0_E_clISt17integral_constantIbLb1EES1A_IbLb0EEEEDaS16_S17_EUlS16_E_NS1_11comp_targetILNS1_3genE5ELNS1_11target_archE942ELNS1_3gpuE9ELNS1_3repE0EEENS1_30default_config_static_selectorELNS0_4arch9wavefront6targetE0EEEvT1_.kd
    .uniform_work_group_size: 1
    .uses_dynamic_stack: false
    .vgpr_count:     0
    .vgpr_spill_count: 0
    .wavefront_size: 32
    .workgroup_processor_mode: 1
  - .args:
      - .offset:         0
        .size:           120
        .value_kind:     by_value
    .group_segment_fixed_size: 0
    .kernarg_segment_align: 8
    .kernarg_segment_size: 120
    .language:       OpenCL C
    .language_version:
      - 2
      - 0
    .max_flat_workgroup_size: 192
    .name:           _ZN7rocprim17ROCPRIM_400000_NS6detail17trampoline_kernelINS0_14default_configENS1_25partition_config_selectorILNS1_17partition_subalgoE5ElNS0_10empty_typeEbEEZZNS1_14partition_implILS5_5ELb0ES3_mN6hipcub16HIPCUB_304000_NS21CountingInputIteratorIllEEPS6_NSA_22TransformInputIteratorIbN2at6native12_GLOBAL__N_19NonZeroOpIdEEPKdlEENS0_5tupleIJPlS6_EEENSN_IJSD_SD_EEES6_PiJS6_EEE10hipError_tPvRmT3_T4_T5_T6_T7_T9_mT8_P12ihipStream_tbDpT10_ENKUlT_T0_E_clISt17integral_constantIbLb1EES1A_IbLb0EEEEDaS16_S17_EUlS16_E_NS1_11comp_targetILNS1_3genE4ELNS1_11target_archE910ELNS1_3gpuE8ELNS1_3repE0EEENS1_30default_config_static_selectorELNS0_4arch9wavefront6targetE0EEEvT1_
    .private_segment_fixed_size: 0
    .sgpr_count:     0
    .sgpr_spill_count: 0
    .symbol:         _ZN7rocprim17ROCPRIM_400000_NS6detail17trampoline_kernelINS0_14default_configENS1_25partition_config_selectorILNS1_17partition_subalgoE5ElNS0_10empty_typeEbEEZZNS1_14partition_implILS5_5ELb0ES3_mN6hipcub16HIPCUB_304000_NS21CountingInputIteratorIllEEPS6_NSA_22TransformInputIteratorIbN2at6native12_GLOBAL__N_19NonZeroOpIdEEPKdlEENS0_5tupleIJPlS6_EEENSN_IJSD_SD_EEES6_PiJS6_EEE10hipError_tPvRmT3_T4_T5_T6_T7_T9_mT8_P12ihipStream_tbDpT10_ENKUlT_T0_E_clISt17integral_constantIbLb1EES1A_IbLb0EEEEDaS16_S17_EUlS16_E_NS1_11comp_targetILNS1_3genE4ELNS1_11target_archE910ELNS1_3gpuE8ELNS1_3repE0EEENS1_30default_config_static_selectorELNS0_4arch9wavefront6targetE0EEEvT1_.kd
    .uniform_work_group_size: 1
    .uses_dynamic_stack: false
    .vgpr_count:     0
    .vgpr_spill_count: 0
    .wavefront_size: 32
    .workgroup_processor_mode: 1
  - .args:
      - .offset:         0
        .size:           120
        .value_kind:     by_value
    .group_segment_fixed_size: 0
    .kernarg_segment_align: 8
    .kernarg_segment_size: 120
    .language:       OpenCL C
    .language_version:
      - 2
      - 0
    .max_flat_workgroup_size: 128
    .name:           _ZN7rocprim17ROCPRIM_400000_NS6detail17trampoline_kernelINS0_14default_configENS1_25partition_config_selectorILNS1_17partition_subalgoE5ElNS0_10empty_typeEbEEZZNS1_14partition_implILS5_5ELb0ES3_mN6hipcub16HIPCUB_304000_NS21CountingInputIteratorIllEEPS6_NSA_22TransformInputIteratorIbN2at6native12_GLOBAL__N_19NonZeroOpIdEEPKdlEENS0_5tupleIJPlS6_EEENSN_IJSD_SD_EEES6_PiJS6_EEE10hipError_tPvRmT3_T4_T5_T6_T7_T9_mT8_P12ihipStream_tbDpT10_ENKUlT_T0_E_clISt17integral_constantIbLb1EES1A_IbLb0EEEEDaS16_S17_EUlS16_E_NS1_11comp_targetILNS1_3genE3ELNS1_11target_archE908ELNS1_3gpuE7ELNS1_3repE0EEENS1_30default_config_static_selectorELNS0_4arch9wavefront6targetE0EEEvT1_
    .private_segment_fixed_size: 0
    .sgpr_count:     0
    .sgpr_spill_count: 0
    .symbol:         _ZN7rocprim17ROCPRIM_400000_NS6detail17trampoline_kernelINS0_14default_configENS1_25partition_config_selectorILNS1_17partition_subalgoE5ElNS0_10empty_typeEbEEZZNS1_14partition_implILS5_5ELb0ES3_mN6hipcub16HIPCUB_304000_NS21CountingInputIteratorIllEEPS6_NSA_22TransformInputIteratorIbN2at6native12_GLOBAL__N_19NonZeroOpIdEEPKdlEENS0_5tupleIJPlS6_EEENSN_IJSD_SD_EEES6_PiJS6_EEE10hipError_tPvRmT3_T4_T5_T6_T7_T9_mT8_P12ihipStream_tbDpT10_ENKUlT_T0_E_clISt17integral_constantIbLb1EES1A_IbLb0EEEEDaS16_S17_EUlS16_E_NS1_11comp_targetILNS1_3genE3ELNS1_11target_archE908ELNS1_3gpuE7ELNS1_3repE0EEENS1_30default_config_static_selectorELNS0_4arch9wavefront6targetE0EEEvT1_.kd
    .uniform_work_group_size: 1
    .uses_dynamic_stack: false
    .vgpr_count:     0
    .vgpr_spill_count: 0
    .wavefront_size: 32
    .workgroup_processor_mode: 1
  - .args:
      - .offset:         0
        .size:           120
        .value_kind:     by_value
    .group_segment_fixed_size: 0
    .kernarg_segment_align: 8
    .kernarg_segment_size: 120
    .language:       OpenCL C
    .language_version:
      - 2
      - 0
    .max_flat_workgroup_size: 256
    .name:           _ZN7rocprim17ROCPRIM_400000_NS6detail17trampoline_kernelINS0_14default_configENS1_25partition_config_selectorILNS1_17partition_subalgoE5ElNS0_10empty_typeEbEEZZNS1_14partition_implILS5_5ELb0ES3_mN6hipcub16HIPCUB_304000_NS21CountingInputIteratorIllEEPS6_NSA_22TransformInputIteratorIbN2at6native12_GLOBAL__N_19NonZeroOpIdEEPKdlEENS0_5tupleIJPlS6_EEENSN_IJSD_SD_EEES6_PiJS6_EEE10hipError_tPvRmT3_T4_T5_T6_T7_T9_mT8_P12ihipStream_tbDpT10_ENKUlT_T0_E_clISt17integral_constantIbLb1EES1A_IbLb0EEEEDaS16_S17_EUlS16_E_NS1_11comp_targetILNS1_3genE2ELNS1_11target_archE906ELNS1_3gpuE6ELNS1_3repE0EEENS1_30default_config_static_selectorELNS0_4arch9wavefront6targetE0EEEvT1_
    .private_segment_fixed_size: 0
    .sgpr_count:     0
    .sgpr_spill_count: 0
    .symbol:         _ZN7rocprim17ROCPRIM_400000_NS6detail17trampoline_kernelINS0_14default_configENS1_25partition_config_selectorILNS1_17partition_subalgoE5ElNS0_10empty_typeEbEEZZNS1_14partition_implILS5_5ELb0ES3_mN6hipcub16HIPCUB_304000_NS21CountingInputIteratorIllEEPS6_NSA_22TransformInputIteratorIbN2at6native12_GLOBAL__N_19NonZeroOpIdEEPKdlEENS0_5tupleIJPlS6_EEENSN_IJSD_SD_EEES6_PiJS6_EEE10hipError_tPvRmT3_T4_T5_T6_T7_T9_mT8_P12ihipStream_tbDpT10_ENKUlT_T0_E_clISt17integral_constantIbLb1EES1A_IbLb0EEEEDaS16_S17_EUlS16_E_NS1_11comp_targetILNS1_3genE2ELNS1_11target_archE906ELNS1_3gpuE6ELNS1_3repE0EEENS1_30default_config_static_selectorELNS0_4arch9wavefront6targetE0EEEvT1_.kd
    .uniform_work_group_size: 1
    .uses_dynamic_stack: false
    .vgpr_count:     0
    .vgpr_spill_count: 0
    .wavefront_size: 32
    .workgroup_processor_mode: 1
  - .args:
      - .offset:         0
        .size:           120
        .value_kind:     by_value
    .group_segment_fixed_size: 0
    .kernarg_segment_align: 8
    .kernarg_segment_size: 120
    .language:       OpenCL C
    .language_version:
      - 2
      - 0
    .max_flat_workgroup_size: 256
    .name:           _ZN7rocprim17ROCPRIM_400000_NS6detail17trampoline_kernelINS0_14default_configENS1_25partition_config_selectorILNS1_17partition_subalgoE5ElNS0_10empty_typeEbEEZZNS1_14partition_implILS5_5ELb0ES3_mN6hipcub16HIPCUB_304000_NS21CountingInputIteratorIllEEPS6_NSA_22TransformInputIteratorIbN2at6native12_GLOBAL__N_19NonZeroOpIdEEPKdlEENS0_5tupleIJPlS6_EEENSN_IJSD_SD_EEES6_PiJS6_EEE10hipError_tPvRmT3_T4_T5_T6_T7_T9_mT8_P12ihipStream_tbDpT10_ENKUlT_T0_E_clISt17integral_constantIbLb1EES1A_IbLb0EEEEDaS16_S17_EUlS16_E_NS1_11comp_targetILNS1_3genE10ELNS1_11target_archE1200ELNS1_3gpuE4ELNS1_3repE0EEENS1_30default_config_static_selectorELNS0_4arch9wavefront6targetE0EEEvT1_
    .private_segment_fixed_size: 0
    .sgpr_count:     0
    .sgpr_spill_count: 0
    .symbol:         _ZN7rocprim17ROCPRIM_400000_NS6detail17trampoline_kernelINS0_14default_configENS1_25partition_config_selectorILNS1_17partition_subalgoE5ElNS0_10empty_typeEbEEZZNS1_14partition_implILS5_5ELb0ES3_mN6hipcub16HIPCUB_304000_NS21CountingInputIteratorIllEEPS6_NSA_22TransformInputIteratorIbN2at6native12_GLOBAL__N_19NonZeroOpIdEEPKdlEENS0_5tupleIJPlS6_EEENSN_IJSD_SD_EEES6_PiJS6_EEE10hipError_tPvRmT3_T4_T5_T6_T7_T9_mT8_P12ihipStream_tbDpT10_ENKUlT_T0_E_clISt17integral_constantIbLb1EES1A_IbLb0EEEEDaS16_S17_EUlS16_E_NS1_11comp_targetILNS1_3genE10ELNS1_11target_archE1200ELNS1_3gpuE4ELNS1_3repE0EEENS1_30default_config_static_selectorELNS0_4arch9wavefront6targetE0EEEvT1_.kd
    .uniform_work_group_size: 1
    .uses_dynamic_stack: false
    .vgpr_count:     0
    .vgpr_spill_count: 0
    .wavefront_size: 32
    .workgroup_processor_mode: 1
  - .args:
      - .offset:         0
        .size:           120
        .value_kind:     by_value
    .group_segment_fixed_size: 6160
    .kernarg_segment_align: 8
    .kernarg_segment_size: 120
    .language:       OpenCL C
    .language_version:
      - 2
      - 0
    .max_flat_workgroup_size: 128
    .name:           _ZN7rocprim17ROCPRIM_400000_NS6detail17trampoline_kernelINS0_14default_configENS1_25partition_config_selectorILNS1_17partition_subalgoE5ElNS0_10empty_typeEbEEZZNS1_14partition_implILS5_5ELb0ES3_mN6hipcub16HIPCUB_304000_NS21CountingInputIteratorIllEEPS6_NSA_22TransformInputIteratorIbN2at6native12_GLOBAL__N_19NonZeroOpIdEEPKdlEENS0_5tupleIJPlS6_EEENSN_IJSD_SD_EEES6_PiJS6_EEE10hipError_tPvRmT3_T4_T5_T6_T7_T9_mT8_P12ihipStream_tbDpT10_ENKUlT_T0_E_clISt17integral_constantIbLb1EES1A_IbLb0EEEEDaS16_S17_EUlS16_E_NS1_11comp_targetILNS1_3genE9ELNS1_11target_archE1100ELNS1_3gpuE3ELNS1_3repE0EEENS1_30default_config_static_selectorELNS0_4arch9wavefront6targetE0EEEvT1_
    .private_segment_fixed_size: 0
    .sgpr_count:     23
    .sgpr_spill_count: 0
    .symbol:         _ZN7rocprim17ROCPRIM_400000_NS6detail17trampoline_kernelINS0_14default_configENS1_25partition_config_selectorILNS1_17partition_subalgoE5ElNS0_10empty_typeEbEEZZNS1_14partition_implILS5_5ELb0ES3_mN6hipcub16HIPCUB_304000_NS21CountingInputIteratorIllEEPS6_NSA_22TransformInputIteratorIbN2at6native12_GLOBAL__N_19NonZeroOpIdEEPKdlEENS0_5tupleIJPlS6_EEENSN_IJSD_SD_EEES6_PiJS6_EEE10hipError_tPvRmT3_T4_T5_T6_T7_T9_mT8_P12ihipStream_tbDpT10_ENKUlT_T0_E_clISt17integral_constantIbLb1EES1A_IbLb0EEEEDaS16_S17_EUlS16_E_NS1_11comp_targetILNS1_3genE9ELNS1_11target_archE1100ELNS1_3gpuE3ELNS1_3repE0EEENS1_30default_config_static_selectorELNS0_4arch9wavefront6targetE0EEEvT1_.kd
    .uniform_work_group_size: 1
    .uses_dynamic_stack: false
    .vgpr_count:     57
    .vgpr_spill_count: 0
    .wavefront_size: 32
    .workgroup_processor_mode: 1
  - .args:
      - .offset:         0
        .size:           120
        .value_kind:     by_value
    .group_segment_fixed_size: 0
    .kernarg_segment_align: 8
    .kernarg_segment_size: 120
    .language:       OpenCL C
    .language_version:
      - 2
      - 0
    .max_flat_workgroup_size: 512
    .name:           _ZN7rocprim17ROCPRIM_400000_NS6detail17trampoline_kernelINS0_14default_configENS1_25partition_config_selectorILNS1_17partition_subalgoE5ElNS0_10empty_typeEbEEZZNS1_14partition_implILS5_5ELb0ES3_mN6hipcub16HIPCUB_304000_NS21CountingInputIteratorIllEEPS6_NSA_22TransformInputIteratorIbN2at6native12_GLOBAL__N_19NonZeroOpIdEEPKdlEENS0_5tupleIJPlS6_EEENSN_IJSD_SD_EEES6_PiJS6_EEE10hipError_tPvRmT3_T4_T5_T6_T7_T9_mT8_P12ihipStream_tbDpT10_ENKUlT_T0_E_clISt17integral_constantIbLb1EES1A_IbLb0EEEEDaS16_S17_EUlS16_E_NS1_11comp_targetILNS1_3genE8ELNS1_11target_archE1030ELNS1_3gpuE2ELNS1_3repE0EEENS1_30default_config_static_selectorELNS0_4arch9wavefront6targetE0EEEvT1_
    .private_segment_fixed_size: 0
    .sgpr_count:     0
    .sgpr_spill_count: 0
    .symbol:         _ZN7rocprim17ROCPRIM_400000_NS6detail17trampoline_kernelINS0_14default_configENS1_25partition_config_selectorILNS1_17partition_subalgoE5ElNS0_10empty_typeEbEEZZNS1_14partition_implILS5_5ELb0ES3_mN6hipcub16HIPCUB_304000_NS21CountingInputIteratorIllEEPS6_NSA_22TransformInputIteratorIbN2at6native12_GLOBAL__N_19NonZeroOpIdEEPKdlEENS0_5tupleIJPlS6_EEENSN_IJSD_SD_EEES6_PiJS6_EEE10hipError_tPvRmT3_T4_T5_T6_T7_T9_mT8_P12ihipStream_tbDpT10_ENKUlT_T0_E_clISt17integral_constantIbLb1EES1A_IbLb0EEEEDaS16_S17_EUlS16_E_NS1_11comp_targetILNS1_3genE8ELNS1_11target_archE1030ELNS1_3gpuE2ELNS1_3repE0EEENS1_30default_config_static_selectorELNS0_4arch9wavefront6targetE0EEEvT1_.kd
    .uniform_work_group_size: 1
    .uses_dynamic_stack: false
    .vgpr_count:     0
    .vgpr_spill_count: 0
    .wavefront_size: 32
    .workgroup_processor_mode: 1
  - .args:
      - .offset:         0
        .size:           136
        .value_kind:     by_value
    .group_segment_fixed_size: 0
    .kernarg_segment_align: 8
    .kernarg_segment_size: 136
    .language:       OpenCL C
    .language_version:
      - 2
      - 0
    .max_flat_workgroup_size: 128
    .name:           _ZN7rocprim17ROCPRIM_400000_NS6detail17trampoline_kernelINS0_14default_configENS1_25partition_config_selectorILNS1_17partition_subalgoE5ElNS0_10empty_typeEbEEZZNS1_14partition_implILS5_5ELb0ES3_mN6hipcub16HIPCUB_304000_NS21CountingInputIteratorIllEEPS6_NSA_22TransformInputIteratorIbN2at6native12_GLOBAL__N_19NonZeroOpIdEEPKdlEENS0_5tupleIJPlS6_EEENSN_IJSD_SD_EEES6_PiJS6_EEE10hipError_tPvRmT3_T4_T5_T6_T7_T9_mT8_P12ihipStream_tbDpT10_ENKUlT_T0_E_clISt17integral_constantIbLb0EES1A_IbLb1EEEEDaS16_S17_EUlS16_E_NS1_11comp_targetILNS1_3genE0ELNS1_11target_archE4294967295ELNS1_3gpuE0ELNS1_3repE0EEENS1_30default_config_static_selectorELNS0_4arch9wavefront6targetE0EEEvT1_
    .private_segment_fixed_size: 0
    .sgpr_count:     0
    .sgpr_spill_count: 0
    .symbol:         _ZN7rocprim17ROCPRIM_400000_NS6detail17trampoline_kernelINS0_14default_configENS1_25partition_config_selectorILNS1_17partition_subalgoE5ElNS0_10empty_typeEbEEZZNS1_14partition_implILS5_5ELb0ES3_mN6hipcub16HIPCUB_304000_NS21CountingInputIteratorIllEEPS6_NSA_22TransformInputIteratorIbN2at6native12_GLOBAL__N_19NonZeroOpIdEEPKdlEENS0_5tupleIJPlS6_EEENSN_IJSD_SD_EEES6_PiJS6_EEE10hipError_tPvRmT3_T4_T5_T6_T7_T9_mT8_P12ihipStream_tbDpT10_ENKUlT_T0_E_clISt17integral_constantIbLb0EES1A_IbLb1EEEEDaS16_S17_EUlS16_E_NS1_11comp_targetILNS1_3genE0ELNS1_11target_archE4294967295ELNS1_3gpuE0ELNS1_3repE0EEENS1_30default_config_static_selectorELNS0_4arch9wavefront6targetE0EEEvT1_.kd
    .uniform_work_group_size: 1
    .uses_dynamic_stack: false
    .vgpr_count:     0
    .vgpr_spill_count: 0
    .wavefront_size: 32
    .workgroup_processor_mode: 1
  - .args:
      - .offset:         0
        .size:           136
        .value_kind:     by_value
    .group_segment_fixed_size: 0
    .kernarg_segment_align: 8
    .kernarg_segment_size: 136
    .language:       OpenCL C
    .language_version:
      - 2
      - 0
    .max_flat_workgroup_size: 512
    .name:           _ZN7rocprim17ROCPRIM_400000_NS6detail17trampoline_kernelINS0_14default_configENS1_25partition_config_selectorILNS1_17partition_subalgoE5ElNS0_10empty_typeEbEEZZNS1_14partition_implILS5_5ELb0ES3_mN6hipcub16HIPCUB_304000_NS21CountingInputIteratorIllEEPS6_NSA_22TransformInputIteratorIbN2at6native12_GLOBAL__N_19NonZeroOpIdEEPKdlEENS0_5tupleIJPlS6_EEENSN_IJSD_SD_EEES6_PiJS6_EEE10hipError_tPvRmT3_T4_T5_T6_T7_T9_mT8_P12ihipStream_tbDpT10_ENKUlT_T0_E_clISt17integral_constantIbLb0EES1A_IbLb1EEEEDaS16_S17_EUlS16_E_NS1_11comp_targetILNS1_3genE5ELNS1_11target_archE942ELNS1_3gpuE9ELNS1_3repE0EEENS1_30default_config_static_selectorELNS0_4arch9wavefront6targetE0EEEvT1_
    .private_segment_fixed_size: 0
    .sgpr_count:     0
    .sgpr_spill_count: 0
    .symbol:         _ZN7rocprim17ROCPRIM_400000_NS6detail17trampoline_kernelINS0_14default_configENS1_25partition_config_selectorILNS1_17partition_subalgoE5ElNS0_10empty_typeEbEEZZNS1_14partition_implILS5_5ELb0ES3_mN6hipcub16HIPCUB_304000_NS21CountingInputIteratorIllEEPS6_NSA_22TransformInputIteratorIbN2at6native12_GLOBAL__N_19NonZeroOpIdEEPKdlEENS0_5tupleIJPlS6_EEENSN_IJSD_SD_EEES6_PiJS6_EEE10hipError_tPvRmT3_T4_T5_T6_T7_T9_mT8_P12ihipStream_tbDpT10_ENKUlT_T0_E_clISt17integral_constantIbLb0EES1A_IbLb1EEEEDaS16_S17_EUlS16_E_NS1_11comp_targetILNS1_3genE5ELNS1_11target_archE942ELNS1_3gpuE9ELNS1_3repE0EEENS1_30default_config_static_selectorELNS0_4arch9wavefront6targetE0EEEvT1_.kd
    .uniform_work_group_size: 1
    .uses_dynamic_stack: false
    .vgpr_count:     0
    .vgpr_spill_count: 0
    .wavefront_size: 32
    .workgroup_processor_mode: 1
  - .args:
      - .offset:         0
        .size:           136
        .value_kind:     by_value
    .group_segment_fixed_size: 0
    .kernarg_segment_align: 8
    .kernarg_segment_size: 136
    .language:       OpenCL C
    .language_version:
      - 2
      - 0
    .max_flat_workgroup_size: 192
    .name:           _ZN7rocprim17ROCPRIM_400000_NS6detail17trampoline_kernelINS0_14default_configENS1_25partition_config_selectorILNS1_17partition_subalgoE5ElNS0_10empty_typeEbEEZZNS1_14partition_implILS5_5ELb0ES3_mN6hipcub16HIPCUB_304000_NS21CountingInputIteratorIllEEPS6_NSA_22TransformInputIteratorIbN2at6native12_GLOBAL__N_19NonZeroOpIdEEPKdlEENS0_5tupleIJPlS6_EEENSN_IJSD_SD_EEES6_PiJS6_EEE10hipError_tPvRmT3_T4_T5_T6_T7_T9_mT8_P12ihipStream_tbDpT10_ENKUlT_T0_E_clISt17integral_constantIbLb0EES1A_IbLb1EEEEDaS16_S17_EUlS16_E_NS1_11comp_targetILNS1_3genE4ELNS1_11target_archE910ELNS1_3gpuE8ELNS1_3repE0EEENS1_30default_config_static_selectorELNS0_4arch9wavefront6targetE0EEEvT1_
    .private_segment_fixed_size: 0
    .sgpr_count:     0
    .sgpr_spill_count: 0
    .symbol:         _ZN7rocprim17ROCPRIM_400000_NS6detail17trampoline_kernelINS0_14default_configENS1_25partition_config_selectorILNS1_17partition_subalgoE5ElNS0_10empty_typeEbEEZZNS1_14partition_implILS5_5ELb0ES3_mN6hipcub16HIPCUB_304000_NS21CountingInputIteratorIllEEPS6_NSA_22TransformInputIteratorIbN2at6native12_GLOBAL__N_19NonZeroOpIdEEPKdlEENS0_5tupleIJPlS6_EEENSN_IJSD_SD_EEES6_PiJS6_EEE10hipError_tPvRmT3_T4_T5_T6_T7_T9_mT8_P12ihipStream_tbDpT10_ENKUlT_T0_E_clISt17integral_constantIbLb0EES1A_IbLb1EEEEDaS16_S17_EUlS16_E_NS1_11comp_targetILNS1_3genE4ELNS1_11target_archE910ELNS1_3gpuE8ELNS1_3repE0EEENS1_30default_config_static_selectorELNS0_4arch9wavefront6targetE0EEEvT1_.kd
    .uniform_work_group_size: 1
    .uses_dynamic_stack: false
    .vgpr_count:     0
    .vgpr_spill_count: 0
    .wavefront_size: 32
    .workgroup_processor_mode: 1
  - .args:
      - .offset:         0
        .size:           136
        .value_kind:     by_value
    .group_segment_fixed_size: 0
    .kernarg_segment_align: 8
    .kernarg_segment_size: 136
    .language:       OpenCL C
    .language_version:
      - 2
      - 0
    .max_flat_workgroup_size: 128
    .name:           _ZN7rocprim17ROCPRIM_400000_NS6detail17trampoline_kernelINS0_14default_configENS1_25partition_config_selectorILNS1_17partition_subalgoE5ElNS0_10empty_typeEbEEZZNS1_14partition_implILS5_5ELb0ES3_mN6hipcub16HIPCUB_304000_NS21CountingInputIteratorIllEEPS6_NSA_22TransformInputIteratorIbN2at6native12_GLOBAL__N_19NonZeroOpIdEEPKdlEENS0_5tupleIJPlS6_EEENSN_IJSD_SD_EEES6_PiJS6_EEE10hipError_tPvRmT3_T4_T5_T6_T7_T9_mT8_P12ihipStream_tbDpT10_ENKUlT_T0_E_clISt17integral_constantIbLb0EES1A_IbLb1EEEEDaS16_S17_EUlS16_E_NS1_11comp_targetILNS1_3genE3ELNS1_11target_archE908ELNS1_3gpuE7ELNS1_3repE0EEENS1_30default_config_static_selectorELNS0_4arch9wavefront6targetE0EEEvT1_
    .private_segment_fixed_size: 0
    .sgpr_count:     0
    .sgpr_spill_count: 0
    .symbol:         _ZN7rocprim17ROCPRIM_400000_NS6detail17trampoline_kernelINS0_14default_configENS1_25partition_config_selectorILNS1_17partition_subalgoE5ElNS0_10empty_typeEbEEZZNS1_14partition_implILS5_5ELb0ES3_mN6hipcub16HIPCUB_304000_NS21CountingInputIteratorIllEEPS6_NSA_22TransformInputIteratorIbN2at6native12_GLOBAL__N_19NonZeroOpIdEEPKdlEENS0_5tupleIJPlS6_EEENSN_IJSD_SD_EEES6_PiJS6_EEE10hipError_tPvRmT3_T4_T5_T6_T7_T9_mT8_P12ihipStream_tbDpT10_ENKUlT_T0_E_clISt17integral_constantIbLb0EES1A_IbLb1EEEEDaS16_S17_EUlS16_E_NS1_11comp_targetILNS1_3genE3ELNS1_11target_archE908ELNS1_3gpuE7ELNS1_3repE0EEENS1_30default_config_static_selectorELNS0_4arch9wavefront6targetE0EEEvT1_.kd
    .uniform_work_group_size: 1
    .uses_dynamic_stack: false
    .vgpr_count:     0
    .vgpr_spill_count: 0
    .wavefront_size: 32
    .workgroup_processor_mode: 1
  - .args:
      - .offset:         0
        .size:           136
        .value_kind:     by_value
    .group_segment_fixed_size: 0
    .kernarg_segment_align: 8
    .kernarg_segment_size: 136
    .language:       OpenCL C
    .language_version:
      - 2
      - 0
    .max_flat_workgroup_size: 256
    .name:           _ZN7rocprim17ROCPRIM_400000_NS6detail17trampoline_kernelINS0_14default_configENS1_25partition_config_selectorILNS1_17partition_subalgoE5ElNS0_10empty_typeEbEEZZNS1_14partition_implILS5_5ELb0ES3_mN6hipcub16HIPCUB_304000_NS21CountingInputIteratorIllEEPS6_NSA_22TransformInputIteratorIbN2at6native12_GLOBAL__N_19NonZeroOpIdEEPKdlEENS0_5tupleIJPlS6_EEENSN_IJSD_SD_EEES6_PiJS6_EEE10hipError_tPvRmT3_T4_T5_T6_T7_T9_mT8_P12ihipStream_tbDpT10_ENKUlT_T0_E_clISt17integral_constantIbLb0EES1A_IbLb1EEEEDaS16_S17_EUlS16_E_NS1_11comp_targetILNS1_3genE2ELNS1_11target_archE906ELNS1_3gpuE6ELNS1_3repE0EEENS1_30default_config_static_selectorELNS0_4arch9wavefront6targetE0EEEvT1_
    .private_segment_fixed_size: 0
    .sgpr_count:     0
    .sgpr_spill_count: 0
    .symbol:         _ZN7rocprim17ROCPRIM_400000_NS6detail17trampoline_kernelINS0_14default_configENS1_25partition_config_selectorILNS1_17partition_subalgoE5ElNS0_10empty_typeEbEEZZNS1_14partition_implILS5_5ELb0ES3_mN6hipcub16HIPCUB_304000_NS21CountingInputIteratorIllEEPS6_NSA_22TransformInputIteratorIbN2at6native12_GLOBAL__N_19NonZeroOpIdEEPKdlEENS0_5tupleIJPlS6_EEENSN_IJSD_SD_EEES6_PiJS6_EEE10hipError_tPvRmT3_T4_T5_T6_T7_T9_mT8_P12ihipStream_tbDpT10_ENKUlT_T0_E_clISt17integral_constantIbLb0EES1A_IbLb1EEEEDaS16_S17_EUlS16_E_NS1_11comp_targetILNS1_3genE2ELNS1_11target_archE906ELNS1_3gpuE6ELNS1_3repE0EEENS1_30default_config_static_selectorELNS0_4arch9wavefront6targetE0EEEvT1_.kd
    .uniform_work_group_size: 1
    .uses_dynamic_stack: false
    .vgpr_count:     0
    .vgpr_spill_count: 0
    .wavefront_size: 32
    .workgroup_processor_mode: 1
  - .args:
      - .offset:         0
        .size:           136
        .value_kind:     by_value
    .group_segment_fixed_size: 0
    .kernarg_segment_align: 8
    .kernarg_segment_size: 136
    .language:       OpenCL C
    .language_version:
      - 2
      - 0
    .max_flat_workgroup_size: 256
    .name:           _ZN7rocprim17ROCPRIM_400000_NS6detail17trampoline_kernelINS0_14default_configENS1_25partition_config_selectorILNS1_17partition_subalgoE5ElNS0_10empty_typeEbEEZZNS1_14partition_implILS5_5ELb0ES3_mN6hipcub16HIPCUB_304000_NS21CountingInputIteratorIllEEPS6_NSA_22TransformInputIteratorIbN2at6native12_GLOBAL__N_19NonZeroOpIdEEPKdlEENS0_5tupleIJPlS6_EEENSN_IJSD_SD_EEES6_PiJS6_EEE10hipError_tPvRmT3_T4_T5_T6_T7_T9_mT8_P12ihipStream_tbDpT10_ENKUlT_T0_E_clISt17integral_constantIbLb0EES1A_IbLb1EEEEDaS16_S17_EUlS16_E_NS1_11comp_targetILNS1_3genE10ELNS1_11target_archE1200ELNS1_3gpuE4ELNS1_3repE0EEENS1_30default_config_static_selectorELNS0_4arch9wavefront6targetE0EEEvT1_
    .private_segment_fixed_size: 0
    .sgpr_count:     0
    .sgpr_spill_count: 0
    .symbol:         _ZN7rocprim17ROCPRIM_400000_NS6detail17trampoline_kernelINS0_14default_configENS1_25partition_config_selectorILNS1_17partition_subalgoE5ElNS0_10empty_typeEbEEZZNS1_14partition_implILS5_5ELb0ES3_mN6hipcub16HIPCUB_304000_NS21CountingInputIteratorIllEEPS6_NSA_22TransformInputIteratorIbN2at6native12_GLOBAL__N_19NonZeroOpIdEEPKdlEENS0_5tupleIJPlS6_EEENSN_IJSD_SD_EEES6_PiJS6_EEE10hipError_tPvRmT3_T4_T5_T6_T7_T9_mT8_P12ihipStream_tbDpT10_ENKUlT_T0_E_clISt17integral_constantIbLb0EES1A_IbLb1EEEEDaS16_S17_EUlS16_E_NS1_11comp_targetILNS1_3genE10ELNS1_11target_archE1200ELNS1_3gpuE4ELNS1_3repE0EEENS1_30default_config_static_selectorELNS0_4arch9wavefront6targetE0EEEvT1_.kd
    .uniform_work_group_size: 1
    .uses_dynamic_stack: false
    .vgpr_count:     0
    .vgpr_spill_count: 0
    .wavefront_size: 32
    .workgroup_processor_mode: 1
  - .args:
      - .offset:         0
        .size:           136
        .value_kind:     by_value
    .group_segment_fixed_size: 6160
    .kernarg_segment_align: 8
    .kernarg_segment_size: 136
    .language:       OpenCL C
    .language_version:
      - 2
      - 0
    .max_flat_workgroup_size: 128
    .name:           _ZN7rocprim17ROCPRIM_400000_NS6detail17trampoline_kernelINS0_14default_configENS1_25partition_config_selectorILNS1_17partition_subalgoE5ElNS0_10empty_typeEbEEZZNS1_14partition_implILS5_5ELb0ES3_mN6hipcub16HIPCUB_304000_NS21CountingInputIteratorIllEEPS6_NSA_22TransformInputIteratorIbN2at6native12_GLOBAL__N_19NonZeroOpIdEEPKdlEENS0_5tupleIJPlS6_EEENSN_IJSD_SD_EEES6_PiJS6_EEE10hipError_tPvRmT3_T4_T5_T6_T7_T9_mT8_P12ihipStream_tbDpT10_ENKUlT_T0_E_clISt17integral_constantIbLb0EES1A_IbLb1EEEEDaS16_S17_EUlS16_E_NS1_11comp_targetILNS1_3genE9ELNS1_11target_archE1100ELNS1_3gpuE3ELNS1_3repE0EEENS1_30default_config_static_selectorELNS0_4arch9wavefront6targetE0EEEvT1_
    .private_segment_fixed_size: 0
    .sgpr_count:     26
    .sgpr_spill_count: 0
    .symbol:         _ZN7rocprim17ROCPRIM_400000_NS6detail17trampoline_kernelINS0_14default_configENS1_25partition_config_selectorILNS1_17partition_subalgoE5ElNS0_10empty_typeEbEEZZNS1_14partition_implILS5_5ELb0ES3_mN6hipcub16HIPCUB_304000_NS21CountingInputIteratorIllEEPS6_NSA_22TransformInputIteratorIbN2at6native12_GLOBAL__N_19NonZeroOpIdEEPKdlEENS0_5tupleIJPlS6_EEENSN_IJSD_SD_EEES6_PiJS6_EEE10hipError_tPvRmT3_T4_T5_T6_T7_T9_mT8_P12ihipStream_tbDpT10_ENKUlT_T0_E_clISt17integral_constantIbLb0EES1A_IbLb1EEEEDaS16_S17_EUlS16_E_NS1_11comp_targetILNS1_3genE9ELNS1_11target_archE1100ELNS1_3gpuE3ELNS1_3repE0EEENS1_30default_config_static_selectorELNS0_4arch9wavefront6targetE0EEEvT1_.kd
    .uniform_work_group_size: 1
    .uses_dynamic_stack: false
    .vgpr_count:     57
    .vgpr_spill_count: 0
    .wavefront_size: 32
    .workgroup_processor_mode: 1
  - .args:
      - .offset:         0
        .size:           136
        .value_kind:     by_value
    .group_segment_fixed_size: 0
    .kernarg_segment_align: 8
    .kernarg_segment_size: 136
    .language:       OpenCL C
    .language_version:
      - 2
      - 0
    .max_flat_workgroup_size: 512
    .name:           _ZN7rocprim17ROCPRIM_400000_NS6detail17trampoline_kernelINS0_14default_configENS1_25partition_config_selectorILNS1_17partition_subalgoE5ElNS0_10empty_typeEbEEZZNS1_14partition_implILS5_5ELb0ES3_mN6hipcub16HIPCUB_304000_NS21CountingInputIteratorIllEEPS6_NSA_22TransformInputIteratorIbN2at6native12_GLOBAL__N_19NonZeroOpIdEEPKdlEENS0_5tupleIJPlS6_EEENSN_IJSD_SD_EEES6_PiJS6_EEE10hipError_tPvRmT3_T4_T5_T6_T7_T9_mT8_P12ihipStream_tbDpT10_ENKUlT_T0_E_clISt17integral_constantIbLb0EES1A_IbLb1EEEEDaS16_S17_EUlS16_E_NS1_11comp_targetILNS1_3genE8ELNS1_11target_archE1030ELNS1_3gpuE2ELNS1_3repE0EEENS1_30default_config_static_selectorELNS0_4arch9wavefront6targetE0EEEvT1_
    .private_segment_fixed_size: 0
    .sgpr_count:     0
    .sgpr_spill_count: 0
    .symbol:         _ZN7rocprim17ROCPRIM_400000_NS6detail17trampoline_kernelINS0_14default_configENS1_25partition_config_selectorILNS1_17partition_subalgoE5ElNS0_10empty_typeEbEEZZNS1_14partition_implILS5_5ELb0ES3_mN6hipcub16HIPCUB_304000_NS21CountingInputIteratorIllEEPS6_NSA_22TransformInputIteratorIbN2at6native12_GLOBAL__N_19NonZeroOpIdEEPKdlEENS0_5tupleIJPlS6_EEENSN_IJSD_SD_EEES6_PiJS6_EEE10hipError_tPvRmT3_T4_T5_T6_T7_T9_mT8_P12ihipStream_tbDpT10_ENKUlT_T0_E_clISt17integral_constantIbLb0EES1A_IbLb1EEEEDaS16_S17_EUlS16_E_NS1_11comp_targetILNS1_3genE8ELNS1_11target_archE1030ELNS1_3gpuE2ELNS1_3repE0EEENS1_30default_config_static_selectorELNS0_4arch9wavefront6targetE0EEEvT1_.kd
    .uniform_work_group_size: 1
    .uses_dynamic_stack: false
    .vgpr_count:     0
    .vgpr_spill_count: 0
    .wavefront_size: 32
    .workgroup_processor_mode: 1
  - .args:
      - .offset:         0
        .size:           56
        .value_kind:     by_value
    .group_segment_fixed_size: 0
    .kernarg_segment_align: 8
    .kernarg_segment_size: 56
    .language:       OpenCL C
    .language_version:
      - 2
      - 0
    .max_flat_workgroup_size: 256
    .name:           _ZN7rocprim17ROCPRIM_400000_NS6detail17trampoline_kernelINS0_14default_configENS1_22reduce_config_selectorIiEEZNS1_11reduce_implILb1ES3_PiS7_iN6hipcub16HIPCUB_304000_NS6detail34convert_binary_result_type_wrapperINS9_3SumENS9_22TransformInputIteratorIbN2at6native12_GLOBAL__N_19NonZeroOpIfEEPKflEEiEEEE10hipError_tPvRmT1_T2_T3_mT4_P12ihipStream_tbEUlT_E0_NS1_11comp_targetILNS1_3genE0ELNS1_11target_archE4294967295ELNS1_3gpuE0ELNS1_3repE0EEENS1_30default_config_static_selectorELNS0_4arch9wavefront6targetE0EEEvSQ_
    .private_segment_fixed_size: 0
    .sgpr_count:     0
    .sgpr_spill_count: 0
    .symbol:         _ZN7rocprim17ROCPRIM_400000_NS6detail17trampoline_kernelINS0_14default_configENS1_22reduce_config_selectorIiEEZNS1_11reduce_implILb1ES3_PiS7_iN6hipcub16HIPCUB_304000_NS6detail34convert_binary_result_type_wrapperINS9_3SumENS9_22TransformInputIteratorIbN2at6native12_GLOBAL__N_19NonZeroOpIfEEPKflEEiEEEE10hipError_tPvRmT1_T2_T3_mT4_P12ihipStream_tbEUlT_E0_NS1_11comp_targetILNS1_3genE0ELNS1_11target_archE4294967295ELNS1_3gpuE0ELNS1_3repE0EEENS1_30default_config_static_selectorELNS0_4arch9wavefront6targetE0EEEvSQ_.kd
    .uniform_work_group_size: 1
    .uses_dynamic_stack: false
    .vgpr_count:     0
    .vgpr_spill_count: 0
    .wavefront_size: 32
    .workgroup_processor_mode: 1
  - .args:
      - .offset:         0
        .size:           56
        .value_kind:     by_value
    .group_segment_fixed_size: 0
    .kernarg_segment_align: 8
    .kernarg_segment_size: 56
    .language:       OpenCL C
    .language_version:
      - 2
      - 0
    .max_flat_workgroup_size: 256
    .name:           _ZN7rocprim17ROCPRIM_400000_NS6detail17trampoline_kernelINS0_14default_configENS1_22reduce_config_selectorIiEEZNS1_11reduce_implILb1ES3_PiS7_iN6hipcub16HIPCUB_304000_NS6detail34convert_binary_result_type_wrapperINS9_3SumENS9_22TransformInputIteratorIbN2at6native12_GLOBAL__N_19NonZeroOpIfEEPKflEEiEEEE10hipError_tPvRmT1_T2_T3_mT4_P12ihipStream_tbEUlT_E0_NS1_11comp_targetILNS1_3genE5ELNS1_11target_archE942ELNS1_3gpuE9ELNS1_3repE0EEENS1_30default_config_static_selectorELNS0_4arch9wavefront6targetE0EEEvSQ_
    .private_segment_fixed_size: 0
    .sgpr_count:     0
    .sgpr_spill_count: 0
    .symbol:         _ZN7rocprim17ROCPRIM_400000_NS6detail17trampoline_kernelINS0_14default_configENS1_22reduce_config_selectorIiEEZNS1_11reduce_implILb1ES3_PiS7_iN6hipcub16HIPCUB_304000_NS6detail34convert_binary_result_type_wrapperINS9_3SumENS9_22TransformInputIteratorIbN2at6native12_GLOBAL__N_19NonZeroOpIfEEPKflEEiEEEE10hipError_tPvRmT1_T2_T3_mT4_P12ihipStream_tbEUlT_E0_NS1_11comp_targetILNS1_3genE5ELNS1_11target_archE942ELNS1_3gpuE9ELNS1_3repE0EEENS1_30default_config_static_selectorELNS0_4arch9wavefront6targetE0EEEvSQ_.kd
    .uniform_work_group_size: 1
    .uses_dynamic_stack: false
    .vgpr_count:     0
    .vgpr_spill_count: 0
    .wavefront_size: 32
    .workgroup_processor_mode: 1
  - .args:
      - .offset:         0
        .size:           56
        .value_kind:     by_value
    .group_segment_fixed_size: 0
    .kernarg_segment_align: 8
    .kernarg_segment_size: 56
    .language:       OpenCL C
    .language_version:
      - 2
      - 0
    .max_flat_workgroup_size: 128
    .name:           _ZN7rocprim17ROCPRIM_400000_NS6detail17trampoline_kernelINS0_14default_configENS1_22reduce_config_selectorIiEEZNS1_11reduce_implILb1ES3_PiS7_iN6hipcub16HIPCUB_304000_NS6detail34convert_binary_result_type_wrapperINS9_3SumENS9_22TransformInputIteratorIbN2at6native12_GLOBAL__N_19NonZeroOpIfEEPKflEEiEEEE10hipError_tPvRmT1_T2_T3_mT4_P12ihipStream_tbEUlT_E0_NS1_11comp_targetILNS1_3genE4ELNS1_11target_archE910ELNS1_3gpuE8ELNS1_3repE0EEENS1_30default_config_static_selectorELNS0_4arch9wavefront6targetE0EEEvSQ_
    .private_segment_fixed_size: 0
    .sgpr_count:     0
    .sgpr_spill_count: 0
    .symbol:         _ZN7rocprim17ROCPRIM_400000_NS6detail17trampoline_kernelINS0_14default_configENS1_22reduce_config_selectorIiEEZNS1_11reduce_implILb1ES3_PiS7_iN6hipcub16HIPCUB_304000_NS6detail34convert_binary_result_type_wrapperINS9_3SumENS9_22TransformInputIteratorIbN2at6native12_GLOBAL__N_19NonZeroOpIfEEPKflEEiEEEE10hipError_tPvRmT1_T2_T3_mT4_P12ihipStream_tbEUlT_E0_NS1_11comp_targetILNS1_3genE4ELNS1_11target_archE910ELNS1_3gpuE8ELNS1_3repE0EEENS1_30default_config_static_selectorELNS0_4arch9wavefront6targetE0EEEvSQ_.kd
    .uniform_work_group_size: 1
    .uses_dynamic_stack: false
    .vgpr_count:     0
    .vgpr_spill_count: 0
    .wavefront_size: 32
    .workgroup_processor_mode: 1
  - .args:
      - .offset:         0
        .size:           56
        .value_kind:     by_value
    .group_segment_fixed_size: 0
    .kernarg_segment_align: 8
    .kernarg_segment_size: 56
    .language:       OpenCL C
    .language_version:
      - 2
      - 0
    .max_flat_workgroup_size: 256
    .name:           _ZN7rocprim17ROCPRIM_400000_NS6detail17trampoline_kernelINS0_14default_configENS1_22reduce_config_selectorIiEEZNS1_11reduce_implILb1ES3_PiS7_iN6hipcub16HIPCUB_304000_NS6detail34convert_binary_result_type_wrapperINS9_3SumENS9_22TransformInputIteratorIbN2at6native12_GLOBAL__N_19NonZeroOpIfEEPKflEEiEEEE10hipError_tPvRmT1_T2_T3_mT4_P12ihipStream_tbEUlT_E0_NS1_11comp_targetILNS1_3genE3ELNS1_11target_archE908ELNS1_3gpuE7ELNS1_3repE0EEENS1_30default_config_static_selectorELNS0_4arch9wavefront6targetE0EEEvSQ_
    .private_segment_fixed_size: 0
    .sgpr_count:     0
    .sgpr_spill_count: 0
    .symbol:         _ZN7rocprim17ROCPRIM_400000_NS6detail17trampoline_kernelINS0_14default_configENS1_22reduce_config_selectorIiEEZNS1_11reduce_implILb1ES3_PiS7_iN6hipcub16HIPCUB_304000_NS6detail34convert_binary_result_type_wrapperINS9_3SumENS9_22TransformInputIteratorIbN2at6native12_GLOBAL__N_19NonZeroOpIfEEPKflEEiEEEE10hipError_tPvRmT1_T2_T3_mT4_P12ihipStream_tbEUlT_E0_NS1_11comp_targetILNS1_3genE3ELNS1_11target_archE908ELNS1_3gpuE7ELNS1_3repE0EEENS1_30default_config_static_selectorELNS0_4arch9wavefront6targetE0EEEvSQ_.kd
    .uniform_work_group_size: 1
    .uses_dynamic_stack: false
    .vgpr_count:     0
    .vgpr_spill_count: 0
    .wavefront_size: 32
    .workgroup_processor_mode: 1
  - .args:
      - .offset:         0
        .size:           56
        .value_kind:     by_value
    .group_segment_fixed_size: 0
    .kernarg_segment_align: 8
    .kernarg_segment_size: 56
    .language:       OpenCL C
    .language_version:
      - 2
      - 0
    .max_flat_workgroup_size: 256
    .name:           _ZN7rocprim17ROCPRIM_400000_NS6detail17trampoline_kernelINS0_14default_configENS1_22reduce_config_selectorIiEEZNS1_11reduce_implILb1ES3_PiS7_iN6hipcub16HIPCUB_304000_NS6detail34convert_binary_result_type_wrapperINS9_3SumENS9_22TransformInputIteratorIbN2at6native12_GLOBAL__N_19NonZeroOpIfEEPKflEEiEEEE10hipError_tPvRmT1_T2_T3_mT4_P12ihipStream_tbEUlT_E0_NS1_11comp_targetILNS1_3genE2ELNS1_11target_archE906ELNS1_3gpuE6ELNS1_3repE0EEENS1_30default_config_static_selectorELNS0_4arch9wavefront6targetE0EEEvSQ_
    .private_segment_fixed_size: 0
    .sgpr_count:     0
    .sgpr_spill_count: 0
    .symbol:         _ZN7rocprim17ROCPRIM_400000_NS6detail17trampoline_kernelINS0_14default_configENS1_22reduce_config_selectorIiEEZNS1_11reduce_implILb1ES3_PiS7_iN6hipcub16HIPCUB_304000_NS6detail34convert_binary_result_type_wrapperINS9_3SumENS9_22TransformInputIteratorIbN2at6native12_GLOBAL__N_19NonZeroOpIfEEPKflEEiEEEE10hipError_tPvRmT1_T2_T3_mT4_P12ihipStream_tbEUlT_E0_NS1_11comp_targetILNS1_3genE2ELNS1_11target_archE906ELNS1_3gpuE6ELNS1_3repE0EEENS1_30default_config_static_selectorELNS0_4arch9wavefront6targetE0EEEvSQ_.kd
    .uniform_work_group_size: 1
    .uses_dynamic_stack: false
    .vgpr_count:     0
    .vgpr_spill_count: 0
    .wavefront_size: 32
    .workgroup_processor_mode: 1
  - .args:
      - .offset:         0
        .size:           56
        .value_kind:     by_value
    .group_segment_fixed_size: 0
    .kernarg_segment_align: 8
    .kernarg_segment_size: 56
    .language:       OpenCL C
    .language_version:
      - 2
      - 0
    .max_flat_workgroup_size: 256
    .name:           _ZN7rocprim17ROCPRIM_400000_NS6detail17trampoline_kernelINS0_14default_configENS1_22reduce_config_selectorIiEEZNS1_11reduce_implILb1ES3_PiS7_iN6hipcub16HIPCUB_304000_NS6detail34convert_binary_result_type_wrapperINS9_3SumENS9_22TransformInputIteratorIbN2at6native12_GLOBAL__N_19NonZeroOpIfEEPKflEEiEEEE10hipError_tPvRmT1_T2_T3_mT4_P12ihipStream_tbEUlT_E0_NS1_11comp_targetILNS1_3genE10ELNS1_11target_archE1201ELNS1_3gpuE5ELNS1_3repE0EEENS1_30default_config_static_selectorELNS0_4arch9wavefront6targetE0EEEvSQ_
    .private_segment_fixed_size: 0
    .sgpr_count:     0
    .sgpr_spill_count: 0
    .symbol:         _ZN7rocprim17ROCPRIM_400000_NS6detail17trampoline_kernelINS0_14default_configENS1_22reduce_config_selectorIiEEZNS1_11reduce_implILb1ES3_PiS7_iN6hipcub16HIPCUB_304000_NS6detail34convert_binary_result_type_wrapperINS9_3SumENS9_22TransformInputIteratorIbN2at6native12_GLOBAL__N_19NonZeroOpIfEEPKflEEiEEEE10hipError_tPvRmT1_T2_T3_mT4_P12ihipStream_tbEUlT_E0_NS1_11comp_targetILNS1_3genE10ELNS1_11target_archE1201ELNS1_3gpuE5ELNS1_3repE0EEENS1_30default_config_static_selectorELNS0_4arch9wavefront6targetE0EEEvSQ_.kd
    .uniform_work_group_size: 1
    .uses_dynamic_stack: false
    .vgpr_count:     0
    .vgpr_spill_count: 0
    .wavefront_size: 32
    .workgroup_processor_mode: 1
  - .args:
      - .offset:         0
        .size:           56
        .value_kind:     by_value
    .group_segment_fixed_size: 0
    .kernarg_segment_align: 8
    .kernarg_segment_size: 56
    .language:       OpenCL C
    .language_version:
      - 2
      - 0
    .max_flat_workgroup_size: 256
    .name:           _ZN7rocprim17ROCPRIM_400000_NS6detail17trampoline_kernelINS0_14default_configENS1_22reduce_config_selectorIiEEZNS1_11reduce_implILb1ES3_PiS7_iN6hipcub16HIPCUB_304000_NS6detail34convert_binary_result_type_wrapperINS9_3SumENS9_22TransformInputIteratorIbN2at6native12_GLOBAL__N_19NonZeroOpIfEEPKflEEiEEEE10hipError_tPvRmT1_T2_T3_mT4_P12ihipStream_tbEUlT_E0_NS1_11comp_targetILNS1_3genE10ELNS1_11target_archE1200ELNS1_3gpuE4ELNS1_3repE0EEENS1_30default_config_static_selectorELNS0_4arch9wavefront6targetE0EEEvSQ_
    .private_segment_fixed_size: 0
    .sgpr_count:     0
    .sgpr_spill_count: 0
    .symbol:         _ZN7rocprim17ROCPRIM_400000_NS6detail17trampoline_kernelINS0_14default_configENS1_22reduce_config_selectorIiEEZNS1_11reduce_implILb1ES3_PiS7_iN6hipcub16HIPCUB_304000_NS6detail34convert_binary_result_type_wrapperINS9_3SumENS9_22TransformInputIteratorIbN2at6native12_GLOBAL__N_19NonZeroOpIfEEPKflEEiEEEE10hipError_tPvRmT1_T2_T3_mT4_P12ihipStream_tbEUlT_E0_NS1_11comp_targetILNS1_3genE10ELNS1_11target_archE1200ELNS1_3gpuE4ELNS1_3repE0EEENS1_30default_config_static_selectorELNS0_4arch9wavefront6targetE0EEEvSQ_.kd
    .uniform_work_group_size: 1
    .uses_dynamic_stack: false
    .vgpr_count:     0
    .vgpr_spill_count: 0
    .wavefront_size: 32
    .workgroup_processor_mode: 1
  - .args:
      - .offset:         0
        .size:           56
        .value_kind:     by_value
    .group_segment_fixed_size: 64
    .kernarg_segment_align: 8
    .kernarg_segment_size: 56
    .language:       OpenCL C
    .language_version:
      - 2
      - 0
    .max_flat_workgroup_size: 256
    .name:           _ZN7rocprim17ROCPRIM_400000_NS6detail17trampoline_kernelINS0_14default_configENS1_22reduce_config_selectorIiEEZNS1_11reduce_implILb1ES3_PiS7_iN6hipcub16HIPCUB_304000_NS6detail34convert_binary_result_type_wrapperINS9_3SumENS9_22TransformInputIteratorIbN2at6native12_GLOBAL__N_19NonZeroOpIfEEPKflEEiEEEE10hipError_tPvRmT1_T2_T3_mT4_P12ihipStream_tbEUlT_E0_NS1_11comp_targetILNS1_3genE9ELNS1_11target_archE1100ELNS1_3gpuE3ELNS1_3repE0EEENS1_30default_config_static_selectorELNS0_4arch9wavefront6targetE0EEEvSQ_
    .private_segment_fixed_size: 0
    .sgpr_count:     24
    .sgpr_spill_count: 0
    .symbol:         _ZN7rocprim17ROCPRIM_400000_NS6detail17trampoline_kernelINS0_14default_configENS1_22reduce_config_selectorIiEEZNS1_11reduce_implILb1ES3_PiS7_iN6hipcub16HIPCUB_304000_NS6detail34convert_binary_result_type_wrapperINS9_3SumENS9_22TransformInputIteratorIbN2at6native12_GLOBAL__N_19NonZeroOpIfEEPKflEEiEEEE10hipError_tPvRmT1_T2_T3_mT4_P12ihipStream_tbEUlT_E0_NS1_11comp_targetILNS1_3genE9ELNS1_11target_archE1100ELNS1_3gpuE3ELNS1_3repE0EEENS1_30default_config_static_selectorELNS0_4arch9wavefront6targetE0EEEvSQ_.kd
    .uniform_work_group_size: 1
    .uses_dynamic_stack: false
    .vgpr_count:     12
    .vgpr_spill_count: 0
    .wavefront_size: 32
    .workgroup_processor_mode: 1
  - .args:
      - .offset:         0
        .size:           56
        .value_kind:     by_value
    .group_segment_fixed_size: 0
    .kernarg_segment_align: 8
    .kernarg_segment_size: 56
    .language:       OpenCL C
    .language_version:
      - 2
      - 0
    .max_flat_workgroup_size: 256
    .name:           _ZN7rocprim17ROCPRIM_400000_NS6detail17trampoline_kernelINS0_14default_configENS1_22reduce_config_selectorIiEEZNS1_11reduce_implILb1ES3_PiS7_iN6hipcub16HIPCUB_304000_NS6detail34convert_binary_result_type_wrapperINS9_3SumENS9_22TransformInputIteratorIbN2at6native12_GLOBAL__N_19NonZeroOpIfEEPKflEEiEEEE10hipError_tPvRmT1_T2_T3_mT4_P12ihipStream_tbEUlT_E0_NS1_11comp_targetILNS1_3genE8ELNS1_11target_archE1030ELNS1_3gpuE2ELNS1_3repE0EEENS1_30default_config_static_selectorELNS0_4arch9wavefront6targetE0EEEvSQ_
    .private_segment_fixed_size: 0
    .sgpr_count:     0
    .sgpr_spill_count: 0
    .symbol:         _ZN7rocprim17ROCPRIM_400000_NS6detail17trampoline_kernelINS0_14default_configENS1_22reduce_config_selectorIiEEZNS1_11reduce_implILb1ES3_PiS7_iN6hipcub16HIPCUB_304000_NS6detail34convert_binary_result_type_wrapperINS9_3SumENS9_22TransformInputIteratorIbN2at6native12_GLOBAL__N_19NonZeroOpIfEEPKflEEiEEEE10hipError_tPvRmT1_T2_T3_mT4_P12ihipStream_tbEUlT_E0_NS1_11comp_targetILNS1_3genE8ELNS1_11target_archE1030ELNS1_3gpuE2ELNS1_3repE0EEENS1_30default_config_static_selectorELNS0_4arch9wavefront6targetE0EEEvSQ_.kd
    .uniform_work_group_size: 1
    .uses_dynamic_stack: false
    .vgpr_count:     0
    .vgpr_spill_count: 0
    .wavefront_size: 32
    .workgroup_processor_mode: 1
  - .args:
      - .offset:         0
        .size:           40
        .value_kind:     by_value
    .group_segment_fixed_size: 0
    .kernarg_segment_align: 8
    .kernarg_segment_size: 40
    .language:       OpenCL C
    .language_version:
      - 2
      - 0
    .max_flat_workgroup_size: 256
    .name:           _ZN7rocprim17ROCPRIM_400000_NS6detail17trampoline_kernelINS0_14default_configENS1_22reduce_config_selectorIiEEZNS1_11reduce_implILb1ES3_PiS7_iN6hipcub16HIPCUB_304000_NS6detail34convert_binary_result_type_wrapperINS9_3SumENS9_22TransformInputIteratorIbN2at6native12_GLOBAL__N_19NonZeroOpIfEEPKflEEiEEEE10hipError_tPvRmT1_T2_T3_mT4_P12ihipStream_tbEUlT_E1_NS1_11comp_targetILNS1_3genE0ELNS1_11target_archE4294967295ELNS1_3gpuE0ELNS1_3repE0EEENS1_30default_config_static_selectorELNS0_4arch9wavefront6targetE0EEEvSQ_
    .private_segment_fixed_size: 0
    .sgpr_count:     0
    .sgpr_spill_count: 0
    .symbol:         _ZN7rocprim17ROCPRIM_400000_NS6detail17trampoline_kernelINS0_14default_configENS1_22reduce_config_selectorIiEEZNS1_11reduce_implILb1ES3_PiS7_iN6hipcub16HIPCUB_304000_NS6detail34convert_binary_result_type_wrapperINS9_3SumENS9_22TransformInputIteratorIbN2at6native12_GLOBAL__N_19NonZeroOpIfEEPKflEEiEEEE10hipError_tPvRmT1_T2_T3_mT4_P12ihipStream_tbEUlT_E1_NS1_11comp_targetILNS1_3genE0ELNS1_11target_archE4294967295ELNS1_3gpuE0ELNS1_3repE0EEENS1_30default_config_static_selectorELNS0_4arch9wavefront6targetE0EEEvSQ_.kd
    .uniform_work_group_size: 1
    .uses_dynamic_stack: false
    .vgpr_count:     0
    .vgpr_spill_count: 0
    .wavefront_size: 32
    .workgroup_processor_mode: 1
  - .args:
      - .offset:         0
        .size:           40
        .value_kind:     by_value
    .group_segment_fixed_size: 0
    .kernarg_segment_align: 8
    .kernarg_segment_size: 40
    .language:       OpenCL C
    .language_version:
      - 2
      - 0
    .max_flat_workgroup_size: 256
    .name:           _ZN7rocprim17ROCPRIM_400000_NS6detail17trampoline_kernelINS0_14default_configENS1_22reduce_config_selectorIiEEZNS1_11reduce_implILb1ES3_PiS7_iN6hipcub16HIPCUB_304000_NS6detail34convert_binary_result_type_wrapperINS9_3SumENS9_22TransformInputIteratorIbN2at6native12_GLOBAL__N_19NonZeroOpIfEEPKflEEiEEEE10hipError_tPvRmT1_T2_T3_mT4_P12ihipStream_tbEUlT_E1_NS1_11comp_targetILNS1_3genE5ELNS1_11target_archE942ELNS1_3gpuE9ELNS1_3repE0EEENS1_30default_config_static_selectorELNS0_4arch9wavefront6targetE0EEEvSQ_
    .private_segment_fixed_size: 0
    .sgpr_count:     0
    .sgpr_spill_count: 0
    .symbol:         _ZN7rocprim17ROCPRIM_400000_NS6detail17trampoline_kernelINS0_14default_configENS1_22reduce_config_selectorIiEEZNS1_11reduce_implILb1ES3_PiS7_iN6hipcub16HIPCUB_304000_NS6detail34convert_binary_result_type_wrapperINS9_3SumENS9_22TransformInputIteratorIbN2at6native12_GLOBAL__N_19NonZeroOpIfEEPKflEEiEEEE10hipError_tPvRmT1_T2_T3_mT4_P12ihipStream_tbEUlT_E1_NS1_11comp_targetILNS1_3genE5ELNS1_11target_archE942ELNS1_3gpuE9ELNS1_3repE0EEENS1_30default_config_static_selectorELNS0_4arch9wavefront6targetE0EEEvSQ_.kd
    .uniform_work_group_size: 1
    .uses_dynamic_stack: false
    .vgpr_count:     0
    .vgpr_spill_count: 0
    .wavefront_size: 32
    .workgroup_processor_mode: 1
  - .args:
      - .offset:         0
        .size:           40
        .value_kind:     by_value
    .group_segment_fixed_size: 0
    .kernarg_segment_align: 8
    .kernarg_segment_size: 40
    .language:       OpenCL C
    .language_version:
      - 2
      - 0
    .max_flat_workgroup_size: 128
    .name:           _ZN7rocprim17ROCPRIM_400000_NS6detail17trampoline_kernelINS0_14default_configENS1_22reduce_config_selectorIiEEZNS1_11reduce_implILb1ES3_PiS7_iN6hipcub16HIPCUB_304000_NS6detail34convert_binary_result_type_wrapperINS9_3SumENS9_22TransformInputIteratorIbN2at6native12_GLOBAL__N_19NonZeroOpIfEEPKflEEiEEEE10hipError_tPvRmT1_T2_T3_mT4_P12ihipStream_tbEUlT_E1_NS1_11comp_targetILNS1_3genE4ELNS1_11target_archE910ELNS1_3gpuE8ELNS1_3repE0EEENS1_30default_config_static_selectorELNS0_4arch9wavefront6targetE0EEEvSQ_
    .private_segment_fixed_size: 0
    .sgpr_count:     0
    .sgpr_spill_count: 0
    .symbol:         _ZN7rocprim17ROCPRIM_400000_NS6detail17trampoline_kernelINS0_14default_configENS1_22reduce_config_selectorIiEEZNS1_11reduce_implILb1ES3_PiS7_iN6hipcub16HIPCUB_304000_NS6detail34convert_binary_result_type_wrapperINS9_3SumENS9_22TransformInputIteratorIbN2at6native12_GLOBAL__N_19NonZeroOpIfEEPKflEEiEEEE10hipError_tPvRmT1_T2_T3_mT4_P12ihipStream_tbEUlT_E1_NS1_11comp_targetILNS1_3genE4ELNS1_11target_archE910ELNS1_3gpuE8ELNS1_3repE0EEENS1_30default_config_static_selectorELNS0_4arch9wavefront6targetE0EEEvSQ_.kd
    .uniform_work_group_size: 1
    .uses_dynamic_stack: false
    .vgpr_count:     0
    .vgpr_spill_count: 0
    .wavefront_size: 32
    .workgroup_processor_mode: 1
  - .args:
      - .offset:         0
        .size:           40
        .value_kind:     by_value
    .group_segment_fixed_size: 0
    .kernarg_segment_align: 8
    .kernarg_segment_size: 40
    .language:       OpenCL C
    .language_version:
      - 2
      - 0
    .max_flat_workgroup_size: 256
    .name:           _ZN7rocprim17ROCPRIM_400000_NS6detail17trampoline_kernelINS0_14default_configENS1_22reduce_config_selectorIiEEZNS1_11reduce_implILb1ES3_PiS7_iN6hipcub16HIPCUB_304000_NS6detail34convert_binary_result_type_wrapperINS9_3SumENS9_22TransformInputIteratorIbN2at6native12_GLOBAL__N_19NonZeroOpIfEEPKflEEiEEEE10hipError_tPvRmT1_T2_T3_mT4_P12ihipStream_tbEUlT_E1_NS1_11comp_targetILNS1_3genE3ELNS1_11target_archE908ELNS1_3gpuE7ELNS1_3repE0EEENS1_30default_config_static_selectorELNS0_4arch9wavefront6targetE0EEEvSQ_
    .private_segment_fixed_size: 0
    .sgpr_count:     0
    .sgpr_spill_count: 0
    .symbol:         _ZN7rocprim17ROCPRIM_400000_NS6detail17trampoline_kernelINS0_14default_configENS1_22reduce_config_selectorIiEEZNS1_11reduce_implILb1ES3_PiS7_iN6hipcub16HIPCUB_304000_NS6detail34convert_binary_result_type_wrapperINS9_3SumENS9_22TransformInputIteratorIbN2at6native12_GLOBAL__N_19NonZeroOpIfEEPKflEEiEEEE10hipError_tPvRmT1_T2_T3_mT4_P12ihipStream_tbEUlT_E1_NS1_11comp_targetILNS1_3genE3ELNS1_11target_archE908ELNS1_3gpuE7ELNS1_3repE0EEENS1_30default_config_static_selectorELNS0_4arch9wavefront6targetE0EEEvSQ_.kd
    .uniform_work_group_size: 1
    .uses_dynamic_stack: false
    .vgpr_count:     0
    .vgpr_spill_count: 0
    .wavefront_size: 32
    .workgroup_processor_mode: 1
  - .args:
      - .offset:         0
        .size:           40
        .value_kind:     by_value
    .group_segment_fixed_size: 0
    .kernarg_segment_align: 8
    .kernarg_segment_size: 40
    .language:       OpenCL C
    .language_version:
      - 2
      - 0
    .max_flat_workgroup_size: 256
    .name:           _ZN7rocprim17ROCPRIM_400000_NS6detail17trampoline_kernelINS0_14default_configENS1_22reduce_config_selectorIiEEZNS1_11reduce_implILb1ES3_PiS7_iN6hipcub16HIPCUB_304000_NS6detail34convert_binary_result_type_wrapperINS9_3SumENS9_22TransformInputIteratorIbN2at6native12_GLOBAL__N_19NonZeroOpIfEEPKflEEiEEEE10hipError_tPvRmT1_T2_T3_mT4_P12ihipStream_tbEUlT_E1_NS1_11comp_targetILNS1_3genE2ELNS1_11target_archE906ELNS1_3gpuE6ELNS1_3repE0EEENS1_30default_config_static_selectorELNS0_4arch9wavefront6targetE0EEEvSQ_
    .private_segment_fixed_size: 0
    .sgpr_count:     0
    .sgpr_spill_count: 0
    .symbol:         _ZN7rocprim17ROCPRIM_400000_NS6detail17trampoline_kernelINS0_14default_configENS1_22reduce_config_selectorIiEEZNS1_11reduce_implILb1ES3_PiS7_iN6hipcub16HIPCUB_304000_NS6detail34convert_binary_result_type_wrapperINS9_3SumENS9_22TransformInputIteratorIbN2at6native12_GLOBAL__N_19NonZeroOpIfEEPKflEEiEEEE10hipError_tPvRmT1_T2_T3_mT4_P12ihipStream_tbEUlT_E1_NS1_11comp_targetILNS1_3genE2ELNS1_11target_archE906ELNS1_3gpuE6ELNS1_3repE0EEENS1_30default_config_static_selectorELNS0_4arch9wavefront6targetE0EEEvSQ_.kd
    .uniform_work_group_size: 1
    .uses_dynamic_stack: false
    .vgpr_count:     0
    .vgpr_spill_count: 0
    .wavefront_size: 32
    .workgroup_processor_mode: 1
  - .args:
      - .offset:         0
        .size:           40
        .value_kind:     by_value
    .group_segment_fixed_size: 0
    .kernarg_segment_align: 8
    .kernarg_segment_size: 40
    .language:       OpenCL C
    .language_version:
      - 2
      - 0
    .max_flat_workgroup_size: 256
    .name:           _ZN7rocprim17ROCPRIM_400000_NS6detail17trampoline_kernelINS0_14default_configENS1_22reduce_config_selectorIiEEZNS1_11reduce_implILb1ES3_PiS7_iN6hipcub16HIPCUB_304000_NS6detail34convert_binary_result_type_wrapperINS9_3SumENS9_22TransformInputIteratorIbN2at6native12_GLOBAL__N_19NonZeroOpIfEEPKflEEiEEEE10hipError_tPvRmT1_T2_T3_mT4_P12ihipStream_tbEUlT_E1_NS1_11comp_targetILNS1_3genE10ELNS1_11target_archE1201ELNS1_3gpuE5ELNS1_3repE0EEENS1_30default_config_static_selectorELNS0_4arch9wavefront6targetE0EEEvSQ_
    .private_segment_fixed_size: 0
    .sgpr_count:     0
    .sgpr_spill_count: 0
    .symbol:         _ZN7rocprim17ROCPRIM_400000_NS6detail17trampoline_kernelINS0_14default_configENS1_22reduce_config_selectorIiEEZNS1_11reduce_implILb1ES3_PiS7_iN6hipcub16HIPCUB_304000_NS6detail34convert_binary_result_type_wrapperINS9_3SumENS9_22TransformInputIteratorIbN2at6native12_GLOBAL__N_19NonZeroOpIfEEPKflEEiEEEE10hipError_tPvRmT1_T2_T3_mT4_P12ihipStream_tbEUlT_E1_NS1_11comp_targetILNS1_3genE10ELNS1_11target_archE1201ELNS1_3gpuE5ELNS1_3repE0EEENS1_30default_config_static_selectorELNS0_4arch9wavefront6targetE0EEEvSQ_.kd
    .uniform_work_group_size: 1
    .uses_dynamic_stack: false
    .vgpr_count:     0
    .vgpr_spill_count: 0
    .wavefront_size: 32
    .workgroup_processor_mode: 1
  - .args:
      - .offset:         0
        .size:           40
        .value_kind:     by_value
    .group_segment_fixed_size: 0
    .kernarg_segment_align: 8
    .kernarg_segment_size: 40
    .language:       OpenCL C
    .language_version:
      - 2
      - 0
    .max_flat_workgroup_size: 256
    .name:           _ZN7rocprim17ROCPRIM_400000_NS6detail17trampoline_kernelINS0_14default_configENS1_22reduce_config_selectorIiEEZNS1_11reduce_implILb1ES3_PiS7_iN6hipcub16HIPCUB_304000_NS6detail34convert_binary_result_type_wrapperINS9_3SumENS9_22TransformInputIteratorIbN2at6native12_GLOBAL__N_19NonZeroOpIfEEPKflEEiEEEE10hipError_tPvRmT1_T2_T3_mT4_P12ihipStream_tbEUlT_E1_NS1_11comp_targetILNS1_3genE10ELNS1_11target_archE1200ELNS1_3gpuE4ELNS1_3repE0EEENS1_30default_config_static_selectorELNS0_4arch9wavefront6targetE0EEEvSQ_
    .private_segment_fixed_size: 0
    .sgpr_count:     0
    .sgpr_spill_count: 0
    .symbol:         _ZN7rocprim17ROCPRIM_400000_NS6detail17trampoline_kernelINS0_14default_configENS1_22reduce_config_selectorIiEEZNS1_11reduce_implILb1ES3_PiS7_iN6hipcub16HIPCUB_304000_NS6detail34convert_binary_result_type_wrapperINS9_3SumENS9_22TransformInputIteratorIbN2at6native12_GLOBAL__N_19NonZeroOpIfEEPKflEEiEEEE10hipError_tPvRmT1_T2_T3_mT4_P12ihipStream_tbEUlT_E1_NS1_11comp_targetILNS1_3genE10ELNS1_11target_archE1200ELNS1_3gpuE4ELNS1_3repE0EEENS1_30default_config_static_selectorELNS0_4arch9wavefront6targetE0EEEvSQ_.kd
    .uniform_work_group_size: 1
    .uses_dynamic_stack: false
    .vgpr_count:     0
    .vgpr_spill_count: 0
    .wavefront_size: 32
    .workgroup_processor_mode: 1
  - .args:
      - .offset:         0
        .size:           40
        .value_kind:     by_value
    .group_segment_fixed_size: 224
    .kernarg_segment_align: 8
    .kernarg_segment_size: 40
    .language:       OpenCL C
    .language_version:
      - 2
      - 0
    .max_flat_workgroup_size: 256
    .name:           _ZN7rocprim17ROCPRIM_400000_NS6detail17trampoline_kernelINS0_14default_configENS1_22reduce_config_selectorIiEEZNS1_11reduce_implILb1ES3_PiS7_iN6hipcub16HIPCUB_304000_NS6detail34convert_binary_result_type_wrapperINS9_3SumENS9_22TransformInputIteratorIbN2at6native12_GLOBAL__N_19NonZeroOpIfEEPKflEEiEEEE10hipError_tPvRmT1_T2_T3_mT4_P12ihipStream_tbEUlT_E1_NS1_11comp_targetILNS1_3genE9ELNS1_11target_archE1100ELNS1_3gpuE3ELNS1_3repE0EEENS1_30default_config_static_selectorELNS0_4arch9wavefront6targetE0EEEvSQ_
    .private_segment_fixed_size: 0
    .sgpr_count:     29
    .sgpr_spill_count: 0
    .symbol:         _ZN7rocprim17ROCPRIM_400000_NS6detail17trampoline_kernelINS0_14default_configENS1_22reduce_config_selectorIiEEZNS1_11reduce_implILb1ES3_PiS7_iN6hipcub16HIPCUB_304000_NS6detail34convert_binary_result_type_wrapperINS9_3SumENS9_22TransformInputIteratorIbN2at6native12_GLOBAL__N_19NonZeroOpIfEEPKflEEiEEEE10hipError_tPvRmT1_T2_T3_mT4_P12ihipStream_tbEUlT_E1_NS1_11comp_targetILNS1_3genE9ELNS1_11target_archE1100ELNS1_3gpuE3ELNS1_3repE0EEENS1_30default_config_static_selectorELNS0_4arch9wavefront6targetE0EEEvSQ_.kd
    .uniform_work_group_size: 1
    .uses_dynamic_stack: false
    .vgpr_count:     34
    .vgpr_spill_count: 0
    .wavefront_size: 32
    .workgroup_processor_mode: 1
  - .args:
      - .offset:         0
        .size:           40
        .value_kind:     by_value
    .group_segment_fixed_size: 0
    .kernarg_segment_align: 8
    .kernarg_segment_size: 40
    .language:       OpenCL C
    .language_version:
      - 2
      - 0
    .max_flat_workgroup_size: 256
    .name:           _ZN7rocprim17ROCPRIM_400000_NS6detail17trampoline_kernelINS0_14default_configENS1_22reduce_config_selectorIiEEZNS1_11reduce_implILb1ES3_PiS7_iN6hipcub16HIPCUB_304000_NS6detail34convert_binary_result_type_wrapperINS9_3SumENS9_22TransformInputIteratorIbN2at6native12_GLOBAL__N_19NonZeroOpIfEEPKflEEiEEEE10hipError_tPvRmT1_T2_T3_mT4_P12ihipStream_tbEUlT_E1_NS1_11comp_targetILNS1_3genE8ELNS1_11target_archE1030ELNS1_3gpuE2ELNS1_3repE0EEENS1_30default_config_static_selectorELNS0_4arch9wavefront6targetE0EEEvSQ_
    .private_segment_fixed_size: 0
    .sgpr_count:     0
    .sgpr_spill_count: 0
    .symbol:         _ZN7rocprim17ROCPRIM_400000_NS6detail17trampoline_kernelINS0_14default_configENS1_22reduce_config_selectorIiEEZNS1_11reduce_implILb1ES3_PiS7_iN6hipcub16HIPCUB_304000_NS6detail34convert_binary_result_type_wrapperINS9_3SumENS9_22TransformInputIteratorIbN2at6native12_GLOBAL__N_19NonZeroOpIfEEPKflEEiEEEE10hipError_tPvRmT1_T2_T3_mT4_P12ihipStream_tbEUlT_E1_NS1_11comp_targetILNS1_3genE8ELNS1_11target_archE1030ELNS1_3gpuE2ELNS1_3repE0EEENS1_30default_config_static_selectorELNS0_4arch9wavefront6targetE0EEEvSQ_.kd
    .uniform_work_group_size: 1
    .uses_dynamic_stack: false
    .vgpr_count:     0
    .vgpr_spill_count: 0
    .wavefront_size: 32
    .workgroup_processor_mode: 1
  - .args:
      - .offset:         0
        .size:           64
        .value_kind:     by_value
    .group_segment_fixed_size: 0
    .kernarg_segment_align: 8
    .kernarg_segment_size: 64
    .language:       OpenCL C
    .language_version:
      - 2
      - 0
    .max_flat_workgroup_size: 256
    .name:           _ZN7rocprim17ROCPRIM_400000_NS6detail17trampoline_kernelINS0_14default_configENS1_22reduce_config_selectorIbEEZNS1_11reduce_implILb1ES3_N6hipcub16HIPCUB_304000_NS22TransformInputIteratorIbN2at6native12_GLOBAL__N_19NonZeroOpIfEEPKflEEPiiNS8_6detail34convert_binary_result_type_wrapperINS8_3SumESH_iEEEE10hipError_tPvRmT1_T2_T3_mT4_P12ihipStream_tbEUlT_E0_NS1_11comp_targetILNS1_3genE0ELNS1_11target_archE4294967295ELNS1_3gpuE0ELNS1_3repE0EEENS1_30default_config_static_selectorELNS0_4arch9wavefront6targetE0EEEvSQ_
    .private_segment_fixed_size: 0
    .sgpr_count:     0
    .sgpr_spill_count: 0
    .symbol:         _ZN7rocprim17ROCPRIM_400000_NS6detail17trampoline_kernelINS0_14default_configENS1_22reduce_config_selectorIbEEZNS1_11reduce_implILb1ES3_N6hipcub16HIPCUB_304000_NS22TransformInputIteratorIbN2at6native12_GLOBAL__N_19NonZeroOpIfEEPKflEEPiiNS8_6detail34convert_binary_result_type_wrapperINS8_3SumESH_iEEEE10hipError_tPvRmT1_T2_T3_mT4_P12ihipStream_tbEUlT_E0_NS1_11comp_targetILNS1_3genE0ELNS1_11target_archE4294967295ELNS1_3gpuE0ELNS1_3repE0EEENS1_30default_config_static_selectorELNS0_4arch9wavefront6targetE0EEEvSQ_.kd
    .uniform_work_group_size: 1
    .uses_dynamic_stack: false
    .vgpr_count:     0
    .vgpr_spill_count: 0
    .wavefront_size: 32
    .workgroup_processor_mode: 1
  - .args:
      - .offset:         0
        .size:           64
        .value_kind:     by_value
    .group_segment_fixed_size: 0
    .kernarg_segment_align: 8
    .kernarg_segment_size: 64
    .language:       OpenCL C
    .language_version:
      - 2
      - 0
    .max_flat_workgroup_size: 256
    .name:           _ZN7rocprim17ROCPRIM_400000_NS6detail17trampoline_kernelINS0_14default_configENS1_22reduce_config_selectorIbEEZNS1_11reduce_implILb1ES3_N6hipcub16HIPCUB_304000_NS22TransformInputIteratorIbN2at6native12_GLOBAL__N_19NonZeroOpIfEEPKflEEPiiNS8_6detail34convert_binary_result_type_wrapperINS8_3SumESH_iEEEE10hipError_tPvRmT1_T2_T3_mT4_P12ihipStream_tbEUlT_E0_NS1_11comp_targetILNS1_3genE5ELNS1_11target_archE942ELNS1_3gpuE9ELNS1_3repE0EEENS1_30default_config_static_selectorELNS0_4arch9wavefront6targetE0EEEvSQ_
    .private_segment_fixed_size: 0
    .sgpr_count:     0
    .sgpr_spill_count: 0
    .symbol:         _ZN7rocprim17ROCPRIM_400000_NS6detail17trampoline_kernelINS0_14default_configENS1_22reduce_config_selectorIbEEZNS1_11reduce_implILb1ES3_N6hipcub16HIPCUB_304000_NS22TransformInputIteratorIbN2at6native12_GLOBAL__N_19NonZeroOpIfEEPKflEEPiiNS8_6detail34convert_binary_result_type_wrapperINS8_3SumESH_iEEEE10hipError_tPvRmT1_T2_T3_mT4_P12ihipStream_tbEUlT_E0_NS1_11comp_targetILNS1_3genE5ELNS1_11target_archE942ELNS1_3gpuE9ELNS1_3repE0EEENS1_30default_config_static_selectorELNS0_4arch9wavefront6targetE0EEEvSQ_.kd
    .uniform_work_group_size: 1
    .uses_dynamic_stack: false
    .vgpr_count:     0
    .vgpr_spill_count: 0
    .wavefront_size: 32
    .workgroup_processor_mode: 1
  - .args:
      - .offset:         0
        .size:           64
        .value_kind:     by_value
    .group_segment_fixed_size: 0
    .kernarg_segment_align: 8
    .kernarg_segment_size: 64
    .language:       OpenCL C
    .language_version:
      - 2
      - 0
    .max_flat_workgroup_size: 128
    .name:           _ZN7rocprim17ROCPRIM_400000_NS6detail17trampoline_kernelINS0_14default_configENS1_22reduce_config_selectorIbEEZNS1_11reduce_implILb1ES3_N6hipcub16HIPCUB_304000_NS22TransformInputIteratorIbN2at6native12_GLOBAL__N_19NonZeroOpIfEEPKflEEPiiNS8_6detail34convert_binary_result_type_wrapperINS8_3SumESH_iEEEE10hipError_tPvRmT1_T2_T3_mT4_P12ihipStream_tbEUlT_E0_NS1_11comp_targetILNS1_3genE4ELNS1_11target_archE910ELNS1_3gpuE8ELNS1_3repE0EEENS1_30default_config_static_selectorELNS0_4arch9wavefront6targetE0EEEvSQ_
    .private_segment_fixed_size: 0
    .sgpr_count:     0
    .sgpr_spill_count: 0
    .symbol:         _ZN7rocprim17ROCPRIM_400000_NS6detail17trampoline_kernelINS0_14default_configENS1_22reduce_config_selectorIbEEZNS1_11reduce_implILb1ES3_N6hipcub16HIPCUB_304000_NS22TransformInputIteratorIbN2at6native12_GLOBAL__N_19NonZeroOpIfEEPKflEEPiiNS8_6detail34convert_binary_result_type_wrapperINS8_3SumESH_iEEEE10hipError_tPvRmT1_T2_T3_mT4_P12ihipStream_tbEUlT_E0_NS1_11comp_targetILNS1_3genE4ELNS1_11target_archE910ELNS1_3gpuE8ELNS1_3repE0EEENS1_30default_config_static_selectorELNS0_4arch9wavefront6targetE0EEEvSQ_.kd
    .uniform_work_group_size: 1
    .uses_dynamic_stack: false
    .vgpr_count:     0
    .vgpr_spill_count: 0
    .wavefront_size: 32
    .workgroup_processor_mode: 1
  - .args:
      - .offset:         0
        .size:           64
        .value_kind:     by_value
    .group_segment_fixed_size: 0
    .kernarg_segment_align: 8
    .kernarg_segment_size: 64
    .language:       OpenCL C
    .language_version:
      - 2
      - 0
    .max_flat_workgroup_size: 256
    .name:           _ZN7rocprim17ROCPRIM_400000_NS6detail17trampoline_kernelINS0_14default_configENS1_22reduce_config_selectorIbEEZNS1_11reduce_implILb1ES3_N6hipcub16HIPCUB_304000_NS22TransformInputIteratorIbN2at6native12_GLOBAL__N_19NonZeroOpIfEEPKflEEPiiNS8_6detail34convert_binary_result_type_wrapperINS8_3SumESH_iEEEE10hipError_tPvRmT1_T2_T3_mT4_P12ihipStream_tbEUlT_E0_NS1_11comp_targetILNS1_3genE3ELNS1_11target_archE908ELNS1_3gpuE7ELNS1_3repE0EEENS1_30default_config_static_selectorELNS0_4arch9wavefront6targetE0EEEvSQ_
    .private_segment_fixed_size: 0
    .sgpr_count:     0
    .sgpr_spill_count: 0
    .symbol:         _ZN7rocprim17ROCPRIM_400000_NS6detail17trampoline_kernelINS0_14default_configENS1_22reduce_config_selectorIbEEZNS1_11reduce_implILb1ES3_N6hipcub16HIPCUB_304000_NS22TransformInputIteratorIbN2at6native12_GLOBAL__N_19NonZeroOpIfEEPKflEEPiiNS8_6detail34convert_binary_result_type_wrapperINS8_3SumESH_iEEEE10hipError_tPvRmT1_T2_T3_mT4_P12ihipStream_tbEUlT_E0_NS1_11comp_targetILNS1_3genE3ELNS1_11target_archE908ELNS1_3gpuE7ELNS1_3repE0EEENS1_30default_config_static_selectorELNS0_4arch9wavefront6targetE0EEEvSQ_.kd
    .uniform_work_group_size: 1
    .uses_dynamic_stack: false
    .vgpr_count:     0
    .vgpr_spill_count: 0
    .wavefront_size: 32
    .workgroup_processor_mode: 1
  - .args:
      - .offset:         0
        .size:           64
        .value_kind:     by_value
    .group_segment_fixed_size: 0
    .kernarg_segment_align: 8
    .kernarg_segment_size: 64
    .language:       OpenCL C
    .language_version:
      - 2
      - 0
    .max_flat_workgroup_size: 128
    .name:           _ZN7rocprim17ROCPRIM_400000_NS6detail17trampoline_kernelINS0_14default_configENS1_22reduce_config_selectorIbEEZNS1_11reduce_implILb1ES3_N6hipcub16HIPCUB_304000_NS22TransformInputIteratorIbN2at6native12_GLOBAL__N_19NonZeroOpIfEEPKflEEPiiNS8_6detail34convert_binary_result_type_wrapperINS8_3SumESH_iEEEE10hipError_tPvRmT1_T2_T3_mT4_P12ihipStream_tbEUlT_E0_NS1_11comp_targetILNS1_3genE2ELNS1_11target_archE906ELNS1_3gpuE6ELNS1_3repE0EEENS1_30default_config_static_selectorELNS0_4arch9wavefront6targetE0EEEvSQ_
    .private_segment_fixed_size: 0
    .sgpr_count:     0
    .sgpr_spill_count: 0
    .symbol:         _ZN7rocprim17ROCPRIM_400000_NS6detail17trampoline_kernelINS0_14default_configENS1_22reduce_config_selectorIbEEZNS1_11reduce_implILb1ES3_N6hipcub16HIPCUB_304000_NS22TransformInputIteratorIbN2at6native12_GLOBAL__N_19NonZeroOpIfEEPKflEEPiiNS8_6detail34convert_binary_result_type_wrapperINS8_3SumESH_iEEEE10hipError_tPvRmT1_T2_T3_mT4_P12ihipStream_tbEUlT_E0_NS1_11comp_targetILNS1_3genE2ELNS1_11target_archE906ELNS1_3gpuE6ELNS1_3repE0EEENS1_30default_config_static_selectorELNS0_4arch9wavefront6targetE0EEEvSQ_.kd
    .uniform_work_group_size: 1
    .uses_dynamic_stack: false
    .vgpr_count:     0
    .vgpr_spill_count: 0
    .wavefront_size: 32
    .workgroup_processor_mode: 1
  - .args:
      - .offset:         0
        .size:           64
        .value_kind:     by_value
    .group_segment_fixed_size: 0
    .kernarg_segment_align: 8
    .kernarg_segment_size: 64
    .language:       OpenCL C
    .language_version:
      - 2
      - 0
    .max_flat_workgroup_size: 256
    .name:           _ZN7rocprim17ROCPRIM_400000_NS6detail17trampoline_kernelINS0_14default_configENS1_22reduce_config_selectorIbEEZNS1_11reduce_implILb1ES3_N6hipcub16HIPCUB_304000_NS22TransformInputIteratorIbN2at6native12_GLOBAL__N_19NonZeroOpIfEEPKflEEPiiNS8_6detail34convert_binary_result_type_wrapperINS8_3SumESH_iEEEE10hipError_tPvRmT1_T2_T3_mT4_P12ihipStream_tbEUlT_E0_NS1_11comp_targetILNS1_3genE10ELNS1_11target_archE1201ELNS1_3gpuE5ELNS1_3repE0EEENS1_30default_config_static_selectorELNS0_4arch9wavefront6targetE0EEEvSQ_
    .private_segment_fixed_size: 0
    .sgpr_count:     0
    .sgpr_spill_count: 0
    .symbol:         _ZN7rocprim17ROCPRIM_400000_NS6detail17trampoline_kernelINS0_14default_configENS1_22reduce_config_selectorIbEEZNS1_11reduce_implILb1ES3_N6hipcub16HIPCUB_304000_NS22TransformInputIteratorIbN2at6native12_GLOBAL__N_19NonZeroOpIfEEPKflEEPiiNS8_6detail34convert_binary_result_type_wrapperINS8_3SumESH_iEEEE10hipError_tPvRmT1_T2_T3_mT4_P12ihipStream_tbEUlT_E0_NS1_11comp_targetILNS1_3genE10ELNS1_11target_archE1201ELNS1_3gpuE5ELNS1_3repE0EEENS1_30default_config_static_selectorELNS0_4arch9wavefront6targetE0EEEvSQ_.kd
    .uniform_work_group_size: 1
    .uses_dynamic_stack: false
    .vgpr_count:     0
    .vgpr_spill_count: 0
    .wavefront_size: 32
    .workgroup_processor_mode: 1
  - .args:
      - .offset:         0
        .size:           64
        .value_kind:     by_value
    .group_segment_fixed_size: 0
    .kernarg_segment_align: 8
    .kernarg_segment_size: 64
    .language:       OpenCL C
    .language_version:
      - 2
      - 0
    .max_flat_workgroup_size: 256
    .name:           _ZN7rocprim17ROCPRIM_400000_NS6detail17trampoline_kernelINS0_14default_configENS1_22reduce_config_selectorIbEEZNS1_11reduce_implILb1ES3_N6hipcub16HIPCUB_304000_NS22TransformInputIteratorIbN2at6native12_GLOBAL__N_19NonZeroOpIfEEPKflEEPiiNS8_6detail34convert_binary_result_type_wrapperINS8_3SumESH_iEEEE10hipError_tPvRmT1_T2_T3_mT4_P12ihipStream_tbEUlT_E0_NS1_11comp_targetILNS1_3genE10ELNS1_11target_archE1200ELNS1_3gpuE4ELNS1_3repE0EEENS1_30default_config_static_selectorELNS0_4arch9wavefront6targetE0EEEvSQ_
    .private_segment_fixed_size: 0
    .sgpr_count:     0
    .sgpr_spill_count: 0
    .symbol:         _ZN7rocprim17ROCPRIM_400000_NS6detail17trampoline_kernelINS0_14default_configENS1_22reduce_config_selectorIbEEZNS1_11reduce_implILb1ES3_N6hipcub16HIPCUB_304000_NS22TransformInputIteratorIbN2at6native12_GLOBAL__N_19NonZeroOpIfEEPKflEEPiiNS8_6detail34convert_binary_result_type_wrapperINS8_3SumESH_iEEEE10hipError_tPvRmT1_T2_T3_mT4_P12ihipStream_tbEUlT_E0_NS1_11comp_targetILNS1_3genE10ELNS1_11target_archE1200ELNS1_3gpuE4ELNS1_3repE0EEENS1_30default_config_static_selectorELNS0_4arch9wavefront6targetE0EEEvSQ_.kd
    .uniform_work_group_size: 1
    .uses_dynamic_stack: false
    .vgpr_count:     0
    .vgpr_spill_count: 0
    .wavefront_size: 32
    .workgroup_processor_mode: 1
  - .args:
      - .offset:         0
        .size:           64
        .value_kind:     by_value
    .group_segment_fixed_size: 32
    .kernarg_segment_align: 8
    .kernarg_segment_size: 64
    .language:       OpenCL C
    .language_version:
      - 2
      - 0
    .max_flat_workgroup_size: 128
    .name:           _ZN7rocprim17ROCPRIM_400000_NS6detail17trampoline_kernelINS0_14default_configENS1_22reduce_config_selectorIbEEZNS1_11reduce_implILb1ES3_N6hipcub16HIPCUB_304000_NS22TransformInputIteratorIbN2at6native12_GLOBAL__N_19NonZeroOpIfEEPKflEEPiiNS8_6detail34convert_binary_result_type_wrapperINS8_3SumESH_iEEEE10hipError_tPvRmT1_T2_T3_mT4_P12ihipStream_tbEUlT_E0_NS1_11comp_targetILNS1_3genE9ELNS1_11target_archE1100ELNS1_3gpuE3ELNS1_3repE0EEENS1_30default_config_static_selectorELNS0_4arch9wavefront6targetE0EEEvSQ_
    .private_segment_fixed_size: 0
    .sgpr_count:     32
    .sgpr_spill_count: 0
    .symbol:         _ZN7rocprim17ROCPRIM_400000_NS6detail17trampoline_kernelINS0_14default_configENS1_22reduce_config_selectorIbEEZNS1_11reduce_implILb1ES3_N6hipcub16HIPCUB_304000_NS22TransformInputIteratorIbN2at6native12_GLOBAL__N_19NonZeroOpIfEEPKflEEPiiNS8_6detail34convert_binary_result_type_wrapperINS8_3SumESH_iEEEE10hipError_tPvRmT1_T2_T3_mT4_P12ihipStream_tbEUlT_E0_NS1_11comp_targetILNS1_3genE9ELNS1_11target_archE1100ELNS1_3gpuE3ELNS1_3repE0EEENS1_30default_config_static_selectorELNS0_4arch9wavefront6targetE0EEEvSQ_.kd
    .uniform_work_group_size: 1
    .uses_dynamic_stack: false
    .vgpr_count:     20
    .vgpr_spill_count: 0
    .wavefront_size: 32
    .workgroup_processor_mode: 1
  - .args:
      - .offset:         0
        .size:           64
        .value_kind:     by_value
    .group_segment_fixed_size: 0
    .kernarg_segment_align: 8
    .kernarg_segment_size: 64
    .language:       OpenCL C
    .language_version:
      - 2
      - 0
    .max_flat_workgroup_size: 256
    .name:           _ZN7rocprim17ROCPRIM_400000_NS6detail17trampoline_kernelINS0_14default_configENS1_22reduce_config_selectorIbEEZNS1_11reduce_implILb1ES3_N6hipcub16HIPCUB_304000_NS22TransformInputIteratorIbN2at6native12_GLOBAL__N_19NonZeroOpIfEEPKflEEPiiNS8_6detail34convert_binary_result_type_wrapperINS8_3SumESH_iEEEE10hipError_tPvRmT1_T2_T3_mT4_P12ihipStream_tbEUlT_E0_NS1_11comp_targetILNS1_3genE8ELNS1_11target_archE1030ELNS1_3gpuE2ELNS1_3repE0EEENS1_30default_config_static_selectorELNS0_4arch9wavefront6targetE0EEEvSQ_
    .private_segment_fixed_size: 0
    .sgpr_count:     0
    .sgpr_spill_count: 0
    .symbol:         _ZN7rocprim17ROCPRIM_400000_NS6detail17trampoline_kernelINS0_14default_configENS1_22reduce_config_selectorIbEEZNS1_11reduce_implILb1ES3_N6hipcub16HIPCUB_304000_NS22TransformInputIteratorIbN2at6native12_GLOBAL__N_19NonZeroOpIfEEPKflEEPiiNS8_6detail34convert_binary_result_type_wrapperINS8_3SumESH_iEEEE10hipError_tPvRmT1_T2_T3_mT4_P12ihipStream_tbEUlT_E0_NS1_11comp_targetILNS1_3genE8ELNS1_11target_archE1030ELNS1_3gpuE2ELNS1_3repE0EEENS1_30default_config_static_selectorELNS0_4arch9wavefront6targetE0EEEvSQ_.kd
    .uniform_work_group_size: 1
    .uses_dynamic_stack: false
    .vgpr_count:     0
    .vgpr_spill_count: 0
    .wavefront_size: 32
    .workgroup_processor_mode: 1
  - .args:
      - .offset:         0
        .size:           48
        .value_kind:     by_value
    .group_segment_fixed_size: 0
    .kernarg_segment_align: 8
    .kernarg_segment_size: 48
    .language:       OpenCL C
    .language_version:
      - 2
      - 0
    .max_flat_workgroup_size: 256
    .name:           _ZN7rocprim17ROCPRIM_400000_NS6detail17trampoline_kernelINS0_14default_configENS1_22reduce_config_selectorIbEEZNS1_11reduce_implILb1ES3_N6hipcub16HIPCUB_304000_NS22TransformInputIteratorIbN2at6native12_GLOBAL__N_19NonZeroOpIfEEPKflEEPiiNS8_6detail34convert_binary_result_type_wrapperINS8_3SumESH_iEEEE10hipError_tPvRmT1_T2_T3_mT4_P12ihipStream_tbEUlT_E1_NS1_11comp_targetILNS1_3genE0ELNS1_11target_archE4294967295ELNS1_3gpuE0ELNS1_3repE0EEENS1_30default_config_static_selectorELNS0_4arch9wavefront6targetE0EEEvSQ_
    .private_segment_fixed_size: 0
    .sgpr_count:     0
    .sgpr_spill_count: 0
    .symbol:         _ZN7rocprim17ROCPRIM_400000_NS6detail17trampoline_kernelINS0_14default_configENS1_22reduce_config_selectorIbEEZNS1_11reduce_implILb1ES3_N6hipcub16HIPCUB_304000_NS22TransformInputIteratorIbN2at6native12_GLOBAL__N_19NonZeroOpIfEEPKflEEPiiNS8_6detail34convert_binary_result_type_wrapperINS8_3SumESH_iEEEE10hipError_tPvRmT1_T2_T3_mT4_P12ihipStream_tbEUlT_E1_NS1_11comp_targetILNS1_3genE0ELNS1_11target_archE4294967295ELNS1_3gpuE0ELNS1_3repE0EEENS1_30default_config_static_selectorELNS0_4arch9wavefront6targetE0EEEvSQ_.kd
    .uniform_work_group_size: 1
    .uses_dynamic_stack: false
    .vgpr_count:     0
    .vgpr_spill_count: 0
    .wavefront_size: 32
    .workgroup_processor_mode: 1
  - .args:
      - .offset:         0
        .size:           48
        .value_kind:     by_value
    .group_segment_fixed_size: 0
    .kernarg_segment_align: 8
    .kernarg_segment_size: 48
    .language:       OpenCL C
    .language_version:
      - 2
      - 0
    .max_flat_workgroup_size: 256
    .name:           _ZN7rocprim17ROCPRIM_400000_NS6detail17trampoline_kernelINS0_14default_configENS1_22reduce_config_selectorIbEEZNS1_11reduce_implILb1ES3_N6hipcub16HIPCUB_304000_NS22TransformInputIteratorIbN2at6native12_GLOBAL__N_19NonZeroOpIfEEPKflEEPiiNS8_6detail34convert_binary_result_type_wrapperINS8_3SumESH_iEEEE10hipError_tPvRmT1_T2_T3_mT4_P12ihipStream_tbEUlT_E1_NS1_11comp_targetILNS1_3genE5ELNS1_11target_archE942ELNS1_3gpuE9ELNS1_3repE0EEENS1_30default_config_static_selectorELNS0_4arch9wavefront6targetE0EEEvSQ_
    .private_segment_fixed_size: 0
    .sgpr_count:     0
    .sgpr_spill_count: 0
    .symbol:         _ZN7rocprim17ROCPRIM_400000_NS6detail17trampoline_kernelINS0_14default_configENS1_22reduce_config_selectorIbEEZNS1_11reduce_implILb1ES3_N6hipcub16HIPCUB_304000_NS22TransformInputIteratorIbN2at6native12_GLOBAL__N_19NonZeroOpIfEEPKflEEPiiNS8_6detail34convert_binary_result_type_wrapperINS8_3SumESH_iEEEE10hipError_tPvRmT1_T2_T3_mT4_P12ihipStream_tbEUlT_E1_NS1_11comp_targetILNS1_3genE5ELNS1_11target_archE942ELNS1_3gpuE9ELNS1_3repE0EEENS1_30default_config_static_selectorELNS0_4arch9wavefront6targetE0EEEvSQ_.kd
    .uniform_work_group_size: 1
    .uses_dynamic_stack: false
    .vgpr_count:     0
    .vgpr_spill_count: 0
    .wavefront_size: 32
    .workgroup_processor_mode: 1
  - .args:
      - .offset:         0
        .size:           48
        .value_kind:     by_value
    .group_segment_fixed_size: 0
    .kernarg_segment_align: 8
    .kernarg_segment_size: 48
    .language:       OpenCL C
    .language_version:
      - 2
      - 0
    .max_flat_workgroup_size: 128
    .name:           _ZN7rocprim17ROCPRIM_400000_NS6detail17trampoline_kernelINS0_14default_configENS1_22reduce_config_selectorIbEEZNS1_11reduce_implILb1ES3_N6hipcub16HIPCUB_304000_NS22TransformInputIteratorIbN2at6native12_GLOBAL__N_19NonZeroOpIfEEPKflEEPiiNS8_6detail34convert_binary_result_type_wrapperINS8_3SumESH_iEEEE10hipError_tPvRmT1_T2_T3_mT4_P12ihipStream_tbEUlT_E1_NS1_11comp_targetILNS1_3genE4ELNS1_11target_archE910ELNS1_3gpuE8ELNS1_3repE0EEENS1_30default_config_static_selectorELNS0_4arch9wavefront6targetE0EEEvSQ_
    .private_segment_fixed_size: 0
    .sgpr_count:     0
    .sgpr_spill_count: 0
    .symbol:         _ZN7rocprim17ROCPRIM_400000_NS6detail17trampoline_kernelINS0_14default_configENS1_22reduce_config_selectorIbEEZNS1_11reduce_implILb1ES3_N6hipcub16HIPCUB_304000_NS22TransformInputIteratorIbN2at6native12_GLOBAL__N_19NonZeroOpIfEEPKflEEPiiNS8_6detail34convert_binary_result_type_wrapperINS8_3SumESH_iEEEE10hipError_tPvRmT1_T2_T3_mT4_P12ihipStream_tbEUlT_E1_NS1_11comp_targetILNS1_3genE4ELNS1_11target_archE910ELNS1_3gpuE8ELNS1_3repE0EEENS1_30default_config_static_selectorELNS0_4arch9wavefront6targetE0EEEvSQ_.kd
    .uniform_work_group_size: 1
    .uses_dynamic_stack: false
    .vgpr_count:     0
    .vgpr_spill_count: 0
    .wavefront_size: 32
    .workgroup_processor_mode: 1
  - .args:
      - .offset:         0
        .size:           48
        .value_kind:     by_value
    .group_segment_fixed_size: 0
    .kernarg_segment_align: 8
    .kernarg_segment_size: 48
    .language:       OpenCL C
    .language_version:
      - 2
      - 0
    .max_flat_workgroup_size: 256
    .name:           _ZN7rocprim17ROCPRIM_400000_NS6detail17trampoline_kernelINS0_14default_configENS1_22reduce_config_selectorIbEEZNS1_11reduce_implILb1ES3_N6hipcub16HIPCUB_304000_NS22TransformInputIteratorIbN2at6native12_GLOBAL__N_19NonZeroOpIfEEPKflEEPiiNS8_6detail34convert_binary_result_type_wrapperINS8_3SumESH_iEEEE10hipError_tPvRmT1_T2_T3_mT4_P12ihipStream_tbEUlT_E1_NS1_11comp_targetILNS1_3genE3ELNS1_11target_archE908ELNS1_3gpuE7ELNS1_3repE0EEENS1_30default_config_static_selectorELNS0_4arch9wavefront6targetE0EEEvSQ_
    .private_segment_fixed_size: 0
    .sgpr_count:     0
    .sgpr_spill_count: 0
    .symbol:         _ZN7rocprim17ROCPRIM_400000_NS6detail17trampoline_kernelINS0_14default_configENS1_22reduce_config_selectorIbEEZNS1_11reduce_implILb1ES3_N6hipcub16HIPCUB_304000_NS22TransformInputIteratorIbN2at6native12_GLOBAL__N_19NonZeroOpIfEEPKflEEPiiNS8_6detail34convert_binary_result_type_wrapperINS8_3SumESH_iEEEE10hipError_tPvRmT1_T2_T3_mT4_P12ihipStream_tbEUlT_E1_NS1_11comp_targetILNS1_3genE3ELNS1_11target_archE908ELNS1_3gpuE7ELNS1_3repE0EEENS1_30default_config_static_selectorELNS0_4arch9wavefront6targetE0EEEvSQ_.kd
    .uniform_work_group_size: 1
    .uses_dynamic_stack: false
    .vgpr_count:     0
    .vgpr_spill_count: 0
    .wavefront_size: 32
    .workgroup_processor_mode: 1
  - .args:
      - .offset:         0
        .size:           48
        .value_kind:     by_value
    .group_segment_fixed_size: 0
    .kernarg_segment_align: 8
    .kernarg_segment_size: 48
    .language:       OpenCL C
    .language_version:
      - 2
      - 0
    .max_flat_workgroup_size: 128
    .name:           _ZN7rocprim17ROCPRIM_400000_NS6detail17trampoline_kernelINS0_14default_configENS1_22reduce_config_selectorIbEEZNS1_11reduce_implILb1ES3_N6hipcub16HIPCUB_304000_NS22TransformInputIteratorIbN2at6native12_GLOBAL__N_19NonZeroOpIfEEPKflEEPiiNS8_6detail34convert_binary_result_type_wrapperINS8_3SumESH_iEEEE10hipError_tPvRmT1_T2_T3_mT4_P12ihipStream_tbEUlT_E1_NS1_11comp_targetILNS1_3genE2ELNS1_11target_archE906ELNS1_3gpuE6ELNS1_3repE0EEENS1_30default_config_static_selectorELNS0_4arch9wavefront6targetE0EEEvSQ_
    .private_segment_fixed_size: 0
    .sgpr_count:     0
    .sgpr_spill_count: 0
    .symbol:         _ZN7rocprim17ROCPRIM_400000_NS6detail17trampoline_kernelINS0_14default_configENS1_22reduce_config_selectorIbEEZNS1_11reduce_implILb1ES3_N6hipcub16HIPCUB_304000_NS22TransformInputIteratorIbN2at6native12_GLOBAL__N_19NonZeroOpIfEEPKflEEPiiNS8_6detail34convert_binary_result_type_wrapperINS8_3SumESH_iEEEE10hipError_tPvRmT1_T2_T3_mT4_P12ihipStream_tbEUlT_E1_NS1_11comp_targetILNS1_3genE2ELNS1_11target_archE906ELNS1_3gpuE6ELNS1_3repE0EEENS1_30default_config_static_selectorELNS0_4arch9wavefront6targetE0EEEvSQ_.kd
    .uniform_work_group_size: 1
    .uses_dynamic_stack: false
    .vgpr_count:     0
    .vgpr_spill_count: 0
    .wavefront_size: 32
    .workgroup_processor_mode: 1
  - .args:
      - .offset:         0
        .size:           48
        .value_kind:     by_value
    .group_segment_fixed_size: 0
    .kernarg_segment_align: 8
    .kernarg_segment_size: 48
    .language:       OpenCL C
    .language_version:
      - 2
      - 0
    .max_flat_workgroup_size: 256
    .name:           _ZN7rocprim17ROCPRIM_400000_NS6detail17trampoline_kernelINS0_14default_configENS1_22reduce_config_selectorIbEEZNS1_11reduce_implILb1ES3_N6hipcub16HIPCUB_304000_NS22TransformInputIteratorIbN2at6native12_GLOBAL__N_19NonZeroOpIfEEPKflEEPiiNS8_6detail34convert_binary_result_type_wrapperINS8_3SumESH_iEEEE10hipError_tPvRmT1_T2_T3_mT4_P12ihipStream_tbEUlT_E1_NS1_11comp_targetILNS1_3genE10ELNS1_11target_archE1201ELNS1_3gpuE5ELNS1_3repE0EEENS1_30default_config_static_selectorELNS0_4arch9wavefront6targetE0EEEvSQ_
    .private_segment_fixed_size: 0
    .sgpr_count:     0
    .sgpr_spill_count: 0
    .symbol:         _ZN7rocprim17ROCPRIM_400000_NS6detail17trampoline_kernelINS0_14default_configENS1_22reduce_config_selectorIbEEZNS1_11reduce_implILb1ES3_N6hipcub16HIPCUB_304000_NS22TransformInputIteratorIbN2at6native12_GLOBAL__N_19NonZeroOpIfEEPKflEEPiiNS8_6detail34convert_binary_result_type_wrapperINS8_3SumESH_iEEEE10hipError_tPvRmT1_T2_T3_mT4_P12ihipStream_tbEUlT_E1_NS1_11comp_targetILNS1_3genE10ELNS1_11target_archE1201ELNS1_3gpuE5ELNS1_3repE0EEENS1_30default_config_static_selectorELNS0_4arch9wavefront6targetE0EEEvSQ_.kd
    .uniform_work_group_size: 1
    .uses_dynamic_stack: false
    .vgpr_count:     0
    .vgpr_spill_count: 0
    .wavefront_size: 32
    .workgroup_processor_mode: 1
  - .args:
      - .offset:         0
        .size:           48
        .value_kind:     by_value
    .group_segment_fixed_size: 0
    .kernarg_segment_align: 8
    .kernarg_segment_size: 48
    .language:       OpenCL C
    .language_version:
      - 2
      - 0
    .max_flat_workgroup_size: 256
    .name:           _ZN7rocprim17ROCPRIM_400000_NS6detail17trampoline_kernelINS0_14default_configENS1_22reduce_config_selectorIbEEZNS1_11reduce_implILb1ES3_N6hipcub16HIPCUB_304000_NS22TransformInputIteratorIbN2at6native12_GLOBAL__N_19NonZeroOpIfEEPKflEEPiiNS8_6detail34convert_binary_result_type_wrapperINS8_3SumESH_iEEEE10hipError_tPvRmT1_T2_T3_mT4_P12ihipStream_tbEUlT_E1_NS1_11comp_targetILNS1_3genE10ELNS1_11target_archE1200ELNS1_3gpuE4ELNS1_3repE0EEENS1_30default_config_static_selectorELNS0_4arch9wavefront6targetE0EEEvSQ_
    .private_segment_fixed_size: 0
    .sgpr_count:     0
    .sgpr_spill_count: 0
    .symbol:         _ZN7rocprim17ROCPRIM_400000_NS6detail17trampoline_kernelINS0_14default_configENS1_22reduce_config_selectorIbEEZNS1_11reduce_implILb1ES3_N6hipcub16HIPCUB_304000_NS22TransformInputIteratorIbN2at6native12_GLOBAL__N_19NonZeroOpIfEEPKflEEPiiNS8_6detail34convert_binary_result_type_wrapperINS8_3SumESH_iEEEE10hipError_tPvRmT1_T2_T3_mT4_P12ihipStream_tbEUlT_E1_NS1_11comp_targetILNS1_3genE10ELNS1_11target_archE1200ELNS1_3gpuE4ELNS1_3repE0EEENS1_30default_config_static_selectorELNS0_4arch9wavefront6targetE0EEEvSQ_.kd
    .uniform_work_group_size: 1
    .uses_dynamic_stack: false
    .vgpr_count:     0
    .vgpr_spill_count: 0
    .wavefront_size: 32
    .workgroup_processor_mode: 1
  - .args:
      - .offset:         0
        .size:           48
        .value_kind:     by_value
    .group_segment_fixed_size: 144
    .kernarg_segment_align: 8
    .kernarg_segment_size: 48
    .language:       OpenCL C
    .language_version:
      - 2
      - 0
    .max_flat_workgroup_size: 128
    .name:           _ZN7rocprim17ROCPRIM_400000_NS6detail17trampoline_kernelINS0_14default_configENS1_22reduce_config_selectorIbEEZNS1_11reduce_implILb1ES3_N6hipcub16HIPCUB_304000_NS22TransformInputIteratorIbN2at6native12_GLOBAL__N_19NonZeroOpIfEEPKflEEPiiNS8_6detail34convert_binary_result_type_wrapperINS8_3SumESH_iEEEE10hipError_tPvRmT1_T2_T3_mT4_P12ihipStream_tbEUlT_E1_NS1_11comp_targetILNS1_3genE9ELNS1_11target_archE1100ELNS1_3gpuE3ELNS1_3repE0EEENS1_30default_config_static_selectorELNS0_4arch9wavefront6targetE0EEEvSQ_
    .private_segment_fixed_size: 0
    .sgpr_count:     31
    .sgpr_spill_count: 0
    .symbol:         _ZN7rocprim17ROCPRIM_400000_NS6detail17trampoline_kernelINS0_14default_configENS1_22reduce_config_selectorIbEEZNS1_11reduce_implILb1ES3_N6hipcub16HIPCUB_304000_NS22TransformInputIteratorIbN2at6native12_GLOBAL__N_19NonZeroOpIfEEPKflEEPiiNS8_6detail34convert_binary_result_type_wrapperINS8_3SumESH_iEEEE10hipError_tPvRmT1_T2_T3_mT4_P12ihipStream_tbEUlT_E1_NS1_11comp_targetILNS1_3genE9ELNS1_11target_archE1100ELNS1_3gpuE3ELNS1_3repE0EEENS1_30default_config_static_selectorELNS0_4arch9wavefront6targetE0EEEvSQ_.kd
    .uniform_work_group_size: 1
    .uses_dynamic_stack: false
    .vgpr_count:     130
    .vgpr_spill_count: 0
    .wavefront_size: 32
    .workgroup_processor_mode: 1
  - .args:
      - .offset:         0
        .size:           48
        .value_kind:     by_value
    .group_segment_fixed_size: 0
    .kernarg_segment_align: 8
    .kernarg_segment_size: 48
    .language:       OpenCL C
    .language_version:
      - 2
      - 0
    .max_flat_workgroup_size: 256
    .name:           _ZN7rocprim17ROCPRIM_400000_NS6detail17trampoline_kernelINS0_14default_configENS1_22reduce_config_selectorIbEEZNS1_11reduce_implILb1ES3_N6hipcub16HIPCUB_304000_NS22TransformInputIteratorIbN2at6native12_GLOBAL__N_19NonZeroOpIfEEPKflEEPiiNS8_6detail34convert_binary_result_type_wrapperINS8_3SumESH_iEEEE10hipError_tPvRmT1_T2_T3_mT4_P12ihipStream_tbEUlT_E1_NS1_11comp_targetILNS1_3genE8ELNS1_11target_archE1030ELNS1_3gpuE2ELNS1_3repE0EEENS1_30default_config_static_selectorELNS0_4arch9wavefront6targetE0EEEvSQ_
    .private_segment_fixed_size: 0
    .sgpr_count:     0
    .sgpr_spill_count: 0
    .symbol:         _ZN7rocprim17ROCPRIM_400000_NS6detail17trampoline_kernelINS0_14default_configENS1_22reduce_config_selectorIbEEZNS1_11reduce_implILb1ES3_N6hipcub16HIPCUB_304000_NS22TransformInputIteratorIbN2at6native12_GLOBAL__N_19NonZeroOpIfEEPKflEEPiiNS8_6detail34convert_binary_result_type_wrapperINS8_3SumESH_iEEEE10hipError_tPvRmT1_T2_T3_mT4_P12ihipStream_tbEUlT_E1_NS1_11comp_targetILNS1_3genE8ELNS1_11target_archE1030ELNS1_3gpuE2ELNS1_3repE0EEENS1_30default_config_static_selectorELNS0_4arch9wavefront6targetE0EEEvSQ_.kd
    .uniform_work_group_size: 1
    .uses_dynamic_stack: false
    .vgpr_count:     0
    .vgpr_spill_count: 0
    .wavefront_size: 32
    .workgroup_processor_mode: 1
  - .args:
      - .offset:         0
        .size:           120
        .value_kind:     by_value
    .group_segment_fixed_size: 0
    .kernarg_segment_align: 8
    .kernarg_segment_size: 120
    .language:       OpenCL C
    .language_version:
      - 2
      - 0
    .max_flat_workgroup_size: 128
    .name:           _ZN7rocprim17ROCPRIM_400000_NS6detail17trampoline_kernelINS0_14default_configENS1_25partition_config_selectorILNS1_17partition_subalgoE5ElNS0_10empty_typeEbEEZZNS1_14partition_implILS5_5ELb0ES3_mN6hipcub16HIPCUB_304000_NS21CountingInputIteratorIllEEPS6_NSA_22TransformInputIteratorIbN2at6native12_GLOBAL__N_19NonZeroOpIfEEPKflEENS0_5tupleIJPlS6_EEENSN_IJSD_SD_EEES6_PiJS6_EEE10hipError_tPvRmT3_T4_T5_T6_T7_T9_mT8_P12ihipStream_tbDpT10_ENKUlT_T0_E_clISt17integral_constantIbLb0EES1B_EEDaS16_S17_EUlS16_E_NS1_11comp_targetILNS1_3genE0ELNS1_11target_archE4294967295ELNS1_3gpuE0ELNS1_3repE0EEENS1_30default_config_static_selectorELNS0_4arch9wavefront6targetE0EEEvT1_
    .private_segment_fixed_size: 0
    .sgpr_count:     0
    .sgpr_spill_count: 0
    .symbol:         _ZN7rocprim17ROCPRIM_400000_NS6detail17trampoline_kernelINS0_14default_configENS1_25partition_config_selectorILNS1_17partition_subalgoE5ElNS0_10empty_typeEbEEZZNS1_14partition_implILS5_5ELb0ES3_mN6hipcub16HIPCUB_304000_NS21CountingInputIteratorIllEEPS6_NSA_22TransformInputIteratorIbN2at6native12_GLOBAL__N_19NonZeroOpIfEEPKflEENS0_5tupleIJPlS6_EEENSN_IJSD_SD_EEES6_PiJS6_EEE10hipError_tPvRmT3_T4_T5_T6_T7_T9_mT8_P12ihipStream_tbDpT10_ENKUlT_T0_E_clISt17integral_constantIbLb0EES1B_EEDaS16_S17_EUlS16_E_NS1_11comp_targetILNS1_3genE0ELNS1_11target_archE4294967295ELNS1_3gpuE0ELNS1_3repE0EEENS1_30default_config_static_selectorELNS0_4arch9wavefront6targetE0EEEvT1_.kd
    .uniform_work_group_size: 1
    .uses_dynamic_stack: false
    .vgpr_count:     0
    .vgpr_spill_count: 0
    .wavefront_size: 32
    .workgroup_processor_mode: 1
  - .args:
      - .offset:         0
        .size:           120
        .value_kind:     by_value
    .group_segment_fixed_size: 0
    .kernarg_segment_align: 8
    .kernarg_segment_size: 120
    .language:       OpenCL C
    .language_version:
      - 2
      - 0
    .max_flat_workgroup_size: 512
    .name:           _ZN7rocprim17ROCPRIM_400000_NS6detail17trampoline_kernelINS0_14default_configENS1_25partition_config_selectorILNS1_17partition_subalgoE5ElNS0_10empty_typeEbEEZZNS1_14partition_implILS5_5ELb0ES3_mN6hipcub16HIPCUB_304000_NS21CountingInputIteratorIllEEPS6_NSA_22TransformInputIteratorIbN2at6native12_GLOBAL__N_19NonZeroOpIfEEPKflEENS0_5tupleIJPlS6_EEENSN_IJSD_SD_EEES6_PiJS6_EEE10hipError_tPvRmT3_T4_T5_T6_T7_T9_mT8_P12ihipStream_tbDpT10_ENKUlT_T0_E_clISt17integral_constantIbLb0EES1B_EEDaS16_S17_EUlS16_E_NS1_11comp_targetILNS1_3genE5ELNS1_11target_archE942ELNS1_3gpuE9ELNS1_3repE0EEENS1_30default_config_static_selectorELNS0_4arch9wavefront6targetE0EEEvT1_
    .private_segment_fixed_size: 0
    .sgpr_count:     0
    .sgpr_spill_count: 0
    .symbol:         _ZN7rocprim17ROCPRIM_400000_NS6detail17trampoline_kernelINS0_14default_configENS1_25partition_config_selectorILNS1_17partition_subalgoE5ElNS0_10empty_typeEbEEZZNS1_14partition_implILS5_5ELb0ES3_mN6hipcub16HIPCUB_304000_NS21CountingInputIteratorIllEEPS6_NSA_22TransformInputIteratorIbN2at6native12_GLOBAL__N_19NonZeroOpIfEEPKflEENS0_5tupleIJPlS6_EEENSN_IJSD_SD_EEES6_PiJS6_EEE10hipError_tPvRmT3_T4_T5_T6_T7_T9_mT8_P12ihipStream_tbDpT10_ENKUlT_T0_E_clISt17integral_constantIbLb0EES1B_EEDaS16_S17_EUlS16_E_NS1_11comp_targetILNS1_3genE5ELNS1_11target_archE942ELNS1_3gpuE9ELNS1_3repE0EEENS1_30default_config_static_selectorELNS0_4arch9wavefront6targetE0EEEvT1_.kd
    .uniform_work_group_size: 1
    .uses_dynamic_stack: false
    .vgpr_count:     0
    .vgpr_spill_count: 0
    .wavefront_size: 32
    .workgroup_processor_mode: 1
  - .args:
      - .offset:         0
        .size:           120
        .value_kind:     by_value
    .group_segment_fixed_size: 0
    .kernarg_segment_align: 8
    .kernarg_segment_size: 120
    .language:       OpenCL C
    .language_version:
      - 2
      - 0
    .max_flat_workgroup_size: 192
    .name:           _ZN7rocprim17ROCPRIM_400000_NS6detail17trampoline_kernelINS0_14default_configENS1_25partition_config_selectorILNS1_17partition_subalgoE5ElNS0_10empty_typeEbEEZZNS1_14partition_implILS5_5ELb0ES3_mN6hipcub16HIPCUB_304000_NS21CountingInputIteratorIllEEPS6_NSA_22TransformInputIteratorIbN2at6native12_GLOBAL__N_19NonZeroOpIfEEPKflEENS0_5tupleIJPlS6_EEENSN_IJSD_SD_EEES6_PiJS6_EEE10hipError_tPvRmT3_T4_T5_T6_T7_T9_mT8_P12ihipStream_tbDpT10_ENKUlT_T0_E_clISt17integral_constantIbLb0EES1B_EEDaS16_S17_EUlS16_E_NS1_11comp_targetILNS1_3genE4ELNS1_11target_archE910ELNS1_3gpuE8ELNS1_3repE0EEENS1_30default_config_static_selectorELNS0_4arch9wavefront6targetE0EEEvT1_
    .private_segment_fixed_size: 0
    .sgpr_count:     0
    .sgpr_spill_count: 0
    .symbol:         _ZN7rocprim17ROCPRIM_400000_NS6detail17trampoline_kernelINS0_14default_configENS1_25partition_config_selectorILNS1_17partition_subalgoE5ElNS0_10empty_typeEbEEZZNS1_14partition_implILS5_5ELb0ES3_mN6hipcub16HIPCUB_304000_NS21CountingInputIteratorIllEEPS6_NSA_22TransformInputIteratorIbN2at6native12_GLOBAL__N_19NonZeroOpIfEEPKflEENS0_5tupleIJPlS6_EEENSN_IJSD_SD_EEES6_PiJS6_EEE10hipError_tPvRmT3_T4_T5_T6_T7_T9_mT8_P12ihipStream_tbDpT10_ENKUlT_T0_E_clISt17integral_constantIbLb0EES1B_EEDaS16_S17_EUlS16_E_NS1_11comp_targetILNS1_3genE4ELNS1_11target_archE910ELNS1_3gpuE8ELNS1_3repE0EEENS1_30default_config_static_selectorELNS0_4arch9wavefront6targetE0EEEvT1_.kd
    .uniform_work_group_size: 1
    .uses_dynamic_stack: false
    .vgpr_count:     0
    .vgpr_spill_count: 0
    .wavefront_size: 32
    .workgroup_processor_mode: 1
  - .args:
      - .offset:         0
        .size:           120
        .value_kind:     by_value
    .group_segment_fixed_size: 0
    .kernarg_segment_align: 8
    .kernarg_segment_size: 120
    .language:       OpenCL C
    .language_version:
      - 2
      - 0
    .max_flat_workgroup_size: 128
    .name:           _ZN7rocprim17ROCPRIM_400000_NS6detail17trampoline_kernelINS0_14default_configENS1_25partition_config_selectorILNS1_17partition_subalgoE5ElNS0_10empty_typeEbEEZZNS1_14partition_implILS5_5ELb0ES3_mN6hipcub16HIPCUB_304000_NS21CountingInputIteratorIllEEPS6_NSA_22TransformInputIteratorIbN2at6native12_GLOBAL__N_19NonZeroOpIfEEPKflEENS0_5tupleIJPlS6_EEENSN_IJSD_SD_EEES6_PiJS6_EEE10hipError_tPvRmT3_T4_T5_T6_T7_T9_mT8_P12ihipStream_tbDpT10_ENKUlT_T0_E_clISt17integral_constantIbLb0EES1B_EEDaS16_S17_EUlS16_E_NS1_11comp_targetILNS1_3genE3ELNS1_11target_archE908ELNS1_3gpuE7ELNS1_3repE0EEENS1_30default_config_static_selectorELNS0_4arch9wavefront6targetE0EEEvT1_
    .private_segment_fixed_size: 0
    .sgpr_count:     0
    .sgpr_spill_count: 0
    .symbol:         _ZN7rocprim17ROCPRIM_400000_NS6detail17trampoline_kernelINS0_14default_configENS1_25partition_config_selectorILNS1_17partition_subalgoE5ElNS0_10empty_typeEbEEZZNS1_14partition_implILS5_5ELb0ES3_mN6hipcub16HIPCUB_304000_NS21CountingInputIteratorIllEEPS6_NSA_22TransformInputIteratorIbN2at6native12_GLOBAL__N_19NonZeroOpIfEEPKflEENS0_5tupleIJPlS6_EEENSN_IJSD_SD_EEES6_PiJS6_EEE10hipError_tPvRmT3_T4_T5_T6_T7_T9_mT8_P12ihipStream_tbDpT10_ENKUlT_T0_E_clISt17integral_constantIbLb0EES1B_EEDaS16_S17_EUlS16_E_NS1_11comp_targetILNS1_3genE3ELNS1_11target_archE908ELNS1_3gpuE7ELNS1_3repE0EEENS1_30default_config_static_selectorELNS0_4arch9wavefront6targetE0EEEvT1_.kd
    .uniform_work_group_size: 1
    .uses_dynamic_stack: false
    .vgpr_count:     0
    .vgpr_spill_count: 0
    .wavefront_size: 32
    .workgroup_processor_mode: 1
  - .args:
      - .offset:         0
        .size:           120
        .value_kind:     by_value
    .group_segment_fixed_size: 0
    .kernarg_segment_align: 8
    .kernarg_segment_size: 120
    .language:       OpenCL C
    .language_version:
      - 2
      - 0
    .max_flat_workgroup_size: 256
    .name:           _ZN7rocprim17ROCPRIM_400000_NS6detail17trampoline_kernelINS0_14default_configENS1_25partition_config_selectorILNS1_17partition_subalgoE5ElNS0_10empty_typeEbEEZZNS1_14partition_implILS5_5ELb0ES3_mN6hipcub16HIPCUB_304000_NS21CountingInputIteratorIllEEPS6_NSA_22TransformInputIteratorIbN2at6native12_GLOBAL__N_19NonZeroOpIfEEPKflEENS0_5tupleIJPlS6_EEENSN_IJSD_SD_EEES6_PiJS6_EEE10hipError_tPvRmT3_T4_T5_T6_T7_T9_mT8_P12ihipStream_tbDpT10_ENKUlT_T0_E_clISt17integral_constantIbLb0EES1B_EEDaS16_S17_EUlS16_E_NS1_11comp_targetILNS1_3genE2ELNS1_11target_archE906ELNS1_3gpuE6ELNS1_3repE0EEENS1_30default_config_static_selectorELNS0_4arch9wavefront6targetE0EEEvT1_
    .private_segment_fixed_size: 0
    .sgpr_count:     0
    .sgpr_spill_count: 0
    .symbol:         _ZN7rocprim17ROCPRIM_400000_NS6detail17trampoline_kernelINS0_14default_configENS1_25partition_config_selectorILNS1_17partition_subalgoE5ElNS0_10empty_typeEbEEZZNS1_14partition_implILS5_5ELb0ES3_mN6hipcub16HIPCUB_304000_NS21CountingInputIteratorIllEEPS6_NSA_22TransformInputIteratorIbN2at6native12_GLOBAL__N_19NonZeroOpIfEEPKflEENS0_5tupleIJPlS6_EEENSN_IJSD_SD_EEES6_PiJS6_EEE10hipError_tPvRmT3_T4_T5_T6_T7_T9_mT8_P12ihipStream_tbDpT10_ENKUlT_T0_E_clISt17integral_constantIbLb0EES1B_EEDaS16_S17_EUlS16_E_NS1_11comp_targetILNS1_3genE2ELNS1_11target_archE906ELNS1_3gpuE6ELNS1_3repE0EEENS1_30default_config_static_selectorELNS0_4arch9wavefront6targetE0EEEvT1_.kd
    .uniform_work_group_size: 1
    .uses_dynamic_stack: false
    .vgpr_count:     0
    .vgpr_spill_count: 0
    .wavefront_size: 32
    .workgroup_processor_mode: 1
  - .args:
      - .offset:         0
        .size:           120
        .value_kind:     by_value
    .group_segment_fixed_size: 0
    .kernarg_segment_align: 8
    .kernarg_segment_size: 120
    .language:       OpenCL C
    .language_version:
      - 2
      - 0
    .max_flat_workgroup_size: 256
    .name:           _ZN7rocprim17ROCPRIM_400000_NS6detail17trampoline_kernelINS0_14default_configENS1_25partition_config_selectorILNS1_17partition_subalgoE5ElNS0_10empty_typeEbEEZZNS1_14partition_implILS5_5ELb0ES3_mN6hipcub16HIPCUB_304000_NS21CountingInputIteratorIllEEPS6_NSA_22TransformInputIteratorIbN2at6native12_GLOBAL__N_19NonZeroOpIfEEPKflEENS0_5tupleIJPlS6_EEENSN_IJSD_SD_EEES6_PiJS6_EEE10hipError_tPvRmT3_T4_T5_T6_T7_T9_mT8_P12ihipStream_tbDpT10_ENKUlT_T0_E_clISt17integral_constantIbLb0EES1B_EEDaS16_S17_EUlS16_E_NS1_11comp_targetILNS1_3genE10ELNS1_11target_archE1200ELNS1_3gpuE4ELNS1_3repE0EEENS1_30default_config_static_selectorELNS0_4arch9wavefront6targetE0EEEvT1_
    .private_segment_fixed_size: 0
    .sgpr_count:     0
    .sgpr_spill_count: 0
    .symbol:         _ZN7rocprim17ROCPRIM_400000_NS6detail17trampoline_kernelINS0_14default_configENS1_25partition_config_selectorILNS1_17partition_subalgoE5ElNS0_10empty_typeEbEEZZNS1_14partition_implILS5_5ELb0ES3_mN6hipcub16HIPCUB_304000_NS21CountingInputIteratorIllEEPS6_NSA_22TransformInputIteratorIbN2at6native12_GLOBAL__N_19NonZeroOpIfEEPKflEENS0_5tupleIJPlS6_EEENSN_IJSD_SD_EEES6_PiJS6_EEE10hipError_tPvRmT3_T4_T5_T6_T7_T9_mT8_P12ihipStream_tbDpT10_ENKUlT_T0_E_clISt17integral_constantIbLb0EES1B_EEDaS16_S17_EUlS16_E_NS1_11comp_targetILNS1_3genE10ELNS1_11target_archE1200ELNS1_3gpuE4ELNS1_3repE0EEENS1_30default_config_static_selectorELNS0_4arch9wavefront6targetE0EEEvT1_.kd
    .uniform_work_group_size: 1
    .uses_dynamic_stack: false
    .vgpr_count:     0
    .vgpr_spill_count: 0
    .wavefront_size: 32
    .workgroup_processor_mode: 1
  - .args:
      - .offset:         0
        .size:           120
        .value_kind:     by_value
    .group_segment_fixed_size: 6160
    .kernarg_segment_align: 8
    .kernarg_segment_size: 120
    .language:       OpenCL C
    .language_version:
      - 2
      - 0
    .max_flat_workgroup_size: 128
    .name:           _ZN7rocprim17ROCPRIM_400000_NS6detail17trampoline_kernelINS0_14default_configENS1_25partition_config_selectorILNS1_17partition_subalgoE5ElNS0_10empty_typeEbEEZZNS1_14partition_implILS5_5ELb0ES3_mN6hipcub16HIPCUB_304000_NS21CountingInputIteratorIllEEPS6_NSA_22TransformInputIteratorIbN2at6native12_GLOBAL__N_19NonZeroOpIfEEPKflEENS0_5tupleIJPlS6_EEENSN_IJSD_SD_EEES6_PiJS6_EEE10hipError_tPvRmT3_T4_T5_T6_T7_T9_mT8_P12ihipStream_tbDpT10_ENKUlT_T0_E_clISt17integral_constantIbLb0EES1B_EEDaS16_S17_EUlS16_E_NS1_11comp_targetILNS1_3genE9ELNS1_11target_archE1100ELNS1_3gpuE3ELNS1_3repE0EEENS1_30default_config_static_selectorELNS0_4arch9wavefront6targetE0EEEvT1_
    .private_segment_fixed_size: 0
    .sgpr_count:     23
    .sgpr_spill_count: 0
    .symbol:         _ZN7rocprim17ROCPRIM_400000_NS6detail17trampoline_kernelINS0_14default_configENS1_25partition_config_selectorILNS1_17partition_subalgoE5ElNS0_10empty_typeEbEEZZNS1_14partition_implILS5_5ELb0ES3_mN6hipcub16HIPCUB_304000_NS21CountingInputIteratorIllEEPS6_NSA_22TransformInputIteratorIbN2at6native12_GLOBAL__N_19NonZeroOpIfEEPKflEENS0_5tupleIJPlS6_EEENSN_IJSD_SD_EEES6_PiJS6_EEE10hipError_tPvRmT3_T4_T5_T6_T7_T9_mT8_P12ihipStream_tbDpT10_ENKUlT_T0_E_clISt17integral_constantIbLb0EES1B_EEDaS16_S17_EUlS16_E_NS1_11comp_targetILNS1_3genE9ELNS1_11target_archE1100ELNS1_3gpuE3ELNS1_3repE0EEENS1_30default_config_static_selectorELNS0_4arch9wavefront6targetE0EEEvT1_.kd
    .uniform_work_group_size: 1
    .uses_dynamic_stack: false
    .vgpr_count:     57
    .vgpr_spill_count: 0
    .wavefront_size: 32
    .workgroup_processor_mode: 1
  - .args:
      - .offset:         0
        .size:           120
        .value_kind:     by_value
    .group_segment_fixed_size: 0
    .kernarg_segment_align: 8
    .kernarg_segment_size: 120
    .language:       OpenCL C
    .language_version:
      - 2
      - 0
    .max_flat_workgroup_size: 512
    .name:           _ZN7rocprim17ROCPRIM_400000_NS6detail17trampoline_kernelINS0_14default_configENS1_25partition_config_selectorILNS1_17partition_subalgoE5ElNS0_10empty_typeEbEEZZNS1_14partition_implILS5_5ELb0ES3_mN6hipcub16HIPCUB_304000_NS21CountingInputIteratorIllEEPS6_NSA_22TransformInputIteratorIbN2at6native12_GLOBAL__N_19NonZeroOpIfEEPKflEENS0_5tupleIJPlS6_EEENSN_IJSD_SD_EEES6_PiJS6_EEE10hipError_tPvRmT3_T4_T5_T6_T7_T9_mT8_P12ihipStream_tbDpT10_ENKUlT_T0_E_clISt17integral_constantIbLb0EES1B_EEDaS16_S17_EUlS16_E_NS1_11comp_targetILNS1_3genE8ELNS1_11target_archE1030ELNS1_3gpuE2ELNS1_3repE0EEENS1_30default_config_static_selectorELNS0_4arch9wavefront6targetE0EEEvT1_
    .private_segment_fixed_size: 0
    .sgpr_count:     0
    .sgpr_spill_count: 0
    .symbol:         _ZN7rocprim17ROCPRIM_400000_NS6detail17trampoline_kernelINS0_14default_configENS1_25partition_config_selectorILNS1_17partition_subalgoE5ElNS0_10empty_typeEbEEZZNS1_14partition_implILS5_5ELb0ES3_mN6hipcub16HIPCUB_304000_NS21CountingInputIteratorIllEEPS6_NSA_22TransformInputIteratorIbN2at6native12_GLOBAL__N_19NonZeroOpIfEEPKflEENS0_5tupleIJPlS6_EEENSN_IJSD_SD_EEES6_PiJS6_EEE10hipError_tPvRmT3_T4_T5_T6_T7_T9_mT8_P12ihipStream_tbDpT10_ENKUlT_T0_E_clISt17integral_constantIbLb0EES1B_EEDaS16_S17_EUlS16_E_NS1_11comp_targetILNS1_3genE8ELNS1_11target_archE1030ELNS1_3gpuE2ELNS1_3repE0EEENS1_30default_config_static_selectorELNS0_4arch9wavefront6targetE0EEEvT1_.kd
    .uniform_work_group_size: 1
    .uses_dynamic_stack: false
    .vgpr_count:     0
    .vgpr_spill_count: 0
    .wavefront_size: 32
    .workgroup_processor_mode: 1
  - .args:
      - .offset:         0
        .size:           136
        .value_kind:     by_value
    .group_segment_fixed_size: 0
    .kernarg_segment_align: 8
    .kernarg_segment_size: 136
    .language:       OpenCL C
    .language_version:
      - 2
      - 0
    .max_flat_workgroup_size: 128
    .name:           _ZN7rocprim17ROCPRIM_400000_NS6detail17trampoline_kernelINS0_14default_configENS1_25partition_config_selectorILNS1_17partition_subalgoE5ElNS0_10empty_typeEbEEZZNS1_14partition_implILS5_5ELb0ES3_mN6hipcub16HIPCUB_304000_NS21CountingInputIteratorIllEEPS6_NSA_22TransformInputIteratorIbN2at6native12_GLOBAL__N_19NonZeroOpIfEEPKflEENS0_5tupleIJPlS6_EEENSN_IJSD_SD_EEES6_PiJS6_EEE10hipError_tPvRmT3_T4_T5_T6_T7_T9_mT8_P12ihipStream_tbDpT10_ENKUlT_T0_E_clISt17integral_constantIbLb1EES1B_EEDaS16_S17_EUlS16_E_NS1_11comp_targetILNS1_3genE0ELNS1_11target_archE4294967295ELNS1_3gpuE0ELNS1_3repE0EEENS1_30default_config_static_selectorELNS0_4arch9wavefront6targetE0EEEvT1_
    .private_segment_fixed_size: 0
    .sgpr_count:     0
    .sgpr_spill_count: 0
    .symbol:         _ZN7rocprim17ROCPRIM_400000_NS6detail17trampoline_kernelINS0_14default_configENS1_25partition_config_selectorILNS1_17partition_subalgoE5ElNS0_10empty_typeEbEEZZNS1_14partition_implILS5_5ELb0ES3_mN6hipcub16HIPCUB_304000_NS21CountingInputIteratorIllEEPS6_NSA_22TransformInputIteratorIbN2at6native12_GLOBAL__N_19NonZeroOpIfEEPKflEENS0_5tupleIJPlS6_EEENSN_IJSD_SD_EEES6_PiJS6_EEE10hipError_tPvRmT3_T4_T5_T6_T7_T9_mT8_P12ihipStream_tbDpT10_ENKUlT_T0_E_clISt17integral_constantIbLb1EES1B_EEDaS16_S17_EUlS16_E_NS1_11comp_targetILNS1_3genE0ELNS1_11target_archE4294967295ELNS1_3gpuE0ELNS1_3repE0EEENS1_30default_config_static_selectorELNS0_4arch9wavefront6targetE0EEEvT1_.kd
    .uniform_work_group_size: 1
    .uses_dynamic_stack: false
    .vgpr_count:     0
    .vgpr_spill_count: 0
    .wavefront_size: 32
    .workgroup_processor_mode: 1
  - .args:
      - .offset:         0
        .size:           136
        .value_kind:     by_value
    .group_segment_fixed_size: 0
    .kernarg_segment_align: 8
    .kernarg_segment_size: 136
    .language:       OpenCL C
    .language_version:
      - 2
      - 0
    .max_flat_workgroup_size: 512
    .name:           _ZN7rocprim17ROCPRIM_400000_NS6detail17trampoline_kernelINS0_14default_configENS1_25partition_config_selectorILNS1_17partition_subalgoE5ElNS0_10empty_typeEbEEZZNS1_14partition_implILS5_5ELb0ES3_mN6hipcub16HIPCUB_304000_NS21CountingInputIteratorIllEEPS6_NSA_22TransformInputIteratorIbN2at6native12_GLOBAL__N_19NonZeroOpIfEEPKflEENS0_5tupleIJPlS6_EEENSN_IJSD_SD_EEES6_PiJS6_EEE10hipError_tPvRmT3_T4_T5_T6_T7_T9_mT8_P12ihipStream_tbDpT10_ENKUlT_T0_E_clISt17integral_constantIbLb1EES1B_EEDaS16_S17_EUlS16_E_NS1_11comp_targetILNS1_3genE5ELNS1_11target_archE942ELNS1_3gpuE9ELNS1_3repE0EEENS1_30default_config_static_selectorELNS0_4arch9wavefront6targetE0EEEvT1_
    .private_segment_fixed_size: 0
    .sgpr_count:     0
    .sgpr_spill_count: 0
    .symbol:         _ZN7rocprim17ROCPRIM_400000_NS6detail17trampoline_kernelINS0_14default_configENS1_25partition_config_selectorILNS1_17partition_subalgoE5ElNS0_10empty_typeEbEEZZNS1_14partition_implILS5_5ELb0ES3_mN6hipcub16HIPCUB_304000_NS21CountingInputIteratorIllEEPS6_NSA_22TransformInputIteratorIbN2at6native12_GLOBAL__N_19NonZeroOpIfEEPKflEENS0_5tupleIJPlS6_EEENSN_IJSD_SD_EEES6_PiJS6_EEE10hipError_tPvRmT3_T4_T5_T6_T7_T9_mT8_P12ihipStream_tbDpT10_ENKUlT_T0_E_clISt17integral_constantIbLb1EES1B_EEDaS16_S17_EUlS16_E_NS1_11comp_targetILNS1_3genE5ELNS1_11target_archE942ELNS1_3gpuE9ELNS1_3repE0EEENS1_30default_config_static_selectorELNS0_4arch9wavefront6targetE0EEEvT1_.kd
    .uniform_work_group_size: 1
    .uses_dynamic_stack: false
    .vgpr_count:     0
    .vgpr_spill_count: 0
    .wavefront_size: 32
    .workgroup_processor_mode: 1
  - .args:
      - .offset:         0
        .size:           136
        .value_kind:     by_value
    .group_segment_fixed_size: 0
    .kernarg_segment_align: 8
    .kernarg_segment_size: 136
    .language:       OpenCL C
    .language_version:
      - 2
      - 0
    .max_flat_workgroup_size: 192
    .name:           _ZN7rocprim17ROCPRIM_400000_NS6detail17trampoline_kernelINS0_14default_configENS1_25partition_config_selectorILNS1_17partition_subalgoE5ElNS0_10empty_typeEbEEZZNS1_14partition_implILS5_5ELb0ES3_mN6hipcub16HIPCUB_304000_NS21CountingInputIteratorIllEEPS6_NSA_22TransformInputIteratorIbN2at6native12_GLOBAL__N_19NonZeroOpIfEEPKflEENS0_5tupleIJPlS6_EEENSN_IJSD_SD_EEES6_PiJS6_EEE10hipError_tPvRmT3_T4_T5_T6_T7_T9_mT8_P12ihipStream_tbDpT10_ENKUlT_T0_E_clISt17integral_constantIbLb1EES1B_EEDaS16_S17_EUlS16_E_NS1_11comp_targetILNS1_3genE4ELNS1_11target_archE910ELNS1_3gpuE8ELNS1_3repE0EEENS1_30default_config_static_selectorELNS0_4arch9wavefront6targetE0EEEvT1_
    .private_segment_fixed_size: 0
    .sgpr_count:     0
    .sgpr_spill_count: 0
    .symbol:         _ZN7rocprim17ROCPRIM_400000_NS6detail17trampoline_kernelINS0_14default_configENS1_25partition_config_selectorILNS1_17partition_subalgoE5ElNS0_10empty_typeEbEEZZNS1_14partition_implILS5_5ELb0ES3_mN6hipcub16HIPCUB_304000_NS21CountingInputIteratorIllEEPS6_NSA_22TransformInputIteratorIbN2at6native12_GLOBAL__N_19NonZeroOpIfEEPKflEENS0_5tupleIJPlS6_EEENSN_IJSD_SD_EEES6_PiJS6_EEE10hipError_tPvRmT3_T4_T5_T6_T7_T9_mT8_P12ihipStream_tbDpT10_ENKUlT_T0_E_clISt17integral_constantIbLb1EES1B_EEDaS16_S17_EUlS16_E_NS1_11comp_targetILNS1_3genE4ELNS1_11target_archE910ELNS1_3gpuE8ELNS1_3repE0EEENS1_30default_config_static_selectorELNS0_4arch9wavefront6targetE0EEEvT1_.kd
    .uniform_work_group_size: 1
    .uses_dynamic_stack: false
    .vgpr_count:     0
    .vgpr_spill_count: 0
    .wavefront_size: 32
    .workgroup_processor_mode: 1
  - .args:
      - .offset:         0
        .size:           136
        .value_kind:     by_value
    .group_segment_fixed_size: 0
    .kernarg_segment_align: 8
    .kernarg_segment_size: 136
    .language:       OpenCL C
    .language_version:
      - 2
      - 0
    .max_flat_workgroup_size: 128
    .name:           _ZN7rocprim17ROCPRIM_400000_NS6detail17trampoline_kernelINS0_14default_configENS1_25partition_config_selectorILNS1_17partition_subalgoE5ElNS0_10empty_typeEbEEZZNS1_14partition_implILS5_5ELb0ES3_mN6hipcub16HIPCUB_304000_NS21CountingInputIteratorIllEEPS6_NSA_22TransformInputIteratorIbN2at6native12_GLOBAL__N_19NonZeroOpIfEEPKflEENS0_5tupleIJPlS6_EEENSN_IJSD_SD_EEES6_PiJS6_EEE10hipError_tPvRmT3_T4_T5_T6_T7_T9_mT8_P12ihipStream_tbDpT10_ENKUlT_T0_E_clISt17integral_constantIbLb1EES1B_EEDaS16_S17_EUlS16_E_NS1_11comp_targetILNS1_3genE3ELNS1_11target_archE908ELNS1_3gpuE7ELNS1_3repE0EEENS1_30default_config_static_selectorELNS0_4arch9wavefront6targetE0EEEvT1_
    .private_segment_fixed_size: 0
    .sgpr_count:     0
    .sgpr_spill_count: 0
    .symbol:         _ZN7rocprim17ROCPRIM_400000_NS6detail17trampoline_kernelINS0_14default_configENS1_25partition_config_selectorILNS1_17partition_subalgoE5ElNS0_10empty_typeEbEEZZNS1_14partition_implILS5_5ELb0ES3_mN6hipcub16HIPCUB_304000_NS21CountingInputIteratorIllEEPS6_NSA_22TransformInputIteratorIbN2at6native12_GLOBAL__N_19NonZeroOpIfEEPKflEENS0_5tupleIJPlS6_EEENSN_IJSD_SD_EEES6_PiJS6_EEE10hipError_tPvRmT3_T4_T5_T6_T7_T9_mT8_P12ihipStream_tbDpT10_ENKUlT_T0_E_clISt17integral_constantIbLb1EES1B_EEDaS16_S17_EUlS16_E_NS1_11comp_targetILNS1_3genE3ELNS1_11target_archE908ELNS1_3gpuE7ELNS1_3repE0EEENS1_30default_config_static_selectorELNS0_4arch9wavefront6targetE0EEEvT1_.kd
    .uniform_work_group_size: 1
    .uses_dynamic_stack: false
    .vgpr_count:     0
    .vgpr_spill_count: 0
    .wavefront_size: 32
    .workgroup_processor_mode: 1
  - .args:
      - .offset:         0
        .size:           136
        .value_kind:     by_value
    .group_segment_fixed_size: 0
    .kernarg_segment_align: 8
    .kernarg_segment_size: 136
    .language:       OpenCL C
    .language_version:
      - 2
      - 0
    .max_flat_workgroup_size: 256
    .name:           _ZN7rocprim17ROCPRIM_400000_NS6detail17trampoline_kernelINS0_14default_configENS1_25partition_config_selectorILNS1_17partition_subalgoE5ElNS0_10empty_typeEbEEZZNS1_14partition_implILS5_5ELb0ES3_mN6hipcub16HIPCUB_304000_NS21CountingInputIteratorIllEEPS6_NSA_22TransformInputIteratorIbN2at6native12_GLOBAL__N_19NonZeroOpIfEEPKflEENS0_5tupleIJPlS6_EEENSN_IJSD_SD_EEES6_PiJS6_EEE10hipError_tPvRmT3_T4_T5_T6_T7_T9_mT8_P12ihipStream_tbDpT10_ENKUlT_T0_E_clISt17integral_constantIbLb1EES1B_EEDaS16_S17_EUlS16_E_NS1_11comp_targetILNS1_3genE2ELNS1_11target_archE906ELNS1_3gpuE6ELNS1_3repE0EEENS1_30default_config_static_selectorELNS0_4arch9wavefront6targetE0EEEvT1_
    .private_segment_fixed_size: 0
    .sgpr_count:     0
    .sgpr_spill_count: 0
    .symbol:         _ZN7rocprim17ROCPRIM_400000_NS6detail17trampoline_kernelINS0_14default_configENS1_25partition_config_selectorILNS1_17partition_subalgoE5ElNS0_10empty_typeEbEEZZNS1_14partition_implILS5_5ELb0ES3_mN6hipcub16HIPCUB_304000_NS21CountingInputIteratorIllEEPS6_NSA_22TransformInputIteratorIbN2at6native12_GLOBAL__N_19NonZeroOpIfEEPKflEENS0_5tupleIJPlS6_EEENSN_IJSD_SD_EEES6_PiJS6_EEE10hipError_tPvRmT3_T4_T5_T6_T7_T9_mT8_P12ihipStream_tbDpT10_ENKUlT_T0_E_clISt17integral_constantIbLb1EES1B_EEDaS16_S17_EUlS16_E_NS1_11comp_targetILNS1_3genE2ELNS1_11target_archE906ELNS1_3gpuE6ELNS1_3repE0EEENS1_30default_config_static_selectorELNS0_4arch9wavefront6targetE0EEEvT1_.kd
    .uniform_work_group_size: 1
    .uses_dynamic_stack: false
    .vgpr_count:     0
    .vgpr_spill_count: 0
    .wavefront_size: 32
    .workgroup_processor_mode: 1
  - .args:
      - .offset:         0
        .size:           136
        .value_kind:     by_value
    .group_segment_fixed_size: 0
    .kernarg_segment_align: 8
    .kernarg_segment_size: 136
    .language:       OpenCL C
    .language_version:
      - 2
      - 0
    .max_flat_workgroup_size: 256
    .name:           _ZN7rocprim17ROCPRIM_400000_NS6detail17trampoline_kernelINS0_14default_configENS1_25partition_config_selectorILNS1_17partition_subalgoE5ElNS0_10empty_typeEbEEZZNS1_14partition_implILS5_5ELb0ES3_mN6hipcub16HIPCUB_304000_NS21CountingInputIteratorIllEEPS6_NSA_22TransformInputIteratorIbN2at6native12_GLOBAL__N_19NonZeroOpIfEEPKflEENS0_5tupleIJPlS6_EEENSN_IJSD_SD_EEES6_PiJS6_EEE10hipError_tPvRmT3_T4_T5_T6_T7_T9_mT8_P12ihipStream_tbDpT10_ENKUlT_T0_E_clISt17integral_constantIbLb1EES1B_EEDaS16_S17_EUlS16_E_NS1_11comp_targetILNS1_3genE10ELNS1_11target_archE1200ELNS1_3gpuE4ELNS1_3repE0EEENS1_30default_config_static_selectorELNS0_4arch9wavefront6targetE0EEEvT1_
    .private_segment_fixed_size: 0
    .sgpr_count:     0
    .sgpr_spill_count: 0
    .symbol:         _ZN7rocprim17ROCPRIM_400000_NS6detail17trampoline_kernelINS0_14default_configENS1_25partition_config_selectorILNS1_17partition_subalgoE5ElNS0_10empty_typeEbEEZZNS1_14partition_implILS5_5ELb0ES3_mN6hipcub16HIPCUB_304000_NS21CountingInputIteratorIllEEPS6_NSA_22TransformInputIteratorIbN2at6native12_GLOBAL__N_19NonZeroOpIfEEPKflEENS0_5tupleIJPlS6_EEENSN_IJSD_SD_EEES6_PiJS6_EEE10hipError_tPvRmT3_T4_T5_T6_T7_T9_mT8_P12ihipStream_tbDpT10_ENKUlT_T0_E_clISt17integral_constantIbLb1EES1B_EEDaS16_S17_EUlS16_E_NS1_11comp_targetILNS1_3genE10ELNS1_11target_archE1200ELNS1_3gpuE4ELNS1_3repE0EEENS1_30default_config_static_selectorELNS0_4arch9wavefront6targetE0EEEvT1_.kd
    .uniform_work_group_size: 1
    .uses_dynamic_stack: false
    .vgpr_count:     0
    .vgpr_spill_count: 0
    .wavefront_size: 32
    .workgroup_processor_mode: 1
  - .args:
      - .offset:         0
        .size:           136
        .value_kind:     by_value
    .group_segment_fixed_size: 6160
    .kernarg_segment_align: 8
    .kernarg_segment_size: 136
    .language:       OpenCL C
    .language_version:
      - 2
      - 0
    .max_flat_workgroup_size: 128
    .name:           _ZN7rocprim17ROCPRIM_400000_NS6detail17trampoline_kernelINS0_14default_configENS1_25partition_config_selectorILNS1_17partition_subalgoE5ElNS0_10empty_typeEbEEZZNS1_14partition_implILS5_5ELb0ES3_mN6hipcub16HIPCUB_304000_NS21CountingInputIteratorIllEEPS6_NSA_22TransformInputIteratorIbN2at6native12_GLOBAL__N_19NonZeroOpIfEEPKflEENS0_5tupleIJPlS6_EEENSN_IJSD_SD_EEES6_PiJS6_EEE10hipError_tPvRmT3_T4_T5_T6_T7_T9_mT8_P12ihipStream_tbDpT10_ENKUlT_T0_E_clISt17integral_constantIbLb1EES1B_EEDaS16_S17_EUlS16_E_NS1_11comp_targetILNS1_3genE9ELNS1_11target_archE1100ELNS1_3gpuE3ELNS1_3repE0EEENS1_30default_config_static_selectorELNS0_4arch9wavefront6targetE0EEEvT1_
    .private_segment_fixed_size: 0
    .sgpr_count:     26
    .sgpr_spill_count: 0
    .symbol:         _ZN7rocprim17ROCPRIM_400000_NS6detail17trampoline_kernelINS0_14default_configENS1_25partition_config_selectorILNS1_17partition_subalgoE5ElNS0_10empty_typeEbEEZZNS1_14partition_implILS5_5ELb0ES3_mN6hipcub16HIPCUB_304000_NS21CountingInputIteratorIllEEPS6_NSA_22TransformInputIteratorIbN2at6native12_GLOBAL__N_19NonZeroOpIfEEPKflEENS0_5tupleIJPlS6_EEENSN_IJSD_SD_EEES6_PiJS6_EEE10hipError_tPvRmT3_T4_T5_T6_T7_T9_mT8_P12ihipStream_tbDpT10_ENKUlT_T0_E_clISt17integral_constantIbLb1EES1B_EEDaS16_S17_EUlS16_E_NS1_11comp_targetILNS1_3genE9ELNS1_11target_archE1100ELNS1_3gpuE3ELNS1_3repE0EEENS1_30default_config_static_selectorELNS0_4arch9wavefront6targetE0EEEvT1_.kd
    .uniform_work_group_size: 1
    .uses_dynamic_stack: false
    .vgpr_count:     57
    .vgpr_spill_count: 0
    .wavefront_size: 32
    .workgroup_processor_mode: 1
  - .args:
      - .offset:         0
        .size:           136
        .value_kind:     by_value
    .group_segment_fixed_size: 0
    .kernarg_segment_align: 8
    .kernarg_segment_size: 136
    .language:       OpenCL C
    .language_version:
      - 2
      - 0
    .max_flat_workgroup_size: 512
    .name:           _ZN7rocprim17ROCPRIM_400000_NS6detail17trampoline_kernelINS0_14default_configENS1_25partition_config_selectorILNS1_17partition_subalgoE5ElNS0_10empty_typeEbEEZZNS1_14partition_implILS5_5ELb0ES3_mN6hipcub16HIPCUB_304000_NS21CountingInputIteratorIllEEPS6_NSA_22TransformInputIteratorIbN2at6native12_GLOBAL__N_19NonZeroOpIfEEPKflEENS0_5tupleIJPlS6_EEENSN_IJSD_SD_EEES6_PiJS6_EEE10hipError_tPvRmT3_T4_T5_T6_T7_T9_mT8_P12ihipStream_tbDpT10_ENKUlT_T0_E_clISt17integral_constantIbLb1EES1B_EEDaS16_S17_EUlS16_E_NS1_11comp_targetILNS1_3genE8ELNS1_11target_archE1030ELNS1_3gpuE2ELNS1_3repE0EEENS1_30default_config_static_selectorELNS0_4arch9wavefront6targetE0EEEvT1_
    .private_segment_fixed_size: 0
    .sgpr_count:     0
    .sgpr_spill_count: 0
    .symbol:         _ZN7rocprim17ROCPRIM_400000_NS6detail17trampoline_kernelINS0_14default_configENS1_25partition_config_selectorILNS1_17partition_subalgoE5ElNS0_10empty_typeEbEEZZNS1_14partition_implILS5_5ELb0ES3_mN6hipcub16HIPCUB_304000_NS21CountingInputIteratorIllEEPS6_NSA_22TransformInputIteratorIbN2at6native12_GLOBAL__N_19NonZeroOpIfEEPKflEENS0_5tupleIJPlS6_EEENSN_IJSD_SD_EEES6_PiJS6_EEE10hipError_tPvRmT3_T4_T5_T6_T7_T9_mT8_P12ihipStream_tbDpT10_ENKUlT_T0_E_clISt17integral_constantIbLb1EES1B_EEDaS16_S17_EUlS16_E_NS1_11comp_targetILNS1_3genE8ELNS1_11target_archE1030ELNS1_3gpuE2ELNS1_3repE0EEENS1_30default_config_static_selectorELNS0_4arch9wavefront6targetE0EEEvT1_.kd
    .uniform_work_group_size: 1
    .uses_dynamic_stack: false
    .vgpr_count:     0
    .vgpr_spill_count: 0
    .wavefront_size: 32
    .workgroup_processor_mode: 1
  - .args:
      - .offset:         0
        .size:           120
        .value_kind:     by_value
    .group_segment_fixed_size: 0
    .kernarg_segment_align: 8
    .kernarg_segment_size: 120
    .language:       OpenCL C
    .language_version:
      - 2
      - 0
    .max_flat_workgroup_size: 128
    .name:           _ZN7rocprim17ROCPRIM_400000_NS6detail17trampoline_kernelINS0_14default_configENS1_25partition_config_selectorILNS1_17partition_subalgoE5ElNS0_10empty_typeEbEEZZNS1_14partition_implILS5_5ELb0ES3_mN6hipcub16HIPCUB_304000_NS21CountingInputIteratorIllEEPS6_NSA_22TransformInputIteratorIbN2at6native12_GLOBAL__N_19NonZeroOpIfEEPKflEENS0_5tupleIJPlS6_EEENSN_IJSD_SD_EEES6_PiJS6_EEE10hipError_tPvRmT3_T4_T5_T6_T7_T9_mT8_P12ihipStream_tbDpT10_ENKUlT_T0_E_clISt17integral_constantIbLb1EES1A_IbLb0EEEEDaS16_S17_EUlS16_E_NS1_11comp_targetILNS1_3genE0ELNS1_11target_archE4294967295ELNS1_3gpuE0ELNS1_3repE0EEENS1_30default_config_static_selectorELNS0_4arch9wavefront6targetE0EEEvT1_
    .private_segment_fixed_size: 0
    .sgpr_count:     0
    .sgpr_spill_count: 0
    .symbol:         _ZN7rocprim17ROCPRIM_400000_NS6detail17trampoline_kernelINS0_14default_configENS1_25partition_config_selectorILNS1_17partition_subalgoE5ElNS0_10empty_typeEbEEZZNS1_14partition_implILS5_5ELb0ES3_mN6hipcub16HIPCUB_304000_NS21CountingInputIteratorIllEEPS6_NSA_22TransformInputIteratorIbN2at6native12_GLOBAL__N_19NonZeroOpIfEEPKflEENS0_5tupleIJPlS6_EEENSN_IJSD_SD_EEES6_PiJS6_EEE10hipError_tPvRmT3_T4_T5_T6_T7_T9_mT8_P12ihipStream_tbDpT10_ENKUlT_T0_E_clISt17integral_constantIbLb1EES1A_IbLb0EEEEDaS16_S17_EUlS16_E_NS1_11comp_targetILNS1_3genE0ELNS1_11target_archE4294967295ELNS1_3gpuE0ELNS1_3repE0EEENS1_30default_config_static_selectorELNS0_4arch9wavefront6targetE0EEEvT1_.kd
    .uniform_work_group_size: 1
    .uses_dynamic_stack: false
    .vgpr_count:     0
    .vgpr_spill_count: 0
    .wavefront_size: 32
    .workgroup_processor_mode: 1
  - .args:
      - .offset:         0
        .size:           120
        .value_kind:     by_value
    .group_segment_fixed_size: 0
    .kernarg_segment_align: 8
    .kernarg_segment_size: 120
    .language:       OpenCL C
    .language_version:
      - 2
      - 0
    .max_flat_workgroup_size: 512
    .name:           _ZN7rocprim17ROCPRIM_400000_NS6detail17trampoline_kernelINS0_14default_configENS1_25partition_config_selectorILNS1_17partition_subalgoE5ElNS0_10empty_typeEbEEZZNS1_14partition_implILS5_5ELb0ES3_mN6hipcub16HIPCUB_304000_NS21CountingInputIteratorIllEEPS6_NSA_22TransformInputIteratorIbN2at6native12_GLOBAL__N_19NonZeroOpIfEEPKflEENS0_5tupleIJPlS6_EEENSN_IJSD_SD_EEES6_PiJS6_EEE10hipError_tPvRmT3_T4_T5_T6_T7_T9_mT8_P12ihipStream_tbDpT10_ENKUlT_T0_E_clISt17integral_constantIbLb1EES1A_IbLb0EEEEDaS16_S17_EUlS16_E_NS1_11comp_targetILNS1_3genE5ELNS1_11target_archE942ELNS1_3gpuE9ELNS1_3repE0EEENS1_30default_config_static_selectorELNS0_4arch9wavefront6targetE0EEEvT1_
    .private_segment_fixed_size: 0
    .sgpr_count:     0
    .sgpr_spill_count: 0
    .symbol:         _ZN7rocprim17ROCPRIM_400000_NS6detail17trampoline_kernelINS0_14default_configENS1_25partition_config_selectorILNS1_17partition_subalgoE5ElNS0_10empty_typeEbEEZZNS1_14partition_implILS5_5ELb0ES3_mN6hipcub16HIPCUB_304000_NS21CountingInputIteratorIllEEPS6_NSA_22TransformInputIteratorIbN2at6native12_GLOBAL__N_19NonZeroOpIfEEPKflEENS0_5tupleIJPlS6_EEENSN_IJSD_SD_EEES6_PiJS6_EEE10hipError_tPvRmT3_T4_T5_T6_T7_T9_mT8_P12ihipStream_tbDpT10_ENKUlT_T0_E_clISt17integral_constantIbLb1EES1A_IbLb0EEEEDaS16_S17_EUlS16_E_NS1_11comp_targetILNS1_3genE5ELNS1_11target_archE942ELNS1_3gpuE9ELNS1_3repE0EEENS1_30default_config_static_selectorELNS0_4arch9wavefront6targetE0EEEvT1_.kd
    .uniform_work_group_size: 1
    .uses_dynamic_stack: false
    .vgpr_count:     0
    .vgpr_spill_count: 0
    .wavefront_size: 32
    .workgroup_processor_mode: 1
  - .args:
      - .offset:         0
        .size:           120
        .value_kind:     by_value
    .group_segment_fixed_size: 0
    .kernarg_segment_align: 8
    .kernarg_segment_size: 120
    .language:       OpenCL C
    .language_version:
      - 2
      - 0
    .max_flat_workgroup_size: 192
    .name:           _ZN7rocprim17ROCPRIM_400000_NS6detail17trampoline_kernelINS0_14default_configENS1_25partition_config_selectorILNS1_17partition_subalgoE5ElNS0_10empty_typeEbEEZZNS1_14partition_implILS5_5ELb0ES3_mN6hipcub16HIPCUB_304000_NS21CountingInputIteratorIllEEPS6_NSA_22TransformInputIteratorIbN2at6native12_GLOBAL__N_19NonZeroOpIfEEPKflEENS0_5tupleIJPlS6_EEENSN_IJSD_SD_EEES6_PiJS6_EEE10hipError_tPvRmT3_T4_T5_T6_T7_T9_mT8_P12ihipStream_tbDpT10_ENKUlT_T0_E_clISt17integral_constantIbLb1EES1A_IbLb0EEEEDaS16_S17_EUlS16_E_NS1_11comp_targetILNS1_3genE4ELNS1_11target_archE910ELNS1_3gpuE8ELNS1_3repE0EEENS1_30default_config_static_selectorELNS0_4arch9wavefront6targetE0EEEvT1_
    .private_segment_fixed_size: 0
    .sgpr_count:     0
    .sgpr_spill_count: 0
    .symbol:         _ZN7rocprim17ROCPRIM_400000_NS6detail17trampoline_kernelINS0_14default_configENS1_25partition_config_selectorILNS1_17partition_subalgoE5ElNS0_10empty_typeEbEEZZNS1_14partition_implILS5_5ELb0ES3_mN6hipcub16HIPCUB_304000_NS21CountingInputIteratorIllEEPS6_NSA_22TransformInputIteratorIbN2at6native12_GLOBAL__N_19NonZeroOpIfEEPKflEENS0_5tupleIJPlS6_EEENSN_IJSD_SD_EEES6_PiJS6_EEE10hipError_tPvRmT3_T4_T5_T6_T7_T9_mT8_P12ihipStream_tbDpT10_ENKUlT_T0_E_clISt17integral_constantIbLb1EES1A_IbLb0EEEEDaS16_S17_EUlS16_E_NS1_11comp_targetILNS1_3genE4ELNS1_11target_archE910ELNS1_3gpuE8ELNS1_3repE0EEENS1_30default_config_static_selectorELNS0_4arch9wavefront6targetE0EEEvT1_.kd
    .uniform_work_group_size: 1
    .uses_dynamic_stack: false
    .vgpr_count:     0
    .vgpr_spill_count: 0
    .wavefront_size: 32
    .workgroup_processor_mode: 1
  - .args:
      - .offset:         0
        .size:           120
        .value_kind:     by_value
    .group_segment_fixed_size: 0
    .kernarg_segment_align: 8
    .kernarg_segment_size: 120
    .language:       OpenCL C
    .language_version:
      - 2
      - 0
    .max_flat_workgroup_size: 128
    .name:           _ZN7rocprim17ROCPRIM_400000_NS6detail17trampoline_kernelINS0_14default_configENS1_25partition_config_selectorILNS1_17partition_subalgoE5ElNS0_10empty_typeEbEEZZNS1_14partition_implILS5_5ELb0ES3_mN6hipcub16HIPCUB_304000_NS21CountingInputIteratorIllEEPS6_NSA_22TransformInputIteratorIbN2at6native12_GLOBAL__N_19NonZeroOpIfEEPKflEENS0_5tupleIJPlS6_EEENSN_IJSD_SD_EEES6_PiJS6_EEE10hipError_tPvRmT3_T4_T5_T6_T7_T9_mT8_P12ihipStream_tbDpT10_ENKUlT_T0_E_clISt17integral_constantIbLb1EES1A_IbLb0EEEEDaS16_S17_EUlS16_E_NS1_11comp_targetILNS1_3genE3ELNS1_11target_archE908ELNS1_3gpuE7ELNS1_3repE0EEENS1_30default_config_static_selectorELNS0_4arch9wavefront6targetE0EEEvT1_
    .private_segment_fixed_size: 0
    .sgpr_count:     0
    .sgpr_spill_count: 0
    .symbol:         _ZN7rocprim17ROCPRIM_400000_NS6detail17trampoline_kernelINS0_14default_configENS1_25partition_config_selectorILNS1_17partition_subalgoE5ElNS0_10empty_typeEbEEZZNS1_14partition_implILS5_5ELb0ES3_mN6hipcub16HIPCUB_304000_NS21CountingInputIteratorIllEEPS6_NSA_22TransformInputIteratorIbN2at6native12_GLOBAL__N_19NonZeroOpIfEEPKflEENS0_5tupleIJPlS6_EEENSN_IJSD_SD_EEES6_PiJS6_EEE10hipError_tPvRmT3_T4_T5_T6_T7_T9_mT8_P12ihipStream_tbDpT10_ENKUlT_T0_E_clISt17integral_constantIbLb1EES1A_IbLb0EEEEDaS16_S17_EUlS16_E_NS1_11comp_targetILNS1_3genE3ELNS1_11target_archE908ELNS1_3gpuE7ELNS1_3repE0EEENS1_30default_config_static_selectorELNS0_4arch9wavefront6targetE0EEEvT1_.kd
    .uniform_work_group_size: 1
    .uses_dynamic_stack: false
    .vgpr_count:     0
    .vgpr_spill_count: 0
    .wavefront_size: 32
    .workgroup_processor_mode: 1
  - .args:
      - .offset:         0
        .size:           120
        .value_kind:     by_value
    .group_segment_fixed_size: 0
    .kernarg_segment_align: 8
    .kernarg_segment_size: 120
    .language:       OpenCL C
    .language_version:
      - 2
      - 0
    .max_flat_workgroup_size: 256
    .name:           _ZN7rocprim17ROCPRIM_400000_NS6detail17trampoline_kernelINS0_14default_configENS1_25partition_config_selectorILNS1_17partition_subalgoE5ElNS0_10empty_typeEbEEZZNS1_14partition_implILS5_5ELb0ES3_mN6hipcub16HIPCUB_304000_NS21CountingInputIteratorIllEEPS6_NSA_22TransformInputIteratorIbN2at6native12_GLOBAL__N_19NonZeroOpIfEEPKflEENS0_5tupleIJPlS6_EEENSN_IJSD_SD_EEES6_PiJS6_EEE10hipError_tPvRmT3_T4_T5_T6_T7_T9_mT8_P12ihipStream_tbDpT10_ENKUlT_T0_E_clISt17integral_constantIbLb1EES1A_IbLb0EEEEDaS16_S17_EUlS16_E_NS1_11comp_targetILNS1_3genE2ELNS1_11target_archE906ELNS1_3gpuE6ELNS1_3repE0EEENS1_30default_config_static_selectorELNS0_4arch9wavefront6targetE0EEEvT1_
    .private_segment_fixed_size: 0
    .sgpr_count:     0
    .sgpr_spill_count: 0
    .symbol:         _ZN7rocprim17ROCPRIM_400000_NS6detail17trampoline_kernelINS0_14default_configENS1_25partition_config_selectorILNS1_17partition_subalgoE5ElNS0_10empty_typeEbEEZZNS1_14partition_implILS5_5ELb0ES3_mN6hipcub16HIPCUB_304000_NS21CountingInputIteratorIllEEPS6_NSA_22TransformInputIteratorIbN2at6native12_GLOBAL__N_19NonZeroOpIfEEPKflEENS0_5tupleIJPlS6_EEENSN_IJSD_SD_EEES6_PiJS6_EEE10hipError_tPvRmT3_T4_T5_T6_T7_T9_mT8_P12ihipStream_tbDpT10_ENKUlT_T0_E_clISt17integral_constantIbLb1EES1A_IbLb0EEEEDaS16_S17_EUlS16_E_NS1_11comp_targetILNS1_3genE2ELNS1_11target_archE906ELNS1_3gpuE6ELNS1_3repE0EEENS1_30default_config_static_selectorELNS0_4arch9wavefront6targetE0EEEvT1_.kd
    .uniform_work_group_size: 1
    .uses_dynamic_stack: false
    .vgpr_count:     0
    .vgpr_spill_count: 0
    .wavefront_size: 32
    .workgroup_processor_mode: 1
  - .args:
      - .offset:         0
        .size:           120
        .value_kind:     by_value
    .group_segment_fixed_size: 0
    .kernarg_segment_align: 8
    .kernarg_segment_size: 120
    .language:       OpenCL C
    .language_version:
      - 2
      - 0
    .max_flat_workgroup_size: 256
    .name:           _ZN7rocprim17ROCPRIM_400000_NS6detail17trampoline_kernelINS0_14default_configENS1_25partition_config_selectorILNS1_17partition_subalgoE5ElNS0_10empty_typeEbEEZZNS1_14partition_implILS5_5ELb0ES3_mN6hipcub16HIPCUB_304000_NS21CountingInputIteratorIllEEPS6_NSA_22TransformInputIteratorIbN2at6native12_GLOBAL__N_19NonZeroOpIfEEPKflEENS0_5tupleIJPlS6_EEENSN_IJSD_SD_EEES6_PiJS6_EEE10hipError_tPvRmT3_T4_T5_T6_T7_T9_mT8_P12ihipStream_tbDpT10_ENKUlT_T0_E_clISt17integral_constantIbLb1EES1A_IbLb0EEEEDaS16_S17_EUlS16_E_NS1_11comp_targetILNS1_3genE10ELNS1_11target_archE1200ELNS1_3gpuE4ELNS1_3repE0EEENS1_30default_config_static_selectorELNS0_4arch9wavefront6targetE0EEEvT1_
    .private_segment_fixed_size: 0
    .sgpr_count:     0
    .sgpr_spill_count: 0
    .symbol:         _ZN7rocprim17ROCPRIM_400000_NS6detail17trampoline_kernelINS0_14default_configENS1_25partition_config_selectorILNS1_17partition_subalgoE5ElNS0_10empty_typeEbEEZZNS1_14partition_implILS5_5ELb0ES3_mN6hipcub16HIPCUB_304000_NS21CountingInputIteratorIllEEPS6_NSA_22TransformInputIteratorIbN2at6native12_GLOBAL__N_19NonZeroOpIfEEPKflEENS0_5tupleIJPlS6_EEENSN_IJSD_SD_EEES6_PiJS6_EEE10hipError_tPvRmT3_T4_T5_T6_T7_T9_mT8_P12ihipStream_tbDpT10_ENKUlT_T0_E_clISt17integral_constantIbLb1EES1A_IbLb0EEEEDaS16_S17_EUlS16_E_NS1_11comp_targetILNS1_3genE10ELNS1_11target_archE1200ELNS1_3gpuE4ELNS1_3repE0EEENS1_30default_config_static_selectorELNS0_4arch9wavefront6targetE0EEEvT1_.kd
    .uniform_work_group_size: 1
    .uses_dynamic_stack: false
    .vgpr_count:     0
    .vgpr_spill_count: 0
    .wavefront_size: 32
    .workgroup_processor_mode: 1
  - .args:
      - .offset:         0
        .size:           120
        .value_kind:     by_value
    .group_segment_fixed_size: 6160
    .kernarg_segment_align: 8
    .kernarg_segment_size: 120
    .language:       OpenCL C
    .language_version:
      - 2
      - 0
    .max_flat_workgroup_size: 128
    .name:           _ZN7rocprim17ROCPRIM_400000_NS6detail17trampoline_kernelINS0_14default_configENS1_25partition_config_selectorILNS1_17partition_subalgoE5ElNS0_10empty_typeEbEEZZNS1_14partition_implILS5_5ELb0ES3_mN6hipcub16HIPCUB_304000_NS21CountingInputIteratorIllEEPS6_NSA_22TransformInputIteratorIbN2at6native12_GLOBAL__N_19NonZeroOpIfEEPKflEENS0_5tupleIJPlS6_EEENSN_IJSD_SD_EEES6_PiJS6_EEE10hipError_tPvRmT3_T4_T5_T6_T7_T9_mT8_P12ihipStream_tbDpT10_ENKUlT_T0_E_clISt17integral_constantIbLb1EES1A_IbLb0EEEEDaS16_S17_EUlS16_E_NS1_11comp_targetILNS1_3genE9ELNS1_11target_archE1100ELNS1_3gpuE3ELNS1_3repE0EEENS1_30default_config_static_selectorELNS0_4arch9wavefront6targetE0EEEvT1_
    .private_segment_fixed_size: 0
    .sgpr_count:     23
    .sgpr_spill_count: 0
    .symbol:         _ZN7rocprim17ROCPRIM_400000_NS6detail17trampoline_kernelINS0_14default_configENS1_25partition_config_selectorILNS1_17partition_subalgoE5ElNS0_10empty_typeEbEEZZNS1_14partition_implILS5_5ELb0ES3_mN6hipcub16HIPCUB_304000_NS21CountingInputIteratorIllEEPS6_NSA_22TransformInputIteratorIbN2at6native12_GLOBAL__N_19NonZeroOpIfEEPKflEENS0_5tupleIJPlS6_EEENSN_IJSD_SD_EEES6_PiJS6_EEE10hipError_tPvRmT3_T4_T5_T6_T7_T9_mT8_P12ihipStream_tbDpT10_ENKUlT_T0_E_clISt17integral_constantIbLb1EES1A_IbLb0EEEEDaS16_S17_EUlS16_E_NS1_11comp_targetILNS1_3genE9ELNS1_11target_archE1100ELNS1_3gpuE3ELNS1_3repE0EEENS1_30default_config_static_selectorELNS0_4arch9wavefront6targetE0EEEvT1_.kd
    .uniform_work_group_size: 1
    .uses_dynamic_stack: false
    .vgpr_count:     57
    .vgpr_spill_count: 0
    .wavefront_size: 32
    .workgroup_processor_mode: 1
  - .args:
      - .offset:         0
        .size:           120
        .value_kind:     by_value
    .group_segment_fixed_size: 0
    .kernarg_segment_align: 8
    .kernarg_segment_size: 120
    .language:       OpenCL C
    .language_version:
      - 2
      - 0
    .max_flat_workgroup_size: 512
    .name:           _ZN7rocprim17ROCPRIM_400000_NS6detail17trampoline_kernelINS0_14default_configENS1_25partition_config_selectorILNS1_17partition_subalgoE5ElNS0_10empty_typeEbEEZZNS1_14partition_implILS5_5ELb0ES3_mN6hipcub16HIPCUB_304000_NS21CountingInputIteratorIllEEPS6_NSA_22TransformInputIteratorIbN2at6native12_GLOBAL__N_19NonZeroOpIfEEPKflEENS0_5tupleIJPlS6_EEENSN_IJSD_SD_EEES6_PiJS6_EEE10hipError_tPvRmT3_T4_T5_T6_T7_T9_mT8_P12ihipStream_tbDpT10_ENKUlT_T0_E_clISt17integral_constantIbLb1EES1A_IbLb0EEEEDaS16_S17_EUlS16_E_NS1_11comp_targetILNS1_3genE8ELNS1_11target_archE1030ELNS1_3gpuE2ELNS1_3repE0EEENS1_30default_config_static_selectorELNS0_4arch9wavefront6targetE0EEEvT1_
    .private_segment_fixed_size: 0
    .sgpr_count:     0
    .sgpr_spill_count: 0
    .symbol:         _ZN7rocprim17ROCPRIM_400000_NS6detail17trampoline_kernelINS0_14default_configENS1_25partition_config_selectorILNS1_17partition_subalgoE5ElNS0_10empty_typeEbEEZZNS1_14partition_implILS5_5ELb0ES3_mN6hipcub16HIPCUB_304000_NS21CountingInputIteratorIllEEPS6_NSA_22TransformInputIteratorIbN2at6native12_GLOBAL__N_19NonZeroOpIfEEPKflEENS0_5tupleIJPlS6_EEENSN_IJSD_SD_EEES6_PiJS6_EEE10hipError_tPvRmT3_T4_T5_T6_T7_T9_mT8_P12ihipStream_tbDpT10_ENKUlT_T0_E_clISt17integral_constantIbLb1EES1A_IbLb0EEEEDaS16_S17_EUlS16_E_NS1_11comp_targetILNS1_3genE8ELNS1_11target_archE1030ELNS1_3gpuE2ELNS1_3repE0EEENS1_30default_config_static_selectorELNS0_4arch9wavefront6targetE0EEEvT1_.kd
    .uniform_work_group_size: 1
    .uses_dynamic_stack: false
    .vgpr_count:     0
    .vgpr_spill_count: 0
    .wavefront_size: 32
    .workgroup_processor_mode: 1
  - .args:
      - .offset:         0
        .size:           136
        .value_kind:     by_value
    .group_segment_fixed_size: 0
    .kernarg_segment_align: 8
    .kernarg_segment_size: 136
    .language:       OpenCL C
    .language_version:
      - 2
      - 0
    .max_flat_workgroup_size: 128
    .name:           _ZN7rocprim17ROCPRIM_400000_NS6detail17trampoline_kernelINS0_14default_configENS1_25partition_config_selectorILNS1_17partition_subalgoE5ElNS0_10empty_typeEbEEZZNS1_14partition_implILS5_5ELb0ES3_mN6hipcub16HIPCUB_304000_NS21CountingInputIteratorIllEEPS6_NSA_22TransformInputIteratorIbN2at6native12_GLOBAL__N_19NonZeroOpIfEEPKflEENS0_5tupleIJPlS6_EEENSN_IJSD_SD_EEES6_PiJS6_EEE10hipError_tPvRmT3_T4_T5_T6_T7_T9_mT8_P12ihipStream_tbDpT10_ENKUlT_T0_E_clISt17integral_constantIbLb0EES1A_IbLb1EEEEDaS16_S17_EUlS16_E_NS1_11comp_targetILNS1_3genE0ELNS1_11target_archE4294967295ELNS1_3gpuE0ELNS1_3repE0EEENS1_30default_config_static_selectorELNS0_4arch9wavefront6targetE0EEEvT1_
    .private_segment_fixed_size: 0
    .sgpr_count:     0
    .sgpr_spill_count: 0
    .symbol:         _ZN7rocprim17ROCPRIM_400000_NS6detail17trampoline_kernelINS0_14default_configENS1_25partition_config_selectorILNS1_17partition_subalgoE5ElNS0_10empty_typeEbEEZZNS1_14partition_implILS5_5ELb0ES3_mN6hipcub16HIPCUB_304000_NS21CountingInputIteratorIllEEPS6_NSA_22TransformInputIteratorIbN2at6native12_GLOBAL__N_19NonZeroOpIfEEPKflEENS0_5tupleIJPlS6_EEENSN_IJSD_SD_EEES6_PiJS6_EEE10hipError_tPvRmT3_T4_T5_T6_T7_T9_mT8_P12ihipStream_tbDpT10_ENKUlT_T0_E_clISt17integral_constantIbLb0EES1A_IbLb1EEEEDaS16_S17_EUlS16_E_NS1_11comp_targetILNS1_3genE0ELNS1_11target_archE4294967295ELNS1_3gpuE0ELNS1_3repE0EEENS1_30default_config_static_selectorELNS0_4arch9wavefront6targetE0EEEvT1_.kd
    .uniform_work_group_size: 1
    .uses_dynamic_stack: false
    .vgpr_count:     0
    .vgpr_spill_count: 0
    .wavefront_size: 32
    .workgroup_processor_mode: 1
  - .args:
      - .offset:         0
        .size:           136
        .value_kind:     by_value
    .group_segment_fixed_size: 0
    .kernarg_segment_align: 8
    .kernarg_segment_size: 136
    .language:       OpenCL C
    .language_version:
      - 2
      - 0
    .max_flat_workgroup_size: 512
    .name:           _ZN7rocprim17ROCPRIM_400000_NS6detail17trampoline_kernelINS0_14default_configENS1_25partition_config_selectorILNS1_17partition_subalgoE5ElNS0_10empty_typeEbEEZZNS1_14partition_implILS5_5ELb0ES3_mN6hipcub16HIPCUB_304000_NS21CountingInputIteratorIllEEPS6_NSA_22TransformInputIteratorIbN2at6native12_GLOBAL__N_19NonZeroOpIfEEPKflEENS0_5tupleIJPlS6_EEENSN_IJSD_SD_EEES6_PiJS6_EEE10hipError_tPvRmT3_T4_T5_T6_T7_T9_mT8_P12ihipStream_tbDpT10_ENKUlT_T0_E_clISt17integral_constantIbLb0EES1A_IbLb1EEEEDaS16_S17_EUlS16_E_NS1_11comp_targetILNS1_3genE5ELNS1_11target_archE942ELNS1_3gpuE9ELNS1_3repE0EEENS1_30default_config_static_selectorELNS0_4arch9wavefront6targetE0EEEvT1_
    .private_segment_fixed_size: 0
    .sgpr_count:     0
    .sgpr_spill_count: 0
    .symbol:         _ZN7rocprim17ROCPRIM_400000_NS6detail17trampoline_kernelINS0_14default_configENS1_25partition_config_selectorILNS1_17partition_subalgoE5ElNS0_10empty_typeEbEEZZNS1_14partition_implILS5_5ELb0ES3_mN6hipcub16HIPCUB_304000_NS21CountingInputIteratorIllEEPS6_NSA_22TransformInputIteratorIbN2at6native12_GLOBAL__N_19NonZeroOpIfEEPKflEENS0_5tupleIJPlS6_EEENSN_IJSD_SD_EEES6_PiJS6_EEE10hipError_tPvRmT3_T4_T5_T6_T7_T9_mT8_P12ihipStream_tbDpT10_ENKUlT_T0_E_clISt17integral_constantIbLb0EES1A_IbLb1EEEEDaS16_S17_EUlS16_E_NS1_11comp_targetILNS1_3genE5ELNS1_11target_archE942ELNS1_3gpuE9ELNS1_3repE0EEENS1_30default_config_static_selectorELNS0_4arch9wavefront6targetE0EEEvT1_.kd
    .uniform_work_group_size: 1
    .uses_dynamic_stack: false
    .vgpr_count:     0
    .vgpr_spill_count: 0
    .wavefront_size: 32
    .workgroup_processor_mode: 1
  - .args:
      - .offset:         0
        .size:           136
        .value_kind:     by_value
    .group_segment_fixed_size: 0
    .kernarg_segment_align: 8
    .kernarg_segment_size: 136
    .language:       OpenCL C
    .language_version:
      - 2
      - 0
    .max_flat_workgroup_size: 192
    .name:           _ZN7rocprim17ROCPRIM_400000_NS6detail17trampoline_kernelINS0_14default_configENS1_25partition_config_selectorILNS1_17partition_subalgoE5ElNS0_10empty_typeEbEEZZNS1_14partition_implILS5_5ELb0ES3_mN6hipcub16HIPCUB_304000_NS21CountingInputIteratorIllEEPS6_NSA_22TransformInputIteratorIbN2at6native12_GLOBAL__N_19NonZeroOpIfEEPKflEENS0_5tupleIJPlS6_EEENSN_IJSD_SD_EEES6_PiJS6_EEE10hipError_tPvRmT3_T4_T5_T6_T7_T9_mT8_P12ihipStream_tbDpT10_ENKUlT_T0_E_clISt17integral_constantIbLb0EES1A_IbLb1EEEEDaS16_S17_EUlS16_E_NS1_11comp_targetILNS1_3genE4ELNS1_11target_archE910ELNS1_3gpuE8ELNS1_3repE0EEENS1_30default_config_static_selectorELNS0_4arch9wavefront6targetE0EEEvT1_
    .private_segment_fixed_size: 0
    .sgpr_count:     0
    .sgpr_spill_count: 0
    .symbol:         _ZN7rocprim17ROCPRIM_400000_NS6detail17trampoline_kernelINS0_14default_configENS1_25partition_config_selectorILNS1_17partition_subalgoE5ElNS0_10empty_typeEbEEZZNS1_14partition_implILS5_5ELb0ES3_mN6hipcub16HIPCUB_304000_NS21CountingInputIteratorIllEEPS6_NSA_22TransformInputIteratorIbN2at6native12_GLOBAL__N_19NonZeroOpIfEEPKflEENS0_5tupleIJPlS6_EEENSN_IJSD_SD_EEES6_PiJS6_EEE10hipError_tPvRmT3_T4_T5_T6_T7_T9_mT8_P12ihipStream_tbDpT10_ENKUlT_T0_E_clISt17integral_constantIbLb0EES1A_IbLb1EEEEDaS16_S17_EUlS16_E_NS1_11comp_targetILNS1_3genE4ELNS1_11target_archE910ELNS1_3gpuE8ELNS1_3repE0EEENS1_30default_config_static_selectorELNS0_4arch9wavefront6targetE0EEEvT1_.kd
    .uniform_work_group_size: 1
    .uses_dynamic_stack: false
    .vgpr_count:     0
    .vgpr_spill_count: 0
    .wavefront_size: 32
    .workgroup_processor_mode: 1
  - .args:
      - .offset:         0
        .size:           136
        .value_kind:     by_value
    .group_segment_fixed_size: 0
    .kernarg_segment_align: 8
    .kernarg_segment_size: 136
    .language:       OpenCL C
    .language_version:
      - 2
      - 0
    .max_flat_workgroup_size: 128
    .name:           _ZN7rocprim17ROCPRIM_400000_NS6detail17trampoline_kernelINS0_14default_configENS1_25partition_config_selectorILNS1_17partition_subalgoE5ElNS0_10empty_typeEbEEZZNS1_14partition_implILS5_5ELb0ES3_mN6hipcub16HIPCUB_304000_NS21CountingInputIteratorIllEEPS6_NSA_22TransformInputIteratorIbN2at6native12_GLOBAL__N_19NonZeroOpIfEEPKflEENS0_5tupleIJPlS6_EEENSN_IJSD_SD_EEES6_PiJS6_EEE10hipError_tPvRmT3_T4_T5_T6_T7_T9_mT8_P12ihipStream_tbDpT10_ENKUlT_T0_E_clISt17integral_constantIbLb0EES1A_IbLb1EEEEDaS16_S17_EUlS16_E_NS1_11comp_targetILNS1_3genE3ELNS1_11target_archE908ELNS1_3gpuE7ELNS1_3repE0EEENS1_30default_config_static_selectorELNS0_4arch9wavefront6targetE0EEEvT1_
    .private_segment_fixed_size: 0
    .sgpr_count:     0
    .sgpr_spill_count: 0
    .symbol:         _ZN7rocprim17ROCPRIM_400000_NS6detail17trampoline_kernelINS0_14default_configENS1_25partition_config_selectorILNS1_17partition_subalgoE5ElNS0_10empty_typeEbEEZZNS1_14partition_implILS5_5ELb0ES3_mN6hipcub16HIPCUB_304000_NS21CountingInputIteratorIllEEPS6_NSA_22TransformInputIteratorIbN2at6native12_GLOBAL__N_19NonZeroOpIfEEPKflEENS0_5tupleIJPlS6_EEENSN_IJSD_SD_EEES6_PiJS6_EEE10hipError_tPvRmT3_T4_T5_T6_T7_T9_mT8_P12ihipStream_tbDpT10_ENKUlT_T0_E_clISt17integral_constantIbLb0EES1A_IbLb1EEEEDaS16_S17_EUlS16_E_NS1_11comp_targetILNS1_3genE3ELNS1_11target_archE908ELNS1_3gpuE7ELNS1_3repE0EEENS1_30default_config_static_selectorELNS0_4arch9wavefront6targetE0EEEvT1_.kd
    .uniform_work_group_size: 1
    .uses_dynamic_stack: false
    .vgpr_count:     0
    .vgpr_spill_count: 0
    .wavefront_size: 32
    .workgroup_processor_mode: 1
  - .args:
      - .offset:         0
        .size:           136
        .value_kind:     by_value
    .group_segment_fixed_size: 0
    .kernarg_segment_align: 8
    .kernarg_segment_size: 136
    .language:       OpenCL C
    .language_version:
      - 2
      - 0
    .max_flat_workgroup_size: 256
    .name:           _ZN7rocprim17ROCPRIM_400000_NS6detail17trampoline_kernelINS0_14default_configENS1_25partition_config_selectorILNS1_17partition_subalgoE5ElNS0_10empty_typeEbEEZZNS1_14partition_implILS5_5ELb0ES3_mN6hipcub16HIPCUB_304000_NS21CountingInputIteratorIllEEPS6_NSA_22TransformInputIteratorIbN2at6native12_GLOBAL__N_19NonZeroOpIfEEPKflEENS0_5tupleIJPlS6_EEENSN_IJSD_SD_EEES6_PiJS6_EEE10hipError_tPvRmT3_T4_T5_T6_T7_T9_mT8_P12ihipStream_tbDpT10_ENKUlT_T0_E_clISt17integral_constantIbLb0EES1A_IbLb1EEEEDaS16_S17_EUlS16_E_NS1_11comp_targetILNS1_3genE2ELNS1_11target_archE906ELNS1_3gpuE6ELNS1_3repE0EEENS1_30default_config_static_selectorELNS0_4arch9wavefront6targetE0EEEvT1_
    .private_segment_fixed_size: 0
    .sgpr_count:     0
    .sgpr_spill_count: 0
    .symbol:         _ZN7rocprim17ROCPRIM_400000_NS6detail17trampoline_kernelINS0_14default_configENS1_25partition_config_selectorILNS1_17partition_subalgoE5ElNS0_10empty_typeEbEEZZNS1_14partition_implILS5_5ELb0ES3_mN6hipcub16HIPCUB_304000_NS21CountingInputIteratorIllEEPS6_NSA_22TransformInputIteratorIbN2at6native12_GLOBAL__N_19NonZeroOpIfEEPKflEENS0_5tupleIJPlS6_EEENSN_IJSD_SD_EEES6_PiJS6_EEE10hipError_tPvRmT3_T4_T5_T6_T7_T9_mT8_P12ihipStream_tbDpT10_ENKUlT_T0_E_clISt17integral_constantIbLb0EES1A_IbLb1EEEEDaS16_S17_EUlS16_E_NS1_11comp_targetILNS1_3genE2ELNS1_11target_archE906ELNS1_3gpuE6ELNS1_3repE0EEENS1_30default_config_static_selectorELNS0_4arch9wavefront6targetE0EEEvT1_.kd
    .uniform_work_group_size: 1
    .uses_dynamic_stack: false
    .vgpr_count:     0
    .vgpr_spill_count: 0
    .wavefront_size: 32
    .workgroup_processor_mode: 1
  - .args:
      - .offset:         0
        .size:           136
        .value_kind:     by_value
    .group_segment_fixed_size: 0
    .kernarg_segment_align: 8
    .kernarg_segment_size: 136
    .language:       OpenCL C
    .language_version:
      - 2
      - 0
    .max_flat_workgroup_size: 256
    .name:           _ZN7rocprim17ROCPRIM_400000_NS6detail17trampoline_kernelINS0_14default_configENS1_25partition_config_selectorILNS1_17partition_subalgoE5ElNS0_10empty_typeEbEEZZNS1_14partition_implILS5_5ELb0ES3_mN6hipcub16HIPCUB_304000_NS21CountingInputIteratorIllEEPS6_NSA_22TransformInputIteratorIbN2at6native12_GLOBAL__N_19NonZeroOpIfEEPKflEENS0_5tupleIJPlS6_EEENSN_IJSD_SD_EEES6_PiJS6_EEE10hipError_tPvRmT3_T4_T5_T6_T7_T9_mT8_P12ihipStream_tbDpT10_ENKUlT_T0_E_clISt17integral_constantIbLb0EES1A_IbLb1EEEEDaS16_S17_EUlS16_E_NS1_11comp_targetILNS1_3genE10ELNS1_11target_archE1200ELNS1_3gpuE4ELNS1_3repE0EEENS1_30default_config_static_selectorELNS0_4arch9wavefront6targetE0EEEvT1_
    .private_segment_fixed_size: 0
    .sgpr_count:     0
    .sgpr_spill_count: 0
    .symbol:         _ZN7rocprim17ROCPRIM_400000_NS6detail17trampoline_kernelINS0_14default_configENS1_25partition_config_selectorILNS1_17partition_subalgoE5ElNS0_10empty_typeEbEEZZNS1_14partition_implILS5_5ELb0ES3_mN6hipcub16HIPCUB_304000_NS21CountingInputIteratorIllEEPS6_NSA_22TransformInputIteratorIbN2at6native12_GLOBAL__N_19NonZeroOpIfEEPKflEENS0_5tupleIJPlS6_EEENSN_IJSD_SD_EEES6_PiJS6_EEE10hipError_tPvRmT3_T4_T5_T6_T7_T9_mT8_P12ihipStream_tbDpT10_ENKUlT_T0_E_clISt17integral_constantIbLb0EES1A_IbLb1EEEEDaS16_S17_EUlS16_E_NS1_11comp_targetILNS1_3genE10ELNS1_11target_archE1200ELNS1_3gpuE4ELNS1_3repE0EEENS1_30default_config_static_selectorELNS0_4arch9wavefront6targetE0EEEvT1_.kd
    .uniform_work_group_size: 1
    .uses_dynamic_stack: false
    .vgpr_count:     0
    .vgpr_spill_count: 0
    .wavefront_size: 32
    .workgroup_processor_mode: 1
  - .args:
      - .offset:         0
        .size:           136
        .value_kind:     by_value
    .group_segment_fixed_size: 6160
    .kernarg_segment_align: 8
    .kernarg_segment_size: 136
    .language:       OpenCL C
    .language_version:
      - 2
      - 0
    .max_flat_workgroup_size: 128
    .name:           _ZN7rocprim17ROCPRIM_400000_NS6detail17trampoline_kernelINS0_14default_configENS1_25partition_config_selectorILNS1_17partition_subalgoE5ElNS0_10empty_typeEbEEZZNS1_14partition_implILS5_5ELb0ES3_mN6hipcub16HIPCUB_304000_NS21CountingInputIteratorIllEEPS6_NSA_22TransformInputIteratorIbN2at6native12_GLOBAL__N_19NonZeroOpIfEEPKflEENS0_5tupleIJPlS6_EEENSN_IJSD_SD_EEES6_PiJS6_EEE10hipError_tPvRmT3_T4_T5_T6_T7_T9_mT8_P12ihipStream_tbDpT10_ENKUlT_T0_E_clISt17integral_constantIbLb0EES1A_IbLb1EEEEDaS16_S17_EUlS16_E_NS1_11comp_targetILNS1_3genE9ELNS1_11target_archE1100ELNS1_3gpuE3ELNS1_3repE0EEENS1_30default_config_static_selectorELNS0_4arch9wavefront6targetE0EEEvT1_
    .private_segment_fixed_size: 0
    .sgpr_count:     26
    .sgpr_spill_count: 0
    .symbol:         _ZN7rocprim17ROCPRIM_400000_NS6detail17trampoline_kernelINS0_14default_configENS1_25partition_config_selectorILNS1_17partition_subalgoE5ElNS0_10empty_typeEbEEZZNS1_14partition_implILS5_5ELb0ES3_mN6hipcub16HIPCUB_304000_NS21CountingInputIteratorIllEEPS6_NSA_22TransformInputIteratorIbN2at6native12_GLOBAL__N_19NonZeroOpIfEEPKflEENS0_5tupleIJPlS6_EEENSN_IJSD_SD_EEES6_PiJS6_EEE10hipError_tPvRmT3_T4_T5_T6_T7_T9_mT8_P12ihipStream_tbDpT10_ENKUlT_T0_E_clISt17integral_constantIbLb0EES1A_IbLb1EEEEDaS16_S17_EUlS16_E_NS1_11comp_targetILNS1_3genE9ELNS1_11target_archE1100ELNS1_3gpuE3ELNS1_3repE0EEENS1_30default_config_static_selectorELNS0_4arch9wavefront6targetE0EEEvT1_.kd
    .uniform_work_group_size: 1
    .uses_dynamic_stack: false
    .vgpr_count:     57
    .vgpr_spill_count: 0
    .wavefront_size: 32
    .workgroup_processor_mode: 1
  - .args:
      - .offset:         0
        .size:           136
        .value_kind:     by_value
    .group_segment_fixed_size: 0
    .kernarg_segment_align: 8
    .kernarg_segment_size: 136
    .language:       OpenCL C
    .language_version:
      - 2
      - 0
    .max_flat_workgroup_size: 512
    .name:           _ZN7rocprim17ROCPRIM_400000_NS6detail17trampoline_kernelINS0_14default_configENS1_25partition_config_selectorILNS1_17partition_subalgoE5ElNS0_10empty_typeEbEEZZNS1_14partition_implILS5_5ELb0ES3_mN6hipcub16HIPCUB_304000_NS21CountingInputIteratorIllEEPS6_NSA_22TransformInputIteratorIbN2at6native12_GLOBAL__N_19NonZeroOpIfEEPKflEENS0_5tupleIJPlS6_EEENSN_IJSD_SD_EEES6_PiJS6_EEE10hipError_tPvRmT3_T4_T5_T6_T7_T9_mT8_P12ihipStream_tbDpT10_ENKUlT_T0_E_clISt17integral_constantIbLb0EES1A_IbLb1EEEEDaS16_S17_EUlS16_E_NS1_11comp_targetILNS1_3genE8ELNS1_11target_archE1030ELNS1_3gpuE2ELNS1_3repE0EEENS1_30default_config_static_selectorELNS0_4arch9wavefront6targetE0EEEvT1_
    .private_segment_fixed_size: 0
    .sgpr_count:     0
    .sgpr_spill_count: 0
    .symbol:         _ZN7rocprim17ROCPRIM_400000_NS6detail17trampoline_kernelINS0_14default_configENS1_25partition_config_selectorILNS1_17partition_subalgoE5ElNS0_10empty_typeEbEEZZNS1_14partition_implILS5_5ELb0ES3_mN6hipcub16HIPCUB_304000_NS21CountingInputIteratorIllEEPS6_NSA_22TransformInputIteratorIbN2at6native12_GLOBAL__N_19NonZeroOpIfEEPKflEENS0_5tupleIJPlS6_EEENSN_IJSD_SD_EEES6_PiJS6_EEE10hipError_tPvRmT3_T4_T5_T6_T7_T9_mT8_P12ihipStream_tbDpT10_ENKUlT_T0_E_clISt17integral_constantIbLb0EES1A_IbLb1EEEEDaS16_S17_EUlS16_E_NS1_11comp_targetILNS1_3genE8ELNS1_11target_archE1030ELNS1_3gpuE2ELNS1_3repE0EEENS1_30default_config_static_selectorELNS0_4arch9wavefront6targetE0EEEvT1_.kd
    .uniform_work_group_size: 1
    .uses_dynamic_stack: false
    .vgpr_count:     0
    .vgpr_spill_count: 0
    .wavefront_size: 32
    .workgroup_processor_mode: 1
  - .args:
      - .offset:         0
        .size:           56
        .value_kind:     by_value
    .group_segment_fixed_size: 0
    .kernarg_segment_align: 8
    .kernarg_segment_size: 56
    .language:       OpenCL C
    .language_version:
      - 2
      - 0
    .max_flat_workgroup_size: 256
    .name:           _ZN7rocprim17ROCPRIM_400000_NS6detail17trampoline_kernelINS0_14default_configENS1_22reduce_config_selectorIiEEZNS1_11reduce_implILb1ES3_PiS7_iN6hipcub16HIPCUB_304000_NS6detail34convert_binary_result_type_wrapperINS9_3SumENS9_22TransformInputIteratorIbN2at6native12_GLOBAL__N_19NonZeroOpIN3c107complexIdEEEEPKSK_lEEiEEEE10hipError_tPvRmT1_T2_T3_mT4_P12ihipStream_tbEUlT_E0_NS1_11comp_targetILNS1_3genE0ELNS1_11target_archE4294967295ELNS1_3gpuE0ELNS1_3repE0EEENS1_30default_config_static_selectorELNS0_4arch9wavefront6targetE0EEEvST_
    .private_segment_fixed_size: 0
    .sgpr_count:     0
    .sgpr_spill_count: 0
    .symbol:         _ZN7rocprim17ROCPRIM_400000_NS6detail17trampoline_kernelINS0_14default_configENS1_22reduce_config_selectorIiEEZNS1_11reduce_implILb1ES3_PiS7_iN6hipcub16HIPCUB_304000_NS6detail34convert_binary_result_type_wrapperINS9_3SumENS9_22TransformInputIteratorIbN2at6native12_GLOBAL__N_19NonZeroOpIN3c107complexIdEEEEPKSK_lEEiEEEE10hipError_tPvRmT1_T2_T3_mT4_P12ihipStream_tbEUlT_E0_NS1_11comp_targetILNS1_3genE0ELNS1_11target_archE4294967295ELNS1_3gpuE0ELNS1_3repE0EEENS1_30default_config_static_selectorELNS0_4arch9wavefront6targetE0EEEvST_.kd
    .uniform_work_group_size: 1
    .uses_dynamic_stack: false
    .vgpr_count:     0
    .vgpr_spill_count: 0
    .wavefront_size: 32
    .workgroup_processor_mode: 1
  - .args:
      - .offset:         0
        .size:           56
        .value_kind:     by_value
    .group_segment_fixed_size: 0
    .kernarg_segment_align: 8
    .kernarg_segment_size: 56
    .language:       OpenCL C
    .language_version:
      - 2
      - 0
    .max_flat_workgroup_size: 256
    .name:           _ZN7rocprim17ROCPRIM_400000_NS6detail17trampoline_kernelINS0_14default_configENS1_22reduce_config_selectorIiEEZNS1_11reduce_implILb1ES3_PiS7_iN6hipcub16HIPCUB_304000_NS6detail34convert_binary_result_type_wrapperINS9_3SumENS9_22TransformInputIteratorIbN2at6native12_GLOBAL__N_19NonZeroOpIN3c107complexIdEEEEPKSK_lEEiEEEE10hipError_tPvRmT1_T2_T3_mT4_P12ihipStream_tbEUlT_E0_NS1_11comp_targetILNS1_3genE5ELNS1_11target_archE942ELNS1_3gpuE9ELNS1_3repE0EEENS1_30default_config_static_selectorELNS0_4arch9wavefront6targetE0EEEvST_
    .private_segment_fixed_size: 0
    .sgpr_count:     0
    .sgpr_spill_count: 0
    .symbol:         _ZN7rocprim17ROCPRIM_400000_NS6detail17trampoline_kernelINS0_14default_configENS1_22reduce_config_selectorIiEEZNS1_11reduce_implILb1ES3_PiS7_iN6hipcub16HIPCUB_304000_NS6detail34convert_binary_result_type_wrapperINS9_3SumENS9_22TransformInputIteratorIbN2at6native12_GLOBAL__N_19NonZeroOpIN3c107complexIdEEEEPKSK_lEEiEEEE10hipError_tPvRmT1_T2_T3_mT4_P12ihipStream_tbEUlT_E0_NS1_11comp_targetILNS1_3genE5ELNS1_11target_archE942ELNS1_3gpuE9ELNS1_3repE0EEENS1_30default_config_static_selectorELNS0_4arch9wavefront6targetE0EEEvST_.kd
    .uniform_work_group_size: 1
    .uses_dynamic_stack: false
    .vgpr_count:     0
    .vgpr_spill_count: 0
    .wavefront_size: 32
    .workgroup_processor_mode: 1
  - .args:
      - .offset:         0
        .size:           56
        .value_kind:     by_value
    .group_segment_fixed_size: 0
    .kernarg_segment_align: 8
    .kernarg_segment_size: 56
    .language:       OpenCL C
    .language_version:
      - 2
      - 0
    .max_flat_workgroup_size: 128
    .name:           _ZN7rocprim17ROCPRIM_400000_NS6detail17trampoline_kernelINS0_14default_configENS1_22reduce_config_selectorIiEEZNS1_11reduce_implILb1ES3_PiS7_iN6hipcub16HIPCUB_304000_NS6detail34convert_binary_result_type_wrapperINS9_3SumENS9_22TransformInputIteratorIbN2at6native12_GLOBAL__N_19NonZeroOpIN3c107complexIdEEEEPKSK_lEEiEEEE10hipError_tPvRmT1_T2_T3_mT4_P12ihipStream_tbEUlT_E0_NS1_11comp_targetILNS1_3genE4ELNS1_11target_archE910ELNS1_3gpuE8ELNS1_3repE0EEENS1_30default_config_static_selectorELNS0_4arch9wavefront6targetE0EEEvST_
    .private_segment_fixed_size: 0
    .sgpr_count:     0
    .sgpr_spill_count: 0
    .symbol:         _ZN7rocprim17ROCPRIM_400000_NS6detail17trampoline_kernelINS0_14default_configENS1_22reduce_config_selectorIiEEZNS1_11reduce_implILb1ES3_PiS7_iN6hipcub16HIPCUB_304000_NS6detail34convert_binary_result_type_wrapperINS9_3SumENS9_22TransformInputIteratorIbN2at6native12_GLOBAL__N_19NonZeroOpIN3c107complexIdEEEEPKSK_lEEiEEEE10hipError_tPvRmT1_T2_T3_mT4_P12ihipStream_tbEUlT_E0_NS1_11comp_targetILNS1_3genE4ELNS1_11target_archE910ELNS1_3gpuE8ELNS1_3repE0EEENS1_30default_config_static_selectorELNS0_4arch9wavefront6targetE0EEEvST_.kd
    .uniform_work_group_size: 1
    .uses_dynamic_stack: false
    .vgpr_count:     0
    .vgpr_spill_count: 0
    .wavefront_size: 32
    .workgroup_processor_mode: 1
  - .args:
      - .offset:         0
        .size:           56
        .value_kind:     by_value
    .group_segment_fixed_size: 0
    .kernarg_segment_align: 8
    .kernarg_segment_size: 56
    .language:       OpenCL C
    .language_version:
      - 2
      - 0
    .max_flat_workgroup_size: 256
    .name:           _ZN7rocprim17ROCPRIM_400000_NS6detail17trampoline_kernelINS0_14default_configENS1_22reduce_config_selectorIiEEZNS1_11reduce_implILb1ES3_PiS7_iN6hipcub16HIPCUB_304000_NS6detail34convert_binary_result_type_wrapperINS9_3SumENS9_22TransformInputIteratorIbN2at6native12_GLOBAL__N_19NonZeroOpIN3c107complexIdEEEEPKSK_lEEiEEEE10hipError_tPvRmT1_T2_T3_mT4_P12ihipStream_tbEUlT_E0_NS1_11comp_targetILNS1_3genE3ELNS1_11target_archE908ELNS1_3gpuE7ELNS1_3repE0EEENS1_30default_config_static_selectorELNS0_4arch9wavefront6targetE0EEEvST_
    .private_segment_fixed_size: 0
    .sgpr_count:     0
    .sgpr_spill_count: 0
    .symbol:         _ZN7rocprim17ROCPRIM_400000_NS6detail17trampoline_kernelINS0_14default_configENS1_22reduce_config_selectorIiEEZNS1_11reduce_implILb1ES3_PiS7_iN6hipcub16HIPCUB_304000_NS6detail34convert_binary_result_type_wrapperINS9_3SumENS9_22TransformInputIteratorIbN2at6native12_GLOBAL__N_19NonZeroOpIN3c107complexIdEEEEPKSK_lEEiEEEE10hipError_tPvRmT1_T2_T3_mT4_P12ihipStream_tbEUlT_E0_NS1_11comp_targetILNS1_3genE3ELNS1_11target_archE908ELNS1_3gpuE7ELNS1_3repE0EEENS1_30default_config_static_selectorELNS0_4arch9wavefront6targetE0EEEvST_.kd
    .uniform_work_group_size: 1
    .uses_dynamic_stack: false
    .vgpr_count:     0
    .vgpr_spill_count: 0
    .wavefront_size: 32
    .workgroup_processor_mode: 1
  - .args:
      - .offset:         0
        .size:           56
        .value_kind:     by_value
    .group_segment_fixed_size: 0
    .kernarg_segment_align: 8
    .kernarg_segment_size: 56
    .language:       OpenCL C
    .language_version:
      - 2
      - 0
    .max_flat_workgroup_size: 256
    .name:           _ZN7rocprim17ROCPRIM_400000_NS6detail17trampoline_kernelINS0_14default_configENS1_22reduce_config_selectorIiEEZNS1_11reduce_implILb1ES3_PiS7_iN6hipcub16HIPCUB_304000_NS6detail34convert_binary_result_type_wrapperINS9_3SumENS9_22TransformInputIteratorIbN2at6native12_GLOBAL__N_19NonZeroOpIN3c107complexIdEEEEPKSK_lEEiEEEE10hipError_tPvRmT1_T2_T3_mT4_P12ihipStream_tbEUlT_E0_NS1_11comp_targetILNS1_3genE2ELNS1_11target_archE906ELNS1_3gpuE6ELNS1_3repE0EEENS1_30default_config_static_selectorELNS0_4arch9wavefront6targetE0EEEvST_
    .private_segment_fixed_size: 0
    .sgpr_count:     0
    .sgpr_spill_count: 0
    .symbol:         _ZN7rocprim17ROCPRIM_400000_NS6detail17trampoline_kernelINS0_14default_configENS1_22reduce_config_selectorIiEEZNS1_11reduce_implILb1ES3_PiS7_iN6hipcub16HIPCUB_304000_NS6detail34convert_binary_result_type_wrapperINS9_3SumENS9_22TransformInputIteratorIbN2at6native12_GLOBAL__N_19NonZeroOpIN3c107complexIdEEEEPKSK_lEEiEEEE10hipError_tPvRmT1_T2_T3_mT4_P12ihipStream_tbEUlT_E0_NS1_11comp_targetILNS1_3genE2ELNS1_11target_archE906ELNS1_3gpuE6ELNS1_3repE0EEENS1_30default_config_static_selectorELNS0_4arch9wavefront6targetE0EEEvST_.kd
    .uniform_work_group_size: 1
    .uses_dynamic_stack: false
    .vgpr_count:     0
    .vgpr_spill_count: 0
    .wavefront_size: 32
    .workgroup_processor_mode: 1
  - .args:
      - .offset:         0
        .size:           56
        .value_kind:     by_value
    .group_segment_fixed_size: 0
    .kernarg_segment_align: 8
    .kernarg_segment_size: 56
    .language:       OpenCL C
    .language_version:
      - 2
      - 0
    .max_flat_workgroup_size: 256
    .name:           _ZN7rocprim17ROCPRIM_400000_NS6detail17trampoline_kernelINS0_14default_configENS1_22reduce_config_selectorIiEEZNS1_11reduce_implILb1ES3_PiS7_iN6hipcub16HIPCUB_304000_NS6detail34convert_binary_result_type_wrapperINS9_3SumENS9_22TransformInputIteratorIbN2at6native12_GLOBAL__N_19NonZeroOpIN3c107complexIdEEEEPKSK_lEEiEEEE10hipError_tPvRmT1_T2_T3_mT4_P12ihipStream_tbEUlT_E0_NS1_11comp_targetILNS1_3genE10ELNS1_11target_archE1201ELNS1_3gpuE5ELNS1_3repE0EEENS1_30default_config_static_selectorELNS0_4arch9wavefront6targetE0EEEvST_
    .private_segment_fixed_size: 0
    .sgpr_count:     0
    .sgpr_spill_count: 0
    .symbol:         _ZN7rocprim17ROCPRIM_400000_NS6detail17trampoline_kernelINS0_14default_configENS1_22reduce_config_selectorIiEEZNS1_11reduce_implILb1ES3_PiS7_iN6hipcub16HIPCUB_304000_NS6detail34convert_binary_result_type_wrapperINS9_3SumENS9_22TransformInputIteratorIbN2at6native12_GLOBAL__N_19NonZeroOpIN3c107complexIdEEEEPKSK_lEEiEEEE10hipError_tPvRmT1_T2_T3_mT4_P12ihipStream_tbEUlT_E0_NS1_11comp_targetILNS1_3genE10ELNS1_11target_archE1201ELNS1_3gpuE5ELNS1_3repE0EEENS1_30default_config_static_selectorELNS0_4arch9wavefront6targetE0EEEvST_.kd
    .uniform_work_group_size: 1
    .uses_dynamic_stack: false
    .vgpr_count:     0
    .vgpr_spill_count: 0
    .wavefront_size: 32
    .workgroup_processor_mode: 1
  - .args:
      - .offset:         0
        .size:           56
        .value_kind:     by_value
    .group_segment_fixed_size: 0
    .kernarg_segment_align: 8
    .kernarg_segment_size: 56
    .language:       OpenCL C
    .language_version:
      - 2
      - 0
    .max_flat_workgroup_size: 256
    .name:           _ZN7rocprim17ROCPRIM_400000_NS6detail17trampoline_kernelINS0_14default_configENS1_22reduce_config_selectorIiEEZNS1_11reduce_implILb1ES3_PiS7_iN6hipcub16HIPCUB_304000_NS6detail34convert_binary_result_type_wrapperINS9_3SumENS9_22TransformInputIteratorIbN2at6native12_GLOBAL__N_19NonZeroOpIN3c107complexIdEEEEPKSK_lEEiEEEE10hipError_tPvRmT1_T2_T3_mT4_P12ihipStream_tbEUlT_E0_NS1_11comp_targetILNS1_3genE10ELNS1_11target_archE1200ELNS1_3gpuE4ELNS1_3repE0EEENS1_30default_config_static_selectorELNS0_4arch9wavefront6targetE0EEEvST_
    .private_segment_fixed_size: 0
    .sgpr_count:     0
    .sgpr_spill_count: 0
    .symbol:         _ZN7rocprim17ROCPRIM_400000_NS6detail17trampoline_kernelINS0_14default_configENS1_22reduce_config_selectorIiEEZNS1_11reduce_implILb1ES3_PiS7_iN6hipcub16HIPCUB_304000_NS6detail34convert_binary_result_type_wrapperINS9_3SumENS9_22TransformInputIteratorIbN2at6native12_GLOBAL__N_19NonZeroOpIN3c107complexIdEEEEPKSK_lEEiEEEE10hipError_tPvRmT1_T2_T3_mT4_P12ihipStream_tbEUlT_E0_NS1_11comp_targetILNS1_3genE10ELNS1_11target_archE1200ELNS1_3gpuE4ELNS1_3repE0EEENS1_30default_config_static_selectorELNS0_4arch9wavefront6targetE0EEEvST_.kd
    .uniform_work_group_size: 1
    .uses_dynamic_stack: false
    .vgpr_count:     0
    .vgpr_spill_count: 0
    .wavefront_size: 32
    .workgroup_processor_mode: 1
  - .args:
      - .offset:         0
        .size:           56
        .value_kind:     by_value
    .group_segment_fixed_size: 64
    .kernarg_segment_align: 8
    .kernarg_segment_size: 56
    .language:       OpenCL C
    .language_version:
      - 2
      - 0
    .max_flat_workgroup_size: 256
    .name:           _ZN7rocprim17ROCPRIM_400000_NS6detail17trampoline_kernelINS0_14default_configENS1_22reduce_config_selectorIiEEZNS1_11reduce_implILb1ES3_PiS7_iN6hipcub16HIPCUB_304000_NS6detail34convert_binary_result_type_wrapperINS9_3SumENS9_22TransformInputIteratorIbN2at6native12_GLOBAL__N_19NonZeroOpIN3c107complexIdEEEEPKSK_lEEiEEEE10hipError_tPvRmT1_T2_T3_mT4_P12ihipStream_tbEUlT_E0_NS1_11comp_targetILNS1_3genE9ELNS1_11target_archE1100ELNS1_3gpuE3ELNS1_3repE0EEENS1_30default_config_static_selectorELNS0_4arch9wavefront6targetE0EEEvST_
    .private_segment_fixed_size: 0
    .sgpr_count:     24
    .sgpr_spill_count: 0
    .symbol:         _ZN7rocprim17ROCPRIM_400000_NS6detail17trampoline_kernelINS0_14default_configENS1_22reduce_config_selectorIiEEZNS1_11reduce_implILb1ES3_PiS7_iN6hipcub16HIPCUB_304000_NS6detail34convert_binary_result_type_wrapperINS9_3SumENS9_22TransformInputIteratorIbN2at6native12_GLOBAL__N_19NonZeroOpIN3c107complexIdEEEEPKSK_lEEiEEEE10hipError_tPvRmT1_T2_T3_mT4_P12ihipStream_tbEUlT_E0_NS1_11comp_targetILNS1_3genE9ELNS1_11target_archE1100ELNS1_3gpuE3ELNS1_3repE0EEENS1_30default_config_static_selectorELNS0_4arch9wavefront6targetE0EEEvST_.kd
    .uniform_work_group_size: 1
    .uses_dynamic_stack: false
    .vgpr_count:     12
    .vgpr_spill_count: 0
    .wavefront_size: 32
    .workgroup_processor_mode: 1
  - .args:
      - .offset:         0
        .size:           56
        .value_kind:     by_value
    .group_segment_fixed_size: 0
    .kernarg_segment_align: 8
    .kernarg_segment_size: 56
    .language:       OpenCL C
    .language_version:
      - 2
      - 0
    .max_flat_workgroup_size: 256
    .name:           _ZN7rocprim17ROCPRIM_400000_NS6detail17trampoline_kernelINS0_14default_configENS1_22reduce_config_selectorIiEEZNS1_11reduce_implILb1ES3_PiS7_iN6hipcub16HIPCUB_304000_NS6detail34convert_binary_result_type_wrapperINS9_3SumENS9_22TransformInputIteratorIbN2at6native12_GLOBAL__N_19NonZeroOpIN3c107complexIdEEEEPKSK_lEEiEEEE10hipError_tPvRmT1_T2_T3_mT4_P12ihipStream_tbEUlT_E0_NS1_11comp_targetILNS1_3genE8ELNS1_11target_archE1030ELNS1_3gpuE2ELNS1_3repE0EEENS1_30default_config_static_selectorELNS0_4arch9wavefront6targetE0EEEvST_
    .private_segment_fixed_size: 0
    .sgpr_count:     0
    .sgpr_spill_count: 0
    .symbol:         _ZN7rocprim17ROCPRIM_400000_NS6detail17trampoline_kernelINS0_14default_configENS1_22reduce_config_selectorIiEEZNS1_11reduce_implILb1ES3_PiS7_iN6hipcub16HIPCUB_304000_NS6detail34convert_binary_result_type_wrapperINS9_3SumENS9_22TransformInputIteratorIbN2at6native12_GLOBAL__N_19NonZeroOpIN3c107complexIdEEEEPKSK_lEEiEEEE10hipError_tPvRmT1_T2_T3_mT4_P12ihipStream_tbEUlT_E0_NS1_11comp_targetILNS1_3genE8ELNS1_11target_archE1030ELNS1_3gpuE2ELNS1_3repE0EEENS1_30default_config_static_selectorELNS0_4arch9wavefront6targetE0EEEvST_.kd
    .uniform_work_group_size: 1
    .uses_dynamic_stack: false
    .vgpr_count:     0
    .vgpr_spill_count: 0
    .wavefront_size: 32
    .workgroup_processor_mode: 1
  - .args:
      - .offset:         0
        .size:           40
        .value_kind:     by_value
    .group_segment_fixed_size: 0
    .kernarg_segment_align: 8
    .kernarg_segment_size: 40
    .language:       OpenCL C
    .language_version:
      - 2
      - 0
    .max_flat_workgroup_size: 256
    .name:           _ZN7rocprim17ROCPRIM_400000_NS6detail17trampoline_kernelINS0_14default_configENS1_22reduce_config_selectorIiEEZNS1_11reduce_implILb1ES3_PiS7_iN6hipcub16HIPCUB_304000_NS6detail34convert_binary_result_type_wrapperINS9_3SumENS9_22TransformInputIteratorIbN2at6native12_GLOBAL__N_19NonZeroOpIN3c107complexIdEEEEPKSK_lEEiEEEE10hipError_tPvRmT1_T2_T3_mT4_P12ihipStream_tbEUlT_E1_NS1_11comp_targetILNS1_3genE0ELNS1_11target_archE4294967295ELNS1_3gpuE0ELNS1_3repE0EEENS1_30default_config_static_selectorELNS0_4arch9wavefront6targetE0EEEvST_
    .private_segment_fixed_size: 0
    .sgpr_count:     0
    .sgpr_spill_count: 0
    .symbol:         _ZN7rocprim17ROCPRIM_400000_NS6detail17trampoline_kernelINS0_14default_configENS1_22reduce_config_selectorIiEEZNS1_11reduce_implILb1ES3_PiS7_iN6hipcub16HIPCUB_304000_NS6detail34convert_binary_result_type_wrapperINS9_3SumENS9_22TransformInputIteratorIbN2at6native12_GLOBAL__N_19NonZeroOpIN3c107complexIdEEEEPKSK_lEEiEEEE10hipError_tPvRmT1_T2_T3_mT4_P12ihipStream_tbEUlT_E1_NS1_11comp_targetILNS1_3genE0ELNS1_11target_archE4294967295ELNS1_3gpuE0ELNS1_3repE0EEENS1_30default_config_static_selectorELNS0_4arch9wavefront6targetE0EEEvST_.kd
    .uniform_work_group_size: 1
    .uses_dynamic_stack: false
    .vgpr_count:     0
    .vgpr_spill_count: 0
    .wavefront_size: 32
    .workgroup_processor_mode: 1
  - .args:
      - .offset:         0
        .size:           40
        .value_kind:     by_value
    .group_segment_fixed_size: 0
    .kernarg_segment_align: 8
    .kernarg_segment_size: 40
    .language:       OpenCL C
    .language_version:
      - 2
      - 0
    .max_flat_workgroup_size: 256
    .name:           _ZN7rocprim17ROCPRIM_400000_NS6detail17trampoline_kernelINS0_14default_configENS1_22reduce_config_selectorIiEEZNS1_11reduce_implILb1ES3_PiS7_iN6hipcub16HIPCUB_304000_NS6detail34convert_binary_result_type_wrapperINS9_3SumENS9_22TransformInputIteratorIbN2at6native12_GLOBAL__N_19NonZeroOpIN3c107complexIdEEEEPKSK_lEEiEEEE10hipError_tPvRmT1_T2_T3_mT4_P12ihipStream_tbEUlT_E1_NS1_11comp_targetILNS1_3genE5ELNS1_11target_archE942ELNS1_3gpuE9ELNS1_3repE0EEENS1_30default_config_static_selectorELNS0_4arch9wavefront6targetE0EEEvST_
    .private_segment_fixed_size: 0
    .sgpr_count:     0
    .sgpr_spill_count: 0
    .symbol:         _ZN7rocprim17ROCPRIM_400000_NS6detail17trampoline_kernelINS0_14default_configENS1_22reduce_config_selectorIiEEZNS1_11reduce_implILb1ES3_PiS7_iN6hipcub16HIPCUB_304000_NS6detail34convert_binary_result_type_wrapperINS9_3SumENS9_22TransformInputIteratorIbN2at6native12_GLOBAL__N_19NonZeroOpIN3c107complexIdEEEEPKSK_lEEiEEEE10hipError_tPvRmT1_T2_T3_mT4_P12ihipStream_tbEUlT_E1_NS1_11comp_targetILNS1_3genE5ELNS1_11target_archE942ELNS1_3gpuE9ELNS1_3repE0EEENS1_30default_config_static_selectorELNS0_4arch9wavefront6targetE0EEEvST_.kd
    .uniform_work_group_size: 1
    .uses_dynamic_stack: false
    .vgpr_count:     0
    .vgpr_spill_count: 0
    .wavefront_size: 32
    .workgroup_processor_mode: 1
  - .args:
      - .offset:         0
        .size:           40
        .value_kind:     by_value
    .group_segment_fixed_size: 0
    .kernarg_segment_align: 8
    .kernarg_segment_size: 40
    .language:       OpenCL C
    .language_version:
      - 2
      - 0
    .max_flat_workgroup_size: 128
    .name:           _ZN7rocprim17ROCPRIM_400000_NS6detail17trampoline_kernelINS0_14default_configENS1_22reduce_config_selectorIiEEZNS1_11reduce_implILb1ES3_PiS7_iN6hipcub16HIPCUB_304000_NS6detail34convert_binary_result_type_wrapperINS9_3SumENS9_22TransformInputIteratorIbN2at6native12_GLOBAL__N_19NonZeroOpIN3c107complexIdEEEEPKSK_lEEiEEEE10hipError_tPvRmT1_T2_T3_mT4_P12ihipStream_tbEUlT_E1_NS1_11comp_targetILNS1_3genE4ELNS1_11target_archE910ELNS1_3gpuE8ELNS1_3repE0EEENS1_30default_config_static_selectorELNS0_4arch9wavefront6targetE0EEEvST_
    .private_segment_fixed_size: 0
    .sgpr_count:     0
    .sgpr_spill_count: 0
    .symbol:         _ZN7rocprim17ROCPRIM_400000_NS6detail17trampoline_kernelINS0_14default_configENS1_22reduce_config_selectorIiEEZNS1_11reduce_implILb1ES3_PiS7_iN6hipcub16HIPCUB_304000_NS6detail34convert_binary_result_type_wrapperINS9_3SumENS9_22TransformInputIteratorIbN2at6native12_GLOBAL__N_19NonZeroOpIN3c107complexIdEEEEPKSK_lEEiEEEE10hipError_tPvRmT1_T2_T3_mT4_P12ihipStream_tbEUlT_E1_NS1_11comp_targetILNS1_3genE4ELNS1_11target_archE910ELNS1_3gpuE8ELNS1_3repE0EEENS1_30default_config_static_selectorELNS0_4arch9wavefront6targetE0EEEvST_.kd
    .uniform_work_group_size: 1
    .uses_dynamic_stack: false
    .vgpr_count:     0
    .vgpr_spill_count: 0
    .wavefront_size: 32
    .workgroup_processor_mode: 1
  - .args:
      - .offset:         0
        .size:           40
        .value_kind:     by_value
    .group_segment_fixed_size: 0
    .kernarg_segment_align: 8
    .kernarg_segment_size: 40
    .language:       OpenCL C
    .language_version:
      - 2
      - 0
    .max_flat_workgroup_size: 256
    .name:           _ZN7rocprim17ROCPRIM_400000_NS6detail17trampoline_kernelINS0_14default_configENS1_22reduce_config_selectorIiEEZNS1_11reduce_implILb1ES3_PiS7_iN6hipcub16HIPCUB_304000_NS6detail34convert_binary_result_type_wrapperINS9_3SumENS9_22TransformInputIteratorIbN2at6native12_GLOBAL__N_19NonZeroOpIN3c107complexIdEEEEPKSK_lEEiEEEE10hipError_tPvRmT1_T2_T3_mT4_P12ihipStream_tbEUlT_E1_NS1_11comp_targetILNS1_3genE3ELNS1_11target_archE908ELNS1_3gpuE7ELNS1_3repE0EEENS1_30default_config_static_selectorELNS0_4arch9wavefront6targetE0EEEvST_
    .private_segment_fixed_size: 0
    .sgpr_count:     0
    .sgpr_spill_count: 0
    .symbol:         _ZN7rocprim17ROCPRIM_400000_NS6detail17trampoline_kernelINS0_14default_configENS1_22reduce_config_selectorIiEEZNS1_11reduce_implILb1ES3_PiS7_iN6hipcub16HIPCUB_304000_NS6detail34convert_binary_result_type_wrapperINS9_3SumENS9_22TransformInputIteratorIbN2at6native12_GLOBAL__N_19NonZeroOpIN3c107complexIdEEEEPKSK_lEEiEEEE10hipError_tPvRmT1_T2_T3_mT4_P12ihipStream_tbEUlT_E1_NS1_11comp_targetILNS1_3genE3ELNS1_11target_archE908ELNS1_3gpuE7ELNS1_3repE0EEENS1_30default_config_static_selectorELNS0_4arch9wavefront6targetE0EEEvST_.kd
    .uniform_work_group_size: 1
    .uses_dynamic_stack: false
    .vgpr_count:     0
    .vgpr_spill_count: 0
    .wavefront_size: 32
    .workgroup_processor_mode: 1
  - .args:
      - .offset:         0
        .size:           40
        .value_kind:     by_value
    .group_segment_fixed_size: 0
    .kernarg_segment_align: 8
    .kernarg_segment_size: 40
    .language:       OpenCL C
    .language_version:
      - 2
      - 0
    .max_flat_workgroup_size: 256
    .name:           _ZN7rocprim17ROCPRIM_400000_NS6detail17trampoline_kernelINS0_14default_configENS1_22reduce_config_selectorIiEEZNS1_11reduce_implILb1ES3_PiS7_iN6hipcub16HIPCUB_304000_NS6detail34convert_binary_result_type_wrapperINS9_3SumENS9_22TransformInputIteratorIbN2at6native12_GLOBAL__N_19NonZeroOpIN3c107complexIdEEEEPKSK_lEEiEEEE10hipError_tPvRmT1_T2_T3_mT4_P12ihipStream_tbEUlT_E1_NS1_11comp_targetILNS1_3genE2ELNS1_11target_archE906ELNS1_3gpuE6ELNS1_3repE0EEENS1_30default_config_static_selectorELNS0_4arch9wavefront6targetE0EEEvST_
    .private_segment_fixed_size: 0
    .sgpr_count:     0
    .sgpr_spill_count: 0
    .symbol:         _ZN7rocprim17ROCPRIM_400000_NS6detail17trampoline_kernelINS0_14default_configENS1_22reduce_config_selectorIiEEZNS1_11reduce_implILb1ES3_PiS7_iN6hipcub16HIPCUB_304000_NS6detail34convert_binary_result_type_wrapperINS9_3SumENS9_22TransformInputIteratorIbN2at6native12_GLOBAL__N_19NonZeroOpIN3c107complexIdEEEEPKSK_lEEiEEEE10hipError_tPvRmT1_T2_T3_mT4_P12ihipStream_tbEUlT_E1_NS1_11comp_targetILNS1_3genE2ELNS1_11target_archE906ELNS1_3gpuE6ELNS1_3repE0EEENS1_30default_config_static_selectorELNS0_4arch9wavefront6targetE0EEEvST_.kd
    .uniform_work_group_size: 1
    .uses_dynamic_stack: false
    .vgpr_count:     0
    .vgpr_spill_count: 0
    .wavefront_size: 32
    .workgroup_processor_mode: 1
  - .args:
      - .offset:         0
        .size:           40
        .value_kind:     by_value
    .group_segment_fixed_size: 0
    .kernarg_segment_align: 8
    .kernarg_segment_size: 40
    .language:       OpenCL C
    .language_version:
      - 2
      - 0
    .max_flat_workgroup_size: 256
    .name:           _ZN7rocprim17ROCPRIM_400000_NS6detail17trampoline_kernelINS0_14default_configENS1_22reduce_config_selectorIiEEZNS1_11reduce_implILb1ES3_PiS7_iN6hipcub16HIPCUB_304000_NS6detail34convert_binary_result_type_wrapperINS9_3SumENS9_22TransformInputIteratorIbN2at6native12_GLOBAL__N_19NonZeroOpIN3c107complexIdEEEEPKSK_lEEiEEEE10hipError_tPvRmT1_T2_T3_mT4_P12ihipStream_tbEUlT_E1_NS1_11comp_targetILNS1_3genE10ELNS1_11target_archE1201ELNS1_3gpuE5ELNS1_3repE0EEENS1_30default_config_static_selectorELNS0_4arch9wavefront6targetE0EEEvST_
    .private_segment_fixed_size: 0
    .sgpr_count:     0
    .sgpr_spill_count: 0
    .symbol:         _ZN7rocprim17ROCPRIM_400000_NS6detail17trampoline_kernelINS0_14default_configENS1_22reduce_config_selectorIiEEZNS1_11reduce_implILb1ES3_PiS7_iN6hipcub16HIPCUB_304000_NS6detail34convert_binary_result_type_wrapperINS9_3SumENS9_22TransformInputIteratorIbN2at6native12_GLOBAL__N_19NonZeroOpIN3c107complexIdEEEEPKSK_lEEiEEEE10hipError_tPvRmT1_T2_T3_mT4_P12ihipStream_tbEUlT_E1_NS1_11comp_targetILNS1_3genE10ELNS1_11target_archE1201ELNS1_3gpuE5ELNS1_3repE0EEENS1_30default_config_static_selectorELNS0_4arch9wavefront6targetE0EEEvST_.kd
    .uniform_work_group_size: 1
    .uses_dynamic_stack: false
    .vgpr_count:     0
    .vgpr_spill_count: 0
    .wavefront_size: 32
    .workgroup_processor_mode: 1
  - .args:
      - .offset:         0
        .size:           40
        .value_kind:     by_value
    .group_segment_fixed_size: 0
    .kernarg_segment_align: 8
    .kernarg_segment_size: 40
    .language:       OpenCL C
    .language_version:
      - 2
      - 0
    .max_flat_workgroup_size: 256
    .name:           _ZN7rocprim17ROCPRIM_400000_NS6detail17trampoline_kernelINS0_14default_configENS1_22reduce_config_selectorIiEEZNS1_11reduce_implILb1ES3_PiS7_iN6hipcub16HIPCUB_304000_NS6detail34convert_binary_result_type_wrapperINS9_3SumENS9_22TransformInputIteratorIbN2at6native12_GLOBAL__N_19NonZeroOpIN3c107complexIdEEEEPKSK_lEEiEEEE10hipError_tPvRmT1_T2_T3_mT4_P12ihipStream_tbEUlT_E1_NS1_11comp_targetILNS1_3genE10ELNS1_11target_archE1200ELNS1_3gpuE4ELNS1_3repE0EEENS1_30default_config_static_selectorELNS0_4arch9wavefront6targetE0EEEvST_
    .private_segment_fixed_size: 0
    .sgpr_count:     0
    .sgpr_spill_count: 0
    .symbol:         _ZN7rocprim17ROCPRIM_400000_NS6detail17trampoline_kernelINS0_14default_configENS1_22reduce_config_selectorIiEEZNS1_11reduce_implILb1ES3_PiS7_iN6hipcub16HIPCUB_304000_NS6detail34convert_binary_result_type_wrapperINS9_3SumENS9_22TransformInputIteratorIbN2at6native12_GLOBAL__N_19NonZeroOpIN3c107complexIdEEEEPKSK_lEEiEEEE10hipError_tPvRmT1_T2_T3_mT4_P12ihipStream_tbEUlT_E1_NS1_11comp_targetILNS1_3genE10ELNS1_11target_archE1200ELNS1_3gpuE4ELNS1_3repE0EEENS1_30default_config_static_selectorELNS0_4arch9wavefront6targetE0EEEvST_.kd
    .uniform_work_group_size: 1
    .uses_dynamic_stack: false
    .vgpr_count:     0
    .vgpr_spill_count: 0
    .wavefront_size: 32
    .workgroup_processor_mode: 1
  - .args:
      - .offset:         0
        .size:           40
        .value_kind:     by_value
    .group_segment_fixed_size: 224
    .kernarg_segment_align: 8
    .kernarg_segment_size: 40
    .language:       OpenCL C
    .language_version:
      - 2
      - 0
    .max_flat_workgroup_size: 256
    .name:           _ZN7rocprim17ROCPRIM_400000_NS6detail17trampoline_kernelINS0_14default_configENS1_22reduce_config_selectorIiEEZNS1_11reduce_implILb1ES3_PiS7_iN6hipcub16HIPCUB_304000_NS6detail34convert_binary_result_type_wrapperINS9_3SumENS9_22TransformInputIteratorIbN2at6native12_GLOBAL__N_19NonZeroOpIN3c107complexIdEEEEPKSK_lEEiEEEE10hipError_tPvRmT1_T2_T3_mT4_P12ihipStream_tbEUlT_E1_NS1_11comp_targetILNS1_3genE9ELNS1_11target_archE1100ELNS1_3gpuE3ELNS1_3repE0EEENS1_30default_config_static_selectorELNS0_4arch9wavefront6targetE0EEEvST_
    .private_segment_fixed_size: 0
    .sgpr_count:     29
    .sgpr_spill_count: 0
    .symbol:         _ZN7rocprim17ROCPRIM_400000_NS6detail17trampoline_kernelINS0_14default_configENS1_22reduce_config_selectorIiEEZNS1_11reduce_implILb1ES3_PiS7_iN6hipcub16HIPCUB_304000_NS6detail34convert_binary_result_type_wrapperINS9_3SumENS9_22TransformInputIteratorIbN2at6native12_GLOBAL__N_19NonZeroOpIN3c107complexIdEEEEPKSK_lEEiEEEE10hipError_tPvRmT1_T2_T3_mT4_P12ihipStream_tbEUlT_E1_NS1_11comp_targetILNS1_3genE9ELNS1_11target_archE1100ELNS1_3gpuE3ELNS1_3repE0EEENS1_30default_config_static_selectorELNS0_4arch9wavefront6targetE0EEEvST_.kd
    .uniform_work_group_size: 1
    .uses_dynamic_stack: false
    .vgpr_count:     34
    .vgpr_spill_count: 0
    .wavefront_size: 32
    .workgroup_processor_mode: 1
  - .args:
      - .offset:         0
        .size:           40
        .value_kind:     by_value
    .group_segment_fixed_size: 0
    .kernarg_segment_align: 8
    .kernarg_segment_size: 40
    .language:       OpenCL C
    .language_version:
      - 2
      - 0
    .max_flat_workgroup_size: 256
    .name:           _ZN7rocprim17ROCPRIM_400000_NS6detail17trampoline_kernelINS0_14default_configENS1_22reduce_config_selectorIiEEZNS1_11reduce_implILb1ES3_PiS7_iN6hipcub16HIPCUB_304000_NS6detail34convert_binary_result_type_wrapperINS9_3SumENS9_22TransformInputIteratorIbN2at6native12_GLOBAL__N_19NonZeroOpIN3c107complexIdEEEEPKSK_lEEiEEEE10hipError_tPvRmT1_T2_T3_mT4_P12ihipStream_tbEUlT_E1_NS1_11comp_targetILNS1_3genE8ELNS1_11target_archE1030ELNS1_3gpuE2ELNS1_3repE0EEENS1_30default_config_static_selectorELNS0_4arch9wavefront6targetE0EEEvST_
    .private_segment_fixed_size: 0
    .sgpr_count:     0
    .sgpr_spill_count: 0
    .symbol:         _ZN7rocprim17ROCPRIM_400000_NS6detail17trampoline_kernelINS0_14default_configENS1_22reduce_config_selectorIiEEZNS1_11reduce_implILb1ES3_PiS7_iN6hipcub16HIPCUB_304000_NS6detail34convert_binary_result_type_wrapperINS9_3SumENS9_22TransformInputIteratorIbN2at6native12_GLOBAL__N_19NonZeroOpIN3c107complexIdEEEEPKSK_lEEiEEEE10hipError_tPvRmT1_T2_T3_mT4_P12ihipStream_tbEUlT_E1_NS1_11comp_targetILNS1_3genE8ELNS1_11target_archE1030ELNS1_3gpuE2ELNS1_3repE0EEENS1_30default_config_static_selectorELNS0_4arch9wavefront6targetE0EEEvST_.kd
    .uniform_work_group_size: 1
    .uses_dynamic_stack: false
    .vgpr_count:     0
    .vgpr_spill_count: 0
    .wavefront_size: 32
    .workgroup_processor_mode: 1
  - .args:
      - .offset:         0
        .size:           64
        .value_kind:     by_value
    .group_segment_fixed_size: 0
    .kernarg_segment_align: 8
    .kernarg_segment_size: 64
    .language:       OpenCL C
    .language_version:
      - 2
      - 0
    .max_flat_workgroup_size: 256
    .name:           _ZN7rocprim17ROCPRIM_400000_NS6detail17trampoline_kernelINS0_14default_configENS1_22reduce_config_selectorIbEEZNS1_11reduce_implILb1ES3_N6hipcub16HIPCUB_304000_NS22TransformInputIteratorIbN2at6native12_GLOBAL__N_19NonZeroOpIN3c107complexIdEEEEPKSG_lEEPiiNS8_6detail34convert_binary_result_type_wrapperINS8_3SumESK_iEEEE10hipError_tPvRmT1_T2_T3_mT4_P12ihipStream_tbEUlT_E0_NS1_11comp_targetILNS1_3genE0ELNS1_11target_archE4294967295ELNS1_3gpuE0ELNS1_3repE0EEENS1_30default_config_static_selectorELNS0_4arch9wavefront6targetE0EEEvST_
    .private_segment_fixed_size: 0
    .sgpr_count:     0
    .sgpr_spill_count: 0
    .symbol:         _ZN7rocprim17ROCPRIM_400000_NS6detail17trampoline_kernelINS0_14default_configENS1_22reduce_config_selectorIbEEZNS1_11reduce_implILb1ES3_N6hipcub16HIPCUB_304000_NS22TransformInputIteratorIbN2at6native12_GLOBAL__N_19NonZeroOpIN3c107complexIdEEEEPKSG_lEEPiiNS8_6detail34convert_binary_result_type_wrapperINS8_3SumESK_iEEEE10hipError_tPvRmT1_T2_T3_mT4_P12ihipStream_tbEUlT_E0_NS1_11comp_targetILNS1_3genE0ELNS1_11target_archE4294967295ELNS1_3gpuE0ELNS1_3repE0EEENS1_30default_config_static_selectorELNS0_4arch9wavefront6targetE0EEEvST_.kd
    .uniform_work_group_size: 1
    .uses_dynamic_stack: false
    .vgpr_count:     0
    .vgpr_spill_count: 0
    .wavefront_size: 32
    .workgroup_processor_mode: 1
  - .args:
      - .offset:         0
        .size:           64
        .value_kind:     by_value
    .group_segment_fixed_size: 0
    .kernarg_segment_align: 8
    .kernarg_segment_size: 64
    .language:       OpenCL C
    .language_version:
      - 2
      - 0
    .max_flat_workgroup_size: 256
    .name:           _ZN7rocprim17ROCPRIM_400000_NS6detail17trampoline_kernelINS0_14default_configENS1_22reduce_config_selectorIbEEZNS1_11reduce_implILb1ES3_N6hipcub16HIPCUB_304000_NS22TransformInputIteratorIbN2at6native12_GLOBAL__N_19NonZeroOpIN3c107complexIdEEEEPKSG_lEEPiiNS8_6detail34convert_binary_result_type_wrapperINS8_3SumESK_iEEEE10hipError_tPvRmT1_T2_T3_mT4_P12ihipStream_tbEUlT_E0_NS1_11comp_targetILNS1_3genE5ELNS1_11target_archE942ELNS1_3gpuE9ELNS1_3repE0EEENS1_30default_config_static_selectorELNS0_4arch9wavefront6targetE0EEEvST_
    .private_segment_fixed_size: 0
    .sgpr_count:     0
    .sgpr_spill_count: 0
    .symbol:         _ZN7rocprim17ROCPRIM_400000_NS6detail17trampoline_kernelINS0_14default_configENS1_22reduce_config_selectorIbEEZNS1_11reduce_implILb1ES3_N6hipcub16HIPCUB_304000_NS22TransformInputIteratorIbN2at6native12_GLOBAL__N_19NonZeroOpIN3c107complexIdEEEEPKSG_lEEPiiNS8_6detail34convert_binary_result_type_wrapperINS8_3SumESK_iEEEE10hipError_tPvRmT1_T2_T3_mT4_P12ihipStream_tbEUlT_E0_NS1_11comp_targetILNS1_3genE5ELNS1_11target_archE942ELNS1_3gpuE9ELNS1_3repE0EEENS1_30default_config_static_selectorELNS0_4arch9wavefront6targetE0EEEvST_.kd
    .uniform_work_group_size: 1
    .uses_dynamic_stack: false
    .vgpr_count:     0
    .vgpr_spill_count: 0
    .wavefront_size: 32
    .workgroup_processor_mode: 1
  - .args:
      - .offset:         0
        .size:           64
        .value_kind:     by_value
    .group_segment_fixed_size: 0
    .kernarg_segment_align: 8
    .kernarg_segment_size: 64
    .language:       OpenCL C
    .language_version:
      - 2
      - 0
    .max_flat_workgroup_size: 128
    .name:           _ZN7rocprim17ROCPRIM_400000_NS6detail17trampoline_kernelINS0_14default_configENS1_22reduce_config_selectorIbEEZNS1_11reduce_implILb1ES3_N6hipcub16HIPCUB_304000_NS22TransformInputIteratorIbN2at6native12_GLOBAL__N_19NonZeroOpIN3c107complexIdEEEEPKSG_lEEPiiNS8_6detail34convert_binary_result_type_wrapperINS8_3SumESK_iEEEE10hipError_tPvRmT1_T2_T3_mT4_P12ihipStream_tbEUlT_E0_NS1_11comp_targetILNS1_3genE4ELNS1_11target_archE910ELNS1_3gpuE8ELNS1_3repE0EEENS1_30default_config_static_selectorELNS0_4arch9wavefront6targetE0EEEvST_
    .private_segment_fixed_size: 0
    .sgpr_count:     0
    .sgpr_spill_count: 0
    .symbol:         _ZN7rocprim17ROCPRIM_400000_NS6detail17trampoline_kernelINS0_14default_configENS1_22reduce_config_selectorIbEEZNS1_11reduce_implILb1ES3_N6hipcub16HIPCUB_304000_NS22TransformInputIteratorIbN2at6native12_GLOBAL__N_19NonZeroOpIN3c107complexIdEEEEPKSG_lEEPiiNS8_6detail34convert_binary_result_type_wrapperINS8_3SumESK_iEEEE10hipError_tPvRmT1_T2_T3_mT4_P12ihipStream_tbEUlT_E0_NS1_11comp_targetILNS1_3genE4ELNS1_11target_archE910ELNS1_3gpuE8ELNS1_3repE0EEENS1_30default_config_static_selectorELNS0_4arch9wavefront6targetE0EEEvST_.kd
    .uniform_work_group_size: 1
    .uses_dynamic_stack: false
    .vgpr_count:     0
    .vgpr_spill_count: 0
    .wavefront_size: 32
    .workgroup_processor_mode: 1
  - .args:
      - .offset:         0
        .size:           64
        .value_kind:     by_value
    .group_segment_fixed_size: 0
    .kernarg_segment_align: 8
    .kernarg_segment_size: 64
    .language:       OpenCL C
    .language_version:
      - 2
      - 0
    .max_flat_workgroup_size: 256
    .name:           _ZN7rocprim17ROCPRIM_400000_NS6detail17trampoline_kernelINS0_14default_configENS1_22reduce_config_selectorIbEEZNS1_11reduce_implILb1ES3_N6hipcub16HIPCUB_304000_NS22TransformInputIteratorIbN2at6native12_GLOBAL__N_19NonZeroOpIN3c107complexIdEEEEPKSG_lEEPiiNS8_6detail34convert_binary_result_type_wrapperINS8_3SumESK_iEEEE10hipError_tPvRmT1_T2_T3_mT4_P12ihipStream_tbEUlT_E0_NS1_11comp_targetILNS1_3genE3ELNS1_11target_archE908ELNS1_3gpuE7ELNS1_3repE0EEENS1_30default_config_static_selectorELNS0_4arch9wavefront6targetE0EEEvST_
    .private_segment_fixed_size: 0
    .sgpr_count:     0
    .sgpr_spill_count: 0
    .symbol:         _ZN7rocprim17ROCPRIM_400000_NS6detail17trampoline_kernelINS0_14default_configENS1_22reduce_config_selectorIbEEZNS1_11reduce_implILb1ES3_N6hipcub16HIPCUB_304000_NS22TransformInputIteratorIbN2at6native12_GLOBAL__N_19NonZeroOpIN3c107complexIdEEEEPKSG_lEEPiiNS8_6detail34convert_binary_result_type_wrapperINS8_3SumESK_iEEEE10hipError_tPvRmT1_T2_T3_mT4_P12ihipStream_tbEUlT_E0_NS1_11comp_targetILNS1_3genE3ELNS1_11target_archE908ELNS1_3gpuE7ELNS1_3repE0EEENS1_30default_config_static_selectorELNS0_4arch9wavefront6targetE0EEEvST_.kd
    .uniform_work_group_size: 1
    .uses_dynamic_stack: false
    .vgpr_count:     0
    .vgpr_spill_count: 0
    .wavefront_size: 32
    .workgroup_processor_mode: 1
  - .args:
      - .offset:         0
        .size:           64
        .value_kind:     by_value
    .group_segment_fixed_size: 0
    .kernarg_segment_align: 8
    .kernarg_segment_size: 64
    .language:       OpenCL C
    .language_version:
      - 2
      - 0
    .max_flat_workgroup_size: 128
    .name:           _ZN7rocprim17ROCPRIM_400000_NS6detail17trampoline_kernelINS0_14default_configENS1_22reduce_config_selectorIbEEZNS1_11reduce_implILb1ES3_N6hipcub16HIPCUB_304000_NS22TransformInputIteratorIbN2at6native12_GLOBAL__N_19NonZeroOpIN3c107complexIdEEEEPKSG_lEEPiiNS8_6detail34convert_binary_result_type_wrapperINS8_3SumESK_iEEEE10hipError_tPvRmT1_T2_T3_mT4_P12ihipStream_tbEUlT_E0_NS1_11comp_targetILNS1_3genE2ELNS1_11target_archE906ELNS1_3gpuE6ELNS1_3repE0EEENS1_30default_config_static_selectorELNS0_4arch9wavefront6targetE0EEEvST_
    .private_segment_fixed_size: 0
    .sgpr_count:     0
    .sgpr_spill_count: 0
    .symbol:         _ZN7rocprim17ROCPRIM_400000_NS6detail17trampoline_kernelINS0_14default_configENS1_22reduce_config_selectorIbEEZNS1_11reduce_implILb1ES3_N6hipcub16HIPCUB_304000_NS22TransformInputIteratorIbN2at6native12_GLOBAL__N_19NonZeroOpIN3c107complexIdEEEEPKSG_lEEPiiNS8_6detail34convert_binary_result_type_wrapperINS8_3SumESK_iEEEE10hipError_tPvRmT1_T2_T3_mT4_P12ihipStream_tbEUlT_E0_NS1_11comp_targetILNS1_3genE2ELNS1_11target_archE906ELNS1_3gpuE6ELNS1_3repE0EEENS1_30default_config_static_selectorELNS0_4arch9wavefront6targetE0EEEvST_.kd
    .uniform_work_group_size: 1
    .uses_dynamic_stack: false
    .vgpr_count:     0
    .vgpr_spill_count: 0
    .wavefront_size: 32
    .workgroup_processor_mode: 1
  - .args:
      - .offset:         0
        .size:           64
        .value_kind:     by_value
    .group_segment_fixed_size: 0
    .kernarg_segment_align: 8
    .kernarg_segment_size: 64
    .language:       OpenCL C
    .language_version:
      - 2
      - 0
    .max_flat_workgroup_size: 256
    .name:           _ZN7rocprim17ROCPRIM_400000_NS6detail17trampoline_kernelINS0_14default_configENS1_22reduce_config_selectorIbEEZNS1_11reduce_implILb1ES3_N6hipcub16HIPCUB_304000_NS22TransformInputIteratorIbN2at6native12_GLOBAL__N_19NonZeroOpIN3c107complexIdEEEEPKSG_lEEPiiNS8_6detail34convert_binary_result_type_wrapperINS8_3SumESK_iEEEE10hipError_tPvRmT1_T2_T3_mT4_P12ihipStream_tbEUlT_E0_NS1_11comp_targetILNS1_3genE10ELNS1_11target_archE1201ELNS1_3gpuE5ELNS1_3repE0EEENS1_30default_config_static_selectorELNS0_4arch9wavefront6targetE0EEEvST_
    .private_segment_fixed_size: 0
    .sgpr_count:     0
    .sgpr_spill_count: 0
    .symbol:         _ZN7rocprim17ROCPRIM_400000_NS6detail17trampoline_kernelINS0_14default_configENS1_22reduce_config_selectorIbEEZNS1_11reduce_implILb1ES3_N6hipcub16HIPCUB_304000_NS22TransformInputIteratorIbN2at6native12_GLOBAL__N_19NonZeroOpIN3c107complexIdEEEEPKSG_lEEPiiNS8_6detail34convert_binary_result_type_wrapperINS8_3SumESK_iEEEE10hipError_tPvRmT1_T2_T3_mT4_P12ihipStream_tbEUlT_E0_NS1_11comp_targetILNS1_3genE10ELNS1_11target_archE1201ELNS1_3gpuE5ELNS1_3repE0EEENS1_30default_config_static_selectorELNS0_4arch9wavefront6targetE0EEEvST_.kd
    .uniform_work_group_size: 1
    .uses_dynamic_stack: false
    .vgpr_count:     0
    .vgpr_spill_count: 0
    .wavefront_size: 32
    .workgroup_processor_mode: 1
  - .args:
      - .offset:         0
        .size:           64
        .value_kind:     by_value
    .group_segment_fixed_size: 0
    .kernarg_segment_align: 8
    .kernarg_segment_size: 64
    .language:       OpenCL C
    .language_version:
      - 2
      - 0
    .max_flat_workgroup_size: 256
    .name:           _ZN7rocprim17ROCPRIM_400000_NS6detail17trampoline_kernelINS0_14default_configENS1_22reduce_config_selectorIbEEZNS1_11reduce_implILb1ES3_N6hipcub16HIPCUB_304000_NS22TransformInputIteratorIbN2at6native12_GLOBAL__N_19NonZeroOpIN3c107complexIdEEEEPKSG_lEEPiiNS8_6detail34convert_binary_result_type_wrapperINS8_3SumESK_iEEEE10hipError_tPvRmT1_T2_T3_mT4_P12ihipStream_tbEUlT_E0_NS1_11comp_targetILNS1_3genE10ELNS1_11target_archE1200ELNS1_3gpuE4ELNS1_3repE0EEENS1_30default_config_static_selectorELNS0_4arch9wavefront6targetE0EEEvST_
    .private_segment_fixed_size: 0
    .sgpr_count:     0
    .sgpr_spill_count: 0
    .symbol:         _ZN7rocprim17ROCPRIM_400000_NS6detail17trampoline_kernelINS0_14default_configENS1_22reduce_config_selectorIbEEZNS1_11reduce_implILb1ES3_N6hipcub16HIPCUB_304000_NS22TransformInputIteratorIbN2at6native12_GLOBAL__N_19NonZeroOpIN3c107complexIdEEEEPKSG_lEEPiiNS8_6detail34convert_binary_result_type_wrapperINS8_3SumESK_iEEEE10hipError_tPvRmT1_T2_T3_mT4_P12ihipStream_tbEUlT_E0_NS1_11comp_targetILNS1_3genE10ELNS1_11target_archE1200ELNS1_3gpuE4ELNS1_3repE0EEENS1_30default_config_static_selectorELNS0_4arch9wavefront6targetE0EEEvST_.kd
    .uniform_work_group_size: 1
    .uses_dynamic_stack: false
    .vgpr_count:     0
    .vgpr_spill_count: 0
    .wavefront_size: 32
    .workgroup_processor_mode: 1
  - .args:
      - .offset:         0
        .size:           64
        .value_kind:     by_value
    .group_segment_fixed_size: 32
    .kernarg_segment_align: 8
    .kernarg_segment_size: 64
    .language:       OpenCL C
    .language_version:
      - 2
      - 0
    .max_flat_workgroup_size: 128
    .name:           _ZN7rocprim17ROCPRIM_400000_NS6detail17trampoline_kernelINS0_14default_configENS1_22reduce_config_selectorIbEEZNS1_11reduce_implILb1ES3_N6hipcub16HIPCUB_304000_NS22TransformInputIteratorIbN2at6native12_GLOBAL__N_19NonZeroOpIN3c107complexIdEEEEPKSG_lEEPiiNS8_6detail34convert_binary_result_type_wrapperINS8_3SumESK_iEEEE10hipError_tPvRmT1_T2_T3_mT4_P12ihipStream_tbEUlT_E0_NS1_11comp_targetILNS1_3genE9ELNS1_11target_archE1100ELNS1_3gpuE3ELNS1_3repE0EEENS1_30default_config_static_selectorELNS0_4arch9wavefront6targetE0EEEvST_
    .private_segment_fixed_size: 0
    .sgpr_count:     50
    .sgpr_spill_count: 0
    .symbol:         _ZN7rocprim17ROCPRIM_400000_NS6detail17trampoline_kernelINS0_14default_configENS1_22reduce_config_selectorIbEEZNS1_11reduce_implILb1ES3_N6hipcub16HIPCUB_304000_NS22TransformInputIteratorIbN2at6native12_GLOBAL__N_19NonZeroOpIN3c107complexIdEEEEPKSG_lEEPiiNS8_6detail34convert_binary_result_type_wrapperINS8_3SumESK_iEEEE10hipError_tPvRmT1_T2_T3_mT4_P12ihipStream_tbEUlT_E0_NS1_11comp_targetILNS1_3genE9ELNS1_11target_archE1100ELNS1_3gpuE3ELNS1_3repE0EEENS1_30default_config_static_selectorELNS0_4arch9wavefront6targetE0EEEvST_.kd
    .uniform_work_group_size: 1
    .uses_dynamic_stack: false
    .vgpr_count:     67
    .vgpr_spill_count: 0
    .wavefront_size: 32
    .workgroup_processor_mode: 1
  - .args:
      - .offset:         0
        .size:           64
        .value_kind:     by_value
    .group_segment_fixed_size: 0
    .kernarg_segment_align: 8
    .kernarg_segment_size: 64
    .language:       OpenCL C
    .language_version:
      - 2
      - 0
    .max_flat_workgroup_size: 256
    .name:           _ZN7rocprim17ROCPRIM_400000_NS6detail17trampoline_kernelINS0_14default_configENS1_22reduce_config_selectorIbEEZNS1_11reduce_implILb1ES3_N6hipcub16HIPCUB_304000_NS22TransformInputIteratorIbN2at6native12_GLOBAL__N_19NonZeroOpIN3c107complexIdEEEEPKSG_lEEPiiNS8_6detail34convert_binary_result_type_wrapperINS8_3SumESK_iEEEE10hipError_tPvRmT1_T2_T3_mT4_P12ihipStream_tbEUlT_E0_NS1_11comp_targetILNS1_3genE8ELNS1_11target_archE1030ELNS1_3gpuE2ELNS1_3repE0EEENS1_30default_config_static_selectorELNS0_4arch9wavefront6targetE0EEEvST_
    .private_segment_fixed_size: 0
    .sgpr_count:     0
    .sgpr_spill_count: 0
    .symbol:         _ZN7rocprim17ROCPRIM_400000_NS6detail17trampoline_kernelINS0_14default_configENS1_22reduce_config_selectorIbEEZNS1_11reduce_implILb1ES3_N6hipcub16HIPCUB_304000_NS22TransformInputIteratorIbN2at6native12_GLOBAL__N_19NonZeroOpIN3c107complexIdEEEEPKSG_lEEPiiNS8_6detail34convert_binary_result_type_wrapperINS8_3SumESK_iEEEE10hipError_tPvRmT1_T2_T3_mT4_P12ihipStream_tbEUlT_E0_NS1_11comp_targetILNS1_3genE8ELNS1_11target_archE1030ELNS1_3gpuE2ELNS1_3repE0EEENS1_30default_config_static_selectorELNS0_4arch9wavefront6targetE0EEEvST_.kd
    .uniform_work_group_size: 1
    .uses_dynamic_stack: false
    .vgpr_count:     0
    .vgpr_spill_count: 0
    .wavefront_size: 32
    .workgroup_processor_mode: 1
  - .args:
      - .offset:         0
        .size:           48
        .value_kind:     by_value
    .group_segment_fixed_size: 0
    .kernarg_segment_align: 8
    .kernarg_segment_size: 48
    .language:       OpenCL C
    .language_version:
      - 2
      - 0
    .max_flat_workgroup_size: 256
    .name:           _ZN7rocprim17ROCPRIM_400000_NS6detail17trampoline_kernelINS0_14default_configENS1_22reduce_config_selectorIbEEZNS1_11reduce_implILb1ES3_N6hipcub16HIPCUB_304000_NS22TransformInputIteratorIbN2at6native12_GLOBAL__N_19NonZeroOpIN3c107complexIdEEEEPKSG_lEEPiiNS8_6detail34convert_binary_result_type_wrapperINS8_3SumESK_iEEEE10hipError_tPvRmT1_T2_T3_mT4_P12ihipStream_tbEUlT_E1_NS1_11comp_targetILNS1_3genE0ELNS1_11target_archE4294967295ELNS1_3gpuE0ELNS1_3repE0EEENS1_30default_config_static_selectorELNS0_4arch9wavefront6targetE0EEEvST_
    .private_segment_fixed_size: 0
    .sgpr_count:     0
    .sgpr_spill_count: 0
    .symbol:         _ZN7rocprim17ROCPRIM_400000_NS6detail17trampoline_kernelINS0_14default_configENS1_22reduce_config_selectorIbEEZNS1_11reduce_implILb1ES3_N6hipcub16HIPCUB_304000_NS22TransformInputIteratorIbN2at6native12_GLOBAL__N_19NonZeroOpIN3c107complexIdEEEEPKSG_lEEPiiNS8_6detail34convert_binary_result_type_wrapperINS8_3SumESK_iEEEE10hipError_tPvRmT1_T2_T3_mT4_P12ihipStream_tbEUlT_E1_NS1_11comp_targetILNS1_3genE0ELNS1_11target_archE4294967295ELNS1_3gpuE0ELNS1_3repE0EEENS1_30default_config_static_selectorELNS0_4arch9wavefront6targetE0EEEvST_.kd
    .uniform_work_group_size: 1
    .uses_dynamic_stack: false
    .vgpr_count:     0
    .vgpr_spill_count: 0
    .wavefront_size: 32
    .workgroup_processor_mode: 1
  - .args:
      - .offset:         0
        .size:           48
        .value_kind:     by_value
    .group_segment_fixed_size: 0
    .kernarg_segment_align: 8
    .kernarg_segment_size: 48
    .language:       OpenCL C
    .language_version:
      - 2
      - 0
    .max_flat_workgroup_size: 256
    .name:           _ZN7rocprim17ROCPRIM_400000_NS6detail17trampoline_kernelINS0_14default_configENS1_22reduce_config_selectorIbEEZNS1_11reduce_implILb1ES3_N6hipcub16HIPCUB_304000_NS22TransformInputIteratorIbN2at6native12_GLOBAL__N_19NonZeroOpIN3c107complexIdEEEEPKSG_lEEPiiNS8_6detail34convert_binary_result_type_wrapperINS8_3SumESK_iEEEE10hipError_tPvRmT1_T2_T3_mT4_P12ihipStream_tbEUlT_E1_NS1_11comp_targetILNS1_3genE5ELNS1_11target_archE942ELNS1_3gpuE9ELNS1_3repE0EEENS1_30default_config_static_selectorELNS0_4arch9wavefront6targetE0EEEvST_
    .private_segment_fixed_size: 0
    .sgpr_count:     0
    .sgpr_spill_count: 0
    .symbol:         _ZN7rocprim17ROCPRIM_400000_NS6detail17trampoline_kernelINS0_14default_configENS1_22reduce_config_selectorIbEEZNS1_11reduce_implILb1ES3_N6hipcub16HIPCUB_304000_NS22TransformInputIteratorIbN2at6native12_GLOBAL__N_19NonZeroOpIN3c107complexIdEEEEPKSG_lEEPiiNS8_6detail34convert_binary_result_type_wrapperINS8_3SumESK_iEEEE10hipError_tPvRmT1_T2_T3_mT4_P12ihipStream_tbEUlT_E1_NS1_11comp_targetILNS1_3genE5ELNS1_11target_archE942ELNS1_3gpuE9ELNS1_3repE0EEENS1_30default_config_static_selectorELNS0_4arch9wavefront6targetE0EEEvST_.kd
    .uniform_work_group_size: 1
    .uses_dynamic_stack: false
    .vgpr_count:     0
    .vgpr_spill_count: 0
    .wavefront_size: 32
    .workgroup_processor_mode: 1
  - .args:
      - .offset:         0
        .size:           48
        .value_kind:     by_value
    .group_segment_fixed_size: 0
    .kernarg_segment_align: 8
    .kernarg_segment_size: 48
    .language:       OpenCL C
    .language_version:
      - 2
      - 0
    .max_flat_workgroup_size: 128
    .name:           _ZN7rocprim17ROCPRIM_400000_NS6detail17trampoline_kernelINS0_14default_configENS1_22reduce_config_selectorIbEEZNS1_11reduce_implILb1ES3_N6hipcub16HIPCUB_304000_NS22TransformInputIteratorIbN2at6native12_GLOBAL__N_19NonZeroOpIN3c107complexIdEEEEPKSG_lEEPiiNS8_6detail34convert_binary_result_type_wrapperINS8_3SumESK_iEEEE10hipError_tPvRmT1_T2_T3_mT4_P12ihipStream_tbEUlT_E1_NS1_11comp_targetILNS1_3genE4ELNS1_11target_archE910ELNS1_3gpuE8ELNS1_3repE0EEENS1_30default_config_static_selectorELNS0_4arch9wavefront6targetE0EEEvST_
    .private_segment_fixed_size: 0
    .sgpr_count:     0
    .sgpr_spill_count: 0
    .symbol:         _ZN7rocprim17ROCPRIM_400000_NS6detail17trampoline_kernelINS0_14default_configENS1_22reduce_config_selectorIbEEZNS1_11reduce_implILb1ES3_N6hipcub16HIPCUB_304000_NS22TransformInputIteratorIbN2at6native12_GLOBAL__N_19NonZeroOpIN3c107complexIdEEEEPKSG_lEEPiiNS8_6detail34convert_binary_result_type_wrapperINS8_3SumESK_iEEEE10hipError_tPvRmT1_T2_T3_mT4_P12ihipStream_tbEUlT_E1_NS1_11comp_targetILNS1_3genE4ELNS1_11target_archE910ELNS1_3gpuE8ELNS1_3repE0EEENS1_30default_config_static_selectorELNS0_4arch9wavefront6targetE0EEEvST_.kd
    .uniform_work_group_size: 1
    .uses_dynamic_stack: false
    .vgpr_count:     0
    .vgpr_spill_count: 0
    .wavefront_size: 32
    .workgroup_processor_mode: 1
  - .args:
      - .offset:         0
        .size:           48
        .value_kind:     by_value
    .group_segment_fixed_size: 0
    .kernarg_segment_align: 8
    .kernarg_segment_size: 48
    .language:       OpenCL C
    .language_version:
      - 2
      - 0
    .max_flat_workgroup_size: 256
    .name:           _ZN7rocprim17ROCPRIM_400000_NS6detail17trampoline_kernelINS0_14default_configENS1_22reduce_config_selectorIbEEZNS1_11reduce_implILb1ES3_N6hipcub16HIPCUB_304000_NS22TransformInputIteratorIbN2at6native12_GLOBAL__N_19NonZeroOpIN3c107complexIdEEEEPKSG_lEEPiiNS8_6detail34convert_binary_result_type_wrapperINS8_3SumESK_iEEEE10hipError_tPvRmT1_T2_T3_mT4_P12ihipStream_tbEUlT_E1_NS1_11comp_targetILNS1_3genE3ELNS1_11target_archE908ELNS1_3gpuE7ELNS1_3repE0EEENS1_30default_config_static_selectorELNS0_4arch9wavefront6targetE0EEEvST_
    .private_segment_fixed_size: 0
    .sgpr_count:     0
    .sgpr_spill_count: 0
    .symbol:         _ZN7rocprim17ROCPRIM_400000_NS6detail17trampoline_kernelINS0_14default_configENS1_22reduce_config_selectorIbEEZNS1_11reduce_implILb1ES3_N6hipcub16HIPCUB_304000_NS22TransformInputIteratorIbN2at6native12_GLOBAL__N_19NonZeroOpIN3c107complexIdEEEEPKSG_lEEPiiNS8_6detail34convert_binary_result_type_wrapperINS8_3SumESK_iEEEE10hipError_tPvRmT1_T2_T3_mT4_P12ihipStream_tbEUlT_E1_NS1_11comp_targetILNS1_3genE3ELNS1_11target_archE908ELNS1_3gpuE7ELNS1_3repE0EEENS1_30default_config_static_selectorELNS0_4arch9wavefront6targetE0EEEvST_.kd
    .uniform_work_group_size: 1
    .uses_dynamic_stack: false
    .vgpr_count:     0
    .vgpr_spill_count: 0
    .wavefront_size: 32
    .workgroup_processor_mode: 1
  - .args:
      - .offset:         0
        .size:           48
        .value_kind:     by_value
    .group_segment_fixed_size: 0
    .kernarg_segment_align: 8
    .kernarg_segment_size: 48
    .language:       OpenCL C
    .language_version:
      - 2
      - 0
    .max_flat_workgroup_size: 128
    .name:           _ZN7rocprim17ROCPRIM_400000_NS6detail17trampoline_kernelINS0_14default_configENS1_22reduce_config_selectorIbEEZNS1_11reduce_implILb1ES3_N6hipcub16HIPCUB_304000_NS22TransformInputIteratorIbN2at6native12_GLOBAL__N_19NonZeroOpIN3c107complexIdEEEEPKSG_lEEPiiNS8_6detail34convert_binary_result_type_wrapperINS8_3SumESK_iEEEE10hipError_tPvRmT1_T2_T3_mT4_P12ihipStream_tbEUlT_E1_NS1_11comp_targetILNS1_3genE2ELNS1_11target_archE906ELNS1_3gpuE6ELNS1_3repE0EEENS1_30default_config_static_selectorELNS0_4arch9wavefront6targetE0EEEvST_
    .private_segment_fixed_size: 0
    .sgpr_count:     0
    .sgpr_spill_count: 0
    .symbol:         _ZN7rocprim17ROCPRIM_400000_NS6detail17trampoline_kernelINS0_14default_configENS1_22reduce_config_selectorIbEEZNS1_11reduce_implILb1ES3_N6hipcub16HIPCUB_304000_NS22TransformInputIteratorIbN2at6native12_GLOBAL__N_19NonZeroOpIN3c107complexIdEEEEPKSG_lEEPiiNS8_6detail34convert_binary_result_type_wrapperINS8_3SumESK_iEEEE10hipError_tPvRmT1_T2_T3_mT4_P12ihipStream_tbEUlT_E1_NS1_11comp_targetILNS1_3genE2ELNS1_11target_archE906ELNS1_3gpuE6ELNS1_3repE0EEENS1_30default_config_static_selectorELNS0_4arch9wavefront6targetE0EEEvST_.kd
    .uniform_work_group_size: 1
    .uses_dynamic_stack: false
    .vgpr_count:     0
    .vgpr_spill_count: 0
    .wavefront_size: 32
    .workgroup_processor_mode: 1
  - .args:
      - .offset:         0
        .size:           48
        .value_kind:     by_value
    .group_segment_fixed_size: 0
    .kernarg_segment_align: 8
    .kernarg_segment_size: 48
    .language:       OpenCL C
    .language_version:
      - 2
      - 0
    .max_flat_workgroup_size: 256
    .name:           _ZN7rocprim17ROCPRIM_400000_NS6detail17trampoline_kernelINS0_14default_configENS1_22reduce_config_selectorIbEEZNS1_11reduce_implILb1ES3_N6hipcub16HIPCUB_304000_NS22TransformInputIteratorIbN2at6native12_GLOBAL__N_19NonZeroOpIN3c107complexIdEEEEPKSG_lEEPiiNS8_6detail34convert_binary_result_type_wrapperINS8_3SumESK_iEEEE10hipError_tPvRmT1_T2_T3_mT4_P12ihipStream_tbEUlT_E1_NS1_11comp_targetILNS1_3genE10ELNS1_11target_archE1201ELNS1_3gpuE5ELNS1_3repE0EEENS1_30default_config_static_selectorELNS0_4arch9wavefront6targetE0EEEvST_
    .private_segment_fixed_size: 0
    .sgpr_count:     0
    .sgpr_spill_count: 0
    .symbol:         _ZN7rocprim17ROCPRIM_400000_NS6detail17trampoline_kernelINS0_14default_configENS1_22reduce_config_selectorIbEEZNS1_11reduce_implILb1ES3_N6hipcub16HIPCUB_304000_NS22TransformInputIteratorIbN2at6native12_GLOBAL__N_19NonZeroOpIN3c107complexIdEEEEPKSG_lEEPiiNS8_6detail34convert_binary_result_type_wrapperINS8_3SumESK_iEEEE10hipError_tPvRmT1_T2_T3_mT4_P12ihipStream_tbEUlT_E1_NS1_11comp_targetILNS1_3genE10ELNS1_11target_archE1201ELNS1_3gpuE5ELNS1_3repE0EEENS1_30default_config_static_selectorELNS0_4arch9wavefront6targetE0EEEvST_.kd
    .uniform_work_group_size: 1
    .uses_dynamic_stack: false
    .vgpr_count:     0
    .vgpr_spill_count: 0
    .wavefront_size: 32
    .workgroup_processor_mode: 1
  - .args:
      - .offset:         0
        .size:           48
        .value_kind:     by_value
    .group_segment_fixed_size: 0
    .kernarg_segment_align: 8
    .kernarg_segment_size: 48
    .language:       OpenCL C
    .language_version:
      - 2
      - 0
    .max_flat_workgroup_size: 256
    .name:           _ZN7rocprim17ROCPRIM_400000_NS6detail17trampoline_kernelINS0_14default_configENS1_22reduce_config_selectorIbEEZNS1_11reduce_implILb1ES3_N6hipcub16HIPCUB_304000_NS22TransformInputIteratorIbN2at6native12_GLOBAL__N_19NonZeroOpIN3c107complexIdEEEEPKSG_lEEPiiNS8_6detail34convert_binary_result_type_wrapperINS8_3SumESK_iEEEE10hipError_tPvRmT1_T2_T3_mT4_P12ihipStream_tbEUlT_E1_NS1_11comp_targetILNS1_3genE10ELNS1_11target_archE1200ELNS1_3gpuE4ELNS1_3repE0EEENS1_30default_config_static_selectorELNS0_4arch9wavefront6targetE0EEEvST_
    .private_segment_fixed_size: 0
    .sgpr_count:     0
    .sgpr_spill_count: 0
    .symbol:         _ZN7rocprim17ROCPRIM_400000_NS6detail17trampoline_kernelINS0_14default_configENS1_22reduce_config_selectorIbEEZNS1_11reduce_implILb1ES3_N6hipcub16HIPCUB_304000_NS22TransformInputIteratorIbN2at6native12_GLOBAL__N_19NonZeroOpIN3c107complexIdEEEEPKSG_lEEPiiNS8_6detail34convert_binary_result_type_wrapperINS8_3SumESK_iEEEE10hipError_tPvRmT1_T2_T3_mT4_P12ihipStream_tbEUlT_E1_NS1_11comp_targetILNS1_3genE10ELNS1_11target_archE1200ELNS1_3gpuE4ELNS1_3repE0EEENS1_30default_config_static_selectorELNS0_4arch9wavefront6targetE0EEEvST_.kd
    .uniform_work_group_size: 1
    .uses_dynamic_stack: false
    .vgpr_count:     0
    .vgpr_spill_count: 0
    .wavefront_size: 32
    .workgroup_processor_mode: 1
  - .args:
      - .offset:         0
        .size:           48
        .value_kind:     by_value
    .group_segment_fixed_size: 144
    .kernarg_segment_align: 8
    .kernarg_segment_size: 48
    .language:       OpenCL C
    .language_version:
      - 2
      - 0
    .max_flat_workgroup_size: 128
    .name:           _ZN7rocprim17ROCPRIM_400000_NS6detail17trampoline_kernelINS0_14default_configENS1_22reduce_config_selectorIbEEZNS1_11reduce_implILb1ES3_N6hipcub16HIPCUB_304000_NS22TransformInputIteratorIbN2at6native12_GLOBAL__N_19NonZeroOpIN3c107complexIdEEEEPKSG_lEEPiiNS8_6detail34convert_binary_result_type_wrapperINS8_3SumESK_iEEEE10hipError_tPvRmT1_T2_T3_mT4_P12ihipStream_tbEUlT_E1_NS1_11comp_targetILNS1_3genE9ELNS1_11target_archE1100ELNS1_3gpuE3ELNS1_3repE0EEENS1_30default_config_static_selectorELNS0_4arch9wavefront6targetE0EEEvST_
    .private_segment_fixed_size: 0
    .sgpr_count:     107
    .sgpr_spill_count: 14
    .symbol:         _ZN7rocprim17ROCPRIM_400000_NS6detail17trampoline_kernelINS0_14default_configENS1_22reduce_config_selectorIbEEZNS1_11reduce_implILb1ES3_N6hipcub16HIPCUB_304000_NS22TransformInputIteratorIbN2at6native12_GLOBAL__N_19NonZeroOpIN3c107complexIdEEEEPKSG_lEEPiiNS8_6detail34convert_binary_result_type_wrapperINS8_3SumESK_iEEEE10hipError_tPvRmT1_T2_T3_mT4_P12ihipStream_tbEUlT_E1_NS1_11comp_targetILNS1_3genE9ELNS1_11target_archE1100ELNS1_3gpuE3ELNS1_3repE0EEENS1_30default_config_static_selectorELNS0_4arch9wavefront6targetE0EEEvST_.kd
    .uniform_work_group_size: 1
    .uses_dynamic_stack: false
    .vgpr_count:     148
    .vgpr_spill_count: 0
    .wavefront_size: 32
    .workgroup_processor_mode: 1
  - .args:
      - .offset:         0
        .size:           48
        .value_kind:     by_value
    .group_segment_fixed_size: 0
    .kernarg_segment_align: 8
    .kernarg_segment_size: 48
    .language:       OpenCL C
    .language_version:
      - 2
      - 0
    .max_flat_workgroup_size: 256
    .name:           _ZN7rocprim17ROCPRIM_400000_NS6detail17trampoline_kernelINS0_14default_configENS1_22reduce_config_selectorIbEEZNS1_11reduce_implILb1ES3_N6hipcub16HIPCUB_304000_NS22TransformInputIteratorIbN2at6native12_GLOBAL__N_19NonZeroOpIN3c107complexIdEEEEPKSG_lEEPiiNS8_6detail34convert_binary_result_type_wrapperINS8_3SumESK_iEEEE10hipError_tPvRmT1_T2_T3_mT4_P12ihipStream_tbEUlT_E1_NS1_11comp_targetILNS1_3genE8ELNS1_11target_archE1030ELNS1_3gpuE2ELNS1_3repE0EEENS1_30default_config_static_selectorELNS0_4arch9wavefront6targetE0EEEvST_
    .private_segment_fixed_size: 0
    .sgpr_count:     0
    .sgpr_spill_count: 0
    .symbol:         _ZN7rocprim17ROCPRIM_400000_NS6detail17trampoline_kernelINS0_14default_configENS1_22reduce_config_selectorIbEEZNS1_11reduce_implILb1ES3_N6hipcub16HIPCUB_304000_NS22TransformInputIteratorIbN2at6native12_GLOBAL__N_19NonZeroOpIN3c107complexIdEEEEPKSG_lEEPiiNS8_6detail34convert_binary_result_type_wrapperINS8_3SumESK_iEEEE10hipError_tPvRmT1_T2_T3_mT4_P12ihipStream_tbEUlT_E1_NS1_11comp_targetILNS1_3genE8ELNS1_11target_archE1030ELNS1_3gpuE2ELNS1_3repE0EEENS1_30default_config_static_selectorELNS0_4arch9wavefront6targetE0EEEvST_.kd
    .uniform_work_group_size: 1
    .uses_dynamic_stack: false
    .vgpr_count:     0
    .vgpr_spill_count: 0
    .wavefront_size: 32
    .workgroup_processor_mode: 1
  - .args:
      - .offset:         0
        .size:           120
        .value_kind:     by_value
    .group_segment_fixed_size: 0
    .kernarg_segment_align: 8
    .kernarg_segment_size: 120
    .language:       OpenCL C
    .language_version:
      - 2
      - 0
    .max_flat_workgroup_size: 128
    .name:           _ZN7rocprim17ROCPRIM_400000_NS6detail17trampoline_kernelINS0_14default_configENS1_25partition_config_selectorILNS1_17partition_subalgoE5ElNS0_10empty_typeEbEEZZNS1_14partition_implILS5_5ELb0ES3_mN6hipcub16HIPCUB_304000_NS21CountingInputIteratorIllEEPS6_NSA_22TransformInputIteratorIbN2at6native12_GLOBAL__N_19NonZeroOpIN3c107complexIdEEEEPKSL_lEENS0_5tupleIJPlS6_EEENSQ_IJSD_SD_EEES6_PiJS6_EEE10hipError_tPvRmT3_T4_T5_T6_T7_T9_mT8_P12ihipStream_tbDpT10_ENKUlT_T0_E_clISt17integral_constantIbLb0EES1E_EEDaS19_S1A_EUlS19_E_NS1_11comp_targetILNS1_3genE0ELNS1_11target_archE4294967295ELNS1_3gpuE0ELNS1_3repE0EEENS1_30default_config_static_selectorELNS0_4arch9wavefront6targetE0EEEvT1_
    .private_segment_fixed_size: 0
    .sgpr_count:     0
    .sgpr_spill_count: 0
    .symbol:         _ZN7rocprim17ROCPRIM_400000_NS6detail17trampoline_kernelINS0_14default_configENS1_25partition_config_selectorILNS1_17partition_subalgoE5ElNS0_10empty_typeEbEEZZNS1_14partition_implILS5_5ELb0ES3_mN6hipcub16HIPCUB_304000_NS21CountingInputIteratorIllEEPS6_NSA_22TransformInputIteratorIbN2at6native12_GLOBAL__N_19NonZeroOpIN3c107complexIdEEEEPKSL_lEENS0_5tupleIJPlS6_EEENSQ_IJSD_SD_EEES6_PiJS6_EEE10hipError_tPvRmT3_T4_T5_T6_T7_T9_mT8_P12ihipStream_tbDpT10_ENKUlT_T0_E_clISt17integral_constantIbLb0EES1E_EEDaS19_S1A_EUlS19_E_NS1_11comp_targetILNS1_3genE0ELNS1_11target_archE4294967295ELNS1_3gpuE0ELNS1_3repE0EEENS1_30default_config_static_selectorELNS0_4arch9wavefront6targetE0EEEvT1_.kd
    .uniform_work_group_size: 1
    .uses_dynamic_stack: false
    .vgpr_count:     0
    .vgpr_spill_count: 0
    .wavefront_size: 32
    .workgroup_processor_mode: 1
  - .args:
      - .offset:         0
        .size:           120
        .value_kind:     by_value
    .group_segment_fixed_size: 0
    .kernarg_segment_align: 8
    .kernarg_segment_size: 120
    .language:       OpenCL C
    .language_version:
      - 2
      - 0
    .max_flat_workgroup_size: 512
    .name:           _ZN7rocprim17ROCPRIM_400000_NS6detail17trampoline_kernelINS0_14default_configENS1_25partition_config_selectorILNS1_17partition_subalgoE5ElNS0_10empty_typeEbEEZZNS1_14partition_implILS5_5ELb0ES3_mN6hipcub16HIPCUB_304000_NS21CountingInputIteratorIllEEPS6_NSA_22TransformInputIteratorIbN2at6native12_GLOBAL__N_19NonZeroOpIN3c107complexIdEEEEPKSL_lEENS0_5tupleIJPlS6_EEENSQ_IJSD_SD_EEES6_PiJS6_EEE10hipError_tPvRmT3_T4_T5_T6_T7_T9_mT8_P12ihipStream_tbDpT10_ENKUlT_T0_E_clISt17integral_constantIbLb0EES1E_EEDaS19_S1A_EUlS19_E_NS1_11comp_targetILNS1_3genE5ELNS1_11target_archE942ELNS1_3gpuE9ELNS1_3repE0EEENS1_30default_config_static_selectorELNS0_4arch9wavefront6targetE0EEEvT1_
    .private_segment_fixed_size: 0
    .sgpr_count:     0
    .sgpr_spill_count: 0
    .symbol:         _ZN7rocprim17ROCPRIM_400000_NS6detail17trampoline_kernelINS0_14default_configENS1_25partition_config_selectorILNS1_17partition_subalgoE5ElNS0_10empty_typeEbEEZZNS1_14partition_implILS5_5ELb0ES3_mN6hipcub16HIPCUB_304000_NS21CountingInputIteratorIllEEPS6_NSA_22TransformInputIteratorIbN2at6native12_GLOBAL__N_19NonZeroOpIN3c107complexIdEEEEPKSL_lEENS0_5tupleIJPlS6_EEENSQ_IJSD_SD_EEES6_PiJS6_EEE10hipError_tPvRmT3_T4_T5_T6_T7_T9_mT8_P12ihipStream_tbDpT10_ENKUlT_T0_E_clISt17integral_constantIbLb0EES1E_EEDaS19_S1A_EUlS19_E_NS1_11comp_targetILNS1_3genE5ELNS1_11target_archE942ELNS1_3gpuE9ELNS1_3repE0EEENS1_30default_config_static_selectorELNS0_4arch9wavefront6targetE0EEEvT1_.kd
    .uniform_work_group_size: 1
    .uses_dynamic_stack: false
    .vgpr_count:     0
    .vgpr_spill_count: 0
    .wavefront_size: 32
    .workgroup_processor_mode: 1
  - .args:
      - .offset:         0
        .size:           120
        .value_kind:     by_value
    .group_segment_fixed_size: 0
    .kernarg_segment_align: 8
    .kernarg_segment_size: 120
    .language:       OpenCL C
    .language_version:
      - 2
      - 0
    .max_flat_workgroup_size: 192
    .name:           _ZN7rocprim17ROCPRIM_400000_NS6detail17trampoline_kernelINS0_14default_configENS1_25partition_config_selectorILNS1_17partition_subalgoE5ElNS0_10empty_typeEbEEZZNS1_14partition_implILS5_5ELb0ES3_mN6hipcub16HIPCUB_304000_NS21CountingInputIteratorIllEEPS6_NSA_22TransformInputIteratorIbN2at6native12_GLOBAL__N_19NonZeroOpIN3c107complexIdEEEEPKSL_lEENS0_5tupleIJPlS6_EEENSQ_IJSD_SD_EEES6_PiJS6_EEE10hipError_tPvRmT3_T4_T5_T6_T7_T9_mT8_P12ihipStream_tbDpT10_ENKUlT_T0_E_clISt17integral_constantIbLb0EES1E_EEDaS19_S1A_EUlS19_E_NS1_11comp_targetILNS1_3genE4ELNS1_11target_archE910ELNS1_3gpuE8ELNS1_3repE0EEENS1_30default_config_static_selectorELNS0_4arch9wavefront6targetE0EEEvT1_
    .private_segment_fixed_size: 0
    .sgpr_count:     0
    .sgpr_spill_count: 0
    .symbol:         _ZN7rocprim17ROCPRIM_400000_NS6detail17trampoline_kernelINS0_14default_configENS1_25partition_config_selectorILNS1_17partition_subalgoE5ElNS0_10empty_typeEbEEZZNS1_14partition_implILS5_5ELb0ES3_mN6hipcub16HIPCUB_304000_NS21CountingInputIteratorIllEEPS6_NSA_22TransformInputIteratorIbN2at6native12_GLOBAL__N_19NonZeroOpIN3c107complexIdEEEEPKSL_lEENS0_5tupleIJPlS6_EEENSQ_IJSD_SD_EEES6_PiJS6_EEE10hipError_tPvRmT3_T4_T5_T6_T7_T9_mT8_P12ihipStream_tbDpT10_ENKUlT_T0_E_clISt17integral_constantIbLb0EES1E_EEDaS19_S1A_EUlS19_E_NS1_11comp_targetILNS1_3genE4ELNS1_11target_archE910ELNS1_3gpuE8ELNS1_3repE0EEENS1_30default_config_static_selectorELNS0_4arch9wavefront6targetE0EEEvT1_.kd
    .uniform_work_group_size: 1
    .uses_dynamic_stack: false
    .vgpr_count:     0
    .vgpr_spill_count: 0
    .wavefront_size: 32
    .workgroup_processor_mode: 1
  - .args:
      - .offset:         0
        .size:           120
        .value_kind:     by_value
    .group_segment_fixed_size: 0
    .kernarg_segment_align: 8
    .kernarg_segment_size: 120
    .language:       OpenCL C
    .language_version:
      - 2
      - 0
    .max_flat_workgroup_size: 128
    .name:           _ZN7rocprim17ROCPRIM_400000_NS6detail17trampoline_kernelINS0_14default_configENS1_25partition_config_selectorILNS1_17partition_subalgoE5ElNS0_10empty_typeEbEEZZNS1_14partition_implILS5_5ELb0ES3_mN6hipcub16HIPCUB_304000_NS21CountingInputIteratorIllEEPS6_NSA_22TransformInputIteratorIbN2at6native12_GLOBAL__N_19NonZeroOpIN3c107complexIdEEEEPKSL_lEENS0_5tupleIJPlS6_EEENSQ_IJSD_SD_EEES6_PiJS6_EEE10hipError_tPvRmT3_T4_T5_T6_T7_T9_mT8_P12ihipStream_tbDpT10_ENKUlT_T0_E_clISt17integral_constantIbLb0EES1E_EEDaS19_S1A_EUlS19_E_NS1_11comp_targetILNS1_3genE3ELNS1_11target_archE908ELNS1_3gpuE7ELNS1_3repE0EEENS1_30default_config_static_selectorELNS0_4arch9wavefront6targetE0EEEvT1_
    .private_segment_fixed_size: 0
    .sgpr_count:     0
    .sgpr_spill_count: 0
    .symbol:         _ZN7rocprim17ROCPRIM_400000_NS6detail17trampoline_kernelINS0_14default_configENS1_25partition_config_selectorILNS1_17partition_subalgoE5ElNS0_10empty_typeEbEEZZNS1_14partition_implILS5_5ELb0ES3_mN6hipcub16HIPCUB_304000_NS21CountingInputIteratorIllEEPS6_NSA_22TransformInputIteratorIbN2at6native12_GLOBAL__N_19NonZeroOpIN3c107complexIdEEEEPKSL_lEENS0_5tupleIJPlS6_EEENSQ_IJSD_SD_EEES6_PiJS6_EEE10hipError_tPvRmT3_T4_T5_T6_T7_T9_mT8_P12ihipStream_tbDpT10_ENKUlT_T0_E_clISt17integral_constantIbLb0EES1E_EEDaS19_S1A_EUlS19_E_NS1_11comp_targetILNS1_3genE3ELNS1_11target_archE908ELNS1_3gpuE7ELNS1_3repE0EEENS1_30default_config_static_selectorELNS0_4arch9wavefront6targetE0EEEvT1_.kd
    .uniform_work_group_size: 1
    .uses_dynamic_stack: false
    .vgpr_count:     0
    .vgpr_spill_count: 0
    .wavefront_size: 32
    .workgroup_processor_mode: 1
  - .args:
      - .offset:         0
        .size:           120
        .value_kind:     by_value
    .group_segment_fixed_size: 0
    .kernarg_segment_align: 8
    .kernarg_segment_size: 120
    .language:       OpenCL C
    .language_version:
      - 2
      - 0
    .max_flat_workgroup_size: 256
    .name:           _ZN7rocprim17ROCPRIM_400000_NS6detail17trampoline_kernelINS0_14default_configENS1_25partition_config_selectorILNS1_17partition_subalgoE5ElNS0_10empty_typeEbEEZZNS1_14partition_implILS5_5ELb0ES3_mN6hipcub16HIPCUB_304000_NS21CountingInputIteratorIllEEPS6_NSA_22TransformInputIteratorIbN2at6native12_GLOBAL__N_19NonZeroOpIN3c107complexIdEEEEPKSL_lEENS0_5tupleIJPlS6_EEENSQ_IJSD_SD_EEES6_PiJS6_EEE10hipError_tPvRmT3_T4_T5_T6_T7_T9_mT8_P12ihipStream_tbDpT10_ENKUlT_T0_E_clISt17integral_constantIbLb0EES1E_EEDaS19_S1A_EUlS19_E_NS1_11comp_targetILNS1_3genE2ELNS1_11target_archE906ELNS1_3gpuE6ELNS1_3repE0EEENS1_30default_config_static_selectorELNS0_4arch9wavefront6targetE0EEEvT1_
    .private_segment_fixed_size: 0
    .sgpr_count:     0
    .sgpr_spill_count: 0
    .symbol:         _ZN7rocprim17ROCPRIM_400000_NS6detail17trampoline_kernelINS0_14default_configENS1_25partition_config_selectorILNS1_17partition_subalgoE5ElNS0_10empty_typeEbEEZZNS1_14partition_implILS5_5ELb0ES3_mN6hipcub16HIPCUB_304000_NS21CountingInputIteratorIllEEPS6_NSA_22TransformInputIteratorIbN2at6native12_GLOBAL__N_19NonZeroOpIN3c107complexIdEEEEPKSL_lEENS0_5tupleIJPlS6_EEENSQ_IJSD_SD_EEES6_PiJS6_EEE10hipError_tPvRmT3_T4_T5_T6_T7_T9_mT8_P12ihipStream_tbDpT10_ENKUlT_T0_E_clISt17integral_constantIbLb0EES1E_EEDaS19_S1A_EUlS19_E_NS1_11comp_targetILNS1_3genE2ELNS1_11target_archE906ELNS1_3gpuE6ELNS1_3repE0EEENS1_30default_config_static_selectorELNS0_4arch9wavefront6targetE0EEEvT1_.kd
    .uniform_work_group_size: 1
    .uses_dynamic_stack: false
    .vgpr_count:     0
    .vgpr_spill_count: 0
    .wavefront_size: 32
    .workgroup_processor_mode: 1
  - .args:
      - .offset:         0
        .size:           120
        .value_kind:     by_value
    .group_segment_fixed_size: 0
    .kernarg_segment_align: 8
    .kernarg_segment_size: 120
    .language:       OpenCL C
    .language_version:
      - 2
      - 0
    .max_flat_workgroup_size: 256
    .name:           _ZN7rocprim17ROCPRIM_400000_NS6detail17trampoline_kernelINS0_14default_configENS1_25partition_config_selectorILNS1_17partition_subalgoE5ElNS0_10empty_typeEbEEZZNS1_14partition_implILS5_5ELb0ES3_mN6hipcub16HIPCUB_304000_NS21CountingInputIteratorIllEEPS6_NSA_22TransformInputIteratorIbN2at6native12_GLOBAL__N_19NonZeroOpIN3c107complexIdEEEEPKSL_lEENS0_5tupleIJPlS6_EEENSQ_IJSD_SD_EEES6_PiJS6_EEE10hipError_tPvRmT3_T4_T5_T6_T7_T9_mT8_P12ihipStream_tbDpT10_ENKUlT_T0_E_clISt17integral_constantIbLb0EES1E_EEDaS19_S1A_EUlS19_E_NS1_11comp_targetILNS1_3genE10ELNS1_11target_archE1200ELNS1_3gpuE4ELNS1_3repE0EEENS1_30default_config_static_selectorELNS0_4arch9wavefront6targetE0EEEvT1_
    .private_segment_fixed_size: 0
    .sgpr_count:     0
    .sgpr_spill_count: 0
    .symbol:         _ZN7rocprim17ROCPRIM_400000_NS6detail17trampoline_kernelINS0_14default_configENS1_25partition_config_selectorILNS1_17partition_subalgoE5ElNS0_10empty_typeEbEEZZNS1_14partition_implILS5_5ELb0ES3_mN6hipcub16HIPCUB_304000_NS21CountingInputIteratorIllEEPS6_NSA_22TransformInputIteratorIbN2at6native12_GLOBAL__N_19NonZeroOpIN3c107complexIdEEEEPKSL_lEENS0_5tupleIJPlS6_EEENSQ_IJSD_SD_EEES6_PiJS6_EEE10hipError_tPvRmT3_T4_T5_T6_T7_T9_mT8_P12ihipStream_tbDpT10_ENKUlT_T0_E_clISt17integral_constantIbLb0EES1E_EEDaS19_S1A_EUlS19_E_NS1_11comp_targetILNS1_3genE10ELNS1_11target_archE1200ELNS1_3gpuE4ELNS1_3repE0EEENS1_30default_config_static_selectorELNS0_4arch9wavefront6targetE0EEEvT1_.kd
    .uniform_work_group_size: 1
    .uses_dynamic_stack: false
    .vgpr_count:     0
    .vgpr_spill_count: 0
    .wavefront_size: 32
    .workgroup_processor_mode: 1
  - .args:
      - .offset:         0
        .size:           120
        .value_kind:     by_value
    .group_segment_fixed_size: 6160
    .kernarg_segment_align: 8
    .kernarg_segment_size: 120
    .language:       OpenCL C
    .language_version:
      - 2
      - 0
    .max_flat_workgroup_size: 128
    .name:           _ZN7rocprim17ROCPRIM_400000_NS6detail17trampoline_kernelINS0_14default_configENS1_25partition_config_selectorILNS1_17partition_subalgoE5ElNS0_10empty_typeEbEEZZNS1_14partition_implILS5_5ELb0ES3_mN6hipcub16HIPCUB_304000_NS21CountingInputIteratorIllEEPS6_NSA_22TransformInputIteratorIbN2at6native12_GLOBAL__N_19NonZeroOpIN3c107complexIdEEEEPKSL_lEENS0_5tupleIJPlS6_EEENSQ_IJSD_SD_EEES6_PiJS6_EEE10hipError_tPvRmT3_T4_T5_T6_T7_T9_mT8_P12ihipStream_tbDpT10_ENKUlT_T0_E_clISt17integral_constantIbLb0EES1E_EEDaS19_S1A_EUlS19_E_NS1_11comp_targetILNS1_3genE9ELNS1_11target_archE1100ELNS1_3gpuE3ELNS1_3repE0EEENS1_30default_config_static_selectorELNS0_4arch9wavefront6targetE0EEEvT1_
    .private_segment_fixed_size: 0
    .sgpr_count:     29
    .sgpr_spill_count: 0
    .symbol:         _ZN7rocprim17ROCPRIM_400000_NS6detail17trampoline_kernelINS0_14default_configENS1_25partition_config_selectorILNS1_17partition_subalgoE5ElNS0_10empty_typeEbEEZZNS1_14partition_implILS5_5ELb0ES3_mN6hipcub16HIPCUB_304000_NS21CountingInputIteratorIllEEPS6_NSA_22TransformInputIteratorIbN2at6native12_GLOBAL__N_19NonZeroOpIN3c107complexIdEEEEPKSL_lEENS0_5tupleIJPlS6_EEENSQ_IJSD_SD_EEES6_PiJS6_EEE10hipError_tPvRmT3_T4_T5_T6_T7_T9_mT8_P12ihipStream_tbDpT10_ENKUlT_T0_E_clISt17integral_constantIbLb0EES1E_EEDaS19_S1A_EUlS19_E_NS1_11comp_targetILNS1_3genE9ELNS1_11target_archE1100ELNS1_3gpuE3ELNS1_3repE0EEENS1_30default_config_static_selectorELNS0_4arch9wavefront6targetE0EEEvT1_.kd
    .uniform_work_group_size: 1
    .uses_dynamic_stack: false
    .vgpr_count:     57
    .vgpr_spill_count: 0
    .wavefront_size: 32
    .workgroup_processor_mode: 1
  - .args:
      - .offset:         0
        .size:           120
        .value_kind:     by_value
    .group_segment_fixed_size: 0
    .kernarg_segment_align: 8
    .kernarg_segment_size: 120
    .language:       OpenCL C
    .language_version:
      - 2
      - 0
    .max_flat_workgroup_size: 512
    .name:           _ZN7rocprim17ROCPRIM_400000_NS6detail17trampoline_kernelINS0_14default_configENS1_25partition_config_selectorILNS1_17partition_subalgoE5ElNS0_10empty_typeEbEEZZNS1_14partition_implILS5_5ELb0ES3_mN6hipcub16HIPCUB_304000_NS21CountingInputIteratorIllEEPS6_NSA_22TransformInputIteratorIbN2at6native12_GLOBAL__N_19NonZeroOpIN3c107complexIdEEEEPKSL_lEENS0_5tupleIJPlS6_EEENSQ_IJSD_SD_EEES6_PiJS6_EEE10hipError_tPvRmT3_T4_T5_T6_T7_T9_mT8_P12ihipStream_tbDpT10_ENKUlT_T0_E_clISt17integral_constantIbLb0EES1E_EEDaS19_S1A_EUlS19_E_NS1_11comp_targetILNS1_3genE8ELNS1_11target_archE1030ELNS1_3gpuE2ELNS1_3repE0EEENS1_30default_config_static_selectorELNS0_4arch9wavefront6targetE0EEEvT1_
    .private_segment_fixed_size: 0
    .sgpr_count:     0
    .sgpr_spill_count: 0
    .symbol:         _ZN7rocprim17ROCPRIM_400000_NS6detail17trampoline_kernelINS0_14default_configENS1_25partition_config_selectorILNS1_17partition_subalgoE5ElNS0_10empty_typeEbEEZZNS1_14partition_implILS5_5ELb0ES3_mN6hipcub16HIPCUB_304000_NS21CountingInputIteratorIllEEPS6_NSA_22TransformInputIteratorIbN2at6native12_GLOBAL__N_19NonZeroOpIN3c107complexIdEEEEPKSL_lEENS0_5tupleIJPlS6_EEENSQ_IJSD_SD_EEES6_PiJS6_EEE10hipError_tPvRmT3_T4_T5_T6_T7_T9_mT8_P12ihipStream_tbDpT10_ENKUlT_T0_E_clISt17integral_constantIbLb0EES1E_EEDaS19_S1A_EUlS19_E_NS1_11comp_targetILNS1_3genE8ELNS1_11target_archE1030ELNS1_3gpuE2ELNS1_3repE0EEENS1_30default_config_static_selectorELNS0_4arch9wavefront6targetE0EEEvT1_.kd
    .uniform_work_group_size: 1
    .uses_dynamic_stack: false
    .vgpr_count:     0
    .vgpr_spill_count: 0
    .wavefront_size: 32
    .workgroup_processor_mode: 1
  - .args:
      - .offset:         0
        .size:           136
        .value_kind:     by_value
    .group_segment_fixed_size: 0
    .kernarg_segment_align: 8
    .kernarg_segment_size: 136
    .language:       OpenCL C
    .language_version:
      - 2
      - 0
    .max_flat_workgroup_size: 128
    .name:           _ZN7rocprim17ROCPRIM_400000_NS6detail17trampoline_kernelINS0_14default_configENS1_25partition_config_selectorILNS1_17partition_subalgoE5ElNS0_10empty_typeEbEEZZNS1_14partition_implILS5_5ELb0ES3_mN6hipcub16HIPCUB_304000_NS21CountingInputIteratorIllEEPS6_NSA_22TransformInputIteratorIbN2at6native12_GLOBAL__N_19NonZeroOpIN3c107complexIdEEEEPKSL_lEENS0_5tupleIJPlS6_EEENSQ_IJSD_SD_EEES6_PiJS6_EEE10hipError_tPvRmT3_T4_T5_T6_T7_T9_mT8_P12ihipStream_tbDpT10_ENKUlT_T0_E_clISt17integral_constantIbLb1EES1E_EEDaS19_S1A_EUlS19_E_NS1_11comp_targetILNS1_3genE0ELNS1_11target_archE4294967295ELNS1_3gpuE0ELNS1_3repE0EEENS1_30default_config_static_selectorELNS0_4arch9wavefront6targetE0EEEvT1_
    .private_segment_fixed_size: 0
    .sgpr_count:     0
    .sgpr_spill_count: 0
    .symbol:         _ZN7rocprim17ROCPRIM_400000_NS6detail17trampoline_kernelINS0_14default_configENS1_25partition_config_selectorILNS1_17partition_subalgoE5ElNS0_10empty_typeEbEEZZNS1_14partition_implILS5_5ELb0ES3_mN6hipcub16HIPCUB_304000_NS21CountingInputIteratorIllEEPS6_NSA_22TransformInputIteratorIbN2at6native12_GLOBAL__N_19NonZeroOpIN3c107complexIdEEEEPKSL_lEENS0_5tupleIJPlS6_EEENSQ_IJSD_SD_EEES6_PiJS6_EEE10hipError_tPvRmT3_T4_T5_T6_T7_T9_mT8_P12ihipStream_tbDpT10_ENKUlT_T0_E_clISt17integral_constantIbLb1EES1E_EEDaS19_S1A_EUlS19_E_NS1_11comp_targetILNS1_3genE0ELNS1_11target_archE4294967295ELNS1_3gpuE0ELNS1_3repE0EEENS1_30default_config_static_selectorELNS0_4arch9wavefront6targetE0EEEvT1_.kd
    .uniform_work_group_size: 1
    .uses_dynamic_stack: false
    .vgpr_count:     0
    .vgpr_spill_count: 0
    .wavefront_size: 32
    .workgroup_processor_mode: 1
  - .args:
      - .offset:         0
        .size:           136
        .value_kind:     by_value
    .group_segment_fixed_size: 0
    .kernarg_segment_align: 8
    .kernarg_segment_size: 136
    .language:       OpenCL C
    .language_version:
      - 2
      - 0
    .max_flat_workgroup_size: 512
    .name:           _ZN7rocprim17ROCPRIM_400000_NS6detail17trampoline_kernelINS0_14default_configENS1_25partition_config_selectorILNS1_17partition_subalgoE5ElNS0_10empty_typeEbEEZZNS1_14partition_implILS5_5ELb0ES3_mN6hipcub16HIPCUB_304000_NS21CountingInputIteratorIllEEPS6_NSA_22TransformInputIteratorIbN2at6native12_GLOBAL__N_19NonZeroOpIN3c107complexIdEEEEPKSL_lEENS0_5tupleIJPlS6_EEENSQ_IJSD_SD_EEES6_PiJS6_EEE10hipError_tPvRmT3_T4_T5_T6_T7_T9_mT8_P12ihipStream_tbDpT10_ENKUlT_T0_E_clISt17integral_constantIbLb1EES1E_EEDaS19_S1A_EUlS19_E_NS1_11comp_targetILNS1_3genE5ELNS1_11target_archE942ELNS1_3gpuE9ELNS1_3repE0EEENS1_30default_config_static_selectorELNS0_4arch9wavefront6targetE0EEEvT1_
    .private_segment_fixed_size: 0
    .sgpr_count:     0
    .sgpr_spill_count: 0
    .symbol:         _ZN7rocprim17ROCPRIM_400000_NS6detail17trampoline_kernelINS0_14default_configENS1_25partition_config_selectorILNS1_17partition_subalgoE5ElNS0_10empty_typeEbEEZZNS1_14partition_implILS5_5ELb0ES3_mN6hipcub16HIPCUB_304000_NS21CountingInputIteratorIllEEPS6_NSA_22TransformInputIteratorIbN2at6native12_GLOBAL__N_19NonZeroOpIN3c107complexIdEEEEPKSL_lEENS0_5tupleIJPlS6_EEENSQ_IJSD_SD_EEES6_PiJS6_EEE10hipError_tPvRmT3_T4_T5_T6_T7_T9_mT8_P12ihipStream_tbDpT10_ENKUlT_T0_E_clISt17integral_constantIbLb1EES1E_EEDaS19_S1A_EUlS19_E_NS1_11comp_targetILNS1_3genE5ELNS1_11target_archE942ELNS1_3gpuE9ELNS1_3repE0EEENS1_30default_config_static_selectorELNS0_4arch9wavefront6targetE0EEEvT1_.kd
    .uniform_work_group_size: 1
    .uses_dynamic_stack: false
    .vgpr_count:     0
    .vgpr_spill_count: 0
    .wavefront_size: 32
    .workgroup_processor_mode: 1
  - .args:
      - .offset:         0
        .size:           136
        .value_kind:     by_value
    .group_segment_fixed_size: 0
    .kernarg_segment_align: 8
    .kernarg_segment_size: 136
    .language:       OpenCL C
    .language_version:
      - 2
      - 0
    .max_flat_workgroup_size: 192
    .name:           _ZN7rocprim17ROCPRIM_400000_NS6detail17trampoline_kernelINS0_14default_configENS1_25partition_config_selectorILNS1_17partition_subalgoE5ElNS0_10empty_typeEbEEZZNS1_14partition_implILS5_5ELb0ES3_mN6hipcub16HIPCUB_304000_NS21CountingInputIteratorIllEEPS6_NSA_22TransformInputIteratorIbN2at6native12_GLOBAL__N_19NonZeroOpIN3c107complexIdEEEEPKSL_lEENS0_5tupleIJPlS6_EEENSQ_IJSD_SD_EEES6_PiJS6_EEE10hipError_tPvRmT3_T4_T5_T6_T7_T9_mT8_P12ihipStream_tbDpT10_ENKUlT_T0_E_clISt17integral_constantIbLb1EES1E_EEDaS19_S1A_EUlS19_E_NS1_11comp_targetILNS1_3genE4ELNS1_11target_archE910ELNS1_3gpuE8ELNS1_3repE0EEENS1_30default_config_static_selectorELNS0_4arch9wavefront6targetE0EEEvT1_
    .private_segment_fixed_size: 0
    .sgpr_count:     0
    .sgpr_spill_count: 0
    .symbol:         _ZN7rocprim17ROCPRIM_400000_NS6detail17trampoline_kernelINS0_14default_configENS1_25partition_config_selectorILNS1_17partition_subalgoE5ElNS0_10empty_typeEbEEZZNS1_14partition_implILS5_5ELb0ES3_mN6hipcub16HIPCUB_304000_NS21CountingInputIteratorIllEEPS6_NSA_22TransformInputIteratorIbN2at6native12_GLOBAL__N_19NonZeroOpIN3c107complexIdEEEEPKSL_lEENS0_5tupleIJPlS6_EEENSQ_IJSD_SD_EEES6_PiJS6_EEE10hipError_tPvRmT3_T4_T5_T6_T7_T9_mT8_P12ihipStream_tbDpT10_ENKUlT_T0_E_clISt17integral_constantIbLb1EES1E_EEDaS19_S1A_EUlS19_E_NS1_11comp_targetILNS1_3genE4ELNS1_11target_archE910ELNS1_3gpuE8ELNS1_3repE0EEENS1_30default_config_static_selectorELNS0_4arch9wavefront6targetE0EEEvT1_.kd
    .uniform_work_group_size: 1
    .uses_dynamic_stack: false
    .vgpr_count:     0
    .vgpr_spill_count: 0
    .wavefront_size: 32
    .workgroup_processor_mode: 1
  - .args:
      - .offset:         0
        .size:           136
        .value_kind:     by_value
    .group_segment_fixed_size: 0
    .kernarg_segment_align: 8
    .kernarg_segment_size: 136
    .language:       OpenCL C
    .language_version:
      - 2
      - 0
    .max_flat_workgroup_size: 128
    .name:           _ZN7rocprim17ROCPRIM_400000_NS6detail17trampoline_kernelINS0_14default_configENS1_25partition_config_selectorILNS1_17partition_subalgoE5ElNS0_10empty_typeEbEEZZNS1_14partition_implILS5_5ELb0ES3_mN6hipcub16HIPCUB_304000_NS21CountingInputIteratorIllEEPS6_NSA_22TransformInputIteratorIbN2at6native12_GLOBAL__N_19NonZeroOpIN3c107complexIdEEEEPKSL_lEENS0_5tupleIJPlS6_EEENSQ_IJSD_SD_EEES6_PiJS6_EEE10hipError_tPvRmT3_T4_T5_T6_T7_T9_mT8_P12ihipStream_tbDpT10_ENKUlT_T0_E_clISt17integral_constantIbLb1EES1E_EEDaS19_S1A_EUlS19_E_NS1_11comp_targetILNS1_3genE3ELNS1_11target_archE908ELNS1_3gpuE7ELNS1_3repE0EEENS1_30default_config_static_selectorELNS0_4arch9wavefront6targetE0EEEvT1_
    .private_segment_fixed_size: 0
    .sgpr_count:     0
    .sgpr_spill_count: 0
    .symbol:         _ZN7rocprim17ROCPRIM_400000_NS6detail17trampoline_kernelINS0_14default_configENS1_25partition_config_selectorILNS1_17partition_subalgoE5ElNS0_10empty_typeEbEEZZNS1_14partition_implILS5_5ELb0ES3_mN6hipcub16HIPCUB_304000_NS21CountingInputIteratorIllEEPS6_NSA_22TransformInputIteratorIbN2at6native12_GLOBAL__N_19NonZeroOpIN3c107complexIdEEEEPKSL_lEENS0_5tupleIJPlS6_EEENSQ_IJSD_SD_EEES6_PiJS6_EEE10hipError_tPvRmT3_T4_T5_T6_T7_T9_mT8_P12ihipStream_tbDpT10_ENKUlT_T0_E_clISt17integral_constantIbLb1EES1E_EEDaS19_S1A_EUlS19_E_NS1_11comp_targetILNS1_3genE3ELNS1_11target_archE908ELNS1_3gpuE7ELNS1_3repE0EEENS1_30default_config_static_selectorELNS0_4arch9wavefront6targetE0EEEvT1_.kd
    .uniform_work_group_size: 1
    .uses_dynamic_stack: false
    .vgpr_count:     0
    .vgpr_spill_count: 0
    .wavefront_size: 32
    .workgroup_processor_mode: 1
  - .args:
      - .offset:         0
        .size:           136
        .value_kind:     by_value
    .group_segment_fixed_size: 0
    .kernarg_segment_align: 8
    .kernarg_segment_size: 136
    .language:       OpenCL C
    .language_version:
      - 2
      - 0
    .max_flat_workgroup_size: 256
    .name:           _ZN7rocprim17ROCPRIM_400000_NS6detail17trampoline_kernelINS0_14default_configENS1_25partition_config_selectorILNS1_17partition_subalgoE5ElNS0_10empty_typeEbEEZZNS1_14partition_implILS5_5ELb0ES3_mN6hipcub16HIPCUB_304000_NS21CountingInputIteratorIllEEPS6_NSA_22TransformInputIteratorIbN2at6native12_GLOBAL__N_19NonZeroOpIN3c107complexIdEEEEPKSL_lEENS0_5tupleIJPlS6_EEENSQ_IJSD_SD_EEES6_PiJS6_EEE10hipError_tPvRmT3_T4_T5_T6_T7_T9_mT8_P12ihipStream_tbDpT10_ENKUlT_T0_E_clISt17integral_constantIbLb1EES1E_EEDaS19_S1A_EUlS19_E_NS1_11comp_targetILNS1_3genE2ELNS1_11target_archE906ELNS1_3gpuE6ELNS1_3repE0EEENS1_30default_config_static_selectorELNS0_4arch9wavefront6targetE0EEEvT1_
    .private_segment_fixed_size: 0
    .sgpr_count:     0
    .sgpr_spill_count: 0
    .symbol:         _ZN7rocprim17ROCPRIM_400000_NS6detail17trampoline_kernelINS0_14default_configENS1_25partition_config_selectorILNS1_17partition_subalgoE5ElNS0_10empty_typeEbEEZZNS1_14partition_implILS5_5ELb0ES3_mN6hipcub16HIPCUB_304000_NS21CountingInputIteratorIllEEPS6_NSA_22TransformInputIteratorIbN2at6native12_GLOBAL__N_19NonZeroOpIN3c107complexIdEEEEPKSL_lEENS0_5tupleIJPlS6_EEENSQ_IJSD_SD_EEES6_PiJS6_EEE10hipError_tPvRmT3_T4_T5_T6_T7_T9_mT8_P12ihipStream_tbDpT10_ENKUlT_T0_E_clISt17integral_constantIbLb1EES1E_EEDaS19_S1A_EUlS19_E_NS1_11comp_targetILNS1_3genE2ELNS1_11target_archE906ELNS1_3gpuE6ELNS1_3repE0EEENS1_30default_config_static_selectorELNS0_4arch9wavefront6targetE0EEEvT1_.kd
    .uniform_work_group_size: 1
    .uses_dynamic_stack: false
    .vgpr_count:     0
    .vgpr_spill_count: 0
    .wavefront_size: 32
    .workgroup_processor_mode: 1
  - .args:
      - .offset:         0
        .size:           136
        .value_kind:     by_value
    .group_segment_fixed_size: 0
    .kernarg_segment_align: 8
    .kernarg_segment_size: 136
    .language:       OpenCL C
    .language_version:
      - 2
      - 0
    .max_flat_workgroup_size: 256
    .name:           _ZN7rocprim17ROCPRIM_400000_NS6detail17trampoline_kernelINS0_14default_configENS1_25partition_config_selectorILNS1_17partition_subalgoE5ElNS0_10empty_typeEbEEZZNS1_14partition_implILS5_5ELb0ES3_mN6hipcub16HIPCUB_304000_NS21CountingInputIteratorIllEEPS6_NSA_22TransformInputIteratorIbN2at6native12_GLOBAL__N_19NonZeroOpIN3c107complexIdEEEEPKSL_lEENS0_5tupleIJPlS6_EEENSQ_IJSD_SD_EEES6_PiJS6_EEE10hipError_tPvRmT3_T4_T5_T6_T7_T9_mT8_P12ihipStream_tbDpT10_ENKUlT_T0_E_clISt17integral_constantIbLb1EES1E_EEDaS19_S1A_EUlS19_E_NS1_11comp_targetILNS1_3genE10ELNS1_11target_archE1200ELNS1_3gpuE4ELNS1_3repE0EEENS1_30default_config_static_selectorELNS0_4arch9wavefront6targetE0EEEvT1_
    .private_segment_fixed_size: 0
    .sgpr_count:     0
    .sgpr_spill_count: 0
    .symbol:         _ZN7rocprim17ROCPRIM_400000_NS6detail17trampoline_kernelINS0_14default_configENS1_25partition_config_selectorILNS1_17partition_subalgoE5ElNS0_10empty_typeEbEEZZNS1_14partition_implILS5_5ELb0ES3_mN6hipcub16HIPCUB_304000_NS21CountingInputIteratorIllEEPS6_NSA_22TransformInputIteratorIbN2at6native12_GLOBAL__N_19NonZeroOpIN3c107complexIdEEEEPKSL_lEENS0_5tupleIJPlS6_EEENSQ_IJSD_SD_EEES6_PiJS6_EEE10hipError_tPvRmT3_T4_T5_T6_T7_T9_mT8_P12ihipStream_tbDpT10_ENKUlT_T0_E_clISt17integral_constantIbLb1EES1E_EEDaS19_S1A_EUlS19_E_NS1_11comp_targetILNS1_3genE10ELNS1_11target_archE1200ELNS1_3gpuE4ELNS1_3repE0EEENS1_30default_config_static_selectorELNS0_4arch9wavefront6targetE0EEEvT1_.kd
    .uniform_work_group_size: 1
    .uses_dynamic_stack: false
    .vgpr_count:     0
    .vgpr_spill_count: 0
    .wavefront_size: 32
    .workgroup_processor_mode: 1
  - .args:
      - .offset:         0
        .size:           136
        .value_kind:     by_value
    .group_segment_fixed_size: 6160
    .kernarg_segment_align: 8
    .kernarg_segment_size: 136
    .language:       OpenCL C
    .language_version:
      - 2
      - 0
    .max_flat_workgroup_size: 128
    .name:           _ZN7rocprim17ROCPRIM_400000_NS6detail17trampoline_kernelINS0_14default_configENS1_25partition_config_selectorILNS1_17partition_subalgoE5ElNS0_10empty_typeEbEEZZNS1_14partition_implILS5_5ELb0ES3_mN6hipcub16HIPCUB_304000_NS21CountingInputIteratorIllEEPS6_NSA_22TransformInputIteratorIbN2at6native12_GLOBAL__N_19NonZeroOpIN3c107complexIdEEEEPKSL_lEENS0_5tupleIJPlS6_EEENSQ_IJSD_SD_EEES6_PiJS6_EEE10hipError_tPvRmT3_T4_T5_T6_T7_T9_mT8_P12ihipStream_tbDpT10_ENKUlT_T0_E_clISt17integral_constantIbLb1EES1E_EEDaS19_S1A_EUlS19_E_NS1_11comp_targetILNS1_3genE9ELNS1_11target_archE1100ELNS1_3gpuE3ELNS1_3repE0EEENS1_30default_config_static_selectorELNS0_4arch9wavefront6targetE0EEEvT1_
    .private_segment_fixed_size: 0
    .sgpr_count:     31
    .sgpr_spill_count: 0
    .symbol:         _ZN7rocprim17ROCPRIM_400000_NS6detail17trampoline_kernelINS0_14default_configENS1_25partition_config_selectorILNS1_17partition_subalgoE5ElNS0_10empty_typeEbEEZZNS1_14partition_implILS5_5ELb0ES3_mN6hipcub16HIPCUB_304000_NS21CountingInputIteratorIllEEPS6_NSA_22TransformInputIteratorIbN2at6native12_GLOBAL__N_19NonZeroOpIN3c107complexIdEEEEPKSL_lEENS0_5tupleIJPlS6_EEENSQ_IJSD_SD_EEES6_PiJS6_EEE10hipError_tPvRmT3_T4_T5_T6_T7_T9_mT8_P12ihipStream_tbDpT10_ENKUlT_T0_E_clISt17integral_constantIbLb1EES1E_EEDaS19_S1A_EUlS19_E_NS1_11comp_targetILNS1_3genE9ELNS1_11target_archE1100ELNS1_3gpuE3ELNS1_3repE0EEENS1_30default_config_static_selectorELNS0_4arch9wavefront6targetE0EEEvT1_.kd
    .uniform_work_group_size: 1
    .uses_dynamic_stack: false
    .vgpr_count:     57
    .vgpr_spill_count: 0
    .wavefront_size: 32
    .workgroup_processor_mode: 1
  - .args:
      - .offset:         0
        .size:           136
        .value_kind:     by_value
    .group_segment_fixed_size: 0
    .kernarg_segment_align: 8
    .kernarg_segment_size: 136
    .language:       OpenCL C
    .language_version:
      - 2
      - 0
    .max_flat_workgroup_size: 512
    .name:           _ZN7rocprim17ROCPRIM_400000_NS6detail17trampoline_kernelINS0_14default_configENS1_25partition_config_selectorILNS1_17partition_subalgoE5ElNS0_10empty_typeEbEEZZNS1_14partition_implILS5_5ELb0ES3_mN6hipcub16HIPCUB_304000_NS21CountingInputIteratorIllEEPS6_NSA_22TransformInputIteratorIbN2at6native12_GLOBAL__N_19NonZeroOpIN3c107complexIdEEEEPKSL_lEENS0_5tupleIJPlS6_EEENSQ_IJSD_SD_EEES6_PiJS6_EEE10hipError_tPvRmT3_T4_T5_T6_T7_T9_mT8_P12ihipStream_tbDpT10_ENKUlT_T0_E_clISt17integral_constantIbLb1EES1E_EEDaS19_S1A_EUlS19_E_NS1_11comp_targetILNS1_3genE8ELNS1_11target_archE1030ELNS1_3gpuE2ELNS1_3repE0EEENS1_30default_config_static_selectorELNS0_4arch9wavefront6targetE0EEEvT1_
    .private_segment_fixed_size: 0
    .sgpr_count:     0
    .sgpr_spill_count: 0
    .symbol:         _ZN7rocprim17ROCPRIM_400000_NS6detail17trampoline_kernelINS0_14default_configENS1_25partition_config_selectorILNS1_17partition_subalgoE5ElNS0_10empty_typeEbEEZZNS1_14partition_implILS5_5ELb0ES3_mN6hipcub16HIPCUB_304000_NS21CountingInputIteratorIllEEPS6_NSA_22TransformInputIteratorIbN2at6native12_GLOBAL__N_19NonZeroOpIN3c107complexIdEEEEPKSL_lEENS0_5tupleIJPlS6_EEENSQ_IJSD_SD_EEES6_PiJS6_EEE10hipError_tPvRmT3_T4_T5_T6_T7_T9_mT8_P12ihipStream_tbDpT10_ENKUlT_T0_E_clISt17integral_constantIbLb1EES1E_EEDaS19_S1A_EUlS19_E_NS1_11comp_targetILNS1_3genE8ELNS1_11target_archE1030ELNS1_3gpuE2ELNS1_3repE0EEENS1_30default_config_static_selectorELNS0_4arch9wavefront6targetE0EEEvT1_.kd
    .uniform_work_group_size: 1
    .uses_dynamic_stack: false
    .vgpr_count:     0
    .vgpr_spill_count: 0
    .wavefront_size: 32
    .workgroup_processor_mode: 1
  - .args:
      - .offset:         0
        .size:           120
        .value_kind:     by_value
    .group_segment_fixed_size: 0
    .kernarg_segment_align: 8
    .kernarg_segment_size: 120
    .language:       OpenCL C
    .language_version:
      - 2
      - 0
    .max_flat_workgroup_size: 128
    .name:           _ZN7rocprim17ROCPRIM_400000_NS6detail17trampoline_kernelINS0_14default_configENS1_25partition_config_selectorILNS1_17partition_subalgoE5ElNS0_10empty_typeEbEEZZNS1_14partition_implILS5_5ELb0ES3_mN6hipcub16HIPCUB_304000_NS21CountingInputIteratorIllEEPS6_NSA_22TransformInputIteratorIbN2at6native12_GLOBAL__N_19NonZeroOpIN3c107complexIdEEEEPKSL_lEENS0_5tupleIJPlS6_EEENSQ_IJSD_SD_EEES6_PiJS6_EEE10hipError_tPvRmT3_T4_T5_T6_T7_T9_mT8_P12ihipStream_tbDpT10_ENKUlT_T0_E_clISt17integral_constantIbLb1EES1D_IbLb0EEEEDaS19_S1A_EUlS19_E_NS1_11comp_targetILNS1_3genE0ELNS1_11target_archE4294967295ELNS1_3gpuE0ELNS1_3repE0EEENS1_30default_config_static_selectorELNS0_4arch9wavefront6targetE0EEEvT1_
    .private_segment_fixed_size: 0
    .sgpr_count:     0
    .sgpr_spill_count: 0
    .symbol:         _ZN7rocprim17ROCPRIM_400000_NS6detail17trampoline_kernelINS0_14default_configENS1_25partition_config_selectorILNS1_17partition_subalgoE5ElNS0_10empty_typeEbEEZZNS1_14partition_implILS5_5ELb0ES3_mN6hipcub16HIPCUB_304000_NS21CountingInputIteratorIllEEPS6_NSA_22TransformInputIteratorIbN2at6native12_GLOBAL__N_19NonZeroOpIN3c107complexIdEEEEPKSL_lEENS0_5tupleIJPlS6_EEENSQ_IJSD_SD_EEES6_PiJS6_EEE10hipError_tPvRmT3_T4_T5_T6_T7_T9_mT8_P12ihipStream_tbDpT10_ENKUlT_T0_E_clISt17integral_constantIbLb1EES1D_IbLb0EEEEDaS19_S1A_EUlS19_E_NS1_11comp_targetILNS1_3genE0ELNS1_11target_archE4294967295ELNS1_3gpuE0ELNS1_3repE0EEENS1_30default_config_static_selectorELNS0_4arch9wavefront6targetE0EEEvT1_.kd
    .uniform_work_group_size: 1
    .uses_dynamic_stack: false
    .vgpr_count:     0
    .vgpr_spill_count: 0
    .wavefront_size: 32
    .workgroup_processor_mode: 1
  - .args:
      - .offset:         0
        .size:           120
        .value_kind:     by_value
    .group_segment_fixed_size: 0
    .kernarg_segment_align: 8
    .kernarg_segment_size: 120
    .language:       OpenCL C
    .language_version:
      - 2
      - 0
    .max_flat_workgroup_size: 512
    .name:           _ZN7rocprim17ROCPRIM_400000_NS6detail17trampoline_kernelINS0_14default_configENS1_25partition_config_selectorILNS1_17partition_subalgoE5ElNS0_10empty_typeEbEEZZNS1_14partition_implILS5_5ELb0ES3_mN6hipcub16HIPCUB_304000_NS21CountingInputIteratorIllEEPS6_NSA_22TransformInputIteratorIbN2at6native12_GLOBAL__N_19NonZeroOpIN3c107complexIdEEEEPKSL_lEENS0_5tupleIJPlS6_EEENSQ_IJSD_SD_EEES6_PiJS6_EEE10hipError_tPvRmT3_T4_T5_T6_T7_T9_mT8_P12ihipStream_tbDpT10_ENKUlT_T0_E_clISt17integral_constantIbLb1EES1D_IbLb0EEEEDaS19_S1A_EUlS19_E_NS1_11comp_targetILNS1_3genE5ELNS1_11target_archE942ELNS1_3gpuE9ELNS1_3repE0EEENS1_30default_config_static_selectorELNS0_4arch9wavefront6targetE0EEEvT1_
    .private_segment_fixed_size: 0
    .sgpr_count:     0
    .sgpr_spill_count: 0
    .symbol:         _ZN7rocprim17ROCPRIM_400000_NS6detail17trampoline_kernelINS0_14default_configENS1_25partition_config_selectorILNS1_17partition_subalgoE5ElNS0_10empty_typeEbEEZZNS1_14partition_implILS5_5ELb0ES3_mN6hipcub16HIPCUB_304000_NS21CountingInputIteratorIllEEPS6_NSA_22TransformInputIteratorIbN2at6native12_GLOBAL__N_19NonZeroOpIN3c107complexIdEEEEPKSL_lEENS0_5tupleIJPlS6_EEENSQ_IJSD_SD_EEES6_PiJS6_EEE10hipError_tPvRmT3_T4_T5_T6_T7_T9_mT8_P12ihipStream_tbDpT10_ENKUlT_T0_E_clISt17integral_constantIbLb1EES1D_IbLb0EEEEDaS19_S1A_EUlS19_E_NS1_11comp_targetILNS1_3genE5ELNS1_11target_archE942ELNS1_3gpuE9ELNS1_3repE0EEENS1_30default_config_static_selectorELNS0_4arch9wavefront6targetE0EEEvT1_.kd
    .uniform_work_group_size: 1
    .uses_dynamic_stack: false
    .vgpr_count:     0
    .vgpr_spill_count: 0
    .wavefront_size: 32
    .workgroup_processor_mode: 1
  - .args:
      - .offset:         0
        .size:           120
        .value_kind:     by_value
    .group_segment_fixed_size: 0
    .kernarg_segment_align: 8
    .kernarg_segment_size: 120
    .language:       OpenCL C
    .language_version:
      - 2
      - 0
    .max_flat_workgroup_size: 192
    .name:           _ZN7rocprim17ROCPRIM_400000_NS6detail17trampoline_kernelINS0_14default_configENS1_25partition_config_selectorILNS1_17partition_subalgoE5ElNS0_10empty_typeEbEEZZNS1_14partition_implILS5_5ELb0ES3_mN6hipcub16HIPCUB_304000_NS21CountingInputIteratorIllEEPS6_NSA_22TransformInputIteratorIbN2at6native12_GLOBAL__N_19NonZeroOpIN3c107complexIdEEEEPKSL_lEENS0_5tupleIJPlS6_EEENSQ_IJSD_SD_EEES6_PiJS6_EEE10hipError_tPvRmT3_T4_T5_T6_T7_T9_mT8_P12ihipStream_tbDpT10_ENKUlT_T0_E_clISt17integral_constantIbLb1EES1D_IbLb0EEEEDaS19_S1A_EUlS19_E_NS1_11comp_targetILNS1_3genE4ELNS1_11target_archE910ELNS1_3gpuE8ELNS1_3repE0EEENS1_30default_config_static_selectorELNS0_4arch9wavefront6targetE0EEEvT1_
    .private_segment_fixed_size: 0
    .sgpr_count:     0
    .sgpr_spill_count: 0
    .symbol:         _ZN7rocprim17ROCPRIM_400000_NS6detail17trampoline_kernelINS0_14default_configENS1_25partition_config_selectorILNS1_17partition_subalgoE5ElNS0_10empty_typeEbEEZZNS1_14partition_implILS5_5ELb0ES3_mN6hipcub16HIPCUB_304000_NS21CountingInputIteratorIllEEPS6_NSA_22TransformInputIteratorIbN2at6native12_GLOBAL__N_19NonZeroOpIN3c107complexIdEEEEPKSL_lEENS0_5tupleIJPlS6_EEENSQ_IJSD_SD_EEES6_PiJS6_EEE10hipError_tPvRmT3_T4_T5_T6_T7_T9_mT8_P12ihipStream_tbDpT10_ENKUlT_T0_E_clISt17integral_constantIbLb1EES1D_IbLb0EEEEDaS19_S1A_EUlS19_E_NS1_11comp_targetILNS1_3genE4ELNS1_11target_archE910ELNS1_3gpuE8ELNS1_3repE0EEENS1_30default_config_static_selectorELNS0_4arch9wavefront6targetE0EEEvT1_.kd
    .uniform_work_group_size: 1
    .uses_dynamic_stack: false
    .vgpr_count:     0
    .vgpr_spill_count: 0
    .wavefront_size: 32
    .workgroup_processor_mode: 1
  - .args:
      - .offset:         0
        .size:           120
        .value_kind:     by_value
    .group_segment_fixed_size: 0
    .kernarg_segment_align: 8
    .kernarg_segment_size: 120
    .language:       OpenCL C
    .language_version:
      - 2
      - 0
    .max_flat_workgroup_size: 128
    .name:           _ZN7rocprim17ROCPRIM_400000_NS6detail17trampoline_kernelINS0_14default_configENS1_25partition_config_selectorILNS1_17partition_subalgoE5ElNS0_10empty_typeEbEEZZNS1_14partition_implILS5_5ELb0ES3_mN6hipcub16HIPCUB_304000_NS21CountingInputIteratorIllEEPS6_NSA_22TransformInputIteratorIbN2at6native12_GLOBAL__N_19NonZeroOpIN3c107complexIdEEEEPKSL_lEENS0_5tupleIJPlS6_EEENSQ_IJSD_SD_EEES6_PiJS6_EEE10hipError_tPvRmT3_T4_T5_T6_T7_T9_mT8_P12ihipStream_tbDpT10_ENKUlT_T0_E_clISt17integral_constantIbLb1EES1D_IbLb0EEEEDaS19_S1A_EUlS19_E_NS1_11comp_targetILNS1_3genE3ELNS1_11target_archE908ELNS1_3gpuE7ELNS1_3repE0EEENS1_30default_config_static_selectorELNS0_4arch9wavefront6targetE0EEEvT1_
    .private_segment_fixed_size: 0
    .sgpr_count:     0
    .sgpr_spill_count: 0
    .symbol:         _ZN7rocprim17ROCPRIM_400000_NS6detail17trampoline_kernelINS0_14default_configENS1_25partition_config_selectorILNS1_17partition_subalgoE5ElNS0_10empty_typeEbEEZZNS1_14partition_implILS5_5ELb0ES3_mN6hipcub16HIPCUB_304000_NS21CountingInputIteratorIllEEPS6_NSA_22TransformInputIteratorIbN2at6native12_GLOBAL__N_19NonZeroOpIN3c107complexIdEEEEPKSL_lEENS0_5tupleIJPlS6_EEENSQ_IJSD_SD_EEES6_PiJS6_EEE10hipError_tPvRmT3_T4_T5_T6_T7_T9_mT8_P12ihipStream_tbDpT10_ENKUlT_T0_E_clISt17integral_constantIbLb1EES1D_IbLb0EEEEDaS19_S1A_EUlS19_E_NS1_11comp_targetILNS1_3genE3ELNS1_11target_archE908ELNS1_3gpuE7ELNS1_3repE0EEENS1_30default_config_static_selectorELNS0_4arch9wavefront6targetE0EEEvT1_.kd
    .uniform_work_group_size: 1
    .uses_dynamic_stack: false
    .vgpr_count:     0
    .vgpr_spill_count: 0
    .wavefront_size: 32
    .workgroup_processor_mode: 1
  - .args:
      - .offset:         0
        .size:           120
        .value_kind:     by_value
    .group_segment_fixed_size: 0
    .kernarg_segment_align: 8
    .kernarg_segment_size: 120
    .language:       OpenCL C
    .language_version:
      - 2
      - 0
    .max_flat_workgroup_size: 256
    .name:           _ZN7rocprim17ROCPRIM_400000_NS6detail17trampoline_kernelINS0_14default_configENS1_25partition_config_selectorILNS1_17partition_subalgoE5ElNS0_10empty_typeEbEEZZNS1_14partition_implILS5_5ELb0ES3_mN6hipcub16HIPCUB_304000_NS21CountingInputIteratorIllEEPS6_NSA_22TransformInputIteratorIbN2at6native12_GLOBAL__N_19NonZeroOpIN3c107complexIdEEEEPKSL_lEENS0_5tupleIJPlS6_EEENSQ_IJSD_SD_EEES6_PiJS6_EEE10hipError_tPvRmT3_T4_T5_T6_T7_T9_mT8_P12ihipStream_tbDpT10_ENKUlT_T0_E_clISt17integral_constantIbLb1EES1D_IbLb0EEEEDaS19_S1A_EUlS19_E_NS1_11comp_targetILNS1_3genE2ELNS1_11target_archE906ELNS1_3gpuE6ELNS1_3repE0EEENS1_30default_config_static_selectorELNS0_4arch9wavefront6targetE0EEEvT1_
    .private_segment_fixed_size: 0
    .sgpr_count:     0
    .sgpr_spill_count: 0
    .symbol:         _ZN7rocprim17ROCPRIM_400000_NS6detail17trampoline_kernelINS0_14default_configENS1_25partition_config_selectorILNS1_17partition_subalgoE5ElNS0_10empty_typeEbEEZZNS1_14partition_implILS5_5ELb0ES3_mN6hipcub16HIPCUB_304000_NS21CountingInputIteratorIllEEPS6_NSA_22TransformInputIteratorIbN2at6native12_GLOBAL__N_19NonZeroOpIN3c107complexIdEEEEPKSL_lEENS0_5tupleIJPlS6_EEENSQ_IJSD_SD_EEES6_PiJS6_EEE10hipError_tPvRmT3_T4_T5_T6_T7_T9_mT8_P12ihipStream_tbDpT10_ENKUlT_T0_E_clISt17integral_constantIbLb1EES1D_IbLb0EEEEDaS19_S1A_EUlS19_E_NS1_11comp_targetILNS1_3genE2ELNS1_11target_archE906ELNS1_3gpuE6ELNS1_3repE0EEENS1_30default_config_static_selectorELNS0_4arch9wavefront6targetE0EEEvT1_.kd
    .uniform_work_group_size: 1
    .uses_dynamic_stack: false
    .vgpr_count:     0
    .vgpr_spill_count: 0
    .wavefront_size: 32
    .workgroup_processor_mode: 1
  - .args:
      - .offset:         0
        .size:           120
        .value_kind:     by_value
    .group_segment_fixed_size: 0
    .kernarg_segment_align: 8
    .kernarg_segment_size: 120
    .language:       OpenCL C
    .language_version:
      - 2
      - 0
    .max_flat_workgroup_size: 256
    .name:           _ZN7rocprim17ROCPRIM_400000_NS6detail17trampoline_kernelINS0_14default_configENS1_25partition_config_selectorILNS1_17partition_subalgoE5ElNS0_10empty_typeEbEEZZNS1_14partition_implILS5_5ELb0ES3_mN6hipcub16HIPCUB_304000_NS21CountingInputIteratorIllEEPS6_NSA_22TransformInputIteratorIbN2at6native12_GLOBAL__N_19NonZeroOpIN3c107complexIdEEEEPKSL_lEENS0_5tupleIJPlS6_EEENSQ_IJSD_SD_EEES6_PiJS6_EEE10hipError_tPvRmT3_T4_T5_T6_T7_T9_mT8_P12ihipStream_tbDpT10_ENKUlT_T0_E_clISt17integral_constantIbLb1EES1D_IbLb0EEEEDaS19_S1A_EUlS19_E_NS1_11comp_targetILNS1_3genE10ELNS1_11target_archE1200ELNS1_3gpuE4ELNS1_3repE0EEENS1_30default_config_static_selectorELNS0_4arch9wavefront6targetE0EEEvT1_
    .private_segment_fixed_size: 0
    .sgpr_count:     0
    .sgpr_spill_count: 0
    .symbol:         _ZN7rocprim17ROCPRIM_400000_NS6detail17trampoline_kernelINS0_14default_configENS1_25partition_config_selectorILNS1_17partition_subalgoE5ElNS0_10empty_typeEbEEZZNS1_14partition_implILS5_5ELb0ES3_mN6hipcub16HIPCUB_304000_NS21CountingInputIteratorIllEEPS6_NSA_22TransformInputIteratorIbN2at6native12_GLOBAL__N_19NonZeroOpIN3c107complexIdEEEEPKSL_lEENS0_5tupleIJPlS6_EEENSQ_IJSD_SD_EEES6_PiJS6_EEE10hipError_tPvRmT3_T4_T5_T6_T7_T9_mT8_P12ihipStream_tbDpT10_ENKUlT_T0_E_clISt17integral_constantIbLb1EES1D_IbLb0EEEEDaS19_S1A_EUlS19_E_NS1_11comp_targetILNS1_3genE10ELNS1_11target_archE1200ELNS1_3gpuE4ELNS1_3repE0EEENS1_30default_config_static_selectorELNS0_4arch9wavefront6targetE0EEEvT1_.kd
    .uniform_work_group_size: 1
    .uses_dynamic_stack: false
    .vgpr_count:     0
    .vgpr_spill_count: 0
    .wavefront_size: 32
    .workgroup_processor_mode: 1
  - .args:
      - .offset:         0
        .size:           120
        .value_kind:     by_value
    .group_segment_fixed_size: 6160
    .kernarg_segment_align: 8
    .kernarg_segment_size: 120
    .language:       OpenCL C
    .language_version:
      - 2
      - 0
    .max_flat_workgroup_size: 128
    .name:           _ZN7rocprim17ROCPRIM_400000_NS6detail17trampoline_kernelINS0_14default_configENS1_25partition_config_selectorILNS1_17partition_subalgoE5ElNS0_10empty_typeEbEEZZNS1_14partition_implILS5_5ELb0ES3_mN6hipcub16HIPCUB_304000_NS21CountingInputIteratorIllEEPS6_NSA_22TransformInputIteratorIbN2at6native12_GLOBAL__N_19NonZeroOpIN3c107complexIdEEEEPKSL_lEENS0_5tupleIJPlS6_EEENSQ_IJSD_SD_EEES6_PiJS6_EEE10hipError_tPvRmT3_T4_T5_T6_T7_T9_mT8_P12ihipStream_tbDpT10_ENKUlT_T0_E_clISt17integral_constantIbLb1EES1D_IbLb0EEEEDaS19_S1A_EUlS19_E_NS1_11comp_targetILNS1_3genE9ELNS1_11target_archE1100ELNS1_3gpuE3ELNS1_3repE0EEENS1_30default_config_static_selectorELNS0_4arch9wavefront6targetE0EEEvT1_
    .private_segment_fixed_size: 0
    .sgpr_count:     29
    .sgpr_spill_count: 0
    .symbol:         _ZN7rocprim17ROCPRIM_400000_NS6detail17trampoline_kernelINS0_14default_configENS1_25partition_config_selectorILNS1_17partition_subalgoE5ElNS0_10empty_typeEbEEZZNS1_14partition_implILS5_5ELb0ES3_mN6hipcub16HIPCUB_304000_NS21CountingInputIteratorIllEEPS6_NSA_22TransformInputIteratorIbN2at6native12_GLOBAL__N_19NonZeroOpIN3c107complexIdEEEEPKSL_lEENS0_5tupleIJPlS6_EEENSQ_IJSD_SD_EEES6_PiJS6_EEE10hipError_tPvRmT3_T4_T5_T6_T7_T9_mT8_P12ihipStream_tbDpT10_ENKUlT_T0_E_clISt17integral_constantIbLb1EES1D_IbLb0EEEEDaS19_S1A_EUlS19_E_NS1_11comp_targetILNS1_3genE9ELNS1_11target_archE1100ELNS1_3gpuE3ELNS1_3repE0EEENS1_30default_config_static_selectorELNS0_4arch9wavefront6targetE0EEEvT1_.kd
    .uniform_work_group_size: 1
    .uses_dynamic_stack: false
    .vgpr_count:     57
    .vgpr_spill_count: 0
    .wavefront_size: 32
    .workgroup_processor_mode: 1
  - .args:
      - .offset:         0
        .size:           120
        .value_kind:     by_value
    .group_segment_fixed_size: 0
    .kernarg_segment_align: 8
    .kernarg_segment_size: 120
    .language:       OpenCL C
    .language_version:
      - 2
      - 0
    .max_flat_workgroup_size: 512
    .name:           _ZN7rocprim17ROCPRIM_400000_NS6detail17trampoline_kernelINS0_14default_configENS1_25partition_config_selectorILNS1_17partition_subalgoE5ElNS0_10empty_typeEbEEZZNS1_14partition_implILS5_5ELb0ES3_mN6hipcub16HIPCUB_304000_NS21CountingInputIteratorIllEEPS6_NSA_22TransformInputIteratorIbN2at6native12_GLOBAL__N_19NonZeroOpIN3c107complexIdEEEEPKSL_lEENS0_5tupleIJPlS6_EEENSQ_IJSD_SD_EEES6_PiJS6_EEE10hipError_tPvRmT3_T4_T5_T6_T7_T9_mT8_P12ihipStream_tbDpT10_ENKUlT_T0_E_clISt17integral_constantIbLb1EES1D_IbLb0EEEEDaS19_S1A_EUlS19_E_NS1_11comp_targetILNS1_3genE8ELNS1_11target_archE1030ELNS1_3gpuE2ELNS1_3repE0EEENS1_30default_config_static_selectorELNS0_4arch9wavefront6targetE0EEEvT1_
    .private_segment_fixed_size: 0
    .sgpr_count:     0
    .sgpr_spill_count: 0
    .symbol:         _ZN7rocprim17ROCPRIM_400000_NS6detail17trampoline_kernelINS0_14default_configENS1_25partition_config_selectorILNS1_17partition_subalgoE5ElNS0_10empty_typeEbEEZZNS1_14partition_implILS5_5ELb0ES3_mN6hipcub16HIPCUB_304000_NS21CountingInputIteratorIllEEPS6_NSA_22TransformInputIteratorIbN2at6native12_GLOBAL__N_19NonZeroOpIN3c107complexIdEEEEPKSL_lEENS0_5tupleIJPlS6_EEENSQ_IJSD_SD_EEES6_PiJS6_EEE10hipError_tPvRmT3_T4_T5_T6_T7_T9_mT8_P12ihipStream_tbDpT10_ENKUlT_T0_E_clISt17integral_constantIbLb1EES1D_IbLb0EEEEDaS19_S1A_EUlS19_E_NS1_11comp_targetILNS1_3genE8ELNS1_11target_archE1030ELNS1_3gpuE2ELNS1_3repE0EEENS1_30default_config_static_selectorELNS0_4arch9wavefront6targetE0EEEvT1_.kd
    .uniform_work_group_size: 1
    .uses_dynamic_stack: false
    .vgpr_count:     0
    .vgpr_spill_count: 0
    .wavefront_size: 32
    .workgroup_processor_mode: 1
  - .args:
      - .offset:         0
        .size:           136
        .value_kind:     by_value
    .group_segment_fixed_size: 0
    .kernarg_segment_align: 8
    .kernarg_segment_size: 136
    .language:       OpenCL C
    .language_version:
      - 2
      - 0
    .max_flat_workgroup_size: 128
    .name:           _ZN7rocprim17ROCPRIM_400000_NS6detail17trampoline_kernelINS0_14default_configENS1_25partition_config_selectorILNS1_17partition_subalgoE5ElNS0_10empty_typeEbEEZZNS1_14partition_implILS5_5ELb0ES3_mN6hipcub16HIPCUB_304000_NS21CountingInputIteratorIllEEPS6_NSA_22TransformInputIteratorIbN2at6native12_GLOBAL__N_19NonZeroOpIN3c107complexIdEEEEPKSL_lEENS0_5tupleIJPlS6_EEENSQ_IJSD_SD_EEES6_PiJS6_EEE10hipError_tPvRmT3_T4_T5_T6_T7_T9_mT8_P12ihipStream_tbDpT10_ENKUlT_T0_E_clISt17integral_constantIbLb0EES1D_IbLb1EEEEDaS19_S1A_EUlS19_E_NS1_11comp_targetILNS1_3genE0ELNS1_11target_archE4294967295ELNS1_3gpuE0ELNS1_3repE0EEENS1_30default_config_static_selectorELNS0_4arch9wavefront6targetE0EEEvT1_
    .private_segment_fixed_size: 0
    .sgpr_count:     0
    .sgpr_spill_count: 0
    .symbol:         _ZN7rocprim17ROCPRIM_400000_NS6detail17trampoline_kernelINS0_14default_configENS1_25partition_config_selectorILNS1_17partition_subalgoE5ElNS0_10empty_typeEbEEZZNS1_14partition_implILS5_5ELb0ES3_mN6hipcub16HIPCUB_304000_NS21CountingInputIteratorIllEEPS6_NSA_22TransformInputIteratorIbN2at6native12_GLOBAL__N_19NonZeroOpIN3c107complexIdEEEEPKSL_lEENS0_5tupleIJPlS6_EEENSQ_IJSD_SD_EEES6_PiJS6_EEE10hipError_tPvRmT3_T4_T5_T6_T7_T9_mT8_P12ihipStream_tbDpT10_ENKUlT_T0_E_clISt17integral_constantIbLb0EES1D_IbLb1EEEEDaS19_S1A_EUlS19_E_NS1_11comp_targetILNS1_3genE0ELNS1_11target_archE4294967295ELNS1_3gpuE0ELNS1_3repE0EEENS1_30default_config_static_selectorELNS0_4arch9wavefront6targetE0EEEvT1_.kd
    .uniform_work_group_size: 1
    .uses_dynamic_stack: false
    .vgpr_count:     0
    .vgpr_spill_count: 0
    .wavefront_size: 32
    .workgroup_processor_mode: 1
  - .args:
      - .offset:         0
        .size:           136
        .value_kind:     by_value
    .group_segment_fixed_size: 0
    .kernarg_segment_align: 8
    .kernarg_segment_size: 136
    .language:       OpenCL C
    .language_version:
      - 2
      - 0
    .max_flat_workgroup_size: 512
    .name:           _ZN7rocprim17ROCPRIM_400000_NS6detail17trampoline_kernelINS0_14default_configENS1_25partition_config_selectorILNS1_17partition_subalgoE5ElNS0_10empty_typeEbEEZZNS1_14partition_implILS5_5ELb0ES3_mN6hipcub16HIPCUB_304000_NS21CountingInputIteratorIllEEPS6_NSA_22TransformInputIteratorIbN2at6native12_GLOBAL__N_19NonZeroOpIN3c107complexIdEEEEPKSL_lEENS0_5tupleIJPlS6_EEENSQ_IJSD_SD_EEES6_PiJS6_EEE10hipError_tPvRmT3_T4_T5_T6_T7_T9_mT8_P12ihipStream_tbDpT10_ENKUlT_T0_E_clISt17integral_constantIbLb0EES1D_IbLb1EEEEDaS19_S1A_EUlS19_E_NS1_11comp_targetILNS1_3genE5ELNS1_11target_archE942ELNS1_3gpuE9ELNS1_3repE0EEENS1_30default_config_static_selectorELNS0_4arch9wavefront6targetE0EEEvT1_
    .private_segment_fixed_size: 0
    .sgpr_count:     0
    .sgpr_spill_count: 0
    .symbol:         _ZN7rocprim17ROCPRIM_400000_NS6detail17trampoline_kernelINS0_14default_configENS1_25partition_config_selectorILNS1_17partition_subalgoE5ElNS0_10empty_typeEbEEZZNS1_14partition_implILS5_5ELb0ES3_mN6hipcub16HIPCUB_304000_NS21CountingInputIteratorIllEEPS6_NSA_22TransformInputIteratorIbN2at6native12_GLOBAL__N_19NonZeroOpIN3c107complexIdEEEEPKSL_lEENS0_5tupleIJPlS6_EEENSQ_IJSD_SD_EEES6_PiJS6_EEE10hipError_tPvRmT3_T4_T5_T6_T7_T9_mT8_P12ihipStream_tbDpT10_ENKUlT_T0_E_clISt17integral_constantIbLb0EES1D_IbLb1EEEEDaS19_S1A_EUlS19_E_NS1_11comp_targetILNS1_3genE5ELNS1_11target_archE942ELNS1_3gpuE9ELNS1_3repE0EEENS1_30default_config_static_selectorELNS0_4arch9wavefront6targetE0EEEvT1_.kd
    .uniform_work_group_size: 1
    .uses_dynamic_stack: false
    .vgpr_count:     0
    .vgpr_spill_count: 0
    .wavefront_size: 32
    .workgroup_processor_mode: 1
  - .args:
      - .offset:         0
        .size:           136
        .value_kind:     by_value
    .group_segment_fixed_size: 0
    .kernarg_segment_align: 8
    .kernarg_segment_size: 136
    .language:       OpenCL C
    .language_version:
      - 2
      - 0
    .max_flat_workgroup_size: 192
    .name:           _ZN7rocprim17ROCPRIM_400000_NS6detail17trampoline_kernelINS0_14default_configENS1_25partition_config_selectorILNS1_17partition_subalgoE5ElNS0_10empty_typeEbEEZZNS1_14partition_implILS5_5ELb0ES3_mN6hipcub16HIPCUB_304000_NS21CountingInputIteratorIllEEPS6_NSA_22TransformInputIteratorIbN2at6native12_GLOBAL__N_19NonZeroOpIN3c107complexIdEEEEPKSL_lEENS0_5tupleIJPlS6_EEENSQ_IJSD_SD_EEES6_PiJS6_EEE10hipError_tPvRmT3_T4_T5_T6_T7_T9_mT8_P12ihipStream_tbDpT10_ENKUlT_T0_E_clISt17integral_constantIbLb0EES1D_IbLb1EEEEDaS19_S1A_EUlS19_E_NS1_11comp_targetILNS1_3genE4ELNS1_11target_archE910ELNS1_3gpuE8ELNS1_3repE0EEENS1_30default_config_static_selectorELNS0_4arch9wavefront6targetE0EEEvT1_
    .private_segment_fixed_size: 0
    .sgpr_count:     0
    .sgpr_spill_count: 0
    .symbol:         _ZN7rocprim17ROCPRIM_400000_NS6detail17trampoline_kernelINS0_14default_configENS1_25partition_config_selectorILNS1_17partition_subalgoE5ElNS0_10empty_typeEbEEZZNS1_14partition_implILS5_5ELb0ES3_mN6hipcub16HIPCUB_304000_NS21CountingInputIteratorIllEEPS6_NSA_22TransformInputIteratorIbN2at6native12_GLOBAL__N_19NonZeroOpIN3c107complexIdEEEEPKSL_lEENS0_5tupleIJPlS6_EEENSQ_IJSD_SD_EEES6_PiJS6_EEE10hipError_tPvRmT3_T4_T5_T6_T7_T9_mT8_P12ihipStream_tbDpT10_ENKUlT_T0_E_clISt17integral_constantIbLb0EES1D_IbLb1EEEEDaS19_S1A_EUlS19_E_NS1_11comp_targetILNS1_3genE4ELNS1_11target_archE910ELNS1_3gpuE8ELNS1_3repE0EEENS1_30default_config_static_selectorELNS0_4arch9wavefront6targetE0EEEvT1_.kd
    .uniform_work_group_size: 1
    .uses_dynamic_stack: false
    .vgpr_count:     0
    .vgpr_spill_count: 0
    .wavefront_size: 32
    .workgroup_processor_mode: 1
  - .args:
      - .offset:         0
        .size:           136
        .value_kind:     by_value
    .group_segment_fixed_size: 0
    .kernarg_segment_align: 8
    .kernarg_segment_size: 136
    .language:       OpenCL C
    .language_version:
      - 2
      - 0
    .max_flat_workgroup_size: 128
    .name:           _ZN7rocprim17ROCPRIM_400000_NS6detail17trampoline_kernelINS0_14default_configENS1_25partition_config_selectorILNS1_17partition_subalgoE5ElNS0_10empty_typeEbEEZZNS1_14partition_implILS5_5ELb0ES3_mN6hipcub16HIPCUB_304000_NS21CountingInputIteratorIllEEPS6_NSA_22TransformInputIteratorIbN2at6native12_GLOBAL__N_19NonZeroOpIN3c107complexIdEEEEPKSL_lEENS0_5tupleIJPlS6_EEENSQ_IJSD_SD_EEES6_PiJS6_EEE10hipError_tPvRmT3_T4_T5_T6_T7_T9_mT8_P12ihipStream_tbDpT10_ENKUlT_T0_E_clISt17integral_constantIbLb0EES1D_IbLb1EEEEDaS19_S1A_EUlS19_E_NS1_11comp_targetILNS1_3genE3ELNS1_11target_archE908ELNS1_3gpuE7ELNS1_3repE0EEENS1_30default_config_static_selectorELNS0_4arch9wavefront6targetE0EEEvT1_
    .private_segment_fixed_size: 0
    .sgpr_count:     0
    .sgpr_spill_count: 0
    .symbol:         _ZN7rocprim17ROCPRIM_400000_NS6detail17trampoline_kernelINS0_14default_configENS1_25partition_config_selectorILNS1_17partition_subalgoE5ElNS0_10empty_typeEbEEZZNS1_14partition_implILS5_5ELb0ES3_mN6hipcub16HIPCUB_304000_NS21CountingInputIteratorIllEEPS6_NSA_22TransformInputIteratorIbN2at6native12_GLOBAL__N_19NonZeroOpIN3c107complexIdEEEEPKSL_lEENS0_5tupleIJPlS6_EEENSQ_IJSD_SD_EEES6_PiJS6_EEE10hipError_tPvRmT3_T4_T5_T6_T7_T9_mT8_P12ihipStream_tbDpT10_ENKUlT_T0_E_clISt17integral_constantIbLb0EES1D_IbLb1EEEEDaS19_S1A_EUlS19_E_NS1_11comp_targetILNS1_3genE3ELNS1_11target_archE908ELNS1_3gpuE7ELNS1_3repE0EEENS1_30default_config_static_selectorELNS0_4arch9wavefront6targetE0EEEvT1_.kd
    .uniform_work_group_size: 1
    .uses_dynamic_stack: false
    .vgpr_count:     0
    .vgpr_spill_count: 0
    .wavefront_size: 32
    .workgroup_processor_mode: 1
  - .args:
      - .offset:         0
        .size:           136
        .value_kind:     by_value
    .group_segment_fixed_size: 0
    .kernarg_segment_align: 8
    .kernarg_segment_size: 136
    .language:       OpenCL C
    .language_version:
      - 2
      - 0
    .max_flat_workgroup_size: 256
    .name:           _ZN7rocprim17ROCPRIM_400000_NS6detail17trampoline_kernelINS0_14default_configENS1_25partition_config_selectorILNS1_17partition_subalgoE5ElNS0_10empty_typeEbEEZZNS1_14partition_implILS5_5ELb0ES3_mN6hipcub16HIPCUB_304000_NS21CountingInputIteratorIllEEPS6_NSA_22TransformInputIteratorIbN2at6native12_GLOBAL__N_19NonZeroOpIN3c107complexIdEEEEPKSL_lEENS0_5tupleIJPlS6_EEENSQ_IJSD_SD_EEES6_PiJS6_EEE10hipError_tPvRmT3_T4_T5_T6_T7_T9_mT8_P12ihipStream_tbDpT10_ENKUlT_T0_E_clISt17integral_constantIbLb0EES1D_IbLb1EEEEDaS19_S1A_EUlS19_E_NS1_11comp_targetILNS1_3genE2ELNS1_11target_archE906ELNS1_3gpuE6ELNS1_3repE0EEENS1_30default_config_static_selectorELNS0_4arch9wavefront6targetE0EEEvT1_
    .private_segment_fixed_size: 0
    .sgpr_count:     0
    .sgpr_spill_count: 0
    .symbol:         _ZN7rocprim17ROCPRIM_400000_NS6detail17trampoline_kernelINS0_14default_configENS1_25partition_config_selectorILNS1_17partition_subalgoE5ElNS0_10empty_typeEbEEZZNS1_14partition_implILS5_5ELb0ES3_mN6hipcub16HIPCUB_304000_NS21CountingInputIteratorIllEEPS6_NSA_22TransformInputIteratorIbN2at6native12_GLOBAL__N_19NonZeroOpIN3c107complexIdEEEEPKSL_lEENS0_5tupleIJPlS6_EEENSQ_IJSD_SD_EEES6_PiJS6_EEE10hipError_tPvRmT3_T4_T5_T6_T7_T9_mT8_P12ihipStream_tbDpT10_ENKUlT_T0_E_clISt17integral_constantIbLb0EES1D_IbLb1EEEEDaS19_S1A_EUlS19_E_NS1_11comp_targetILNS1_3genE2ELNS1_11target_archE906ELNS1_3gpuE6ELNS1_3repE0EEENS1_30default_config_static_selectorELNS0_4arch9wavefront6targetE0EEEvT1_.kd
    .uniform_work_group_size: 1
    .uses_dynamic_stack: false
    .vgpr_count:     0
    .vgpr_spill_count: 0
    .wavefront_size: 32
    .workgroup_processor_mode: 1
  - .args:
      - .offset:         0
        .size:           136
        .value_kind:     by_value
    .group_segment_fixed_size: 0
    .kernarg_segment_align: 8
    .kernarg_segment_size: 136
    .language:       OpenCL C
    .language_version:
      - 2
      - 0
    .max_flat_workgroup_size: 256
    .name:           _ZN7rocprim17ROCPRIM_400000_NS6detail17trampoline_kernelINS0_14default_configENS1_25partition_config_selectorILNS1_17partition_subalgoE5ElNS0_10empty_typeEbEEZZNS1_14partition_implILS5_5ELb0ES3_mN6hipcub16HIPCUB_304000_NS21CountingInputIteratorIllEEPS6_NSA_22TransformInputIteratorIbN2at6native12_GLOBAL__N_19NonZeroOpIN3c107complexIdEEEEPKSL_lEENS0_5tupleIJPlS6_EEENSQ_IJSD_SD_EEES6_PiJS6_EEE10hipError_tPvRmT3_T4_T5_T6_T7_T9_mT8_P12ihipStream_tbDpT10_ENKUlT_T0_E_clISt17integral_constantIbLb0EES1D_IbLb1EEEEDaS19_S1A_EUlS19_E_NS1_11comp_targetILNS1_3genE10ELNS1_11target_archE1200ELNS1_3gpuE4ELNS1_3repE0EEENS1_30default_config_static_selectorELNS0_4arch9wavefront6targetE0EEEvT1_
    .private_segment_fixed_size: 0
    .sgpr_count:     0
    .sgpr_spill_count: 0
    .symbol:         _ZN7rocprim17ROCPRIM_400000_NS6detail17trampoline_kernelINS0_14default_configENS1_25partition_config_selectorILNS1_17partition_subalgoE5ElNS0_10empty_typeEbEEZZNS1_14partition_implILS5_5ELb0ES3_mN6hipcub16HIPCUB_304000_NS21CountingInputIteratorIllEEPS6_NSA_22TransformInputIteratorIbN2at6native12_GLOBAL__N_19NonZeroOpIN3c107complexIdEEEEPKSL_lEENS0_5tupleIJPlS6_EEENSQ_IJSD_SD_EEES6_PiJS6_EEE10hipError_tPvRmT3_T4_T5_T6_T7_T9_mT8_P12ihipStream_tbDpT10_ENKUlT_T0_E_clISt17integral_constantIbLb0EES1D_IbLb1EEEEDaS19_S1A_EUlS19_E_NS1_11comp_targetILNS1_3genE10ELNS1_11target_archE1200ELNS1_3gpuE4ELNS1_3repE0EEENS1_30default_config_static_selectorELNS0_4arch9wavefront6targetE0EEEvT1_.kd
    .uniform_work_group_size: 1
    .uses_dynamic_stack: false
    .vgpr_count:     0
    .vgpr_spill_count: 0
    .wavefront_size: 32
    .workgroup_processor_mode: 1
  - .args:
      - .offset:         0
        .size:           136
        .value_kind:     by_value
    .group_segment_fixed_size: 6160
    .kernarg_segment_align: 8
    .kernarg_segment_size: 136
    .language:       OpenCL C
    .language_version:
      - 2
      - 0
    .max_flat_workgroup_size: 128
    .name:           _ZN7rocprim17ROCPRIM_400000_NS6detail17trampoline_kernelINS0_14default_configENS1_25partition_config_selectorILNS1_17partition_subalgoE5ElNS0_10empty_typeEbEEZZNS1_14partition_implILS5_5ELb0ES3_mN6hipcub16HIPCUB_304000_NS21CountingInputIteratorIllEEPS6_NSA_22TransformInputIteratorIbN2at6native12_GLOBAL__N_19NonZeroOpIN3c107complexIdEEEEPKSL_lEENS0_5tupleIJPlS6_EEENSQ_IJSD_SD_EEES6_PiJS6_EEE10hipError_tPvRmT3_T4_T5_T6_T7_T9_mT8_P12ihipStream_tbDpT10_ENKUlT_T0_E_clISt17integral_constantIbLb0EES1D_IbLb1EEEEDaS19_S1A_EUlS19_E_NS1_11comp_targetILNS1_3genE9ELNS1_11target_archE1100ELNS1_3gpuE3ELNS1_3repE0EEENS1_30default_config_static_selectorELNS0_4arch9wavefront6targetE0EEEvT1_
    .private_segment_fixed_size: 0
    .sgpr_count:     31
    .sgpr_spill_count: 0
    .symbol:         _ZN7rocprim17ROCPRIM_400000_NS6detail17trampoline_kernelINS0_14default_configENS1_25partition_config_selectorILNS1_17partition_subalgoE5ElNS0_10empty_typeEbEEZZNS1_14partition_implILS5_5ELb0ES3_mN6hipcub16HIPCUB_304000_NS21CountingInputIteratorIllEEPS6_NSA_22TransformInputIteratorIbN2at6native12_GLOBAL__N_19NonZeroOpIN3c107complexIdEEEEPKSL_lEENS0_5tupleIJPlS6_EEENSQ_IJSD_SD_EEES6_PiJS6_EEE10hipError_tPvRmT3_T4_T5_T6_T7_T9_mT8_P12ihipStream_tbDpT10_ENKUlT_T0_E_clISt17integral_constantIbLb0EES1D_IbLb1EEEEDaS19_S1A_EUlS19_E_NS1_11comp_targetILNS1_3genE9ELNS1_11target_archE1100ELNS1_3gpuE3ELNS1_3repE0EEENS1_30default_config_static_selectorELNS0_4arch9wavefront6targetE0EEEvT1_.kd
    .uniform_work_group_size: 1
    .uses_dynamic_stack: false
    .vgpr_count:     57
    .vgpr_spill_count: 0
    .wavefront_size: 32
    .workgroup_processor_mode: 1
  - .args:
      - .offset:         0
        .size:           136
        .value_kind:     by_value
    .group_segment_fixed_size: 0
    .kernarg_segment_align: 8
    .kernarg_segment_size: 136
    .language:       OpenCL C
    .language_version:
      - 2
      - 0
    .max_flat_workgroup_size: 512
    .name:           _ZN7rocprim17ROCPRIM_400000_NS6detail17trampoline_kernelINS0_14default_configENS1_25partition_config_selectorILNS1_17partition_subalgoE5ElNS0_10empty_typeEbEEZZNS1_14partition_implILS5_5ELb0ES3_mN6hipcub16HIPCUB_304000_NS21CountingInputIteratorIllEEPS6_NSA_22TransformInputIteratorIbN2at6native12_GLOBAL__N_19NonZeroOpIN3c107complexIdEEEEPKSL_lEENS0_5tupleIJPlS6_EEENSQ_IJSD_SD_EEES6_PiJS6_EEE10hipError_tPvRmT3_T4_T5_T6_T7_T9_mT8_P12ihipStream_tbDpT10_ENKUlT_T0_E_clISt17integral_constantIbLb0EES1D_IbLb1EEEEDaS19_S1A_EUlS19_E_NS1_11comp_targetILNS1_3genE8ELNS1_11target_archE1030ELNS1_3gpuE2ELNS1_3repE0EEENS1_30default_config_static_selectorELNS0_4arch9wavefront6targetE0EEEvT1_
    .private_segment_fixed_size: 0
    .sgpr_count:     0
    .sgpr_spill_count: 0
    .symbol:         _ZN7rocprim17ROCPRIM_400000_NS6detail17trampoline_kernelINS0_14default_configENS1_25partition_config_selectorILNS1_17partition_subalgoE5ElNS0_10empty_typeEbEEZZNS1_14partition_implILS5_5ELb0ES3_mN6hipcub16HIPCUB_304000_NS21CountingInputIteratorIllEEPS6_NSA_22TransformInputIteratorIbN2at6native12_GLOBAL__N_19NonZeroOpIN3c107complexIdEEEEPKSL_lEENS0_5tupleIJPlS6_EEENSQ_IJSD_SD_EEES6_PiJS6_EEE10hipError_tPvRmT3_T4_T5_T6_T7_T9_mT8_P12ihipStream_tbDpT10_ENKUlT_T0_E_clISt17integral_constantIbLb0EES1D_IbLb1EEEEDaS19_S1A_EUlS19_E_NS1_11comp_targetILNS1_3genE8ELNS1_11target_archE1030ELNS1_3gpuE2ELNS1_3repE0EEENS1_30default_config_static_selectorELNS0_4arch9wavefront6targetE0EEEvT1_.kd
    .uniform_work_group_size: 1
    .uses_dynamic_stack: false
    .vgpr_count:     0
    .vgpr_spill_count: 0
    .wavefront_size: 32
    .workgroup_processor_mode: 1
  - .args:
      - .offset:         0
        .size:           56
        .value_kind:     by_value
    .group_segment_fixed_size: 0
    .kernarg_segment_align: 8
    .kernarg_segment_size: 56
    .language:       OpenCL C
    .language_version:
      - 2
      - 0
    .max_flat_workgroup_size: 256
    .name:           _ZN7rocprim17ROCPRIM_400000_NS6detail17trampoline_kernelINS0_14default_configENS1_22reduce_config_selectorIiEEZNS1_11reduce_implILb1ES3_PiS7_iN6hipcub16HIPCUB_304000_NS6detail34convert_binary_result_type_wrapperINS9_3SumENS9_22TransformInputIteratorIbN2at6native12_GLOBAL__N_19NonZeroOpIN3c107complexIfEEEEPKSK_lEEiEEEE10hipError_tPvRmT1_T2_T3_mT4_P12ihipStream_tbEUlT_E0_NS1_11comp_targetILNS1_3genE0ELNS1_11target_archE4294967295ELNS1_3gpuE0ELNS1_3repE0EEENS1_30default_config_static_selectorELNS0_4arch9wavefront6targetE0EEEvST_
    .private_segment_fixed_size: 0
    .sgpr_count:     0
    .sgpr_spill_count: 0
    .symbol:         _ZN7rocprim17ROCPRIM_400000_NS6detail17trampoline_kernelINS0_14default_configENS1_22reduce_config_selectorIiEEZNS1_11reduce_implILb1ES3_PiS7_iN6hipcub16HIPCUB_304000_NS6detail34convert_binary_result_type_wrapperINS9_3SumENS9_22TransformInputIteratorIbN2at6native12_GLOBAL__N_19NonZeroOpIN3c107complexIfEEEEPKSK_lEEiEEEE10hipError_tPvRmT1_T2_T3_mT4_P12ihipStream_tbEUlT_E0_NS1_11comp_targetILNS1_3genE0ELNS1_11target_archE4294967295ELNS1_3gpuE0ELNS1_3repE0EEENS1_30default_config_static_selectorELNS0_4arch9wavefront6targetE0EEEvST_.kd
    .uniform_work_group_size: 1
    .uses_dynamic_stack: false
    .vgpr_count:     0
    .vgpr_spill_count: 0
    .wavefront_size: 32
    .workgroup_processor_mode: 1
  - .args:
      - .offset:         0
        .size:           56
        .value_kind:     by_value
    .group_segment_fixed_size: 0
    .kernarg_segment_align: 8
    .kernarg_segment_size: 56
    .language:       OpenCL C
    .language_version:
      - 2
      - 0
    .max_flat_workgroup_size: 256
    .name:           _ZN7rocprim17ROCPRIM_400000_NS6detail17trampoline_kernelINS0_14default_configENS1_22reduce_config_selectorIiEEZNS1_11reduce_implILb1ES3_PiS7_iN6hipcub16HIPCUB_304000_NS6detail34convert_binary_result_type_wrapperINS9_3SumENS9_22TransformInputIteratorIbN2at6native12_GLOBAL__N_19NonZeroOpIN3c107complexIfEEEEPKSK_lEEiEEEE10hipError_tPvRmT1_T2_T3_mT4_P12ihipStream_tbEUlT_E0_NS1_11comp_targetILNS1_3genE5ELNS1_11target_archE942ELNS1_3gpuE9ELNS1_3repE0EEENS1_30default_config_static_selectorELNS0_4arch9wavefront6targetE0EEEvST_
    .private_segment_fixed_size: 0
    .sgpr_count:     0
    .sgpr_spill_count: 0
    .symbol:         _ZN7rocprim17ROCPRIM_400000_NS6detail17trampoline_kernelINS0_14default_configENS1_22reduce_config_selectorIiEEZNS1_11reduce_implILb1ES3_PiS7_iN6hipcub16HIPCUB_304000_NS6detail34convert_binary_result_type_wrapperINS9_3SumENS9_22TransformInputIteratorIbN2at6native12_GLOBAL__N_19NonZeroOpIN3c107complexIfEEEEPKSK_lEEiEEEE10hipError_tPvRmT1_T2_T3_mT4_P12ihipStream_tbEUlT_E0_NS1_11comp_targetILNS1_3genE5ELNS1_11target_archE942ELNS1_3gpuE9ELNS1_3repE0EEENS1_30default_config_static_selectorELNS0_4arch9wavefront6targetE0EEEvST_.kd
    .uniform_work_group_size: 1
    .uses_dynamic_stack: false
    .vgpr_count:     0
    .vgpr_spill_count: 0
    .wavefront_size: 32
    .workgroup_processor_mode: 1
  - .args:
      - .offset:         0
        .size:           56
        .value_kind:     by_value
    .group_segment_fixed_size: 0
    .kernarg_segment_align: 8
    .kernarg_segment_size: 56
    .language:       OpenCL C
    .language_version:
      - 2
      - 0
    .max_flat_workgroup_size: 128
    .name:           _ZN7rocprim17ROCPRIM_400000_NS6detail17trampoline_kernelINS0_14default_configENS1_22reduce_config_selectorIiEEZNS1_11reduce_implILb1ES3_PiS7_iN6hipcub16HIPCUB_304000_NS6detail34convert_binary_result_type_wrapperINS9_3SumENS9_22TransformInputIteratorIbN2at6native12_GLOBAL__N_19NonZeroOpIN3c107complexIfEEEEPKSK_lEEiEEEE10hipError_tPvRmT1_T2_T3_mT4_P12ihipStream_tbEUlT_E0_NS1_11comp_targetILNS1_3genE4ELNS1_11target_archE910ELNS1_3gpuE8ELNS1_3repE0EEENS1_30default_config_static_selectorELNS0_4arch9wavefront6targetE0EEEvST_
    .private_segment_fixed_size: 0
    .sgpr_count:     0
    .sgpr_spill_count: 0
    .symbol:         _ZN7rocprim17ROCPRIM_400000_NS6detail17trampoline_kernelINS0_14default_configENS1_22reduce_config_selectorIiEEZNS1_11reduce_implILb1ES3_PiS7_iN6hipcub16HIPCUB_304000_NS6detail34convert_binary_result_type_wrapperINS9_3SumENS9_22TransformInputIteratorIbN2at6native12_GLOBAL__N_19NonZeroOpIN3c107complexIfEEEEPKSK_lEEiEEEE10hipError_tPvRmT1_T2_T3_mT4_P12ihipStream_tbEUlT_E0_NS1_11comp_targetILNS1_3genE4ELNS1_11target_archE910ELNS1_3gpuE8ELNS1_3repE0EEENS1_30default_config_static_selectorELNS0_4arch9wavefront6targetE0EEEvST_.kd
    .uniform_work_group_size: 1
    .uses_dynamic_stack: false
    .vgpr_count:     0
    .vgpr_spill_count: 0
    .wavefront_size: 32
    .workgroup_processor_mode: 1
  - .args:
      - .offset:         0
        .size:           56
        .value_kind:     by_value
    .group_segment_fixed_size: 0
    .kernarg_segment_align: 8
    .kernarg_segment_size: 56
    .language:       OpenCL C
    .language_version:
      - 2
      - 0
    .max_flat_workgroup_size: 256
    .name:           _ZN7rocprim17ROCPRIM_400000_NS6detail17trampoline_kernelINS0_14default_configENS1_22reduce_config_selectorIiEEZNS1_11reduce_implILb1ES3_PiS7_iN6hipcub16HIPCUB_304000_NS6detail34convert_binary_result_type_wrapperINS9_3SumENS9_22TransformInputIteratorIbN2at6native12_GLOBAL__N_19NonZeroOpIN3c107complexIfEEEEPKSK_lEEiEEEE10hipError_tPvRmT1_T2_T3_mT4_P12ihipStream_tbEUlT_E0_NS1_11comp_targetILNS1_3genE3ELNS1_11target_archE908ELNS1_3gpuE7ELNS1_3repE0EEENS1_30default_config_static_selectorELNS0_4arch9wavefront6targetE0EEEvST_
    .private_segment_fixed_size: 0
    .sgpr_count:     0
    .sgpr_spill_count: 0
    .symbol:         _ZN7rocprim17ROCPRIM_400000_NS6detail17trampoline_kernelINS0_14default_configENS1_22reduce_config_selectorIiEEZNS1_11reduce_implILb1ES3_PiS7_iN6hipcub16HIPCUB_304000_NS6detail34convert_binary_result_type_wrapperINS9_3SumENS9_22TransformInputIteratorIbN2at6native12_GLOBAL__N_19NonZeroOpIN3c107complexIfEEEEPKSK_lEEiEEEE10hipError_tPvRmT1_T2_T3_mT4_P12ihipStream_tbEUlT_E0_NS1_11comp_targetILNS1_3genE3ELNS1_11target_archE908ELNS1_3gpuE7ELNS1_3repE0EEENS1_30default_config_static_selectorELNS0_4arch9wavefront6targetE0EEEvST_.kd
    .uniform_work_group_size: 1
    .uses_dynamic_stack: false
    .vgpr_count:     0
    .vgpr_spill_count: 0
    .wavefront_size: 32
    .workgroup_processor_mode: 1
  - .args:
      - .offset:         0
        .size:           56
        .value_kind:     by_value
    .group_segment_fixed_size: 0
    .kernarg_segment_align: 8
    .kernarg_segment_size: 56
    .language:       OpenCL C
    .language_version:
      - 2
      - 0
    .max_flat_workgroup_size: 256
    .name:           _ZN7rocprim17ROCPRIM_400000_NS6detail17trampoline_kernelINS0_14default_configENS1_22reduce_config_selectorIiEEZNS1_11reduce_implILb1ES3_PiS7_iN6hipcub16HIPCUB_304000_NS6detail34convert_binary_result_type_wrapperINS9_3SumENS9_22TransformInputIteratorIbN2at6native12_GLOBAL__N_19NonZeroOpIN3c107complexIfEEEEPKSK_lEEiEEEE10hipError_tPvRmT1_T2_T3_mT4_P12ihipStream_tbEUlT_E0_NS1_11comp_targetILNS1_3genE2ELNS1_11target_archE906ELNS1_3gpuE6ELNS1_3repE0EEENS1_30default_config_static_selectorELNS0_4arch9wavefront6targetE0EEEvST_
    .private_segment_fixed_size: 0
    .sgpr_count:     0
    .sgpr_spill_count: 0
    .symbol:         _ZN7rocprim17ROCPRIM_400000_NS6detail17trampoline_kernelINS0_14default_configENS1_22reduce_config_selectorIiEEZNS1_11reduce_implILb1ES3_PiS7_iN6hipcub16HIPCUB_304000_NS6detail34convert_binary_result_type_wrapperINS9_3SumENS9_22TransformInputIteratorIbN2at6native12_GLOBAL__N_19NonZeroOpIN3c107complexIfEEEEPKSK_lEEiEEEE10hipError_tPvRmT1_T2_T3_mT4_P12ihipStream_tbEUlT_E0_NS1_11comp_targetILNS1_3genE2ELNS1_11target_archE906ELNS1_3gpuE6ELNS1_3repE0EEENS1_30default_config_static_selectorELNS0_4arch9wavefront6targetE0EEEvST_.kd
    .uniform_work_group_size: 1
    .uses_dynamic_stack: false
    .vgpr_count:     0
    .vgpr_spill_count: 0
    .wavefront_size: 32
    .workgroup_processor_mode: 1
  - .args:
      - .offset:         0
        .size:           56
        .value_kind:     by_value
    .group_segment_fixed_size: 0
    .kernarg_segment_align: 8
    .kernarg_segment_size: 56
    .language:       OpenCL C
    .language_version:
      - 2
      - 0
    .max_flat_workgroup_size: 256
    .name:           _ZN7rocprim17ROCPRIM_400000_NS6detail17trampoline_kernelINS0_14default_configENS1_22reduce_config_selectorIiEEZNS1_11reduce_implILb1ES3_PiS7_iN6hipcub16HIPCUB_304000_NS6detail34convert_binary_result_type_wrapperINS9_3SumENS9_22TransformInputIteratorIbN2at6native12_GLOBAL__N_19NonZeroOpIN3c107complexIfEEEEPKSK_lEEiEEEE10hipError_tPvRmT1_T2_T3_mT4_P12ihipStream_tbEUlT_E0_NS1_11comp_targetILNS1_3genE10ELNS1_11target_archE1201ELNS1_3gpuE5ELNS1_3repE0EEENS1_30default_config_static_selectorELNS0_4arch9wavefront6targetE0EEEvST_
    .private_segment_fixed_size: 0
    .sgpr_count:     0
    .sgpr_spill_count: 0
    .symbol:         _ZN7rocprim17ROCPRIM_400000_NS6detail17trampoline_kernelINS0_14default_configENS1_22reduce_config_selectorIiEEZNS1_11reduce_implILb1ES3_PiS7_iN6hipcub16HIPCUB_304000_NS6detail34convert_binary_result_type_wrapperINS9_3SumENS9_22TransformInputIteratorIbN2at6native12_GLOBAL__N_19NonZeroOpIN3c107complexIfEEEEPKSK_lEEiEEEE10hipError_tPvRmT1_T2_T3_mT4_P12ihipStream_tbEUlT_E0_NS1_11comp_targetILNS1_3genE10ELNS1_11target_archE1201ELNS1_3gpuE5ELNS1_3repE0EEENS1_30default_config_static_selectorELNS0_4arch9wavefront6targetE0EEEvST_.kd
    .uniform_work_group_size: 1
    .uses_dynamic_stack: false
    .vgpr_count:     0
    .vgpr_spill_count: 0
    .wavefront_size: 32
    .workgroup_processor_mode: 1
  - .args:
      - .offset:         0
        .size:           56
        .value_kind:     by_value
    .group_segment_fixed_size: 0
    .kernarg_segment_align: 8
    .kernarg_segment_size: 56
    .language:       OpenCL C
    .language_version:
      - 2
      - 0
    .max_flat_workgroup_size: 256
    .name:           _ZN7rocprim17ROCPRIM_400000_NS6detail17trampoline_kernelINS0_14default_configENS1_22reduce_config_selectorIiEEZNS1_11reduce_implILb1ES3_PiS7_iN6hipcub16HIPCUB_304000_NS6detail34convert_binary_result_type_wrapperINS9_3SumENS9_22TransformInputIteratorIbN2at6native12_GLOBAL__N_19NonZeroOpIN3c107complexIfEEEEPKSK_lEEiEEEE10hipError_tPvRmT1_T2_T3_mT4_P12ihipStream_tbEUlT_E0_NS1_11comp_targetILNS1_3genE10ELNS1_11target_archE1200ELNS1_3gpuE4ELNS1_3repE0EEENS1_30default_config_static_selectorELNS0_4arch9wavefront6targetE0EEEvST_
    .private_segment_fixed_size: 0
    .sgpr_count:     0
    .sgpr_spill_count: 0
    .symbol:         _ZN7rocprim17ROCPRIM_400000_NS6detail17trampoline_kernelINS0_14default_configENS1_22reduce_config_selectorIiEEZNS1_11reduce_implILb1ES3_PiS7_iN6hipcub16HIPCUB_304000_NS6detail34convert_binary_result_type_wrapperINS9_3SumENS9_22TransformInputIteratorIbN2at6native12_GLOBAL__N_19NonZeroOpIN3c107complexIfEEEEPKSK_lEEiEEEE10hipError_tPvRmT1_T2_T3_mT4_P12ihipStream_tbEUlT_E0_NS1_11comp_targetILNS1_3genE10ELNS1_11target_archE1200ELNS1_3gpuE4ELNS1_3repE0EEENS1_30default_config_static_selectorELNS0_4arch9wavefront6targetE0EEEvST_.kd
    .uniform_work_group_size: 1
    .uses_dynamic_stack: false
    .vgpr_count:     0
    .vgpr_spill_count: 0
    .wavefront_size: 32
    .workgroup_processor_mode: 1
  - .args:
      - .offset:         0
        .size:           56
        .value_kind:     by_value
    .group_segment_fixed_size: 64
    .kernarg_segment_align: 8
    .kernarg_segment_size: 56
    .language:       OpenCL C
    .language_version:
      - 2
      - 0
    .max_flat_workgroup_size: 256
    .name:           _ZN7rocprim17ROCPRIM_400000_NS6detail17trampoline_kernelINS0_14default_configENS1_22reduce_config_selectorIiEEZNS1_11reduce_implILb1ES3_PiS7_iN6hipcub16HIPCUB_304000_NS6detail34convert_binary_result_type_wrapperINS9_3SumENS9_22TransformInputIteratorIbN2at6native12_GLOBAL__N_19NonZeroOpIN3c107complexIfEEEEPKSK_lEEiEEEE10hipError_tPvRmT1_T2_T3_mT4_P12ihipStream_tbEUlT_E0_NS1_11comp_targetILNS1_3genE9ELNS1_11target_archE1100ELNS1_3gpuE3ELNS1_3repE0EEENS1_30default_config_static_selectorELNS0_4arch9wavefront6targetE0EEEvST_
    .private_segment_fixed_size: 0
    .sgpr_count:     24
    .sgpr_spill_count: 0
    .symbol:         _ZN7rocprim17ROCPRIM_400000_NS6detail17trampoline_kernelINS0_14default_configENS1_22reduce_config_selectorIiEEZNS1_11reduce_implILb1ES3_PiS7_iN6hipcub16HIPCUB_304000_NS6detail34convert_binary_result_type_wrapperINS9_3SumENS9_22TransformInputIteratorIbN2at6native12_GLOBAL__N_19NonZeroOpIN3c107complexIfEEEEPKSK_lEEiEEEE10hipError_tPvRmT1_T2_T3_mT4_P12ihipStream_tbEUlT_E0_NS1_11comp_targetILNS1_3genE9ELNS1_11target_archE1100ELNS1_3gpuE3ELNS1_3repE0EEENS1_30default_config_static_selectorELNS0_4arch9wavefront6targetE0EEEvST_.kd
    .uniform_work_group_size: 1
    .uses_dynamic_stack: false
    .vgpr_count:     12
    .vgpr_spill_count: 0
    .wavefront_size: 32
    .workgroup_processor_mode: 1
  - .args:
      - .offset:         0
        .size:           56
        .value_kind:     by_value
    .group_segment_fixed_size: 0
    .kernarg_segment_align: 8
    .kernarg_segment_size: 56
    .language:       OpenCL C
    .language_version:
      - 2
      - 0
    .max_flat_workgroup_size: 256
    .name:           _ZN7rocprim17ROCPRIM_400000_NS6detail17trampoline_kernelINS0_14default_configENS1_22reduce_config_selectorIiEEZNS1_11reduce_implILb1ES3_PiS7_iN6hipcub16HIPCUB_304000_NS6detail34convert_binary_result_type_wrapperINS9_3SumENS9_22TransformInputIteratorIbN2at6native12_GLOBAL__N_19NonZeroOpIN3c107complexIfEEEEPKSK_lEEiEEEE10hipError_tPvRmT1_T2_T3_mT4_P12ihipStream_tbEUlT_E0_NS1_11comp_targetILNS1_3genE8ELNS1_11target_archE1030ELNS1_3gpuE2ELNS1_3repE0EEENS1_30default_config_static_selectorELNS0_4arch9wavefront6targetE0EEEvST_
    .private_segment_fixed_size: 0
    .sgpr_count:     0
    .sgpr_spill_count: 0
    .symbol:         _ZN7rocprim17ROCPRIM_400000_NS6detail17trampoline_kernelINS0_14default_configENS1_22reduce_config_selectorIiEEZNS1_11reduce_implILb1ES3_PiS7_iN6hipcub16HIPCUB_304000_NS6detail34convert_binary_result_type_wrapperINS9_3SumENS9_22TransformInputIteratorIbN2at6native12_GLOBAL__N_19NonZeroOpIN3c107complexIfEEEEPKSK_lEEiEEEE10hipError_tPvRmT1_T2_T3_mT4_P12ihipStream_tbEUlT_E0_NS1_11comp_targetILNS1_3genE8ELNS1_11target_archE1030ELNS1_3gpuE2ELNS1_3repE0EEENS1_30default_config_static_selectorELNS0_4arch9wavefront6targetE0EEEvST_.kd
    .uniform_work_group_size: 1
    .uses_dynamic_stack: false
    .vgpr_count:     0
    .vgpr_spill_count: 0
    .wavefront_size: 32
    .workgroup_processor_mode: 1
  - .args:
      - .offset:         0
        .size:           40
        .value_kind:     by_value
    .group_segment_fixed_size: 0
    .kernarg_segment_align: 8
    .kernarg_segment_size: 40
    .language:       OpenCL C
    .language_version:
      - 2
      - 0
    .max_flat_workgroup_size: 256
    .name:           _ZN7rocprim17ROCPRIM_400000_NS6detail17trampoline_kernelINS0_14default_configENS1_22reduce_config_selectorIiEEZNS1_11reduce_implILb1ES3_PiS7_iN6hipcub16HIPCUB_304000_NS6detail34convert_binary_result_type_wrapperINS9_3SumENS9_22TransformInputIteratorIbN2at6native12_GLOBAL__N_19NonZeroOpIN3c107complexIfEEEEPKSK_lEEiEEEE10hipError_tPvRmT1_T2_T3_mT4_P12ihipStream_tbEUlT_E1_NS1_11comp_targetILNS1_3genE0ELNS1_11target_archE4294967295ELNS1_3gpuE0ELNS1_3repE0EEENS1_30default_config_static_selectorELNS0_4arch9wavefront6targetE0EEEvST_
    .private_segment_fixed_size: 0
    .sgpr_count:     0
    .sgpr_spill_count: 0
    .symbol:         _ZN7rocprim17ROCPRIM_400000_NS6detail17trampoline_kernelINS0_14default_configENS1_22reduce_config_selectorIiEEZNS1_11reduce_implILb1ES3_PiS7_iN6hipcub16HIPCUB_304000_NS6detail34convert_binary_result_type_wrapperINS9_3SumENS9_22TransformInputIteratorIbN2at6native12_GLOBAL__N_19NonZeroOpIN3c107complexIfEEEEPKSK_lEEiEEEE10hipError_tPvRmT1_T2_T3_mT4_P12ihipStream_tbEUlT_E1_NS1_11comp_targetILNS1_3genE0ELNS1_11target_archE4294967295ELNS1_3gpuE0ELNS1_3repE0EEENS1_30default_config_static_selectorELNS0_4arch9wavefront6targetE0EEEvST_.kd
    .uniform_work_group_size: 1
    .uses_dynamic_stack: false
    .vgpr_count:     0
    .vgpr_spill_count: 0
    .wavefront_size: 32
    .workgroup_processor_mode: 1
  - .args:
      - .offset:         0
        .size:           40
        .value_kind:     by_value
    .group_segment_fixed_size: 0
    .kernarg_segment_align: 8
    .kernarg_segment_size: 40
    .language:       OpenCL C
    .language_version:
      - 2
      - 0
    .max_flat_workgroup_size: 256
    .name:           _ZN7rocprim17ROCPRIM_400000_NS6detail17trampoline_kernelINS0_14default_configENS1_22reduce_config_selectorIiEEZNS1_11reduce_implILb1ES3_PiS7_iN6hipcub16HIPCUB_304000_NS6detail34convert_binary_result_type_wrapperINS9_3SumENS9_22TransformInputIteratorIbN2at6native12_GLOBAL__N_19NonZeroOpIN3c107complexIfEEEEPKSK_lEEiEEEE10hipError_tPvRmT1_T2_T3_mT4_P12ihipStream_tbEUlT_E1_NS1_11comp_targetILNS1_3genE5ELNS1_11target_archE942ELNS1_3gpuE9ELNS1_3repE0EEENS1_30default_config_static_selectorELNS0_4arch9wavefront6targetE0EEEvST_
    .private_segment_fixed_size: 0
    .sgpr_count:     0
    .sgpr_spill_count: 0
    .symbol:         _ZN7rocprim17ROCPRIM_400000_NS6detail17trampoline_kernelINS0_14default_configENS1_22reduce_config_selectorIiEEZNS1_11reduce_implILb1ES3_PiS7_iN6hipcub16HIPCUB_304000_NS6detail34convert_binary_result_type_wrapperINS9_3SumENS9_22TransformInputIteratorIbN2at6native12_GLOBAL__N_19NonZeroOpIN3c107complexIfEEEEPKSK_lEEiEEEE10hipError_tPvRmT1_T2_T3_mT4_P12ihipStream_tbEUlT_E1_NS1_11comp_targetILNS1_3genE5ELNS1_11target_archE942ELNS1_3gpuE9ELNS1_3repE0EEENS1_30default_config_static_selectorELNS0_4arch9wavefront6targetE0EEEvST_.kd
    .uniform_work_group_size: 1
    .uses_dynamic_stack: false
    .vgpr_count:     0
    .vgpr_spill_count: 0
    .wavefront_size: 32
    .workgroup_processor_mode: 1
  - .args:
      - .offset:         0
        .size:           40
        .value_kind:     by_value
    .group_segment_fixed_size: 0
    .kernarg_segment_align: 8
    .kernarg_segment_size: 40
    .language:       OpenCL C
    .language_version:
      - 2
      - 0
    .max_flat_workgroup_size: 128
    .name:           _ZN7rocprim17ROCPRIM_400000_NS6detail17trampoline_kernelINS0_14default_configENS1_22reduce_config_selectorIiEEZNS1_11reduce_implILb1ES3_PiS7_iN6hipcub16HIPCUB_304000_NS6detail34convert_binary_result_type_wrapperINS9_3SumENS9_22TransformInputIteratorIbN2at6native12_GLOBAL__N_19NonZeroOpIN3c107complexIfEEEEPKSK_lEEiEEEE10hipError_tPvRmT1_T2_T3_mT4_P12ihipStream_tbEUlT_E1_NS1_11comp_targetILNS1_3genE4ELNS1_11target_archE910ELNS1_3gpuE8ELNS1_3repE0EEENS1_30default_config_static_selectorELNS0_4arch9wavefront6targetE0EEEvST_
    .private_segment_fixed_size: 0
    .sgpr_count:     0
    .sgpr_spill_count: 0
    .symbol:         _ZN7rocprim17ROCPRIM_400000_NS6detail17trampoline_kernelINS0_14default_configENS1_22reduce_config_selectorIiEEZNS1_11reduce_implILb1ES3_PiS7_iN6hipcub16HIPCUB_304000_NS6detail34convert_binary_result_type_wrapperINS9_3SumENS9_22TransformInputIteratorIbN2at6native12_GLOBAL__N_19NonZeroOpIN3c107complexIfEEEEPKSK_lEEiEEEE10hipError_tPvRmT1_T2_T3_mT4_P12ihipStream_tbEUlT_E1_NS1_11comp_targetILNS1_3genE4ELNS1_11target_archE910ELNS1_3gpuE8ELNS1_3repE0EEENS1_30default_config_static_selectorELNS0_4arch9wavefront6targetE0EEEvST_.kd
    .uniform_work_group_size: 1
    .uses_dynamic_stack: false
    .vgpr_count:     0
    .vgpr_spill_count: 0
    .wavefront_size: 32
    .workgroup_processor_mode: 1
  - .args:
      - .offset:         0
        .size:           40
        .value_kind:     by_value
    .group_segment_fixed_size: 0
    .kernarg_segment_align: 8
    .kernarg_segment_size: 40
    .language:       OpenCL C
    .language_version:
      - 2
      - 0
    .max_flat_workgroup_size: 256
    .name:           _ZN7rocprim17ROCPRIM_400000_NS6detail17trampoline_kernelINS0_14default_configENS1_22reduce_config_selectorIiEEZNS1_11reduce_implILb1ES3_PiS7_iN6hipcub16HIPCUB_304000_NS6detail34convert_binary_result_type_wrapperINS9_3SumENS9_22TransformInputIteratorIbN2at6native12_GLOBAL__N_19NonZeroOpIN3c107complexIfEEEEPKSK_lEEiEEEE10hipError_tPvRmT1_T2_T3_mT4_P12ihipStream_tbEUlT_E1_NS1_11comp_targetILNS1_3genE3ELNS1_11target_archE908ELNS1_3gpuE7ELNS1_3repE0EEENS1_30default_config_static_selectorELNS0_4arch9wavefront6targetE0EEEvST_
    .private_segment_fixed_size: 0
    .sgpr_count:     0
    .sgpr_spill_count: 0
    .symbol:         _ZN7rocprim17ROCPRIM_400000_NS6detail17trampoline_kernelINS0_14default_configENS1_22reduce_config_selectorIiEEZNS1_11reduce_implILb1ES3_PiS7_iN6hipcub16HIPCUB_304000_NS6detail34convert_binary_result_type_wrapperINS9_3SumENS9_22TransformInputIteratorIbN2at6native12_GLOBAL__N_19NonZeroOpIN3c107complexIfEEEEPKSK_lEEiEEEE10hipError_tPvRmT1_T2_T3_mT4_P12ihipStream_tbEUlT_E1_NS1_11comp_targetILNS1_3genE3ELNS1_11target_archE908ELNS1_3gpuE7ELNS1_3repE0EEENS1_30default_config_static_selectorELNS0_4arch9wavefront6targetE0EEEvST_.kd
    .uniform_work_group_size: 1
    .uses_dynamic_stack: false
    .vgpr_count:     0
    .vgpr_spill_count: 0
    .wavefront_size: 32
    .workgroup_processor_mode: 1
  - .args:
      - .offset:         0
        .size:           40
        .value_kind:     by_value
    .group_segment_fixed_size: 0
    .kernarg_segment_align: 8
    .kernarg_segment_size: 40
    .language:       OpenCL C
    .language_version:
      - 2
      - 0
    .max_flat_workgroup_size: 256
    .name:           _ZN7rocprim17ROCPRIM_400000_NS6detail17trampoline_kernelINS0_14default_configENS1_22reduce_config_selectorIiEEZNS1_11reduce_implILb1ES3_PiS7_iN6hipcub16HIPCUB_304000_NS6detail34convert_binary_result_type_wrapperINS9_3SumENS9_22TransformInputIteratorIbN2at6native12_GLOBAL__N_19NonZeroOpIN3c107complexIfEEEEPKSK_lEEiEEEE10hipError_tPvRmT1_T2_T3_mT4_P12ihipStream_tbEUlT_E1_NS1_11comp_targetILNS1_3genE2ELNS1_11target_archE906ELNS1_3gpuE6ELNS1_3repE0EEENS1_30default_config_static_selectorELNS0_4arch9wavefront6targetE0EEEvST_
    .private_segment_fixed_size: 0
    .sgpr_count:     0
    .sgpr_spill_count: 0
    .symbol:         _ZN7rocprim17ROCPRIM_400000_NS6detail17trampoline_kernelINS0_14default_configENS1_22reduce_config_selectorIiEEZNS1_11reduce_implILb1ES3_PiS7_iN6hipcub16HIPCUB_304000_NS6detail34convert_binary_result_type_wrapperINS9_3SumENS9_22TransformInputIteratorIbN2at6native12_GLOBAL__N_19NonZeroOpIN3c107complexIfEEEEPKSK_lEEiEEEE10hipError_tPvRmT1_T2_T3_mT4_P12ihipStream_tbEUlT_E1_NS1_11comp_targetILNS1_3genE2ELNS1_11target_archE906ELNS1_3gpuE6ELNS1_3repE0EEENS1_30default_config_static_selectorELNS0_4arch9wavefront6targetE0EEEvST_.kd
    .uniform_work_group_size: 1
    .uses_dynamic_stack: false
    .vgpr_count:     0
    .vgpr_spill_count: 0
    .wavefront_size: 32
    .workgroup_processor_mode: 1
  - .args:
      - .offset:         0
        .size:           40
        .value_kind:     by_value
    .group_segment_fixed_size: 0
    .kernarg_segment_align: 8
    .kernarg_segment_size: 40
    .language:       OpenCL C
    .language_version:
      - 2
      - 0
    .max_flat_workgroup_size: 256
    .name:           _ZN7rocprim17ROCPRIM_400000_NS6detail17trampoline_kernelINS0_14default_configENS1_22reduce_config_selectorIiEEZNS1_11reduce_implILb1ES3_PiS7_iN6hipcub16HIPCUB_304000_NS6detail34convert_binary_result_type_wrapperINS9_3SumENS9_22TransformInputIteratorIbN2at6native12_GLOBAL__N_19NonZeroOpIN3c107complexIfEEEEPKSK_lEEiEEEE10hipError_tPvRmT1_T2_T3_mT4_P12ihipStream_tbEUlT_E1_NS1_11comp_targetILNS1_3genE10ELNS1_11target_archE1201ELNS1_3gpuE5ELNS1_3repE0EEENS1_30default_config_static_selectorELNS0_4arch9wavefront6targetE0EEEvST_
    .private_segment_fixed_size: 0
    .sgpr_count:     0
    .sgpr_spill_count: 0
    .symbol:         _ZN7rocprim17ROCPRIM_400000_NS6detail17trampoline_kernelINS0_14default_configENS1_22reduce_config_selectorIiEEZNS1_11reduce_implILb1ES3_PiS7_iN6hipcub16HIPCUB_304000_NS6detail34convert_binary_result_type_wrapperINS9_3SumENS9_22TransformInputIteratorIbN2at6native12_GLOBAL__N_19NonZeroOpIN3c107complexIfEEEEPKSK_lEEiEEEE10hipError_tPvRmT1_T2_T3_mT4_P12ihipStream_tbEUlT_E1_NS1_11comp_targetILNS1_3genE10ELNS1_11target_archE1201ELNS1_3gpuE5ELNS1_3repE0EEENS1_30default_config_static_selectorELNS0_4arch9wavefront6targetE0EEEvST_.kd
    .uniform_work_group_size: 1
    .uses_dynamic_stack: false
    .vgpr_count:     0
    .vgpr_spill_count: 0
    .wavefront_size: 32
    .workgroup_processor_mode: 1
  - .args:
      - .offset:         0
        .size:           40
        .value_kind:     by_value
    .group_segment_fixed_size: 0
    .kernarg_segment_align: 8
    .kernarg_segment_size: 40
    .language:       OpenCL C
    .language_version:
      - 2
      - 0
    .max_flat_workgroup_size: 256
    .name:           _ZN7rocprim17ROCPRIM_400000_NS6detail17trampoline_kernelINS0_14default_configENS1_22reduce_config_selectorIiEEZNS1_11reduce_implILb1ES3_PiS7_iN6hipcub16HIPCUB_304000_NS6detail34convert_binary_result_type_wrapperINS9_3SumENS9_22TransformInputIteratorIbN2at6native12_GLOBAL__N_19NonZeroOpIN3c107complexIfEEEEPKSK_lEEiEEEE10hipError_tPvRmT1_T2_T3_mT4_P12ihipStream_tbEUlT_E1_NS1_11comp_targetILNS1_3genE10ELNS1_11target_archE1200ELNS1_3gpuE4ELNS1_3repE0EEENS1_30default_config_static_selectorELNS0_4arch9wavefront6targetE0EEEvST_
    .private_segment_fixed_size: 0
    .sgpr_count:     0
    .sgpr_spill_count: 0
    .symbol:         _ZN7rocprim17ROCPRIM_400000_NS6detail17trampoline_kernelINS0_14default_configENS1_22reduce_config_selectorIiEEZNS1_11reduce_implILb1ES3_PiS7_iN6hipcub16HIPCUB_304000_NS6detail34convert_binary_result_type_wrapperINS9_3SumENS9_22TransformInputIteratorIbN2at6native12_GLOBAL__N_19NonZeroOpIN3c107complexIfEEEEPKSK_lEEiEEEE10hipError_tPvRmT1_T2_T3_mT4_P12ihipStream_tbEUlT_E1_NS1_11comp_targetILNS1_3genE10ELNS1_11target_archE1200ELNS1_3gpuE4ELNS1_3repE0EEENS1_30default_config_static_selectorELNS0_4arch9wavefront6targetE0EEEvST_.kd
    .uniform_work_group_size: 1
    .uses_dynamic_stack: false
    .vgpr_count:     0
    .vgpr_spill_count: 0
    .wavefront_size: 32
    .workgroup_processor_mode: 1
  - .args:
      - .offset:         0
        .size:           40
        .value_kind:     by_value
    .group_segment_fixed_size: 224
    .kernarg_segment_align: 8
    .kernarg_segment_size: 40
    .language:       OpenCL C
    .language_version:
      - 2
      - 0
    .max_flat_workgroup_size: 256
    .name:           _ZN7rocprim17ROCPRIM_400000_NS6detail17trampoline_kernelINS0_14default_configENS1_22reduce_config_selectorIiEEZNS1_11reduce_implILb1ES3_PiS7_iN6hipcub16HIPCUB_304000_NS6detail34convert_binary_result_type_wrapperINS9_3SumENS9_22TransformInputIteratorIbN2at6native12_GLOBAL__N_19NonZeroOpIN3c107complexIfEEEEPKSK_lEEiEEEE10hipError_tPvRmT1_T2_T3_mT4_P12ihipStream_tbEUlT_E1_NS1_11comp_targetILNS1_3genE9ELNS1_11target_archE1100ELNS1_3gpuE3ELNS1_3repE0EEENS1_30default_config_static_selectorELNS0_4arch9wavefront6targetE0EEEvST_
    .private_segment_fixed_size: 0
    .sgpr_count:     29
    .sgpr_spill_count: 0
    .symbol:         _ZN7rocprim17ROCPRIM_400000_NS6detail17trampoline_kernelINS0_14default_configENS1_22reduce_config_selectorIiEEZNS1_11reduce_implILb1ES3_PiS7_iN6hipcub16HIPCUB_304000_NS6detail34convert_binary_result_type_wrapperINS9_3SumENS9_22TransformInputIteratorIbN2at6native12_GLOBAL__N_19NonZeroOpIN3c107complexIfEEEEPKSK_lEEiEEEE10hipError_tPvRmT1_T2_T3_mT4_P12ihipStream_tbEUlT_E1_NS1_11comp_targetILNS1_3genE9ELNS1_11target_archE1100ELNS1_3gpuE3ELNS1_3repE0EEENS1_30default_config_static_selectorELNS0_4arch9wavefront6targetE0EEEvST_.kd
    .uniform_work_group_size: 1
    .uses_dynamic_stack: false
    .vgpr_count:     34
    .vgpr_spill_count: 0
    .wavefront_size: 32
    .workgroup_processor_mode: 1
  - .args:
      - .offset:         0
        .size:           40
        .value_kind:     by_value
    .group_segment_fixed_size: 0
    .kernarg_segment_align: 8
    .kernarg_segment_size: 40
    .language:       OpenCL C
    .language_version:
      - 2
      - 0
    .max_flat_workgroup_size: 256
    .name:           _ZN7rocprim17ROCPRIM_400000_NS6detail17trampoline_kernelINS0_14default_configENS1_22reduce_config_selectorIiEEZNS1_11reduce_implILb1ES3_PiS7_iN6hipcub16HIPCUB_304000_NS6detail34convert_binary_result_type_wrapperINS9_3SumENS9_22TransformInputIteratorIbN2at6native12_GLOBAL__N_19NonZeroOpIN3c107complexIfEEEEPKSK_lEEiEEEE10hipError_tPvRmT1_T2_T3_mT4_P12ihipStream_tbEUlT_E1_NS1_11comp_targetILNS1_3genE8ELNS1_11target_archE1030ELNS1_3gpuE2ELNS1_3repE0EEENS1_30default_config_static_selectorELNS0_4arch9wavefront6targetE0EEEvST_
    .private_segment_fixed_size: 0
    .sgpr_count:     0
    .sgpr_spill_count: 0
    .symbol:         _ZN7rocprim17ROCPRIM_400000_NS6detail17trampoline_kernelINS0_14default_configENS1_22reduce_config_selectorIiEEZNS1_11reduce_implILb1ES3_PiS7_iN6hipcub16HIPCUB_304000_NS6detail34convert_binary_result_type_wrapperINS9_3SumENS9_22TransformInputIteratorIbN2at6native12_GLOBAL__N_19NonZeroOpIN3c107complexIfEEEEPKSK_lEEiEEEE10hipError_tPvRmT1_T2_T3_mT4_P12ihipStream_tbEUlT_E1_NS1_11comp_targetILNS1_3genE8ELNS1_11target_archE1030ELNS1_3gpuE2ELNS1_3repE0EEENS1_30default_config_static_selectorELNS0_4arch9wavefront6targetE0EEEvST_.kd
    .uniform_work_group_size: 1
    .uses_dynamic_stack: false
    .vgpr_count:     0
    .vgpr_spill_count: 0
    .wavefront_size: 32
    .workgroup_processor_mode: 1
  - .args:
      - .offset:         0
        .size:           64
        .value_kind:     by_value
    .group_segment_fixed_size: 0
    .kernarg_segment_align: 8
    .kernarg_segment_size: 64
    .language:       OpenCL C
    .language_version:
      - 2
      - 0
    .max_flat_workgroup_size: 256
    .name:           _ZN7rocprim17ROCPRIM_400000_NS6detail17trampoline_kernelINS0_14default_configENS1_22reduce_config_selectorIbEEZNS1_11reduce_implILb1ES3_N6hipcub16HIPCUB_304000_NS22TransformInputIteratorIbN2at6native12_GLOBAL__N_19NonZeroOpIN3c107complexIfEEEEPKSG_lEEPiiNS8_6detail34convert_binary_result_type_wrapperINS8_3SumESK_iEEEE10hipError_tPvRmT1_T2_T3_mT4_P12ihipStream_tbEUlT_E0_NS1_11comp_targetILNS1_3genE0ELNS1_11target_archE4294967295ELNS1_3gpuE0ELNS1_3repE0EEENS1_30default_config_static_selectorELNS0_4arch9wavefront6targetE0EEEvST_
    .private_segment_fixed_size: 0
    .sgpr_count:     0
    .sgpr_spill_count: 0
    .symbol:         _ZN7rocprim17ROCPRIM_400000_NS6detail17trampoline_kernelINS0_14default_configENS1_22reduce_config_selectorIbEEZNS1_11reduce_implILb1ES3_N6hipcub16HIPCUB_304000_NS22TransformInputIteratorIbN2at6native12_GLOBAL__N_19NonZeroOpIN3c107complexIfEEEEPKSG_lEEPiiNS8_6detail34convert_binary_result_type_wrapperINS8_3SumESK_iEEEE10hipError_tPvRmT1_T2_T3_mT4_P12ihipStream_tbEUlT_E0_NS1_11comp_targetILNS1_3genE0ELNS1_11target_archE4294967295ELNS1_3gpuE0ELNS1_3repE0EEENS1_30default_config_static_selectorELNS0_4arch9wavefront6targetE0EEEvST_.kd
    .uniform_work_group_size: 1
    .uses_dynamic_stack: false
    .vgpr_count:     0
    .vgpr_spill_count: 0
    .wavefront_size: 32
    .workgroup_processor_mode: 1
  - .args:
      - .offset:         0
        .size:           64
        .value_kind:     by_value
    .group_segment_fixed_size: 0
    .kernarg_segment_align: 8
    .kernarg_segment_size: 64
    .language:       OpenCL C
    .language_version:
      - 2
      - 0
    .max_flat_workgroup_size: 256
    .name:           _ZN7rocprim17ROCPRIM_400000_NS6detail17trampoline_kernelINS0_14default_configENS1_22reduce_config_selectorIbEEZNS1_11reduce_implILb1ES3_N6hipcub16HIPCUB_304000_NS22TransformInputIteratorIbN2at6native12_GLOBAL__N_19NonZeroOpIN3c107complexIfEEEEPKSG_lEEPiiNS8_6detail34convert_binary_result_type_wrapperINS8_3SumESK_iEEEE10hipError_tPvRmT1_T2_T3_mT4_P12ihipStream_tbEUlT_E0_NS1_11comp_targetILNS1_3genE5ELNS1_11target_archE942ELNS1_3gpuE9ELNS1_3repE0EEENS1_30default_config_static_selectorELNS0_4arch9wavefront6targetE0EEEvST_
    .private_segment_fixed_size: 0
    .sgpr_count:     0
    .sgpr_spill_count: 0
    .symbol:         _ZN7rocprim17ROCPRIM_400000_NS6detail17trampoline_kernelINS0_14default_configENS1_22reduce_config_selectorIbEEZNS1_11reduce_implILb1ES3_N6hipcub16HIPCUB_304000_NS22TransformInputIteratorIbN2at6native12_GLOBAL__N_19NonZeroOpIN3c107complexIfEEEEPKSG_lEEPiiNS8_6detail34convert_binary_result_type_wrapperINS8_3SumESK_iEEEE10hipError_tPvRmT1_T2_T3_mT4_P12ihipStream_tbEUlT_E0_NS1_11comp_targetILNS1_3genE5ELNS1_11target_archE942ELNS1_3gpuE9ELNS1_3repE0EEENS1_30default_config_static_selectorELNS0_4arch9wavefront6targetE0EEEvST_.kd
    .uniform_work_group_size: 1
    .uses_dynamic_stack: false
    .vgpr_count:     0
    .vgpr_spill_count: 0
    .wavefront_size: 32
    .workgroup_processor_mode: 1
  - .args:
      - .offset:         0
        .size:           64
        .value_kind:     by_value
    .group_segment_fixed_size: 0
    .kernarg_segment_align: 8
    .kernarg_segment_size: 64
    .language:       OpenCL C
    .language_version:
      - 2
      - 0
    .max_flat_workgroup_size: 128
    .name:           _ZN7rocprim17ROCPRIM_400000_NS6detail17trampoline_kernelINS0_14default_configENS1_22reduce_config_selectorIbEEZNS1_11reduce_implILb1ES3_N6hipcub16HIPCUB_304000_NS22TransformInputIteratorIbN2at6native12_GLOBAL__N_19NonZeroOpIN3c107complexIfEEEEPKSG_lEEPiiNS8_6detail34convert_binary_result_type_wrapperINS8_3SumESK_iEEEE10hipError_tPvRmT1_T2_T3_mT4_P12ihipStream_tbEUlT_E0_NS1_11comp_targetILNS1_3genE4ELNS1_11target_archE910ELNS1_3gpuE8ELNS1_3repE0EEENS1_30default_config_static_selectorELNS0_4arch9wavefront6targetE0EEEvST_
    .private_segment_fixed_size: 0
    .sgpr_count:     0
    .sgpr_spill_count: 0
    .symbol:         _ZN7rocprim17ROCPRIM_400000_NS6detail17trampoline_kernelINS0_14default_configENS1_22reduce_config_selectorIbEEZNS1_11reduce_implILb1ES3_N6hipcub16HIPCUB_304000_NS22TransformInputIteratorIbN2at6native12_GLOBAL__N_19NonZeroOpIN3c107complexIfEEEEPKSG_lEEPiiNS8_6detail34convert_binary_result_type_wrapperINS8_3SumESK_iEEEE10hipError_tPvRmT1_T2_T3_mT4_P12ihipStream_tbEUlT_E0_NS1_11comp_targetILNS1_3genE4ELNS1_11target_archE910ELNS1_3gpuE8ELNS1_3repE0EEENS1_30default_config_static_selectorELNS0_4arch9wavefront6targetE0EEEvST_.kd
    .uniform_work_group_size: 1
    .uses_dynamic_stack: false
    .vgpr_count:     0
    .vgpr_spill_count: 0
    .wavefront_size: 32
    .workgroup_processor_mode: 1
  - .args:
      - .offset:         0
        .size:           64
        .value_kind:     by_value
    .group_segment_fixed_size: 0
    .kernarg_segment_align: 8
    .kernarg_segment_size: 64
    .language:       OpenCL C
    .language_version:
      - 2
      - 0
    .max_flat_workgroup_size: 256
    .name:           _ZN7rocprim17ROCPRIM_400000_NS6detail17trampoline_kernelINS0_14default_configENS1_22reduce_config_selectorIbEEZNS1_11reduce_implILb1ES3_N6hipcub16HIPCUB_304000_NS22TransformInputIteratorIbN2at6native12_GLOBAL__N_19NonZeroOpIN3c107complexIfEEEEPKSG_lEEPiiNS8_6detail34convert_binary_result_type_wrapperINS8_3SumESK_iEEEE10hipError_tPvRmT1_T2_T3_mT4_P12ihipStream_tbEUlT_E0_NS1_11comp_targetILNS1_3genE3ELNS1_11target_archE908ELNS1_3gpuE7ELNS1_3repE0EEENS1_30default_config_static_selectorELNS0_4arch9wavefront6targetE0EEEvST_
    .private_segment_fixed_size: 0
    .sgpr_count:     0
    .sgpr_spill_count: 0
    .symbol:         _ZN7rocprim17ROCPRIM_400000_NS6detail17trampoline_kernelINS0_14default_configENS1_22reduce_config_selectorIbEEZNS1_11reduce_implILb1ES3_N6hipcub16HIPCUB_304000_NS22TransformInputIteratorIbN2at6native12_GLOBAL__N_19NonZeroOpIN3c107complexIfEEEEPKSG_lEEPiiNS8_6detail34convert_binary_result_type_wrapperINS8_3SumESK_iEEEE10hipError_tPvRmT1_T2_T3_mT4_P12ihipStream_tbEUlT_E0_NS1_11comp_targetILNS1_3genE3ELNS1_11target_archE908ELNS1_3gpuE7ELNS1_3repE0EEENS1_30default_config_static_selectorELNS0_4arch9wavefront6targetE0EEEvST_.kd
    .uniform_work_group_size: 1
    .uses_dynamic_stack: false
    .vgpr_count:     0
    .vgpr_spill_count: 0
    .wavefront_size: 32
    .workgroup_processor_mode: 1
  - .args:
      - .offset:         0
        .size:           64
        .value_kind:     by_value
    .group_segment_fixed_size: 0
    .kernarg_segment_align: 8
    .kernarg_segment_size: 64
    .language:       OpenCL C
    .language_version:
      - 2
      - 0
    .max_flat_workgroup_size: 128
    .name:           _ZN7rocprim17ROCPRIM_400000_NS6detail17trampoline_kernelINS0_14default_configENS1_22reduce_config_selectorIbEEZNS1_11reduce_implILb1ES3_N6hipcub16HIPCUB_304000_NS22TransformInputIteratorIbN2at6native12_GLOBAL__N_19NonZeroOpIN3c107complexIfEEEEPKSG_lEEPiiNS8_6detail34convert_binary_result_type_wrapperINS8_3SumESK_iEEEE10hipError_tPvRmT1_T2_T3_mT4_P12ihipStream_tbEUlT_E0_NS1_11comp_targetILNS1_3genE2ELNS1_11target_archE906ELNS1_3gpuE6ELNS1_3repE0EEENS1_30default_config_static_selectorELNS0_4arch9wavefront6targetE0EEEvST_
    .private_segment_fixed_size: 0
    .sgpr_count:     0
    .sgpr_spill_count: 0
    .symbol:         _ZN7rocprim17ROCPRIM_400000_NS6detail17trampoline_kernelINS0_14default_configENS1_22reduce_config_selectorIbEEZNS1_11reduce_implILb1ES3_N6hipcub16HIPCUB_304000_NS22TransformInputIteratorIbN2at6native12_GLOBAL__N_19NonZeroOpIN3c107complexIfEEEEPKSG_lEEPiiNS8_6detail34convert_binary_result_type_wrapperINS8_3SumESK_iEEEE10hipError_tPvRmT1_T2_T3_mT4_P12ihipStream_tbEUlT_E0_NS1_11comp_targetILNS1_3genE2ELNS1_11target_archE906ELNS1_3gpuE6ELNS1_3repE0EEENS1_30default_config_static_selectorELNS0_4arch9wavefront6targetE0EEEvST_.kd
    .uniform_work_group_size: 1
    .uses_dynamic_stack: false
    .vgpr_count:     0
    .vgpr_spill_count: 0
    .wavefront_size: 32
    .workgroup_processor_mode: 1
  - .args:
      - .offset:         0
        .size:           64
        .value_kind:     by_value
    .group_segment_fixed_size: 0
    .kernarg_segment_align: 8
    .kernarg_segment_size: 64
    .language:       OpenCL C
    .language_version:
      - 2
      - 0
    .max_flat_workgroup_size: 256
    .name:           _ZN7rocprim17ROCPRIM_400000_NS6detail17trampoline_kernelINS0_14default_configENS1_22reduce_config_selectorIbEEZNS1_11reduce_implILb1ES3_N6hipcub16HIPCUB_304000_NS22TransformInputIteratorIbN2at6native12_GLOBAL__N_19NonZeroOpIN3c107complexIfEEEEPKSG_lEEPiiNS8_6detail34convert_binary_result_type_wrapperINS8_3SumESK_iEEEE10hipError_tPvRmT1_T2_T3_mT4_P12ihipStream_tbEUlT_E0_NS1_11comp_targetILNS1_3genE10ELNS1_11target_archE1201ELNS1_3gpuE5ELNS1_3repE0EEENS1_30default_config_static_selectorELNS0_4arch9wavefront6targetE0EEEvST_
    .private_segment_fixed_size: 0
    .sgpr_count:     0
    .sgpr_spill_count: 0
    .symbol:         _ZN7rocprim17ROCPRIM_400000_NS6detail17trampoline_kernelINS0_14default_configENS1_22reduce_config_selectorIbEEZNS1_11reduce_implILb1ES3_N6hipcub16HIPCUB_304000_NS22TransformInputIteratorIbN2at6native12_GLOBAL__N_19NonZeroOpIN3c107complexIfEEEEPKSG_lEEPiiNS8_6detail34convert_binary_result_type_wrapperINS8_3SumESK_iEEEE10hipError_tPvRmT1_T2_T3_mT4_P12ihipStream_tbEUlT_E0_NS1_11comp_targetILNS1_3genE10ELNS1_11target_archE1201ELNS1_3gpuE5ELNS1_3repE0EEENS1_30default_config_static_selectorELNS0_4arch9wavefront6targetE0EEEvST_.kd
    .uniform_work_group_size: 1
    .uses_dynamic_stack: false
    .vgpr_count:     0
    .vgpr_spill_count: 0
    .wavefront_size: 32
    .workgroup_processor_mode: 1
  - .args:
      - .offset:         0
        .size:           64
        .value_kind:     by_value
    .group_segment_fixed_size: 0
    .kernarg_segment_align: 8
    .kernarg_segment_size: 64
    .language:       OpenCL C
    .language_version:
      - 2
      - 0
    .max_flat_workgroup_size: 256
    .name:           _ZN7rocprim17ROCPRIM_400000_NS6detail17trampoline_kernelINS0_14default_configENS1_22reduce_config_selectorIbEEZNS1_11reduce_implILb1ES3_N6hipcub16HIPCUB_304000_NS22TransformInputIteratorIbN2at6native12_GLOBAL__N_19NonZeroOpIN3c107complexIfEEEEPKSG_lEEPiiNS8_6detail34convert_binary_result_type_wrapperINS8_3SumESK_iEEEE10hipError_tPvRmT1_T2_T3_mT4_P12ihipStream_tbEUlT_E0_NS1_11comp_targetILNS1_3genE10ELNS1_11target_archE1200ELNS1_3gpuE4ELNS1_3repE0EEENS1_30default_config_static_selectorELNS0_4arch9wavefront6targetE0EEEvST_
    .private_segment_fixed_size: 0
    .sgpr_count:     0
    .sgpr_spill_count: 0
    .symbol:         _ZN7rocprim17ROCPRIM_400000_NS6detail17trampoline_kernelINS0_14default_configENS1_22reduce_config_selectorIbEEZNS1_11reduce_implILb1ES3_N6hipcub16HIPCUB_304000_NS22TransformInputIteratorIbN2at6native12_GLOBAL__N_19NonZeroOpIN3c107complexIfEEEEPKSG_lEEPiiNS8_6detail34convert_binary_result_type_wrapperINS8_3SumESK_iEEEE10hipError_tPvRmT1_T2_T3_mT4_P12ihipStream_tbEUlT_E0_NS1_11comp_targetILNS1_3genE10ELNS1_11target_archE1200ELNS1_3gpuE4ELNS1_3repE0EEENS1_30default_config_static_selectorELNS0_4arch9wavefront6targetE0EEEvST_.kd
    .uniform_work_group_size: 1
    .uses_dynamic_stack: false
    .vgpr_count:     0
    .vgpr_spill_count: 0
    .wavefront_size: 32
    .workgroup_processor_mode: 1
  - .args:
      - .offset:         0
        .size:           64
        .value_kind:     by_value
    .group_segment_fixed_size: 32
    .kernarg_segment_align: 8
    .kernarg_segment_size: 64
    .language:       OpenCL C
    .language_version:
      - 2
      - 0
    .max_flat_workgroup_size: 128
    .name:           _ZN7rocprim17ROCPRIM_400000_NS6detail17trampoline_kernelINS0_14default_configENS1_22reduce_config_selectorIbEEZNS1_11reduce_implILb1ES3_N6hipcub16HIPCUB_304000_NS22TransformInputIteratorIbN2at6native12_GLOBAL__N_19NonZeroOpIN3c107complexIfEEEEPKSG_lEEPiiNS8_6detail34convert_binary_result_type_wrapperINS8_3SumESK_iEEEE10hipError_tPvRmT1_T2_T3_mT4_P12ihipStream_tbEUlT_E0_NS1_11comp_targetILNS1_3genE9ELNS1_11target_archE1100ELNS1_3gpuE3ELNS1_3repE0EEENS1_30default_config_static_selectorELNS0_4arch9wavefront6targetE0EEEvST_
    .private_segment_fixed_size: 0
    .sgpr_count:     42
    .sgpr_spill_count: 0
    .symbol:         _ZN7rocprim17ROCPRIM_400000_NS6detail17trampoline_kernelINS0_14default_configENS1_22reduce_config_selectorIbEEZNS1_11reduce_implILb1ES3_N6hipcub16HIPCUB_304000_NS22TransformInputIteratorIbN2at6native12_GLOBAL__N_19NonZeroOpIN3c107complexIfEEEEPKSG_lEEPiiNS8_6detail34convert_binary_result_type_wrapperINS8_3SumESK_iEEEE10hipError_tPvRmT1_T2_T3_mT4_P12ihipStream_tbEUlT_E0_NS1_11comp_targetILNS1_3genE9ELNS1_11target_archE1100ELNS1_3gpuE3ELNS1_3repE0EEENS1_30default_config_static_selectorELNS0_4arch9wavefront6targetE0EEEvST_.kd
    .uniform_work_group_size: 1
    .uses_dynamic_stack: false
    .vgpr_count:     35
    .vgpr_spill_count: 0
    .wavefront_size: 32
    .workgroup_processor_mode: 1
  - .args:
      - .offset:         0
        .size:           64
        .value_kind:     by_value
    .group_segment_fixed_size: 0
    .kernarg_segment_align: 8
    .kernarg_segment_size: 64
    .language:       OpenCL C
    .language_version:
      - 2
      - 0
    .max_flat_workgroup_size: 256
    .name:           _ZN7rocprim17ROCPRIM_400000_NS6detail17trampoline_kernelINS0_14default_configENS1_22reduce_config_selectorIbEEZNS1_11reduce_implILb1ES3_N6hipcub16HIPCUB_304000_NS22TransformInputIteratorIbN2at6native12_GLOBAL__N_19NonZeroOpIN3c107complexIfEEEEPKSG_lEEPiiNS8_6detail34convert_binary_result_type_wrapperINS8_3SumESK_iEEEE10hipError_tPvRmT1_T2_T3_mT4_P12ihipStream_tbEUlT_E0_NS1_11comp_targetILNS1_3genE8ELNS1_11target_archE1030ELNS1_3gpuE2ELNS1_3repE0EEENS1_30default_config_static_selectorELNS0_4arch9wavefront6targetE0EEEvST_
    .private_segment_fixed_size: 0
    .sgpr_count:     0
    .sgpr_spill_count: 0
    .symbol:         _ZN7rocprim17ROCPRIM_400000_NS6detail17trampoline_kernelINS0_14default_configENS1_22reduce_config_selectorIbEEZNS1_11reduce_implILb1ES3_N6hipcub16HIPCUB_304000_NS22TransformInputIteratorIbN2at6native12_GLOBAL__N_19NonZeroOpIN3c107complexIfEEEEPKSG_lEEPiiNS8_6detail34convert_binary_result_type_wrapperINS8_3SumESK_iEEEE10hipError_tPvRmT1_T2_T3_mT4_P12ihipStream_tbEUlT_E0_NS1_11comp_targetILNS1_3genE8ELNS1_11target_archE1030ELNS1_3gpuE2ELNS1_3repE0EEENS1_30default_config_static_selectorELNS0_4arch9wavefront6targetE0EEEvST_.kd
    .uniform_work_group_size: 1
    .uses_dynamic_stack: false
    .vgpr_count:     0
    .vgpr_spill_count: 0
    .wavefront_size: 32
    .workgroup_processor_mode: 1
  - .args:
      - .offset:         0
        .size:           48
        .value_kind:     by_value
    .group_segment_fixed_size: 0
    .kernarg_segment_align: 8
    .kernarg_segment_size: 48
    .language:       OpenCL C
    .language_version:
      - 2
      - 0
    .max_flat_workgroup_size: 256
    .name:           _ZN7rocprim17ROCPRIM_400000_NS6detail17trampoline_kernelINS0_14default_configENS1_22reduce_config_selectorIbEEZNS1_11reduce_implILb1ES3_N6hipcub16HIPCUB_304000_NS22TransformInputIteratorIbN2at6native12_GLOBAL__N_19NonZeroOpIN3c107complexIfEEEEPKSG_lEEPiiNS8_6detail34convert_binary_result_type_wrapperINS8_3SumESK_iEEEE10hipError_tPvRmT1_T2_T3_mT4_P12ihipStream_tbEUlT_E1_NS1_11comp_targetILNS1_3genE0ELNS1_11target_archE4294967295ELNS1_3gpuE0ELNS1_3repE0EEENS1_30default_config_static_selectorELNS0_4arch9wavefront6targetE0EEEvST_
    .private_segment_fixed_size: 0
    .sgpr_count:     0
    .sgpr_spill_count: 0
    .symbol:         _ZN7rocprim17ROCPRIM_400000_NS6detail17trampoline_kernelINS0_14default_configENS1_22reduce_config_selectorIbEEZNS1_11reduce_implILb1ES3_N6hipcub16HIPCUB_304000_NS22TransformInputIteratorIbN2at6native12_GLOBAL__N_19NonZeroOpIN3c107complexIfEEEEPKSG_lEEPiiNS8_6detail34convert_binary_result_type_wrapperINS8_3SumESK_iEEEE10hipError_tPvRmT1_T2_T3_mT4_P12ihipStream_tbEUlT_E1_NS1_11comp_targetILNS1_3genE0ELNS1_11target_archE4294967295ELNS1_3gpuE0ELNS1_3repE0EEENS1_30default_config_static_selectorELNS0_4arch9wavefront6targetE0EEEvST_.kd
    .uniform_work_group_size: 1
    .uses_dynamic_stack: false
    .vgpr_count:     0
    .vgpr_spill_count: 0
    .wavefront_size: 32
    .workgroup_processor_mode: 1
  - .args:
      - .offset:         0
        .size:           48
        .value_kind:     by_value
    .group_segment_fixed_size: 0
    .kernarg_segment_align: 8
    .kernarg_segment_size: 48
    .language:       OpenCL C
    .language_version:
      - 2
      - 0
    .max_flat_workgroup_size: 256
    .name:           _ZN7rocprim17ROCPRIM_400000_NS6detail17trampoline_kernelINS0_14default_configENS1_22reduce_config_selectorIbEEZNS1_11reduce_implILb1ES3_N6hipcub16HIPCUB_304000_NS22TransformInputIteratorIbN2at6native12_GLOBAL__N_19NonZeroOpIN3c107complexIfEEEEPKSG_lEEPiiNS8_6detail34convert_binary_result_type_wrapperINS8_3SumESK_iEEEE10hipError_tPvRmT1_T2_T3_mT4_P12ihipStream_tbEUlT_E1_NS1_11comp_targetILNS1_3genE5ELNS1_11target_archE942ELNS1_3gpuE9ELNS1_3repE0EEENS1_30default_config_static_selectorELNS0_4arch9wavefront6targetE0EEEvST_
    .private_segment_fixed_size: 0
    .sgpr_count:     0
    .sgpr_spill_count: 0
    .symbol:         _ZN7rocprim17ROCPRIM_400000_NS6detail17trampoline_kernelINS0_14default_configENS1_22reduce_config_selectorIbEEZNS1_11reduce_implILb1ES3_N6hipcub16HIPCUB_304000_NS22TransformInputIteratorIbN2at6native12_GLOBAL__N_19NonZeroOpIN3c107complexIfEEEEPKSG_lEEPiiNS8_6detail34convert_binary_result_type_wrapperINS8_3SumESK_iEEEE10hipError_tPvRmT1_T2_T3_mT4_P12ihipStream_tbEUlT_E1_NS1_11comp_targetILNS1_3genE5ELNS1_11target_archE942ELNS1_3gpuE9ELNS1_3repE0EEENS1_30default_config_static_selectorELNS0_4arch9wavefront6targetE0EEEvST_.kd
    .uniform_work_group_size: 1
    .uses_dynamic_stack: false
    .vgpr_count:     0
    .vgpr_spill_count: 0
    .wavefront_size: 32
    .workgroup_processor_mode: 1
  - .args:
      - .offset:         0
        .size:           48
        .value_kind:     by_value
    .group_segment_fixed_size: 0
    .kernarg_segment_align: 8
    .kernarg_segment_size: 48
    .language:       OpenCL C
    .language_version:
      - 2
      - 0
    .max_flat_workgroup_size: 128
    .name:           _ZN7rocprim17ROCPRIM_400000_NS6detail17trampoline_kernelINS0_14default_configENS1_22reduce_config_selectorIbEEZNS1_11reduce_implILb1ES3_N6hipcub16HIPCUB_304000_NS22TransformInputIteratorIbN2at6native12_GLOBAL__N_19NonZeroOpIN3c107complexIfEEEEPKSG_lEEPiiNS8_6detail34convert_binary_result_type_wrapperINS8_3SumESK_iEEEE10hipError_tPvRmT1_T2_T3_mT4_P12ihipStream_tbEUlT_E1_NS1_11comp_targetILNS1_3genE4ELNS1_11target_archE910ELNS1_3gpuE8ELNS1_3repE0EEENS1_30default_config_static_selectorELNS0_4arch9wavefront6targetE0EEEvST_
    .private_segment_fixed_size: 0
    .sgpr_count:     0
    .sgpr_spill_count: 0
    .symbol:         _ZN7rocprim17ROCPRIM_400000_NS6detail17trampoline_kernelINS0_14default_configENS1_22reduce_config_selectorIbEEZNS1_11reduce_implILb1ES3_N6hipcub16HIPCUB_304000_NS22TransformInputIteratorIbN2at6native12_GLOBAL__N_19NonZeroOpIN3c107complexIfEEEEPKSG_lEEPiiNS8_6detail34convert_binary_result_type_wrapperINS8_3SumESK_iEEEE10hipError_tPvRmT1_T2_T3_mT4_P12ihipStream_tbEUlT_E1_NS1_11comp_targetILNS1_3genE4ELNS1_11target_archE910ELNS1_3gpuE8ELNS1_3repE0EEENS1_30default_config_static_selectorELNS0_4arch9wavefront6targetE0EEEvST_.kd
    .uniform_work_group_size: 1
    .uses_dynamic_stack: false
    .vgpr_count:     0
    .vgpr_spill_count: 0
    .wavefront_size: 32
    .workgroup_processor_mode: 1
  - .args:
      - .offset:         0
        .size:           48
        .value_kind:     by_value
    .group_segment_fixed_size: 0
    .kernarg_segment_align: 8
    .kernarg_segment_size: 48
    .language:       OpenCL C
    .language_version:
      - 2
      - 0
    .max_flat_workgroup_size: 256
    .name:           _ZN7rocprim17ROCPRIM_400000_NS6detail17trampoline_kernelINS0_14default_configENS1_22reduce_config_selectorIbEEZNS1_11reduce_implILb1ES3_N6hipcub16HIPCUB_304000_NS22TransformInputIteratorIbN2at6native12_GLOBAL__N_19NonZeroOpIN3c107complexIfEEEEPKSG_lEEPiiNS8_6detail34convert_binary_result_type_wrapperINS8_3SumESK_iEEEE10hipError_tPvRmT1_T2_T3_mT4_P12ihipStream_tbEUlT_E1_NS1_11comp_targetILNS1_3genE3ELNS1_11target_archE908ELNS1_3gpuE7ELNS1_3repE0EEENS1_30default_config_static_selectorELNS0_4arch9wavefront6targetE0EEEvST_
    .private_segment_fixed_size: 0
    .sgpr_count:     0
    .sgpr_spill_count: 0
    .symbol:         _ZN7rocprim17ROCPRIM_400000_NS6detail17trampoline_kernelINS0_14default_configENS1_22reduce_config_selectorIbEEZNS1_11reduce_implILb1ES3_N6hipcub16HIPCUB_304000_NS22TransformInputIteratorIbN2at6native12_GLOBAL__N_19NonZeroOpIN3c107complexIfEEEEPKSG_lEEPiiNS8_6detail34convert_binary_result_type_wrapperINS8_3SumESK_iEEEE10hipError_tPvRmT1_T2_T3_mT4_P12ihipStream_tbEUlT_E1_NS1_11comp_targetILNS1_3genE3ELNS1_11target_archE908ELNS1_3gpuE7ELNS1_3repE0EEENS1_30default_config_static_selectorELNS0_4arch9wavefront6targetE0EEEvST_.kd
    .uniform_work_group_size: 1
    .uses_dynamic_stack: false
    .vgpr_count:     0
    .vgpr_spill_count: 0
    .wavefront_size: 32
    .workgroup_processor_mode: 1
  - .args:
      - .offset:         0
        .size:           48
        .value_kind:     by_value
    .group_segment_fixed_size: 0
    .kernarg_segment_align: 8
    .kernarg_segment_size: 48
    .language:       OpenCL C
    .language_version:
      - 2
      - 0
    .max_flat_workgroup_size: 128
    .name:           _ZN7rocprim17ROCPRIM_400000_NS6detail17trampoline_kernelINS0_14default_configENS1_22reduce_config_selectorIbEEZNS1_11reduce_implILb1ES3_N6hipcub16HIPCUB_304000_NS22TransformInputIteratorIbN2at6native12_GLOBAL__N_19NonZeroOpIN3c107complexIfEEEEPKSG_lEEPiiNS8_6detail34convert_binary_result_type_wrapperINS8_3SumESK_iEEEE10hipError_tPvRmT1_T2_T3_mT4_P12ihipStream_tbEUlT_E1_NS1_11comp_targetILNS1_3genE2ELNS1_11target_archE906ELNS1_3gpuE6ELNS1_3repE0EEENS1_30default_config_static_selectorELNS0_4arch9wavefront6targetE0EEEvST_
    .private_segment_fixed_size: 0
    .sgpr_count:     0
    .sgpr_spill_count: 0
    .symbol:         _ZN7rocprim17ROCPRIM_400000_NS6detail17trampoline_kernelINS0_14default_configENS1_22reduce_config_selectorIbEEZNS1_11reduce_implILb1ES3_N6hipcub16HIPCUB_304000_NS22TransformInputIteratorIbN2at6native12_GLOBAL__N_19NonZeroOpIN3c107complexIfEEEEPKSG_lEEPiiNS8_6detail34convert_binary_result_type_wrapperINS8_3SumESK_iEEEE10hipError_tPvRmT1_T2_T3_mT4_P12ihipStream_tbEUlT_E1_NS1_11comp_targetILNS1_3genE2ELNS1_11target_archE906ELNS1_3gpuE6ELNS1_3repE0EEENS1_30default_config_static_selectorELNS0_4arch9wavefront6targetE0EEEvST_.kd
    .uniform_work_group_size: 1
    .uses_dynamic_stack: false
    .vgpr_count:     0
    .vgpr_spill_count: 0
    .wavefront_size: 32
    .workgroup_processor_mode: 1
  - .args:
      - .offset:         0
        .size:           48
        .value_kind:     by_value
    .group_segment_fixed_size: 0
    .kernarg_segment_align: 8
    .kernarg_segment_size: 48
    .language:       OpenCL C
    .language_version:
      - 2
      - 0
    .max_flat_workgroup_size: 256
    .name:           _ZN7rocprim17ROCPRIM_400000_NS6detail17trampoline_kernelINS0_14default_configENS1_22reduce_config_selectorIbEEZNS1_11reduce_implILb1ES3_N6hipcub16HIPCUB_304000_NS22TransformInputIteratorIbN2at6native12_GLOBAL__N_19NonZeroOpIN3c107complexIfEEEEPKSG_lEEPiiNS8_6detail34convert_binary_result_type_wrapperINS8_3SumESK_iEEEE10hipError_tPvRmT1_T2_T3_mT4_P12ihipStream_tbEUlT_E1_NS1_11comp_targetILNS1_3genE10ELNS1_11target_archE1201ELNS1_3gpuE5ELNS1_3repE0EEENS1_30default_config_static_selectorELNS0_4arch9wavefront6targetE0EEEvST_
    .private_segment_fixed_size: 0
    .sgpr_count:     0
    .sgpr_spill_count: 0
    .symbol:         _ZN7rocprim17ROCPRIM_400000_NS6detail17trampoline_kernelINS0_14default_configENS1_22reduce_config_selectorIbEEZNS1_11reduce_implILb1ES3_N6hipcub16HIPCUB_304000_NS22TransformInputIteratorIbN2at6native12_GLOBAL__N_19NonZeroOpIN3c107complexIfEEEEPKSG_lEEPiiNS8_6detail34convert_binary_result_type_wrapperINS8_3SumESK_iEEEE10hipError_tPvRmT1_T2_T3_mT4_P12ihipStream_tbEUlT_E1_NS1_11comp_targetILNS1_3genE10ELNS1_11target_archE1201ELNS1_3gpuE5ELNS1_3repE0EEENS1_30default_config_static_selectorELNS0_4arch9wavefront6targetE0EEEvST_.kd
    .uniform_work_group_size: 1
    .uses_dynamic_stack: false
    .vgpr_count:     0
    .vgpr_spill_count: 0
    .wavefront_size: 32
    .workgroup_processor_mode: 1
  - .args:
      - .offset:         0
        .size:           48
        .value_kind:     by_value
    .group_segment_fixed_size: 0
    .kernarg_segment_align: 8
    .kernarg_segment_size: 48
    .language:       OpenCL C
    .language_version:
      - 2
      - 0
    .max_flat_workgroup_size: 256
    .name:           _ZN7rocprim17ROCPRIM_400000_NS6detail17trampoline_kernelINS0_14default_configENS1_22reduce_config_selectorIbEEZNS1_11reduce_implILb1ES3_N6hipcub16HIPCUB_304000_NS22TransformInputIteratorIbN2at6native12_GLOBAL__N_19NonZeroOpIN3c107complexIfEEEEPKSG_lEEPiiNS8_6detail34convert_binary_result_type_wrapperINS8_3SumESK_iEEEE10hipError_tPvRmT1_T2_T3_mT4_P12ihipStream_tbEUlT_E1_NS1_11comp_targetILNS1_3genE10ELNS1_11target_archE1200ELNS1_3gpuE4ELNS1_3repE0EEENS1_30default_config_static_selectorELNS0_4arch9wavefront6targetE0EEEvST_
    .private_segment_fixed_size: 0
    .sgpr_count:     0
    .sgpr_spill_count: 0
    .symbol:         _ZN7rocprim17ROCPRIM_400000_NS6detail17trampoline_kernelINS0_14default_configENS1_22reduce_config_selectorIbEEZNS1_11reduce_implILb1ES3_N6hipcub16HIPCUB_304000_NS22TransformInputIteratorIbN2at6native12_GLOBAL__N_19NonZeroOpIN3c107complexIfEEEEPKSG_lEEPiiNS8_6detail34convert_binary_result_type_wrapperINS8_3SumESK_iEEEE10hipError_tPvRmT1_T2_T3_mT4_P12ihipStream_tbEUlT_E1_NS1_11comp_targetILNS1_3genE10ELNS1_11target_archE1200ELNS1_3gpuE4ELNS1_3repE0EEENS1_30default_config_static_selectorELNS0_4arch9wavefront6targetE0EEEvST_.kd
    .uniform_work_group_size: 1
    .uses_dynamic_stack: false
    .vgpr_count:     0
    .vgpr_spill_count: 0
    .wavefront_size: 32
    .workgroup_processor_mode: 1
  - .args:
      - .offset:         0
        .size:           48
        .value_kind:     by_value
    .group_segment_fixed_size: 144
    .kernarg_segment_align: 8
    .kernarg_segment_size: 48
    .language:       OpenCL C
    .language_version:
      - 2
      - 0
    .max_flat_workgroup_size: 128
    .name:           _ZN7rocprim17ROCPRIM_400000_NS6detail17trampoline_kernelINS0_14default_configENS1_22reduce_config_selectorIbEEZNS1_11reduce_implILb1ES3_N6hipcub16HIPCUB_304000_NS22TransformInputIteratorIbN2at6native12_GLOBAL__N_19NonZeroOpIN3c107complexIfEEEEPKSG_lEEPiiNS8_6detail34convert_binary_result_type_wrapperINS8_3SumESK_iEEEE10hipError_tPvRmT1_T2_T3_mT4_P12ihipStream_tbEUlT_E1_NS1_11comp_targetILNS1_3genE9ELNS1_11target_archE1100ELNS1_3gpuE3ELNS1_3repE0EEENS1_30default_config_static_selectorELNS0_4arch9wavefront6targetE0EEEvST_
    .private_segment_fixed_size: 0
    .sgpr_count:     107
    .sgpr_spill_count: 0
    .symbol:         _ZN7rocprim17ROCPRIM_400000_NS6detail17trampoline_kernelINS0_14default_configENS1_22reduce_config_selectorIbEEZNS1_11reduce_implILb1ES3_N6hipcub16HIPCUB_304000_NS22TransformInputIteratorIbN2at6native12_GLOBAL__N_19NonZeroOpIN3c107complexIfEEEEPKSG_lEEPiiNS8_6detail34convert_binary_result_type_wrapperINS8_3SumESK_iEEEE10hipError_tPvRmT1_T2_T3_mT4_P12ihipStream_tbEUlT_E1_NS1_11comp_targetILNS1_3genE9ELNS1_11target_archE1100ELNS1_3gpuE3ELNS1_3repE0EEENS1_30default_config_static_selectorELNS0_4arch9wavefront6targetE0EEEvST_.kd
    .uniform_work_group_size: 1
    .uses_dynamic_stack: false
    .vgpr_count:     156
    .vgpr_spill_count: 0
    .wavefront_size: 32
    .workgroup_processor_mode: 1
  - .args:
      - .offset:         0
        .size:           48
        .value_kind:     by_value
    .group_segment_fixed_size: 0
    .kernarg_segment_align: 8
    .kernarg_segment_size: 48
    .language:       OpenCL C
    .language_version:
      - 2
      - 0
    .max_flat_workgroup_size: 256
    .name:           _ZN7rocprim17ROCPRIM_400000_NS6detail17trampoline_kernelINS0_14default_configENS1_22reduce_config_selectorIbEEZNS1_11reduce_implILb1ES3_N6hipcub16HIPCUB_304000_NS22TransformInputIteratorIbN2at6native12_GLOBAL__N_19NonZeroOpIN3c107complexIfEEEEPKSG_lEEPiiNS8_6detail34convert_binary_result_type_wrapperINS8_3SumESK_iEEEE10hipError_tPvRmT1_T2_T3_mT4_P12ihipStream_tbEUlT_E1_NS1_11comp_targetILNS1_3genE8ELNS1_11target_archE1030ELNS1_3gpuE2ELNS1_3repE0EEENS1_30default_config_static_selectorELNS0_4arch9wavefront6targetE0EEEvST_
    .private_segment_fixed_size: 0
    .sgpr_count:     0
    .sgpr_spill_count: 0
    .symbol:         _ZN7rocprim17ROCPRIM_400000_NS6detail17trampoline_kernelINS0_14default_configENS1_22reduce_config_selectorIbEEZNS1_11reduce_implILb1ES3_N6hipcub16HIPCUB_304000_NS22TransformInputIteratorIbN2at6native12_GLOBAL__N_19NonZeroOpIN3c107complexIfEEEEPKSG_lEEPiiNS8_6detail34convert_binary_result_type_wrapperINS8_3SumESK_iEEEE10hipError_tPvRmT1_T2_T3_mT4_P12ihipStream_tbEUlT_E1_NS1_11comp_targetILNS1_3genE8ELNS1_11target_archE1030ELNS1_3gpuE2ELNS1_3repE0EEENS1_30default_config_static_selectorELNS0_4arch9wavefront6targetE0EEEvST_.kd
    .uniform_work_group_size: 1
    .uses_dynamic_stack: false
    .vgpr_count:     0
    .vgpr_spill_count: 0
    .wavefront_size: 32
    .workgroup_processor_mode: 1
  - .args:
      - .offset:         0
        .size:           120
        .value_kind:     by_value
    .group_segment_fixed_size: 0
    .kernarg_segment_align: 8
    .kernarg_segment_size: 120
    .language:       OpenCL C
    .language_version:
      - 2
      - 0
    .max_flat_workgroup_size: 128
    .name:           _ZN7rocprim17ROCPRIM_400000_NS6detail17trampoline_kernelINS0_14default_configENS1_25partition_config_selectorILNS1_17partition_subalgoE5ElNS0_10empty_typeEbEEZZNS1_14partition_implILS5_5ELb0ES3_mN6hipcub16HIPCUB_304000_NS21CountingInputIteratorIllEEPS6_NSA_22TransformInputIteratorIbN2at6native12_GLOBAL__N_19NonZeroOpIN3c107complexIfEEEEPKSL_lEENS0_5tupleIJPlS6_EEENSQ_IJSD_SD_EEES6_PiJS6_EEE10hipError_tPvRmT3_T4_T5_T6_T7_T9_mT8_P12ihipStream_tbDpT10_ENKUlT_T0_E_clISt17integral_constantIbLb0EES1E_EEDaS19_S1A_EUlS19_E_NS1_11comp_targetILNS1_3genE0ELNS1_11target_archE4294967295ELNS1_3gpuE0ELNS1_3repE0EEENS1_30default_config_static_selectorELNS0_4arch9wavefront6targetE0EEEvT1_
    .private_segment_fixed_size: 0
    .sgpr_count:     0
    .sgpr_spill_count: 0
    .symbol:         _ZN7rocprim17ROCPRIM_400000_NS6detail17trampoline_kernelINS0_14default_configENS1_25partition_config_selectorILNS1_17partition_subalgoE5ElNS0_10empty_typeEbEEZZNS1_14partition_implILS5_5ELb0ES3_mN6hipcub16HIPCUB_304000_NS21CountingInputIteratorIllEEPS6_NSA_22TransformInputIteratorIbN2at6native12_GLOBAL__N_19NonZeroOpIN3c107complexIfEEEEPKSL_lEENS0_5tupleIJPlS6_EEENSQ_IJSD_SD_EEES6_PiJS6_EEE10hipError_tPvRmT3_T4_T5_T6_T7_T9_mT8_P12ihipStream_tbDpT10_ENKUlT_T0_E_clISt17integral_constantIbLb0EES1E_EEDaS19_S1A_EUlS19_E_NS1_11comp_targetILNS1_3genE0ELNS1_11target_archE4294967295ELNS1_3gpuE0ELNS1_3repE0EEENS1_30default_config_static_selectorELNS0_4arch9wavefront6targetE0EEEvT1_.kd
    .uniform_work_group_size: 1
    .uses_dynamic_stack: false
    .vgpr_count:     0
    .vgpr_spill_count: 0
    .wavefront_size: 32
    .workgroup_processor_mode: 1
  - .args:
      - .offset:         0
        .size:           120
        .value_kind:     by_value
    .group_segment_fixed_size: 0
    .kernarg_segment_align: 8
    .kernarg_segment_size: 120
    .language:       OpenCL C
    .language_version:
      - 2
      - 0
    .max_flat_workgroup_size: 512
    .name:           _ZN7rocprim17ROCPRIM_400000_NS6detail17trampoline_kernelINS0_14default_configENS1_25partition_config_selectorILNS1_17partition_subalgoE5ElNS0_10empty_typeEbEEZZNS1_14partition_implILS5_5ELb0ES3_mN6hipcub16HIPCUB_304000_NS21CountingInputIteratorIllEEPS6_NSA_22TransformInputIteratorIbN2at6native12_GLOBAL__N_19NonZeroOpIN3c107complexIfEEEEPKSL_lEENS0_5tupleIJPlS6_EEENSQ_IJSD_SD_EEES6_PiJS6_EEE10hipError_tPvRmT3_T4_T5_T6_T7_T9_mT8_P12ihipStream_tbDpT10_ENKUlT_T0_E_clISt17integral_constantIbLb0EES1E_EEDaS19_S1A_EUlS19_E_NS1_11comp_targetILNS1_3genE5ELNS1_11target_archE942ELNS1_3gpuE9ELNS1_3repE0EEENS1_30default_config_static_selectorELNS0_4arch9wavefront6targetE0EEEvT1_
    .private_segment_fixed_size: 0
    .sgpr_count:     0
    .sgpr_spill_count: 0
    .symbol:         _ZN7rocprim17ROCPRIM_400000_NS6detail17trampoline_kernelINS0_14default_configENS1_25partition_config_selectorILNS1_17partition_subalgoE5ElNS0_10empty_typeEbEEZZNS1_14partition_implILS5_5ELb0ES3_mN6hipcub16HIPCUB_304000_NS21CountingInputIteratorIllEEPS6_NSA_22TransformInputIteratorIbN2at6native12_GLOBAL__N_19NonZeroOpIN3c107complexIfEEEEPKSL_lEENS0_5tupleIJPlS6_EEENSQ_IJSD_SD_EEES6_PiJS6_EEE10hipError_tPvRmT3_T4_T5_T6_T7_T9_mT8_P12ihipStream_tbDpT10_ENKUlT_T0_E_clISt17integral_constantIbLb0EES1E_EEDaS19_S1A_EUlS19_E_NS1_11comp_targetILNS1_3genE5ELNS1_11target_archE942ELNS1_3gpuE9ELNS1_3repE0EEENS1_30default_config_static_selectorELNS0_4arch9wavefront6targetE0EEEvT1_.kd
    .uniform_work_group_size: 1
    .uses_dynamic_stack: false
    .vgpr_count:     0
    .vgpr_spill_count: 0
    .wavefront_size: 32
    .workgroup_processor_mode: 1
  - .args:
      - .offset:         0
        .size:           120
        .value_kind:     by_value
    .group_segment_fixed_size: 0
    .kernarg_segment_align: 8
    .kernarg_segment_size: 120
    .language:       OpenCL C
    .language_version:
      - 2
      - 0
    .max_flat_workgroup_size: 192
    .name:           _ZN7rocprim17ROCPRIM_400000_NS6detail17trampoline_kernelINS0_14default_configENS1_25partition_config_selectorILNS1_17partition_subalgoE5ElNS0_10empty_typeEbEEZZNS1_14partition_implILS5_5ELb0ES3_mN6hipcub16HIPCUB_304000_NS21CountingInputIteratorIllEEPS6_NSA_22TransformInputIteratorIbN2at6native12_GLOBAL__N_19NonZeroOpIN3c107complexIfEEEEPKSL_lEENS0_5tupleIJPlS6_EEENSQ_IJSD_SD_EEES6_PiJS6_EEE10hipError_tPvRmT3_T4_T5_T6_T7_T9_mT8_P12ihipStream_tbDpT10_ENKUlT_T0_E_clISt17integral_constantIbLb0EES1E_EEDaS19_S1A_EUlS19_E_NS1_11comp_targetILNS1_3genE4ELNS1_11target_archE910ELNS1_3gpuE8ELNS1_3repE0EEENS1_30default_config_static_selectorELNS0_4arch9wavefront6targetE0EEEvT1_
    .private_segment_fixed_size: 0
    .sgpr_count:     0
    .sgpr_spill_count: 0
    .symbol:         _ZN7rocprim17ROCPRIM_400000_NS6detail17trampoline_kernelINS0_14default_configENS1_25partition_config_selectorILNS1_17partition_subalgoE5ElNS0_10empty_typeEbEEZZNS1_14partition_implILS5_5ELb0ES3_mN6hipcub16HIPCUB_304000_NS21CountingInputIteratorIllEEPS6_NSA_22TransformInputIteratorIbN2at6native12_GLOBAL__N_19NonZeroOpIN3c107complexIfEEEEPKSL_lEENS0_5tupleIJPlS6_EEENSQ_IJSD_SD_EEES6_PiJS6_EEE10hipError_tPvRmT3_T4_T5_T6_T7_T9_mT8_P12ihipStream_tbDpT10_ENKUlT_T0_E_clISt17integral_constantIbLb0EES1E_EEDaS19_S1A_EUlS19_E_NS1_11comp_targetILNS1_3genE4ELNS1_11target_archE910ELNS1_3gpuE8ELNS1_3repE0EEENS1_30default_config_static_selectorELNS0_4arch9wavefront6targetE0EEEvT1_.kd
    .uniform_work_group_size: 1
    .uses_dynamic_stack: false
    .vgpr_count:     0
    .vgpr_spill_count: 0
    .wavefront_size: 32
    .workgroup_processor_mode: 1
  - .args:
      - .offset:         0
        .size:           120
        .value_kind:     by_value
    .group_segment_fixed_size: 0
    .kernarg_segment_align: 8
    .kernarg_segment_size: 120
    .language:       OpenCL C
    .language_version:
      - 2
      - 0
    .max_flat_workgroup_size: 128
    .name:           _ZN7rocprim17ROCPRIM_400000_NS6detail17trampoline_kernelINS0_14default_configENS1_25partition_config_selectorILNS1_17partition_subalgoE5ElNS0_10empty_typeEbEEZZNS1_14partition_implILS5_5ELb0ES3_mN6hipcub16HIPCUB_304000_NS21CountingInputIteratorIllEEPS6_NSA_22TransformInputIteratorIbN2at6native12_GLOBAL__N_19NonZeroOpIN3c107complexIfEEEEPKSL_lEENS0_5tupleIJPlS6_EEENSQ_IJSD_SD_EEES6_PiJS6_EEE10hipError_tPvRmT3_T4_T5_T6_T7_T9_mT8_P12ihipStream_tbDpT10_ENKUlT_T0_E_clISt17integral_constantIbLb0EES1E_EEDaS19_S1A_EUlS19_E_NS1_11comp_targetILNS1_3genE3ELNS1_11target_archE908ELNS1_3gpuE7ELNS1_3repE0EEENS1_30default_config_static_selectorELNS0_4arch9wavefront6targetE0EEEvT1_
    .private_segment_fixed_size: 0
    .sgpr_count:     0
    .sgpr_spill_count: 0
    .symbol:         _ZN7rocprim17ROCPRIM_400000_NS6detail17trampoline_kernelINS0_14default_configENS1_25partition_config_selectorILNS1_17partition_subalgoE5ElNS0_10empty_typeEbEEZZNS1_14partition_implILS5_5ELb0ES3_mN6hipcub16HIPCUB_304000_NS21CountingInputIteratorIllEEPS6_NSA_22TransformInputIteratorIbN2at6native12_GLOBAL__N_19NonZeroOpIN3c107complexIfEEEEPKSL_lEENS0_5tupleIJPlS6_EEENSQ_IJSD_SD_EEES6_PiJS6_EEE10hipError_tPvRmT3_T4_T5_T6_T7_T9_mT8_P12ihipStream_tbDpT10_ENKUlT_T0_E_clISt17integral_constantIbLb0EES1E_EEDaS19_S1A_EUlS19_E_NS1_11comp_targetILNS1_3genE3ELNS1_11target_archE908ELNS1_3gpuE7ELNS1_3repE0EEENS1_30default_config_static_selectorELNS0_4arch9wavefront6targetE0EEEvT1_.kd
    .uniform_work_group_size: 1
    .uses_dynamic_stack: false
    .vgpr_count:     0
    .vgpr_spill_count: 0
    .wavefront_size: 32
    .workgroup_processor_mode: 1
  - .args:
      - .offset:         0
        .size:           120
        .value_kind:     by_value
    .group_segment_fixed_size: 0
    .kernarg_segment_align: 8
    .kernarg_segment_size: 120
    .language:       OpenCL C
    .language_version:
      - 2
      - 0
    .max_flat_workgroup_size: 256
    .name:           _ZN7rocprim17ROCPRIM_400000_NS6detail17trampoline_kernelINS0_14default_configENS1_25partition_config_selectorILNS1_17partition_subalgoE5ElNS0_10empty_typeEbEEZZNS1_14partition_implILS5_5ELb0ES3_mN6hipcub16HIPCUB_304000_NS21CountingInputIteratorIllEEPS6_NSA_22TransformInputIteratorIbN2at6native12_GLOBAL__N_19NonZeroOpIN3c107complexIfEEEEPKSL_lEENS0_5tupleIJPlS6_EEENSQ_IJSD_SD_EEES6_PiJS6_EEE10hipError_tPvRmT3_T4_T5_T6_T7_T9_mT8_P12ihipStream_tbDpT10_ENKUlT_T0_E_clISt17integral_constantIbLb0EES1E_EEDaS19_S1A_EUlS19_E_NS1_11comp_targetILNS1_3genE2ELNS1_11target_archE906ELNS1_3gpuE6ELNS1_3repE0EEENS1_30default_config_static_selectorELNS0_4arch9wavefront6targetE0EEEvT1_
    .private_segment_fixed_size: 0
    .sgpr_count:     0
    .sgpr_spill_count: 0
    .symbol:         _ZN7rocprim17ROCPRIM_400000_NS6detail17trampoline_kernelINS0_14default_configENS1_25partition_config_selectorILNS1_17partition_subalgoE5ElNS0_10empty_typeEbEEZZNS1_14partition_implILS5_5ELb0ES3_mN6hipcub16HIPCUB_304000_NS21CountingInputIteratorIllEEPS6_NSA_22TransformInputIteratorIbN2at6native12_GLOBAL__N_19NonZeroOpIN3c107complexIfEEEEPKSL_lEENS0_5tupleIJPlS6_EEENSQ_IJSD_SD_EEES6_PiJS6_EEE10hipError_tPvRmT3_T4_T5_T6_T7_T9_mT8_P12ihipStream_tbDpT10_ENKUlT_T0_E_clISt17integral_constantIbLb0EES1E_EEDaS19_S1A_EUlS19_E_NS1_11comp_targetILNS1_3genE2ELNS1_11target_archE906ELNS1_3gpuE6ELNS1_3repE0EEENS1_30default_config_static_selectorELNS0_4arch9wavefront6targetE0EEEvT1_.kd
    .uniform_work_group_size: 1
    .uses_dynamic_stack: false
    .vgpr_count:     0
    .vgpr_spill_count: 0
    .wavefront_size: 32
    .workgroup_processor_mode: 1
  - .args:
      - .offset:         0
        .size:           120
        .value_kind:     by_value
    .group_segment_fixed_size: 0
    .kernarg_segment_align: 8
    .kernarg_segment_size: 120
    .language:       OpenCL C
    .language_version:
      - 2
      - 0
    .max_flat_workgroup_size: 256
    .name:           _ZN7rocprim17ROCPRIM_400000_NS6detail17trampoline_kernelINS0_14default_configENS1_25partition_config_selectorILNS1_17partition_subalgoE5ElNS0_10empty_typeEbEEZZNS1_14partition_implILS5_5ELb0ES3_mN6hipcub16HIPCUB_304000_NS21CountingInputIteratorIllEEPS6_NSA_22TransformInputIteratorIbN2at6native12_GLOBAL__N_19NonZeroOpIN3c107complexIfEEEEPKSL_lEENS0_5tupleIJPlS6_EEENSQ_IJSD_SD_EEES6_PiJS6_EEE10hipError_tPvRmT3_T4_T5_T6_T7_T9_mT8_P12ihipStream_tbDpT10_ENKUlT_T0_E_clISt17integral_constantIbLb0EES1E_EEDaS19_S1A_EUlS19_E_NS1_11comp_targetILNS1_3genE10ELNS1_11target_archE1200ELNS1_3gpuE4ELNS1_3repE0EEENS1_30default_config_static_selectorELNS0_4arch9wavefront6targetE0EEEvT1_
    .private_segment_fixed_size: 0
    .sgpr_count:     0
    .sgpr_spill_count: 0
    .symbol:         _ZN7rocprim17ROCPRIM_400000_NS6detail17trampoline_kernelINS0_14default_configENS1_25partition_config_selectorILNS1_17partition_subalgoE5ElNS0_10empty_typeEbEEZZNS1_14partition_implILS5_5ELb0ES3_mN6hipcub16HIPCUB_304000_NS21CountingInputIteratorIllEEPS6_NSA_22TransformInputIteratorIbN2at6native12_GLOBAL__N_19NonZeroOpIN3c107complexIfEEEEPKSL_lEENS0_5tupleIJPlS6_EEENSQ_IJSD_SD_EEES6_PiJS6_EEE10hipError_tPvRmT3_T4_T5_T6_T7_T9_mT8_P12ihipStream_tbDpT10_ENKUlT_T0_E_clISt17integral_constantIbLb0EES1E_EEDaS19_S1A_EUlS19_E_NS1_11comp_targetILNS1_3genE10ELNS1_11target_archE1200ELNS1_3gpuE4ELNS1_3repE0EEENS1_30default_config_static_selectorELNS0_4arch9wavefront6targetE0EEEvT1_.kd
    .uniform_work_group_size: 1
    .uses_dynamic_stack: false
    .vgpr_count:     0
    .vgpr_spill_count: 0
    .wavefront_size: 32
    .workgroup_processor_mode: 1
  - .args:
      - .offset:         0
        .size:           120
        .value_kind:     by_value
    .group_segment_fixed_size: 6160
    .kernarg_segment_align: 8
    .kernarg_segment_size: 120
    .language:       OpenCL C
    .language_version:
      - 2
      - 0
    .max_flat_workgroup_size: 128
    .name:           _ZN7rocprim17ROCPRIM_400000_NS6detail17trampoline_kernelINS0_14default_configENS1_25partition_config_selectorILNS1_17partition_subalgoE5ElNS0_10empty_typeEbEEZZNS1_14partition_implILS5_5ELb0ES3_mN6hipcub16HIPCUB_304000_NS21CountingInputIteratorIllEEPS6_NSA_22TransformInputIteratorIbN2at6native12_GLOBAL__N_19NonZeroOpIN3c107complexIfEEEEPKSL_lEENS0_5tupleIJPlS6_EEENSQ_IJSD_SD_EEES6_PiJS6_EEE10hipError_tPvRmT3_T4_T5_T6_T7_T9_mT8_P12ihipStream_tbDpT10_ENKUlT_T0_E_clISt17integral_constantIbLb0EES1E_EEDaS19_S1A_EUlS19_E_NS1_11comp_targetILNS1_3genE9ELNS1_11target_archE1100ELNS1_3gpuE3ELNS1_3repE0EEENS1_30default_config_static_selectorELNS0_4arch9wavefront6targetE0EEEvT1_
    .private_segment_fixed_size: 0
    .sgpr_count:     25
    .sgpr_spill_count: 0
    .symbol:         _ZN7rocprim17ROCPRIM_400000_NS6detail17trampoline_kernelINS0_14default_configENS1_25partition_config_selectorILNS1_17partition_subalgoE5ElNS0_10empty_typeEbEEZZNS1_14partition_implILS5_5ELb0ES3_mN6hipcub16HIPCUB_304000_NS21CountingInputIteratorIllEEPS6_NSA_22TransformInputIteratorIbN2at6native12_GLOBAL__N_19NonZeroOpIN3c107complexIfEEEEPKSL_lEENS0_5tupleIJPlS6_EEENSQ_IJSD_SD_EEES6_PiJS6_EEE10hipError_tPvRmT3_T4_T5_T6_T7_T9_mT8_P12ihipStream_tbDpT10_ENKUlT_T0_E_clISt17integral_constantIbLb0EES1E_EEDaS19_S1A_EUlS19_E_NS1_11comp_targetILNS1_3genE9ELNS1_11target_archE1100ELNS1_3gpuE3ELNS1_3repE0EEENS1_30default_config_static_selectorELNS0_4arch9wavefront6targetE0EEEvT1_.kd
    .uniform_work_group_size: 1
    .uses_dynamic_stack: false
    .vgpr_count:     57
    .vgpr_spill_count: 0
    .wavefront_size: 32
    .workgroup_processor_mode: 1
  - .args:
      - .offset:         0
        .size:           120
        .value_kind:     by_value
    .group_segment_fixed_size: 0
    .kernarg_segment_align: 8
    .kernarg_segment_size: 120
    .language:       OpenCL C
    .language_version:
      - 2
      - 0
    .max_flat_workgroup_size: 512
    .name:           _ZN7rocprim17ROCPRIM_400000_NS6detail17trampoline_kernelINS0_14default_configENS1_25partition_config_selectorILNS1_17partition_subalgoE5ElNS0_10empty_typeEbEEZZNS1_14partition_implILS5_5ELb0ES3_mN6hipcub16HIPCUB_304000_NS21CountingInputIteratorIllEEPS6_NSA_22TransformInputIteratorIbN2at6native12_GLOBAL__N_19NonZeroOpIN3c107complexIfEEEEPKSL_lEENS0_5tupleIJPlS6_EEENSQ_IJSD_SD_EEES6_PiJS6_EEE10hipError_tPvRmT3_T4_T5_T6_T7_T9_mT8_P12ihipStream_tbDpT10_ENKUlT_T0_E_clISt17integral_constantIbLb0EES1E_EEDaS19_S1A_EUlS19_E_NS1_11comp_targetILNS1_3genE8ELNS1_11target_archE1030ELNS1_3gpuE2ELNS1_3repE0EEENS1_30default_config_static_selectorELNS0_4arch9wavefront6targetE0EEEvT1_
    .private_segment_fixed_size: 0
    .sgpr_count:     0
    .sgpr_spill_count: 0
    .symbol:         _ZN7rocprim17ROCPRIM_400000_NS6detail17trampoline_kernelINS0_14default_configENS1_25partition_config_selectorILNS1_17partition_subalgoE5ElNS0_10empty_typeEbEEZZNS1_14partition_implILS5_5ELb0ES3_mN6hipcub16HIPCUB_304000_NS21CountingInputIteratorIllEEPS6_NSA_22TransformInputIteratorIbN2at6native12_GLOBAL__N_19NonZeroOpIN3c107complexIfEEEEPKSL_lEENS0_5tupleIJPlS6_EEENSQ_IJSD_SD_EEES6_PiJS6_EEE10hipError_tPvRmT3_T4_T5_T6_T7_T9_mT8_P12ihipStream_tbDpT10_ENKUlT_T0_E_clISt17integral_constantIbLb0EES1E_EEDaS19_S1A_EUlS19_E_NS1_11comp_targetILNS1_3genE8ELNS1_11target_archE1030ELNS1_3gpuE2ELNS1_3repE0EEENS1_30default_config_static_selectorELNS0_4arch9wavefront6targetE0EEEvT1_.kd
    .uniform_work_group_size: 1
    .uses_dynamic_stack: false
    .vgpr_count:     0
    .vgpr_spill_count: 0
    .wavefront_size: 32
    .workgroup_processor_mode: 1
  - .args:
      - .offset:         0
        .size:           136
        .value_kind:     by_value
    .group_segment_fixed_size: 0
    .kernarg_segment_align: 8
    .kernarg_segment_size: 136
    .language:       OpenCL C
    .language_version:
      - 2
      - 0
    .max_flat_workgroup_size: 128
    .name:           _ZN7rocprim17ROCPRIM_400000_NS6detail17trampoline_kernelINS0_14default_configENS1_25partition_config_selectorILNS1_17partition_subalgoE5ElNS0_10empty_typeEbEEZZNS1_14partition_implILS5_5ELb0ES3_mN6hipcub16HIPCUB_304000_NS21CountingInputIteratorIllEEPS6_NSA_22TransformInputIteratorIbN2at6native12_GLOBAL__N_19NonZeroOpIN3c107complexIfEEEEPKSL_lEENS0_5tupleIJPlS6_EEENSQ_IJSD_SD_EEES6_PiJS6_EEE10hipError_tPvRmT3_T4_T5_T6_T7_T9_mT8_P12ihipStream_tbDpT10_ENKUlT_T0_E_clISt17integral_constantIbLb1EES1E_EEDaS19_S1A_EUlS19_E_NS1_11comp_targetILNS1_3genE0ELNS1_11target_archE4294967295ELNS1_3gpuE0ELNS1_3repE0EEENS1_30default_config_static_selectorELNS0_4arch9wavefront6targetE0EEEvT1_
    .private_segment_fixed_size: 0
    .sgpr_count:     0
    .sgpr_spill_count: 0
    .symbol:         _ZN7rocprim17ROCPRIM_400000_NS6detail17trampoline_kernelINS0_14default_configENS1_25partition_config_selectorILNS1_17partition_subalgoE5ElNS0_10empty_typeEbEEZZNS1_14partition_implILS5_5ELb0ES3_mN6hipcub16HIPCUB_304000_NS21CountingInputIteratorIllEEPS6_NSA_22TransformInputIteratorIbN2at6native12_GLOBAL__N_19NonZeroOpIN3c107complexIfEEEEPKSL_lEENS0_5tupleIJPlS6_EEENSQ_IJSD_SD_EEES6_PiJS6_EEE10hipError_tPvRmT3_T4_T5_T6_T7_T9_mT8_P12ihipStream_tbDpT10_ENKUlT_T0_E_clISt17integral_constantIbLb1EES1E_EEDaS19_S1A_EUlS19_E_NS1_11comp_targetILNS1_3genE0ELNS1_11target_archE4294967295ELNS1_3gpuE0ELNS1_3repE0EEENS1_30default_config_static_selectorELNS0_4arch9wavefront6targetE0EEEvT1_.kd
    .uniform_work_group_size: 1
    .uses_dynamic_stack: false
    .vgpr_count:     0
    .vgpr_spill_count: 0
    .wavefront_size: 32
    .workgroup_processor_mode: 1
  - .args:
      - .offset:         0
        .size:           136
        .value_kind:     by_value
    .group_segment_fixed_size: 0
    .kernarg_segment_align: 8
    .kernarg_segment_size: 136
    .language:       OpenCL C
    .language_version:
      - 2
      - 0
    .max_flat_workgroup_size: 512
    .name:           _ZN7rocprim17ROCPRIM_400000_NS6detail17trampoline_kernelINS0_14default_configENS1_25partition_config_selectorILNS1_17partition_subalgoE5ElNS0_10empty_typeEbEEZZNS1_14partition_implILS5_5ELb0ES3_mN6hipcub16HIPCUB_304000_NS21CountingInputIteratorIllEEPS6_NSA_22TransformInputIteratorIbN2at6native12_GLOBAL__N_19NonZeroOpIN3c107complexIfEEEEPKSL_lEENS0_5tupleIJPlS6_EEENSQ_IJSD_SD_EEES6_PiJS6_EEE10hipError_tPvRmT3_T4_T5_T6_T7_T9_mT8_P12ihipStream_tbDpT10_ENKUlT_T0_E_clISt17integral_constantIbLb1EES1E_EEDaS19_S1A_EUlS19_E_NS1_11comp_targetILNS1_3genE5ELNS1_11target_archE942ELNS1_3gpuE9ELNS1_3repE0EEENS1_30default_config_static_selectorELNS0_4arch9wavefront6targetE0EEEvT1_
    .private_segment_fixed_size: 0
    .sgpr_count:     0
    .sgpr_spill_count: 0
    .symbol:         _ZN7rocprim17ROCPRIM_400000_NS6detail17trampoline_kernelINS0_14default_configENS1_25partition_config_selectorILNS1_17partition_subalgoE5ElNS0_10empty_typeEbEEZZNS1_14partition_implILS5_5ELb0ES3_mN6hipcub16HIPCUB_304000_NS21CountingInputIteratorIllEEPS6_NSA_22TransformInputIteratorIbN2at6native12_GLOBAL__N_19NonZeroOpIN3c107complexIfEEEEPKSL_lEENS0_5tupleIJPlS6_EEENSQ_IJSD_SD_EEES6_PiJS6_EEE10hipError_tPvRmT3_T4_T5_T6_T7_T9_mT8_P12ihipStream_tbDpT10_ENKUlT_T0_E_clISt17integral_constantIbLb1EES1E_EEDaS19_S1A_EUlS19_E_NS1_11comp_targetILNS1_3genE5ELNS1_11target_archE942ELNS1_3gpuE9ELNS1_3repE0EEENS1_30default_config_static_selectorELNS0_4arch9wavefront6targetE0EEEvT1_.kd
    .uniform_work_group_size: 1
    .uses_dynamic_stack: false
    .vgpr_count:     0
    .vgpr_spill_count: 0
    .wavefront_size: 32
    .workgroup_processor_mode: 1
  - .args:
      - .offset:         0
        .size:           136
        .value_kind:     by_value
    .group_segment_fixed_size: 0
    .kernarg_segment_align: 8
    .kernarg_segment_size: 136
    .language:       OpenCL C
    .language_version:
      - 2
      - 0
    .max_flat_workgroup_size: 192
    .name:           _ZN7rocprim17ROCPRIM_400000_NS6detail17trampoline_kernelINS0_14default_configENS1_25partition_config_selectorILNS1_17partition_subalgoE5ElNS0_10empty_typeEbEEZZNS1_14partition_implILS5_5ELb0ES3_mN6hipcub16HIPCUB_304000_NS21CountingInputIteratorIllEEPS6_NSA_22TransformInputIteratorIbN2at6native12_GLOBAL__N_19NonZeroOpIN3c107complexIfEEEEPKSL_lEENS0_5tupleIJPlS6_EEENSQ_IJSD_SD_EEES6_PiJS6_EEE10hipError_tPvRmT3_T4_T5_T6_T7_T9_mT8_P12ihipStream_tbDpT10_ENKUlT_T0_E_clISt17integral_constantIbLb1EES1E_EEDaS19_S1A_EUlS19_E_NS1_11comp_targetILNS1_3genE4ELNS1_11target_archE910ELNS1_3gpuE8ELNS1_3repE0EEENS1_30default_config_static_selectorELNS0_4arch9wavefront6targetE0EEEvT1_
    .private_segment_fixed_size: 0
    .sgpr_count:     0
    .sgpr_spill_count: 0
    .symbol:         _ZN7rocprim17ROCPRIM_400000_NS6detail17trampoline_kernelINS0_14default_configENS1_25partition_config_selectorILNS1_17partition_subalgoE5ElNS0_10empty_typeEbEEZZNS1_14partition_implILS5_5ELb0ES3_mN6hipcub16HIPCUB_304000_NS21CountingInputIteratorIllEEPS6_NSA_22TransformInputIteratorIbN2at6native12_GLOBAL__N_19NonZeroOpIN3c107complexIfEEEEPKSL_lEENS0_5tupleIJPlS6_EEENSQ_IJSD_SD_EEES6_PiJS6_EEE10hipError_tPvRmT3_T4_T5_T6_T7_T9_mT8_P12ihipStream_tbDpT10_ENKUlT_T0_E_clISt17integral_constantIbLb1EES1E_EEDaS19_S1A_EUlS19_E_NS1_11comp_targetILNS1_3genE4ELNS1_11target_archE910ELNS1_3gpuE8ELNS1_3repE0EEENS1_30default_config_static_selectorELNS0_4arch9wavefront6targetE0EEEvT1_.kd
    .uniform_work_group_size: 1
    .uses_dynamic_stack: false
    .vgpr_count:     0
    .vgpr_spill_count: 0
    .wavefront_size: 32
    .workgroup_processor_mode: 1
  - .args:
      - .offset:         0
        .size:           136
        .value_kind:     by_value
    .group_segment_fixed_size: 0
    .kernarg_segment_align: 8
    .kernarg_segment_size: 136
    .language:       OpenCL C
    .language_version:
      - 2
      - 0
    .max_flat_workgroup_size: 128
    .name:           _ZN7rocprim17ROCPRIM_400000_NS6detail17trampoline_kernelINS0_14default_configENS1_25partition_config_selectorILNS1_17partition_subalgoE5ElNS0_10empty_typeEbEEZZNS1_14partition_implILS5_5ELb0ES3_mN6hipcub16HIPCUB_304000_NS21CountingInputIteratorIllEEPS6_NSA_22TransformInputIteratorIbN2at6native12_GLOBAL__N_19NonZeroOpIN3c107complexIfEEEEPKSL_lEENS0_5tupleIJPlS6_EEENSQ_IJSD_SD_EEES6_PiJS6_EEE10hipError_tPvRmT3_T4_T5_T6_T7_T9_mT8_P12ihipStream_tbDpT10_ENKUlT_T0_E_clISt17integral_constantIbLb1EES1E_EEDaS19_S1A_EUlS19_E_NS1_11comp_targetILNS1_3genE3ELNS1_11target_archE908ELNS1_3gpuE7ELNS1_3repE0EEENS1_30default_config_static_selectorELNS0_4arch9wavefront6targetE0EEEvT1_
    .private_segment_fixed_size: 0
    .sgpr_count:     0
    .sgpr_spill_count: 0
    .symbol:         _ZN7rocprim17ROCPRIM_400000_NS6detail17trampoline_kernelINS0_14default_configENS1_25partition_config_selectorILNS1_17partition_subalgoE5ElNS0_10empty_typeEbEEZZNS1_14partition_implILS5_5ELb0ES3_mN6hipcub16HIPCUB_304000_NS21CountingInputIteratorIllEEPS6_NSA_22TransformInputIteratorIbN2at6native12_GLOBAL__N_19NonZeroOpIN3c107complexIfEEEEPKSL_lEENS0_5tupleIJPlS6_EEENSQ_IJSD_SD_EEES6_PiJS6_EEE10hipError_tPvRmT3_T4_T5_T6_T7_T9_mT8_P12ihipStream_tbDpT10_ENKUlT_T0_E_clISt17integral_constantIbLb1EES1E_EEDaS19_S1A_EUlS19_E_NS1_11comp_targetILNS1_3genE3ELNS1_11target_archE908ELNS1_3gpuE7ELNS1_3repE0EEENS1_30default_config_static_selectorELNS0_4arch9wavefront6targetE0EEEvT1_.kd
    .uniform_work_group_size: 1
    .uses_dynamic_stack: false
    .vgpr_count:     0
    .vgpr_spill_count: 0
    .wavefront_size: 32
    .workgroup_processor_mode: 1
  - .args:
      - .offset:         0
        .size:           136
        .value_kind:     by_value
    .group_segment_fixed_size: 0
    .kernarg_segment_align: 8
    .kernarg_segment_size: 136
    .language:       OpenCL C
    .language_version:
      - 2
      - 0
    .max_flat_workgroup_size: 256
    .name:           _ZN7rocprim17ROCPRIM_400000_NS6detail17trampoline_kernelINS0_14default_configENS1_25partition_config_selectorILNS1_17partition_subalgoE5ElNS0_10empty_typeEbEEZZNS1_14partition_implILS5_5ELb0ES3_mN6hipcub16HIPCUB_304000_NS21CountingInputIteratorIllEEPS6_NSA_22TransformInputIteratorIbN2at6native12_GLOBAL__N_19NonZeroOpIN3c107complexIfEEEEPKSL_lEENS0_5tupleIJPlS6_EEENSQ_IJSD_SD_EEES6_PiJS6_EEE10hipError_tPvRmT3_T4_T5_T6_T7_T9_mT8_P12ihipStream_tbDpT10_ENKUlT_T0_E_clISt17integral_constantIbLb1EES1E_EEDaS19_S1A_EUlS19_E_NS1_11comp_targetILNS1_3genE2ELNS1_11target_archE906ELNS1_3gpuE6ELNS1_3repE0EEENS1_30default_config_static_selectorELNS0_4arch9wavefront6targetE0EEEvT1_
    .private_segment_fixed_size: 0
    .sgpr_count:     0
    .sgpr_spill_count: 0
    .symbol:         _ZN7rocprim17ROCPRIM_400000_NS6detail17trampoline_kernelINS0_14default_configENS1_25partition_config_selectorILNS1_17partition_subalgoE5ElNS0_10empty_typeEbEEZZNS1_14partition_implILS5_5ELb0ES3_mN6hipcub16HIPCUB_304000_NS21CountingInputIteratorIllEEPS6_NSA_22TransformInputIteratorIbN2at6native12_GLOBAL__N_19NonZeroOpIN3c107complexIfEEEEPKSL_lEENS0_5tupleIJPlS6_EEENSQ_IJSD_SD_EEES6_PiJS6_EEE10hipError_tPvRmT3_T4_T5_T6_T7_T9_mT8_P12ihipStream_tbDpT10_ENKUlT_T0_E_clISt17integral_constantIbLb1EES1E_EEDaS19_S1A_EUlS19_E_NS1_11comp_targetILNS1_3genE2ELNS1_11target_archE906ELNS1_3gpuE6ELNS1_3repE0EEENS1_30default_config_static_selectorELNS0_4arch9wavefront6targetE0EEEvT1_.kd
    .uniform_work_group_size: 1
    .uses_dynamic_stack: false
    .vgpr_count:     0
    .vgpr_spill_count: 0
    .wavefront_size: 32
    .workgroup_processor_mode: 1
  - .args:
      - .offset:         0
        .size:           136
        .value_kind:     by_value
    .group_segment_fixed_size: 0
    .kernarg_segment_align: 8
    .kernarg_segment_size: 136
    .language:       OpenCL C
    .language_version:
      - 2
      - 0
    .max_flat_workgroup_size: 256
    .name:           _ZN7rocprim17ROCPRIM_400000_NS6detail17trampoline_kernelINS0_14default_configENS1_25partition_config_selectorILNS1_17partition_subalgoE5ElNS0_10empty_typeEbEEZZNS1_14partition_implILS5_5ELb0ES3_mN6hipcub16HIPCUB_304000_NS21CountingInputIteratorIllEEPS6_NSA_22TransformInputIteratorIbN2at6native12_GLOBAL__N_19NonZeroOpIN3c107complexIfEEEEPKSL_lEENS0_5tupleIJPlS6_EEENSQ_IJSD_SD_EEES6_PiJS6_EEE10hipError_tPvRmT3_T4_T5_T6_T7_T9_mT8_P12ihipStream_tbDpT10_ENKUlT_T0_E_clISt17integral_constantIbLb1EES1E_EEDaS19_S1A_EUlS19_E_NS1_11comp_targetILNS1_3genE10ELNS1_11target_archE1200ELNS1_3gpuE4ELNS1_3repE0EEENS1_30default_config_static_selectorELNS0_4arch9wavefront6targetE0EEEvT1_
    .private_segment_fixed_size: 0
    .sgpr_count:     0
    .sgpr_spill_count: 0
    .symbol:         _ZN7rocprim17ROCPRIM_400000_NS6detail17trampoline_kernelINS0_14default_configENS1_25partition_config_selectorILNS1_17partition_subalgoE5ElNS0_10empty_typeEbEEZZNS1_14partition_implILS5_5ELb0ES3_mN6hipcub16HIPCUB_304000_NS21CountingInputIteratorIllEEPS6_NSA_22TransformInputIteratorIbN2at6native12_GLOBAL__N_19NonZeroOpIN3c107complexIfEEEEPKSL_lEENS0_5tupleIJPlS6_EEENSQ_IJSD_SD_EEES6_PiJS6_EEE10hipError_tPvRmT3_T4_T5_T6_T7_T9_mT8_P12ihipStream_tbDpT10_ENKUlT_T0_E_clISt17integral_constantIbLb1EES1E_EEDaS19_S1A_EUlS19_E_NS1_11comp_targetILNS1_3genE10ELNS1_11target_archE1200ELNS1_3gpuE4ELNS1_3repE0EEENS1_30default_config_static_selectorELNS0_4arch9wavefront6targetE0EEEvT1_.kd
    .uniform_work_group_size: 1
    .uses_dynamic_stack: false
    .vgpr_count:     0
    .vgpr_spill_count: 0
    .wavefront_size: 32
    .workgroup_processor_mode: 1
  - .args:
      - .offset:         0
        .size:           136
        .value_kind:     by_value
    .group_segment_fixed_size: 6160
    .kernarg_segment_align: 8
    .kernarg_segment_size: 136
    .language:       OpenCL C
    .language_version:
      - 2
      - 0
    .max_flat_workgroup_size: 128
    .name:           _ZN7rocprim17ROCPRIM_400000_NS6detail17trampoline_kernelINS0_14default_configENS1_25partition_config_selectorILNS1_17partition_subalgoE5ElNS0_10empty_typeEbEEZZNS1_14partition_implILS5_5ELb0ES3_mN6hipcub16HIPCUB_304000_NS21CountingInputIteratorIllEEPS6_NSA_22TransformInputIteratorIbN2at6native12_GLOBAL__N_19NonZeroOpIN3c107complexIfEEEEPKSL_lEENS0_5tupleIJPlS6_EEENSQ_IJSD_SD_EEES6_PiJS6_EEE10hipError_tPvRmT3_T4_T5_T6_T7_T9_mT8_P12ihipStream_tbDpT10_ENKUlT_T0_E_clISt17integral_constantIbLb1EES1E_EEDaS19_S1A_EUlS19_E_NS1_11comp_targetILNS1_3genE9ELNS1_11target_archE1100ELNS1_3gpuE3ELNS1_3repE0EEENS1_30default_config_static_selectorELNS0_4arch9wavefront6targetE0EEEvT1_
    .private_segment_fixed_size: 0
    .sgpr_count:     27
    .sgpr_spill_count: 0
    .symbol:         _ZN7rocprim17ROCPRIM_400000_NS6detail17trampoline_kernelINS0_14default_configENS1_25partition_config_selectorILNS1_17partition_subalgoE5ElNS0_10empty_typeEbEEZZNS1_14partition_implILS5_5ELb0ES3_mN6hipcub16HIPCUB_304000_NS21CountingInputIteratorIllEEPS6_NSA_22TransformInputIteratorIbN2at6native12_GLOBAL__N_19NonZeroOpIN3c107complexIfEEEEPKSL_lEENS0_5tupleIJPlS6_EEENSQ_IJSD_SD_EEES6_PiJS6_EEE10hipError_tPvRmT3_T4_T5_T6_T7_T9_mT8_P12ihipStream_tbDpT10_ENKUlT_T0_E_clISt17integral_constantIbLb1EES1E_EEDaS19_S1A_EUlS19_E_NS1_11comp_targetILNS1_3genE9ELNS1_11target_archE1100ELNS1_3gpuE3ELNS1_3repE0EEENS1_30default_config_static_selectorELNS0_4arch9wavefront6targetE0EEEvT1_.kd
    .uniform_work_group_size: 1
    .uses_dynamic_stack: false
    .vgpr_count:     57
    .vgpr_spill_count: 0
    .wavefront_size: 32
    .workgroup_processor_mode: 1
  - .args:
      - .offset:         0
        .size:           136
        .value_kind:     by_value
    .group_segment_fixed_size: 0
    .kernarg_segment_align: 8
    .kernarg_segment_size: 136
    .language:       OpenCL C
    .language_version:
      - 2
      - 0
    .max_flat_workgroup_size: 512
    .name:           _ZN7rocprim17ROCPRIM_400000_NS6detail17trampoline_kernelINS0_14default_configENS1_25partition_config_selectorILNS1_17partition_subalgoE5ElNS0_10empty_typeEbEEZZNS1_14partition_implILS5_5ELb0ES3_mN6hipcub16HIPCUB_304000_NS21CountingInputIteratorIllEEPS6_NSA_22TransformInputIteratorIbN2at6native12_GLOBAL__N_19NonZeroOpIN3c107complexIfEEEEPKSL_lEENS0_5tupleIJPlS6_EEENSQ_IJSD_SD_EEES6_PiJS6_EEE10hipError_tPvRmT3_T4_T5_T6_T7_T9_mT8_P12ihipStream_tbDpT10_ENKUlT_T0_E_clISt17integral_constantIbLb1EES1E_EEDaS19_S1A_EUlS19_E_NS1_11comp_targetILNS1_3genE8ELNS1_11target_archE1030ELNS1_3gpuE2ELNS1_3repE0EEENS1_30default_config_static_selectorELNS0_4arch9wavefront6targetE0EEEvT1_
    .private_segment_fixed_size: 0
    .sgpr_count:     0
    .sgpr_spill_count: 0
    .symbol:         _ZN7rocprim17ROCPRIM_400000_NS6detail17trampoline_kernelINS0_14default_configENS1_25partition_config_selectorILNS1_17partition_subalgoE5ElNS0_10empty_typeEbEEZZNS1_14partition_implILS5_5ELb0ES3_mN6hipcub16HIPCUB_304000_NS21CountingInputIteratorIllEEPS6_NSA_22TransformInputIteratorIbN2at6native12_GLOBAL__N_19NonZeroOpIN3c107complexIfEEEEPKSL_lEENS0_5tupleIJPlS6_EEENSQ_IJSD_SD_EEES6_PiJS6_EEE10hipError_tPvRmT3_T4_T5_T6_T7_T9_mT8_P12ihipStream_tbDpT10_ENKUlT_T0_E_clISt17integral_constantIbLb1EES1E_EEDaS19_S1A_EUlS19_E_NS1_11comp_targetILNS1_3genE8ELNS1_11target_archE1030ELNS1_3gpuE2ELNS1_3repE0EEENS1_30default_config_static_selectorELNS0_4arch9wavefront6targetE0EEEvT1_.kd
    .uniform_work_group_size: 1
    .uses_dynamic_stack: false
    .vgpr_count:     0
    .vgpr_spill_count: 0
    .wavefront_size: 32
    .workgroup_processor_mode: 1
  - .args:
      - .offset:         0
        .size:           120
        .value_kind:     by_value
    .group_segment_fixed_size: 0
    .kernarg_segment_align: 8
    .kernarg_segment_size: 120
    .language:       OpenCL C
    .language_version:
      - 2
      - 0
    .max_flat_workgroup_size: 128
    .name:           _ZN7rocprim17ROCPRIM_400000_NS6detail17trampoline_kernelINS0_14default_configENS1_25partition_config_selectorILNS1_17partition_subalgoE5ElNS0_10empty_typeEbEEZZNS1_14partition_implILS5_5ELb0ES3_mN6hipcub16HIPCUB_304000_NS21CountingInputIteratorIllEEPS6_NSA_22TransformInputIteratorIbN2at6native12_GLOBAL__N_19NonZeroOpIN3c107complexIfEEEEPKSL_lEENS0_5tupleIJPlS6_EEENSQ_IJSD_SD_EEES6_PiJS6_EEE10hipError_tPvRmT3_T4_T5_T6_T7_T9_mT8_P12ihipStream_tbDpT10_ENKUlT_T0_E_clISt17integral_constantIbLb1EES1D_IbLb0EEEEDaS19_S1A_EUlS19_E_NS1_11comp_targetILNS1_3genE0ELNS1_11target_archE4294967295ELNS1_3gpuE0ELNS1_3repE0EEENS1_30default_config_static_selectorELNS0_4arch9wavefront6targetE0EEEvT1_
    .private_segment_fixed_size: 0
    .sgpr_count:     0
    .sgpr_spill_count: 0
    .symbol:         _ZN7rocprim17ROCPRIM_400000_NS6detail17trampoline_kernelINS0_14default_configENS1_25partition_config_selectorILNS1_17partition_subalgoE5ElNS0_10empty_typeEbEEZZNS1_14partition_implILS5_5ELb0ES3_mN6hipcub16HIPCUB_304000_NS21CountingInputIteratorIllEEPS6_NSA_22TransformInputIteratorIbN2at6native12_GLOBAL__N_19NonZeroOpIN3c107complexIfEEEEPKSL_lEENS0_5tupleIJPlS6_EEENSQ_IJSD_SD_EEES6_PiJS6_EEE10hipError_tPvRmT3_T4_T5_T6_T7_T9_mT8_P12ihipStream_tbDpT10_ENKUlT_T0_E_clISt17integral_constantIbLb1EES1D_IbLb0EEEEDaS19_S1A_EUlS19_E_NS1_11comp_targetILNS1_3genE0ELNS1_11target_archE4294967295ELNS1_3gpuE0ELNS1_3repE0EEENS1_30default_config_static_selectorELNS0_4arch9wavefront6targetE0EEEvT1_.kd
    .uniform_work_group_size: 1
    .uses_dynamic_stack: false
    .vgpr_count:     0
    .vgpr_spill_count: 0
    .wavefront_size: 32
    .workgroup_processor_mode: 1
  - .args:
      - .offset:         0
        .size:           120
        .value_kind:     by_value
    .group_segment_fixed_size: 0
    .kernarg_segment_align: 8
    .kernarg_segment_size: 120
    .language:       OpenCL C
    .language_version:
      - 2
      - 0
    .max_flat_workgroup_size: 512
    .name:           _ZN7rocprim17ROCPRIM_400000_NS6detail17trampoline_kernelINS0_14default_configENS1_25partition_config_selectorILNS1_17partition_subalgoE5ElNS0_10empty_typeEbEEZZNS1_14partition_implILS5_5ELb0ES3_mN6hipcub16HIPCUB_304000_NS21CountingInputIteratorIllEEPS6_NSA_22TransformInputIteratorIbN2at6native12_GLOBAL__N_19NonZeroOpIN3c107complexIfEEEEPKSL_lEENS0_5tupleIJPlS6_EEENSQ_IJSD_SD_EEES6_PiJS6_EEE10hipError_tPvRmT3_T4_T5_T6_T7_T9_mT8_P12ihipStream_tbDpT10_ENKUlT_T0_E_clISt17integral_constantIbLb1EES1D_IbLb0EEEEDaS19_S1A_EUlS19_E_NS1_11comp_targetILNS1_3genE5ELNS1_11target_archE942ELNS1_3gpuE9ELNS1_3repE0EEENS1_30default_config_static_selectorELNS0_4arch9wavefront6targetE0EEEvT1_
    .private_segment_fixed_size: 0
    .sgpr_count:     0
    .sgpr_spill_count: 0
    .symbol:         _ZN7rocprim17ROCPRIM_400000_NS6detail17trampoline_kernelINS0_14default_configENS1_25partition_config_selectorILNS1_17partition_subalgoE5ElNS0_10empty_typeEbEEZZNS1_14partition_implILS5_5ELb0ES3_mN6hipcub16HIPCUB_304000_NS21CountingInputIteratorIllEEPS6_NSA_22TransformInputIteratorIbN2at6native12_GLOBAL__N_19NonZeroOpIN3c107complexIfEEEEPKSL_lEENS0_5tupleIJPlS6_EEENSQ_IJSD_SD_EEES6_PiJS6_EEE10hipError_tPvRmT3_T4_T5_T6_T7_T9_mT8_P12ihipStream_tbDpT10_ENKUlT_T0_E_clISt17integral_constantIbLb1EES1D_IbLb0EEEEDaS19_S1A_EUlS19_E_NS1_11comp_targetILNS1_3genE5ELNS1_11target_archE942ELNS1_3gpuE9ELNS1_3repE0EEENS1_30default_config_static_selectorELNS0_4arch9wavefront6targetE0EEEvT1_.kd
    .uniform_work_group_size: 1
    .uses_dynamic_stack: false
    .vgpr_count:     0
    .vgpr_spill_count: 0
    .wavefront_size: 32
    .workgroup_processor_mode: 1
  - .args:
      - .offset:         0
        .size:           120
        .value_kind:     by_value
    .group_segment_fixed_size: 0
    .kernarg_segment_align: 8
    .kernarg_segment_size: 120
    .language:       OpenCL C
    .language_version:
      - 2
      - 0
    .max_flat_workgroup_size: 192
    .name:           _ZN7rocprim17ROCPRIM_400000_NS6detail17trampoline_kernelINS0_14default_configENS1_25partition_config_selectorILNS1_17partition_subalgoE5ElNS0_10empty_typeEbEEZZNS1_14partition_implILS5_5ELb0ES3_mN6hipcub16HIPCUB_304000_NS21CountingInputIteratorIllEEPS6_NSA_22TransformInputIteratorIbN2at6native12_GLOBAL__N_19NonZeroOpIN3c107complexIfEEEEPKSL_lEENS0_5tupleIJPlS6_EEENSQ_IJSD_SD_EEES6_PiJS6_EEE10hipError_tPvRmT3_T4_T5_T6_T7_T9_mT8_P12ihipStream_tbDpT10_ENKUlT_T0_E_clISt17integral_constantIbLb1EES1D_IbLb0EEEEDaS19_S1A_EUlS19_E_NS1_11comp_targetILNS1_3genE4ELNS1_11target_archE910ELNS1_3gpuE8ELNS1_3repE0EEENS1_30default_config_static_selectorELNS0_4arch9wavefront6targetE0EEEvT1_
    .private_segment_fixed_size: 0
    .sgpr_count:     0
    .sgpr_spill_count: 0
    .symbol:         _ZN7rocprim17ROCPRIM_400000_NS6detail17trampoline_kernelINS0_14default_configENS1_25partition_config_selectorILNS1_17partition_subalgoE5ElNS0_10empty_typeEbEEZZNS1_14partition_implILS5_5ELb0ES3_mN6hipcub16HIPCUB_304000_NS21CountingInputIteratorIllEEPS6_NSA_22TransformInputIteratorIbN2at6native12_GLOBAL__N_19NonZeroOpIN3c107complexIfEEEEPKSL_lEENS0_5tupleIJPlS6_EEENSQ_IJSD_SD_EEES6_PiJS6_EEE10hipError_tPvRmT3_T4_T5_T6_T7_T9_mT8_P12ihipStream_tbDpT10_ENKUlT_T0_E_clISt17integral_constantIbLb1EES1D_IbLb0EEEEDaS19_S1A_EUlS19_E_NS1_11comp_targetILNS1_3genE4ELNS1_11target_archE910ELNS1_3gpuE8ELNS1_3repE0EEENS1_30default_config_static_selectorELNS0_4arch9wavefront6targetE0EEEvT1_.kd
    .uniform_work_group_size: 1
    .uses_dynamic_stack: false
    .vgpr_count:     0
    .vgpr_spill_count: 0
    .wavefront_size: 32
    .workgroup_processor_mode: 1
  - .args:
      - .offset:         0
        .size:           120
        .value_kind:     by_value
    .group_segment_fixed_size: 0
    .kernarg_segment_align: 8
    .kernarg_segment_size: 120
    .language:       OpenCL C
    .language_version:
      - 2
      - 0
    .max_flat_workgroup_size: 128
    .name:           _ZN7rocprim17ROCPRIM_400000_NS6detail17trampoline_kernelINS0_14default_configENS1_25partition_config_selectorILNS1_17partition_subalgoE5ElNS0_10empty_typeEbEEZZNS1_14partition_implILS5_5ELb0ES3_mN6hipcub16HIPCUB_304000_NS21CountingInputIteratorIllEEPS6_NSA_22TransformInputIteratorIbN2at6native12_GLOBAL__N_19NonZeroOpIN3c107complexIfEEEEPKSL_lEENS0_5tupleIJPlS6_EEENSQ_IJSD_SD_EEES6_PiJS6_EEE10hipError_tPvRmT3_T4_T5_T6_T7_T9_mT8_P12ihipStream_tbDpT10_ENKUlT_T0_E_clISt17integral_constantIbLb1EES1D_IbLb0EEEEDaS19_S1A_EUlS19_E_NS1_11comp_targetILNS1_3genE3ELNS1_11target_archE908ELNS1_3gpuE7ELNS1_3repE0EEENS1_30default_config_static_selectorELNS0_4arch9wavefront6targetE0EEEvT1_
    .private_segment_fixed_size: 0
    .sgpr_count:     0
    .sgpr_spill_count: 0
    .symbol:         _ZN7rocprim17ROCPRIM_400000_NS6detail17trampoline_kernelINS0_14default_configENS1_25partition_config_selectorILNS1_17partition_subalgoE5ElNS0_10empty_typeEbEEZZNS1_14partition_implILS5_5ELb0ES3_mN6hipcub16HIPCUB_304000_NS21CountingInputIteratorIllEEPS6_NSA_22TransformInputIteratorIbN2at6native12_GLOBAL__N_19NonZeroOpIN3c107complexIfEEEEPKSL_lEENS0_5tupleIJPlS6_EEENSQ_IJSD_SD_EEES6_PiJS6_EEE10hipError_tPvRmT3_T4_T5_T6_T7_T9_mT8_P12ihipStream_tbDpT10_ENKUlT_T0_E_clISt17integral_constantIbLb1EES1D_IbLb0EEEEDaS19_S1A_EUlS19_E_NS1_11comp_targetILNS1_3genE3ELNS1_11target_archE908ELNS1_3gpuE7ELNS1_3repE0EEENS1_30default_config_static_selectorELNS0_4arch9wavefront6targetE0EEEvT1_.kd
    .uniform_work_group_size: 1
    .uses_dynamic_stack: false
    .vgpr_count:     0
    .vgpr_spill_count: 0
    .wavefront_size: 32
    .workgroup_processor_mode: 1
  - .args:
      - .offset:         0
        .size:           120
        .value_kind:     by_value
    .group_segment_fixed_size: 0
    .kernarg_segment_align: 8
    .kernarg_segment_size: 120
    .language:       OpenCL C
    .language_version:
      - 2
      - 0
    .max_flat_workgroup_size: 256
    .name:           _ZN7rocprim17ROCPRIM_400000_NS6detail17trampoline_kernelINS0_14default_configENS1_25partition_config_selectorILNS1_17partition_subalgoE5ElNS0_10empty_typeEbEEZZNS1_14partition_implILS5_5ELb0ES3_mN6hipcub16HIPCUB_304000_NS21CountingInputIteratorIllEEPS6_NSA_22TransformInputIteratorIbN2at6native12_GLOBAL__N_19NonZeroOpIN3c107complexIfEEEEPKSL_lEENS0_5tupleIJPlS6_EEENSQ_IJSD_SD_EEES6_PiJS6_EEE10hipError_tPvRmT3_T4_T5_T6_T7_T9_mT8_P12ihipStream_tbDpT10_ENKUlT_T0_E_clISt17integral_constantIbLb1EES1D_IbLb0EEEEDaS19_S1A_EUlS19_E_NS1_11comp_targetILNS1_3genE2ELNS1_11target_archE906ELNS1_3gpuE6ELNS1_3repE0EEENS1_30default_config_static_selectorELNS0_4arch9wavefront6targetE0EEEvT1_
    .private_segment_fixed_size: 0
    .sgpr_count:     0
    .sgpr_spill_count: 0
    .symbol:         _ZN7rocprim17ROCPRIM_400000_NS6detail17trampoline_kernelINS0_14default_configENS1_25partition_config_selectorILNS1_17partition_subalgoE5ElNS0_10empty_typeEbEEZZNS1_14partition_implILS5_5ELb0ES3_mN6hipcub16HIPCUB_304000_NS21CountingInputIteratorIllEEPS6_NSA_22TransformInputIteratorIbN2at6native12_GLOBAL__N_19NonZeroOpIN3c107complexIfEEEEPKSL_lEENS0_5tupleIJPlS6_EEENSQ_IJSD_SD_EEES6_PiJS6_EEE10hipError_tPvRmT3_T4_T5_T6_T7_T9_mT8_P12ihipStream_tbDpT10_ENKUlT_T0_E_clISt17integral_constantIbLb1EES1D_IbLb0EEEEDaS19_S1A_EUlS19_E_NS1_11comp_targetILNS1_3genE2ELNS1_11target_archE906ELNS1_3gpuE6ELNS1_3repE0EEENS1_30default_config_static_selectorELNS0_4arch9wavefront6targetE0EEEvT1_.kd
    .uniform_work_group_size: 1
    .uses_dynamic_stack: false
    .vgpr_count:     0
    .vgpr_spill_count: 0
    .wavefront_size: 32
    .workgroup_processor_mode: 1
  - .args:
      - .offset:         0
        .size:           120
        .value_kind:     by_value
    .group_segment_fixed_size: 0
    .kernarg_segment_align: 8
    .kernarg_segment_size: 120
    .language:       OpenCL C
    .language_version:
      - 2
      - 0
    .max_flat_workgroup_size: 256
    .name:           _ZN7rocprim17ROCPRIM_400000_NS6detail17trampoline_kernelINS0_14default_configENS1_25partition_config_selectorILNS1_17partition_subalgoE5ElNS0_10empty_typeEbEEZZNS1_14partition_implILS5_5ELb0ES3_mN6hipcub16HIPCUB_304000_NS21CountingInputIteratorIllEEPS6_NSA_22TransformInputIteratorIbN2at6native12_GLOBAL__N_19NonZeroOpIN3c107complexIfEEEEPKSL_lEENS0_5tupleIJPlS6_EEENSQ_IJSD_SD_EEES6_PiJS6_EEE10hipError_tPvRmT3_T4_T5_T6_T7_T9_mT8_P12ihipStream_tbDpT10_ENKUlT_T0_E_clISt17integral_constantIbLb1EES1D_IbLb0EEEEDaS19_S1A_EUlS19_E_NS1_11comp_targetILNS1_3genE10ELNS1_11target_archE1200ELNS1_3gpuE4ELNS1_3repE0EEENS1_30default_config_static_selectorELNS0_4arch9wavefront6targetE0EEEvT1_
    .private_segment_fixed_size: 0
    .sgpr_count:     0
    .sgpr_spill_count: 0
    .symbol:         _ZN7rocprim17ROCPRIM_400000_NS6detail17trampoline_kernelINS0_14default_configENS1_25partition_config_selectorILNS1_17partition_subalgoE5ElNS0_10empty_typeEbEEZZNS1_14partition_implILS5_5ELb0ES3_mN6hipcub16HIPCUB_304000_NS21CountingInputIteratorIllEEPS6_NSA_22TransformInputIteratorIbN2at6native12_GLOBAL__N_19NonZeroOpIN3c107complexIfEEEEPKSL_lEENS0_5tupleIJPlS6_EEENSQ_IJSD_SD_EEES6_PiJS6_EEE10hipError_tPvRmT3_T4_T5_T6_T7_T9_mT8_P12ihipStream_tbDpT10_ENKUlT_T0_E_clISt17integral_constantIbLb1EES1D_IbLb0EEEEDaS19_S1A_EUlS19_E_NS1_11comp_targetILNS1_3genE10ELNS1_11target_archE1200ELNS1_3gpuE4ELNS1_3repE0EEENS1_30default_config_static_selectorELNS0_4arch9wavefront6targetE0EEEvT1_.kd
    .uniform_work_group_size: 1
    .uses_dynamic_stack: false
    .vgpr_count:     0
    .vgpr_spill_count: 0
    .wavefront_size: 32
    .workgroup_processor_mode: 1
  - .args:
      - .offset:         0
        .size:           120
        .value_kind:     by_value
    .group_segment_fixed_size: 6160
    .kernarg_segment_align: 8
    .kernarg_segment_size: 120
    .language:       OpenCL C
    .language_version:
      - 2
      - 0
    .max_flat_workgroup_size: 128
    .name:           _ZN7rocprim17ROCPRIM_400000_NS6detail17trampoline_kernelINS0_14default_configENS1_25partition_config_selectorILNS1_17partition_subalgoE5ElNS0_10empty_typeEbEEZZNS1_14partition_implILS5_5ELb0ES3_mN6hipcub16HIPCUB_304000_NS21CountingInputIteratorIllEEPS6_NSA_22TransformInputIteratorIbN2at6native12_GLOBAL__N_19NonZeroOpIN3c107complexIfEEEEPKSL_lEENS0_5tupleIJPlS6_EEENSQ_IJSD_SD_EEES6_PiJS6_EEE10hipError_tPvRmT3_T4_T5_T6_T7_T9_mT8_P12ihipStream_tbDpT10_ENKUlT_T0_E_clISt17integral_constantIbLb1EES1D_IbLb0EEEEDaS19_S1A_EUlS19_E_NS1_11comp_targetILNS1_3genE9ELNS1_11target_archE1100ELNS1_3gpuE3ELNS1_3repE0EEENS1_30default_config_static_selectorELNS0_4arch9wavefront6targetE0EEEvT1_
    .private_segment_fixed_size: 0
    .sgpr_count:     25
    .sgpr_spill_count: 0
    .symbol:         _ZN7rocprim17ROCPRIM_400000_NS6detail17trampoline_kernelINS0_14default_configENS1_25partition_config_selectorILNS1_17partition_subalgoE5ElNS0_10empty_typeEbEEZZNS1_14partition_implILS5_5ELb0ES3_mN6hipcub16HIPCUB_304000_NS21CountingInputIteratorIllEEPS6_NSA_22TransformInputIteratorIbN2at6native12_GLOBAL__N_19NonZeroOpIN3c107complexIfEEEEPKSL_lEENS0_5tupleIJPlS6_EEENSQ_IJSD_SD_EEES6_PiJS6_EEE10hipError_tPvRmT3_T4_T5_T6_T7_T9_mT8_P12ihipStream_tbDpT10_ENKUlT_T0_E_clISt17integral_constantIbLb1EES1D_IbLb0EEEEDaS19_S1A_EUlS19_E_NS1_11comp_targetILNS1_3genE9ELNS1_11target_archE1100ELNS1_3gpuE3ELNS1_3repE0EEENS1_30default_config_static_selectorELNS0_4arch9wavefront6targetE0EEEvT1_.kd
    .uniform_work_group_size: 1
    .uses_dynamic_stack: false
    .vgpr_count:     57
    .vgpr_spill_count: 0
    .wavefront_size: 32
    .workgroup_processor_mode: 1
  - .args:
      - .offset:         0
        .size:           120
        .value_kind:     by_value
    .group_segment_fixed_size: 0
    .kernarg_segment_align: 8
    .kernarg_segment_size: 120
    .language:       OpenCL C
    .language_version:
      - 2
      - 0
    .max_flat_workgroup_size: 512
    .name:           _ZN7rocprim17ROCPRIM_400000_NS6detail17trampoline_kernelINS0_14default_configENS1_25partition_config_selectorILNS1_17partition_subalgoE5ElNS0_10empty_typeEbEEZZNS1_14partition_implILS5_5ELb0ES3_mN6hipcub16HIPCUB_304000_NS21CountingInputIteratorIllEEPS6_NSA_22TransformInputIteratorIbN2at6native12_GLOBAL__N_19NonZeroOpIN3c107complexIfEEEEPKSL_lEENS0_5tupleIJPlS6_EEENSQ_IJSD_SD_EEES6_PiJS6_EEE10hipError_tPvRmT3_T4_T5_T6_T7_T9_mT8_P12ihipStream_tbDpT10_ENKUlT_T0_E_clISt17integral_constantIbLb1EES1D_IbLb0EEEEDaS19_S1A_EUlS19_E_NS1_11comp_targetILNS1_3genE8ELNS1_11target_archE1030ELNS1_3gpuE2ELNS1_3repE0EEENS1_30default_config_static_selectorELNS0_4arch9wavefront6targetE0EEEvT1_
    .private_segment_fixed_size: 0
    .sgpr_count:     0
    .sgpr_spill_count: 0
    .symbol:         _ZN7rocprim17ROCPRIM_400000_NS6detail17trampoline_kernelINS0_14default_configENS1_25partition_config_selectorILNS1_17partition_subalgoE5ElNS0_10empty_typeEbEEZZNS1_14partition_implILS5_5ELb0ES3_mN6hipcub16HIPCUB_304000_NS21CountingInputIteratorIllEEPS6_NSA_22TransformInputIteratorIbN2at6native12_GLOBAL__N_19NonZeroOpIN3c107complexIfEEEEPKSL_lEENS0_5tupleIJPlS6_EEENSQ_IJSD_SD_EEES6_PiJS6_EEE10hipError_tPvRmT3_T4_T5_T6_T7_T9_mT8_P12ihipStream_tbDpT10_ENKUlT_T0_E_clISt17integral_constantIbLb1EES1D_IbLb0EEEEDaS19_S1A_EUlS19_E_NS1_11comp_targetILNS1_3genE8ELNS1_11target_archE1030ELNS1_3gpuE2ELNS1_3repE0EEENS1_30default_config_static_selectorELNS0_4arch9wavefront6targetE0EEEvT1_.kd
    .uniform_work_group_size: 1
    .uses_dynamic_stack: false
    .vgpr_count:     0
    .vgpr_spill_count: 0
    .wavefront_size: 32
    .workgroup_processor_mode: 1
  - .args:
      - .offset:         0
        .size:           136
        .value_kind:     by_value
    .group_segment_fixed_size: 0
    .kernarg_segment_align: 8
    .kernarg_segment_size: 136
    .language:       OpenCL C
    .language_version:
      - 2
      - 0
    .max_flat_workgroup_size: 128
    .name:           _ZN7rocprim17ROCPRIM_400000_NS6detail17trampoline_kernelINS0_14default_configENS1_25partition_config_selectorILNS1_17partition_subalgoE5ElNS0_10empty_typeEbEEZZNS1_14partition_implILS5_5ELb0ES3_mN6hipcub16HIPCUB_304000_NS21CountingInputIteratorIllEEPS6_NSA_22TransformInputIteratorIbN2at6native12_GLOBAL__N_19NonZeroOpIN3c107complexIfEEEEPKSL_lEENS0_5tupleIJPlS6_EEENSQ_IJSD_SD_EEES6_PiJS6_EEE10hipError_tPvRmT3_T4_T5_T6_T7_T9_mT8_P12ihipStream_tbDpT10_ENKUlT_T0_E_clISt17integral_constantIbLb0EES1D_IbLb1EEEEDaS19_S1A_EUlS19_E_NS1_11comp_targetILNS1_3genE0ELNS1_11target_archE4294967295ELNS1_3gpuE0ELNS1_3repE0EEENS1_30default_config_static_selectorELNS0_4arch9wavefront6targetE0EEEvT1_
    .private_segment_fixed_size: 0
    .sgpr_count:     0
    .sgpr_spill_count: 0
    .symbol:         _ZN7rocprim17ROCPRIM_400000_NS6detail17trampoline_kernelINS0_14default_configENS1_25partition_config_selectorILNS1_17partition_subalgoE5ElNS0_10empty_typeEbEEZZNS1_14partition_implILS5_5ELb0ES3_mN6hipcub16HIPCUB_304000_NS21CountingInputIteratorIllEEPS6_NSA_22TransformInputIteratorIbN2at6native12_GLOBAL__N_19NonZeroOpIN3c107complexIfEEEEPKSL_lEENS0_5tupleIJPlS6_EEENSQ_IJSD_SD_EEES6_PiJS6_EEE10hipError_tPvRmT3_T4_T5_T6_T7_T9_mT8_P12ihipStream_tbDpT10_ENKUlT_T0_E_clISt17integral_constantIbLb0EES1D_IbLb1EEEEDaS19_S1A_EUlS19_E_NS1_11comp_targetILNS1_3genE0ELNS1_11target_archE4294967295ELNS1_3gpuE0ELNS1_3repE0EEENS1_30default_config_static_selectorELNS0_4arch9wavefront6targetE0EEEvT1_.kd
    .uniform_work_group_size: 1
    .uses_dynamic_stack: false
    .vgpr_count:     0
    .vgpr_spill_count: 0
    .wavefront_size: 32
    .workgroup_processor_mode: 1
  - .args:
      - .offset:         0
        .size:           136
        .value_kind:     by_value
    .group_segment_fixed_size: 0
    .kernarg_segment_align: 8
    .kernarg_segment_size: 136
    .language:       OpenCL C
    .language_version:
      - 2
      - 0
    .max_flat_workgroup_size: 512
    .name:           _ZN7rocprim17ROCPRIM_400000_NS6detail17trampoline_kernelINS0_14default_configENS1_25partition_config_selectorILNS1_17partition_subalgoE5ElNS0_10empty_typeEbEEZZNS1_14partition_implILS5_5ELb0ES3_mN6hipcub16HIPCUB_304000_NS21CountingInputIteratorIllEEPS6_NSA_22TransformInputIteratorIbN2at6native12_GLOBAL__N_19NonZeroOpIN3c107complexIfEEEEPKSL_lEENS0_5tupleIJPlS6_EEENSQ_IJSD_SD_EEES6_PiJS6_EEE10hipError_tPvRmT3_T4_T5_T6_T7_T9_mT8_P12ihipStream_tbDpT10_ENKUlT_T0_E_clISt17integral_constantIbLb0EES1D_IbLb1EEEEDaS19_S1A_EUlS19_E_NS1_11comp_targetILNS1_3genE5ELNS1_11target_archE942ELNS1_3gpuE9ELNS1_3repE0EEENS1_30default_config_static_selectorELNS0_4arch9wavefront6targetE0EEEvT1_
    .private_segment_fixed_size: 0
    .sgpr_count:     0
    .sgpr_spill_count: 0
    .symbol:         _ZN7rocprim17ROCPRIM_400000_NS6detail17trampoline_kernelINS0_14default_configENS1_25partition_config_selectorILNS1_17partition_subalgoE5ElNS0_10empty_typeEbEEZZNS1_14partition_implILS5_5ELb0ES3_mN6hipcub16HIPCUB_304000_NS21CountingInputIteratorIllEEPS6_NSA_22TransformInputIteratorIbN2at6native12_GLOBAL__N_19NonZeroOpIN3c107complexIfEEEEPKSL_lEENS0_5tupleIJPlS6_EEENSQ_IJSD_SD_EEES6_PiJS6_EEE10hipError_tPvRmT3_T4_T5_T6_T7_T9_mT8_P12ihipStream_tbDpT10_ENKUlT_T0_E_clISt17integral_constantIbLb0EES1D_IbLb1EEEEDaS19_S1A_EUlS19_E_NS1_11comp_targetILNS1_3genE5ELNS1_11target_archE942ELNS1_3gpuE9ELNS1_3repE0EEENS1_30default_config_static_selectorELNS0_4arch9wavefront6targetE0EEEvT1_.kd
    .uniform_work_group_size: 1
    .uses_dynamic_stack: false
    .vgpr_count:     0
    .vgpr_spill_count: 0
    .wavefront_size: 32
    .workgroup_processor_mode: 1
  - .args:
      - .offset:         0
        .size:           136
        .value_kind:     by_value
    .group_segment_fixed_size: 0
    .kernarg_segment_align: 8
    .kernarg_segment_size: 136
    .language:       OpenCL C
    .language_version:
      - 2
      - 0
    .max_flat_workgroup_size: 192
    .name:           _ZN7rocprim17ROCPRIM_400000_NS6detail17trampoline_kernelINS0_14default_configENS1_25partition_config_selectorILNS1_17partition_subalgoE5ElNS0_10empty_typeEbEEZZNS1_14partition_implILS5_5ELb0ES3_mN6hipcub16HIPCUB_304000_NS21CountingInputIteratorIllEEPS6_NSA_22TransformInputIteratorIbN2at6native12_GLOBAL__N_19NonZeroOpIN3c107complexIfEEEEPKSL_lEENS0_5tupleIJPlS6_EEENSQ_IJSD_SD_EEES6_PiJS6_EEE10hipError_tPvRmT3_T4_T5_T6_T7_T9_mT8_P12ihipStream_tbDpT10_ENKUlT_T0_E_clISt17integral_constantIbLb0EES1D_IbLb1EEEEDaS19_S1A_EUlS19_E_NS1_11comp_targetILNS1_3genE4ELNS1_11target_archE910ELNS1_3gpuE8ELNS1_3repE0EEENS1_30default_config_static_selectorELNS0_4arch9wavefront6targetE0EEEvT1_
    .private_segment_fixed_size: 0
    .sgpr_count:     0
    .sgpr_spill_count: 0
    .symbol:         _ZN7rocprim17ROCPRIM_400000_NS6detail17trampoline_kernelINS0_14default_configENS1_25partition_config_selectorILNS1_17partition_subalgoE5ElNS0_10empty_typeEbEEZZNS1_14partition_implILS5_5ELb0ES3_mN6hipcub16HIPCUB_304000_NS21CountingInputIteratorIllEEPS6_NSA_22TransformInputIteratorIbN2at6native12_GLOBAL__N_19NonZeroOpIN3c107complexIfEEEEPKSL_lEENS0_5tupleIJPlS6_EEENSQ_IJSD_SD_EEES6_PiJS6_EEE10hipError_tPvRmT3_T4_T5_T6_T7_T9_mT8_P12ihipStream_tbDpT10_ENKUlT_T0_E_clISt17integral_constantIbLb0EES1D_IbLb1EEEEDaS19_S1A_EUlS19_E_NS1_11comp_targetILNS1_3genE4ELNS1_11target_archE910ELNS1_3gpuE8ELNS1_3repE0EEENS1_30default_config_static_selectorELNS0_4arch9wavefront6targetE0EEEvT1_.kd
    .uniform_work_group_size: 1
    .uses_dynamic_stack: false
    .vgpr_count:     0
    .vgpr_spill_count: 0
    .wavefront_size: 32
    .workgroup_processor_mode: 1
  - .args:
      - .offset:         0
        .size:           136
        .value_kind:     by_value
    .group_segment_fixed_size: 0
    .kernarg_segment_align: 8
    .kernarg_segment_size: 136
    .language:       OpenCL C
    .language_version:
      - 2
      - 0
    .max_flat_workgroup_size: 128
    .name:           _ZN7rocprim17ROCPRIM_400000_NS6detail17trampoline_kernelINS0_14default_configENS1_25partition_config_selectorILNS1_17partition_subalgoE5ElNS0_10empty_typeEbEEZZNS1_14partition_implILS5_5ELb0ES3_mN6hipcub16HIPCUB_304000_NS21CountingInputIteratorIllEEPS6_NSA_22TransformInputIteratorIbN2at6native12_GLOBAL__N_19NonZeroOpIN3c107complexIfEEEEPKSL_lEENS0_5tupleIJPlS6_EEENSQ_IJSD_SD_EEES6_PiJS6_EEE10hipError_tPvRmT3_T4_T5_T6_T7_T9_mT8_P12ihipStream_tbDpT10_ENKUlT_T0_E_clISt17integral_constantIbLb0EES1D_IbLb1EEEEDaS19_S1A_EUlS19_E_NS1_11comp_targetILNS1_3genE3ELNS1_11target_archE908ELNS1_3gpuE7ELNS1_3repE0EEENS1_30default_config_static_selectorELNS0_4arch9wavefront6targetE0EEEvT1_
    .private_segment_fixed_size: 0
    .sgpr_count:     0
    .sgpr_spill_count: 0
    .symbol:         _ZN7rocprim17ROCPRIM_400000_NS6detail17trampoline_kernelINS0_14default_configENS1_25partition_config_selectorILNS1_17partition_subalgoE5ElNS0_10empty_typeEbEEZZNS1_14partition_implILS5_5ELb0ES3_mN6hipcub16HIPCUB_304000_NS21CountingInputIteratorIllEEPS6_NSA_22TransformInputIteratorIbN2at6native12_GLOBAL__N_19NonZeroOpIN3c107complexIfEEEEPKSL_lEENS0_5tupleIJPlS6_EEENSQ_IJSD_SD_EEES6_PiJS6_EEE10hipError_tPvRmT3_T4_T5_T6_T7_T9_mT8_P12ihipStream_tbDpT10_ENKUlT_T0_E_clISt17integral_constantIbLb0EES1D_IbLb1EEEEDaS19_S1A_EUlS19_E_NS1_11comp_targetILNS1_3genE3ELNS1_11target_archE908ELNS1_3gpuE7ELNS1_3repE0EEENS1_30default_config_static_selectorELNS0_4arch9wavefront6targetE0EEEvT1_.kd
    .uniform_work_group_size: 1
    .uses_dynamic_stack: false
    .vgpr_count:     0
    .vgpr_spill_count: 0
    .wavefront_size: 32
    .workgroup_processor_mode: 1
  - .args:
      - .offset:         0
        .size:           136
        .value_kind:     by_value
    .group_segment_fixed_size: 0
    .kernarg_segment_align: 8
    .kernarg_segment_size: 136
    .language:       OpenCL C
    .language_version:
      - 2
      - 0
    .max_flat_workgroup_size: 256
    .name:           _ZN7rocprim17ROCPRIM_400000_NS6detail17trampoline_kernelINS0_14default_configENS1_25partition_config_selectorILNS1_17partition_subalgoE5ElNS0_10empty_typeEbEEZZNS1_14partition_implILS5_5ELb0ES3_mN6hipcub16HIPCUB_304000_NS21CountingInputIteratorIllEEPS6_NSA_22TransformInputIteratorIbN2at6native12_GLOBAL__N_19NonZeroOpIN3c107complexIfEEEEPKSL_lEENS0_5tupleIJPlS6_EEENSQ_IJSD_SD_EEES6_PiJS6_EEE10hipError_tPvRmT3_T4_T5_T6_T7_T9_mT8_P12ihipStream_tbDpT10_ENKUlT_T0_E_clISt17integral_constantIbLb0EES1D_IbLb1EEEEDaS19_S1A_EUlS19_E_NS1_11comp_targetILNS1_3genE2ELNS1_11target_archE906ELNS1_3gpuE6ELNS1_3repE0EEENS1_30default_config_static_selectorELNS0_4arch9wavefront6targetE0EEEvT1_
    .private_segment_fixed_size: 0
    .sgpr_count:     0
    .sgpr_spill_count: 0
    .symbol:         _ZN7rocprim17ROCPRIM_400000_NS6detail17trampoline_kernelINS0_14default_configENS1_25partition_config_selectorILNS1_17partition_subalgoE5ElNS0_10empty_typeEbEEZZNS1_14partition_implILS5_5ELb0ES3_mN6hipcub16HIPCUB_304000_NS21CountingInputIteratorIllEEPS6_NSA_22TransformInputIteratorIbN2at6native12_GLOBAL__N_19NonZeroOpIN3c107complexIfEEEEPKSL_lEENS0_5tupleIJPlS6_EEENSQ_IJSD_SD_EEES6_PiJS6_EEE10hipError_tPvRmT3_T4_T5_T6_T7_T9_mT8_P12ihipStream_tbDpT10_ENKUlT_T0_E_clISt17integral_constantIbLb0EES1D_IbLb1EEEEDaS19_S1A_EUlS19_E_NS1_11comp_targetILNS1_3genE2ELNS1_11target_archE906ELNS1_3gpuE6ELNS1_3repE0EEENS1_30default_config_static_selectorELNS0_4arch9wavefront6targetE0EEEvT1_.kd
    .uniform_work_group_size: 1
    .uses_dynamic_stack: false
    .vgpr_count:     0
    .vgpr_spill_count: 0
    .wavefront_size: 32
    .workgroup_processor_mode: 1
  - .args:
      - .offset:         0
        .size:           136
        .value_kind:     by_value
    .group_segment_fixed_size: 0
    .kernarg_segment_align: 8
    .kernarg_segment_size: 136
    .language:       OpenCL C
    .language_version:
      - 2
      - 0
    .max_flat_workgroup_size: 256
    .name:           _ZN7rocprim17ROCPRIM_400000_NS6detail17trampoline_kernelINS0_14default_configENS1_25partition_config_selectorILNS1_17partition_subalgoE5ElNS0_10empty_typeEbEEZZNS1_14partition_implILS5_5ELb0ES3_mN6hipcub16HIPCUB_304000_NS21CountingInputIteratorIllEEPS6_NSA_22TransformInputIteratorIbN2at6native12_GLOBAL__N_19NonZeroOpIN3c107complexIfEEEEPKSL_lEENS0_5tupleIJPlS6_EEENSQ_IJSD_SD_EEES6_PiJS6_EEE10hipError_tPvRmT3_T4_T5_T6_T7_T9_mT8_P12ihipStream_tbDpT10_ENKUlT_T0_E_clISt17integral_constantIbLb0EES1D_IbLb1EEEEDaS19_S1A_EUlS19_E_NS1_11comp_targetILNS1_3genE10ELNS1_11target_archE1200ELNS1_3gpuE4ELNS1_3repE0EEENS1_30default_config_static_selectorELNS0_4arch9wavefront6targetE0EEEvT1_
    .private_segment_fixed_size: 0
    .sgpr_count:     0
    .sgpr_spill_count: 0
    .symbol:         _ZN7rocprim17ROCPRIM_400000_NS6detail17trampoline_kernelINS0_14default_configENS1_25partition_config_selectorILNS1_17partition_subalgoE5ElNS0_10empty_typeEbEEZZNS1_14partition_implILS5_5ELb0ES3_mN6hipcub16HIPCUB_304000_NS21CountingInputIteratorIllEEPS6_NSA_22TransformInputIteratorIbN2at6native12_GLOBAL__N_19NonZeroOpIN3c107complexIfEEEEPKSL_lEENS0_5tupleIJPlS6_EEENSQ_IJSD_SD_EEES6_PiJS6_EEE10hipError_tPvRmT3_T4_T5_T6_T7_T9_mT8_P12ihipStream_tbDpT10_ENKUlT_T0_E_clISt17integral_constantIbLb0EES1D_IbLb1EEEEDaS19_S1A_EUlS19_E_NS1_11comp_targetILNS1_3genE10ELNS1_11target_archE1200ELNS1_3gpuE4ELNS1_3repE0EEENS1_30default_config_static_selectorELNS0_4arch9wavefront6targetE0EEEvT1_.kd
    .uniform_work_group_size: 1
    .uses_dynamic_stack: false
    .vgpr_count:     0
    .vgpr_spill_count: 0
    .wavefront_size: 32
    .workgroup_processor_mode: 1
  - .args:
      - .offset:         0
        .size:           136
        .value_kind:     by_value
    .group_segment_fixed_size: 6160
    .kernarg_segment_align: 8
    .kernarg_segment_size: 136
    .language:       OpenCL C
    .language_version:
      - 2
      - 0
    .max_flat_workgroup_size: 128
    .name:           _ZN7rocprim17ROCPRIM_400000_NS6detail17trampoline_kernelINS0_14default_configENS1_25partition_config_selectorILNS1_17partition_subalgoE5ElNS0_10empty_typeEbEEZZNS1_14partition_implILS5_5ELb0ES3_mN6hipcub16HIPCUB_304000_NS21CountingInputIteratorIllEEPS6_NSA_22TransformInputIteratorIbN2at6native12_GLOBAL__N_19NonZeroOpIN3c107complexIfEEEEPKSL_lEENS0_5tupleIJPlS6_EEENSQ_IJSD_SD_EEES6_PiJS6_EEE10hipError_tPvRmT3_T4_T5_T6_T7_T9_mT8_P12ihipStream_tbDpT10_ENKUlT_T0_E_clISt17integral_constantIbLb0EES1D_IbLb1EEEEDaS19_S1A_EUlS19_E_NS1_11comp_targetILNS1_3genE9ELNS1_11target_archE1100ELNS1_3gpuE3ELNS1_3repE0EEENS1_30default_config_static_selectorELNS0_4arch9wavefront6targetE0EEEvT1_
    .private_segment_fixed_size: 0
    .sgpr_count:     27
    .sgpr_spill_count: 0
    .symbol:         _ZN7rocprim17ROCPRIM_400000_NS6detail17trampoline_kernelINS0_14default_configENS1_25partition_config_selectorILNS1_17partition_subalgoE5ElNS0_10empty_typeEbEEZZNS1_14partition_implILS5_5ELb0ES3_mN6hipcub16HIPCUB_304000_NS21CountingInputIteratorIllEEPS6_NSA_22TransformInputIteratorIbN2at6native12_GLOBAL__N_19NonZeroOpIN3c107complexIfEEEEPKSL_lEENS0_5tupleIJPlS6_EEENSQ_IJSD_SD_EEES6_PiJS6_EEE10hipError_tPvRmT3_T4_T5_T6_T7_T9_mT8_P12ihipStream_tbDpT10_ENKUlT_T0_E_clISt17integral_constantIbLb0EES1D_IbLb1EEEEDaS19_S1A_EUlS19_E_NS1_11comp_targetILNS1_3genE9ELNS1_11target_archE1100ELNS1_3gpuE3ELNS1_3repE0EEENS1_30default_config_static_selectorELNS0_4arch9wavefront6targetE0EEEvT1_.kd
    .uniform_work_group_size: 1
    .uses_dynamic_stack: false
    .vgpr_count:     57
    .vgpr_spill_count: 0
    .wavefront_size: 32
    .workgroup_processor_mode: 1
  - .args:
      - .offset:         0
        .size:           136
        .value_kind:     by_value
    .group_segment_fixed_size: 0
    .kernarg_segment_align: 8
    .kernarg_segment_size: 136
    .language:       OpenCL C
    .language_version:
      - 2
      - 0
    .max_flat_workgroup_size: 512
    .name:           _ZN7rocprim17ROCPRIM_400000_NS6detail17trampoline_kernelINS0_14default_configENS1_25partition_config_selectorILNS1_17partition_subalgoE5ElNS0_10empty_typeEbEEZZNS1_14partition_implILS5_5ELb0ES3_mN6hipcub16HIPCUB_304000_NS21CountingInputIteratorIllEEPS6_NSA_22TransformInputIteratorIbN2at6native12_GLOBAL__N_19NonZeroOpIN3c107complexIfEEEEPKSL_lEENS0_5tupleIJPlS6_EEENSQ_IJSD_SD_EEES6_PiJS6_EEE10hipError_tPvRmT3_T4_T5_T6_T7_T9_mT8_P12ihipStream_tbDpT10_ENKUlT_T0_E_clISt17integral_constantIbLb0EES1D_IbLb1EEEEDaS19_S1A_EUlS19_E_NS1_11comp_targetILNS1_3genE8ELNS1_11target_archE1030ELNS1_3gpuE2ELNS1_3repE0EEENS1_30default_config_static_selectorELNS0_4arch9wavefront6targetE0EEEvT1_
    .private_segment_fixed_size: 0
    .sgpr_count:     0
    .sgpr_spill_count: 0
    .symbol:         _ZN7rocprim17ROCPRIM_400000_NS6detail17trampoline_kernelINS0_14default_configENS1_25partition_config_selectorILNS1_17partition_subalgoE5ElNS0_10empty_typeEbEEZZNS1_14partition_implILS5_5ELb0ES3_mN6hipcub16HIPCUB_304000_NS21CountingInputIteratorIllEEPS6_NSA_22TransformInputIteratorIbN2at6native12_GLOBAL__N_19NonZeroOpIN3c107complexIfEEEEPKSL_lEENS0_5tupleIJPlS6_EEENSQ_IJSD_SD_EEES6_PiJS6_EEE10hipError_tPvRmT3_T4_T5_T6_T7_T9_mT8_P12ihipStream_tbDpT10_ENKUlT_T0_E_clISt17integral_constantIbLb0EES1D_IbLb1EEEEDaS19_S1A_EUlS19_E_NS1_11comp_targetILNS1_3genE8ELNS1_11target_archE1030ELNS1_3gpuE2ELNS1_3repE0EEENS1_30default_config_static_selectorELNS0_4arch9wavefront6targetE0EEEvT1_.kd
    .uniform_work_group_size: 1
    .uses_dynamic_stack: false
    .vgpr_count:     0
    .vgpr_spill_count: 0
    .wavefront_size: 32
    .workgroup_processor_mode: 1
  - .args:
      - .offset:         0
        .size:           56
        .value_kind:     by_value
    .group_segment_fixed_size: 0
    .kernarg_segment_align: 8
    .kernarg_segment_size: 56
    .language:       OpenCL C
    .language_version:
      - 2
      - 0
    .max_flat_workgroup_size: 256
    .name:           _ZN7rocprim17ROCPRIM_400000_NS6detail17trampoline_kernelINS0_14default_configENS1_22reduce_config_selectorIiEEZNS1_11reduce_implILb1ES3_PiS7_iN6hipcub16HIPCUB_304000_NS6detail34convert_binary_result_type_wrapperINS9_3SumENS9_22TransformInputIteratorIbN2at6native12_GLOBAL__N_19NonZeroOpIN3c107complexINSI_4HalfEEEEEPKSL_lEEiEEEE10hipError_tPvRmT1_T2_T3_mT4_P12ihipStream_tbEUlT_E0_NS1_11comp_targetILNS1_3genE0ELNS1_11target_archE4294967295ELNS1_3gpuE0ELNS1_3repE0EEENS1_30default_config_static_selectorELNS0_4arch9wavefront6targetE0EEEvSU_
    .private_segment_fixed_size: 0
    .sgpr_count:     0
    .sgpr_spill_count: 0
    .symbol:         _ZN7rocprim17ROCPRIM_400000_NS6detail17trampoline_kernelINS0_14default_configENS1_22reduce_config_selectorIiEEZNS1_11reduce_implILb1ES3_PiS7_iN6hipcub16HIPCUB_304000_NS6detail34convert_binary_result_type_wrapperINS9_3SumENS9_22TransformInputIteratorIbN2at6native12_GLOBAL__N_19NonZeroOpIN3c107complexINSI_4HalfEEEEEPKSL_lEEiEEEE10hipError_tPvRmT1_T2_T3_mT4_P12ihipStream_tbEUlT_E0_NS1_11comp_targetILNS1_3genE0ELNS1_11target_archE4294967295ELNS1_3gpuE0ELNS1_3repE0EEENS1_30default_config_static_selectorELNS0_4arch9wavefront6targetE0EEEvSU_.kd
    .uniform_work_group_size: 1
    .uses_dynamic_stack: false
    .vgpr_count:     0
    .vgpr_spill_count: 0
    .wavefront_size: 32
    .workgroup_processor_mode: 1
  - .args:
      - .offset:         0
        .size:           56
        .value_kind:     by_value
    .group_segment_fixed_size: 0
    .kernarg_segment_align: 8
    .kernarg_segment_size: 56
    .language:       OpenCL C
    .language_version:
      - 2
      - 0
    .max_flat_workgroup_size: 256
    .name:           _ZN7rocprim17ROCPRIM_400000_NS6detail17trampoline_kernelINS0_14default_configENS1_22reduce_config_selectorIiEEZNS1_11reduce_implILb1ES3_PiS7_iN6hipcub16HIPCUB_304000_NS6detail34convert_binary_result_type_wrapperINS9_3SumENS9_22TransformInputIteratorIbN2at6native12_GLOBAL__N_19NonZeroOpIN3c107complexINSI_4HalfEEEEEPKSL_lEEiEEEE10hipError_tPvRmT1_T2_T3_mT4_P12ihipStream_tbEUlT_E0_NS1_11comp_targetILNS1_3genE5ELNS1_11target_archE942ELNS1_3gpuE9ELNS1_3repE0EEENS1_30default_config_static_selectorELNS0_4arch9wavefront6targetE0EEEvSU_
    .private_segment_fixed_size: 0
    .sgpr_count:     0
    .sgpr_spill_count: 0
    .symbol:         _ZN7rocprim17ROCPRIM_400000_NS6detail17trampoline_kernelINS0_14default_configENS1_22reduce_config_selectorIiEEZNS1_11reduce_implILb1ES3_PiS7_iN6hipcub16HIPCUB_304000_NS6detail34convert_binary_result_type_wrapperINS9_3SumENS9_22TransformInputIteratorIbN2at6native12_GLOBAL__N_19NonZeroOpIN3c107complexINSI_4HalfEEEEEPKSL_lEEiEEEE10hipError_tPvRmT1_T2_T3_mT4_P12ihipStream_tbEUlT_E0_NS1_11comp_targetILNS1_3genE5ELNS1_11target_archE942ELNS1_3gpuE9ELNS1_3repE0EEENS1_30default_config_static_selectorELNS0_4arch9wavefront6targetE0EEEvSU_.kd
    .uniform_work_group_size: 1
    .uses_dynamic_stack: false
    .vgpr_count:     0
    .vgpr_spill_count: 0
    .wavefront_size: 32
    .workgroup_processor_mode: 1
  - .args:
      - .offset:         0
        .size:           56
        .value_kind:     by_value
    .group_segment_fixed_size: 0
    .kernarg_segment_align: 8
    .kernarg_segment_size: 56
    .language:       OpenCL C
    .language_version:
      - 2
      - 0
    .max_flat_workgroup_size: 128
    .name:           _ZN7rocprim17ROCPRIM_400000_NS6detail17trampoline_kernelINS0_14default_configENS1_22reduce_config_selectorIiEEZNS1_11reduce_implILb1ES3_PiS7_iN6hipcub16HIPCUB_304000_NS6detail34convert_binary_result_type_wrapperINS9_3SumENS9_22TransformInputIteratorIbN2at6native12_GLOBAL__N_19NonZeroOpIN3c107complexINSI_4HalfEEEEEPKSL_lEEiEEEE10hipError_tPvRmT1_T2_T3_mT4_P12ihipStream_tbEUlT_E0_NS1_11comp_targetILNS1_3genE4ELNS1_11target_archE910ELNS1_3gpuE8ELNS1_3repE0EEENS1_30default_config_static_selectorELNS0_4arch9wavefront6targetE0EEEvSU_
    .private_segment_fixed_size: 0
    .sgpr_count:     0
    .sgpr_spill_count: 0
    .symbol:         _ZN7rocprim17ROCPRIM_400000_NS6detail17trampoline_kernelINS0_14default_configENS1_22reduce_config_selectorIiEEZNS1_11reduce_implILb1ES3_PiS7_iN6hipcub16HIPCUB_304000_NS6detail34convert_binary_result_type_wrapperINS9_3SumENS9_22TransformInputIteratorIbN2at6native12_GLOBAL__N_19NonZeroOpIN3c107complexINSI_4HalfEEEEEPKSL_lEEiEEEE10hipError_tPvRmT1_T2_T3_mT4_P12ihipStream_tbEUlT_E0_NS1_11comp_targetILNS1_3genE4ELNS1_11target_archE910ELNS1_3gpuE8ELNS1_3repE0EEENS1_30default_config_static_selectorELNS0_4arch9wavefront6targetE0EEEvSU_.kd
    .uniform_work_group_size: 1
    .uses_dynamic_stack: false
    .vgpr_count:     0
    .vgpr_spill_count: 0
    .wavefront_size: 32
    .workgroup_processor_mode: 1
  - .args:
      - .offset:         0
        .size:           56
        .value_kind:     by_value
    .group_segment_fixed_size: 0
    .kernarg_segment_align: 8
    .kernarg_segment_size: 56
    .language:       OpenCL C
    .language_version:
      - 2
      - 0
    .max_flat_workgroup_size: 256
    .name:           _ZN7rocprim17ROCPRIM_400000_NS6detail17trampoline_kernelINS0_14default_configENS1_22reduce_config_selectorIiEEZNS1_11reduce_implILb1ES3_PiS7_iN6hipcub16HIPCUB_304000_NS6detail34convert_binary_result_type_wrapperINS9_3SumENS9_22TransformInputIteratorIbN2at6native12_GLOBAL__N_19NonZeroOpIN3c107complexINSI_4HalfEEEEEPKSL_lEEiEEEE10hipError_tPvRmT1_T2_T3_mT4_P12ihipStream_tbEUlT_E0_NS1_11comp_targetILNS1_3genE3ELNS1_11target_archE908ELNS1_3gpuE7ELNS1_3repE0EEENS1_30default_config_static_selectorELNS0_4arch9wavefront6targetE0EEEvSU_
    .private_segment_fixed_size: 0
    .sgpr_count:     0
    .sgpr_spill_count: 0
    .symbol:         _ZN7rocprim17ROCPRIM_400000_NS6detail17trampoline_kernelINS0_14default_configENS1_22reduce_config_selectorIiEEZNS1_11reduce_implILb1ES3_PiS7_iN6hipcub16HIPCUB_304000_NS6detail34convert_binary_result_type_wrapperINS9_3SumENS9_22TransformInputIteratorIbN2at6native12_GLOBAL__N_19NonZeroOpIN3c107complexINSI_4HalfEEEEEPKSL_lEEiEEEE10hipError_tPvRmT1_T2_T3_mT4_P12ihipStream_tbEUlT_E0_NS1_11comp_targetILNS1_3genE3ELNS1_11target_archE908ELNS1_3gpuE7ELNS1_3repE0EEENS1_30default_config_static_selectorELNS0_4arch9wavefront6targetE0EEEvSU_.kd
    .uniform_work_group_size: 1
    .uses_dynamic_stack: false
    .vgpr_count:     0
    .vgpr_spill_count: 0
    .wavefront_size: 32
    .workgroup_processor_mode: 1
  - .args:
      - .offset:         0
        .size:           56
        .value_kind:     by_value
    .group_segment_fixed_size: 0
    .kernarg_segment_align: 8
    .kernarg_segment_size: 56
    .language:       OpenCL C
    .language_version:
      - 2
      - 0
    .max_flat_workgroup_size: 256
    .name:           _ZN7rocprim17ROCPRIM_400000_NS6detail17trampoline_kernelINS0_14default_configENS1_22reduce_config_selectorIiEEZNS1_11reduce_implILb1ES3_PiS7_iN6hipcub16HIPCUB_304000_NS6detail34convert_binary_result_type_wrapperINS9_3SumENS9_22TransformInputIteratorIbN2at6native12_GLOBAL__N_19NonZeroOpIN3c107complexINSI_4HalfEEEEEPKSL_lEEiEEEE10hipError_tPvRmT1_T2_T3_mT4_P12ihipStream_tbEUlT_E0_NS1_11comp_targetILNS1_3genE2ELNS1_11target_archE906ELNS1_3gpuE6ELNS1_3repE0EEENS1_30default_config_static_selectorELNS0_4arch9wavefront6targetE0EEEvSU_
    .private_segment_fixed_size: 0
    .sgpr_count:     0
    .sgpr_spill_count: 0
    .symbol:         _ZN7rocprim17ROCPRIM_400000_NS6detail17trampoline_kernelINS0_14default_configENS1_22reduce_config_selectorIiEEZNS1_11reduce_implILb1ES3_PiS7_iN6hipcub16HIPCUB_304000_NS6detail34convert_binary_result_type_wrapperINS9_3SumENS9_22TransformInputIteratorIbN2at6native12_GLOBAL__N_19NonZeroOpIN3c107complexINSI_4HalfEEEEEPKSL_lEEiEEEE10hipError_tPvRmT1_T2_T3_mT4_P12ihipStream_tbEUlT_E0_NS1_11comp_targetILNS1_3genE2ELNS1_11target_archE906ELNS1_3gpuE6ELNS1_3repE0EEENS1_30default_config_static_selectorELNS0_4arch9wavefront6targetE0EEEvSU_.kd
    .uniform_work_group_size: 1
    .uses_dynamic_stack: false
    .vgpr_count:     0
    .vgpr_spill_count: 0
    .wavefront_size: 32
    .workgroup_processor_mode: 1
  - .args:
      - .offset:         0
        .size:           56
        .value_kind:     by_value
    .group_segment_fixed_size: 0
    .kernarg_segment_align: 8
    .kernarg_segment_size: 56
    .language:       OpenCL C
    .language_version:
      - 2
      - 0
    .max_flat_workgroup_size: 256
    .name:           _ZN7rocprim17ROCPRIM_400000_NS6detail17trampoline_kernelINS0_14default_configENS1_22reduce_config_selectorIiEEZNS1_11reduce_implILb1ES3_PiS7_iN6hipcub16HIPCUB_304000_NS6detail34convert_binary_result_type_wrapperINS9_3SumENS9_22TransformInputIteratorIbN2at6native12_GLOBAL__N_19NonZeroOpIN3c107complexINSI_4HalfEEEEEPKSL_lEEiEEEE10hipError_tPvRmT1_T2_T3_mT4_P12ihipStream_tbEUlT_E0_NS1_11comp_targetILNS1_3genE10ELNS1_11target_archE1201ELNS1_3gpuE5ELNS1_3repE0EEENS1_30default_config_static_selectorELNS0_4arch9wavefront6targetE0EEEvSU_
    .private_segment_fixed_size: 0
    .sgpr_count:     0
    .sgpr_spill_count: 0
    .symbol:         _ZN7rocprim17ROCPRIM_400000_NS6detail17trampoline_kernelINS0_14default_configENS1_22reduce_config_selectorIiEEZNS1_11reduce_implILb1ES3_PiS7_iN6hipcub16HIPCUB_304000_NS6detail34convert_binary_result_type_wrapperINS9_3SumENS9_22TransformInputIteratorIbN2at6native12_GLOBAL__N_19NonZeroOpIN3c107complexINSI_4HalfEEEEEPKSL_lEEiEEEE10hipError_tPvRmT1_T2_T3_mT4_P12ihipStream_tbEUlT_E0_NS1_11comp_targetILNS1_3genE10ELNS1_11target_archE1201ELNS1_3gpuE5ELNS1_3repE0EEENS1_30default_config_static_selectorELNS0_4arch9wavefront6targetE0EEEvSU_.kd
    .uniform_work_group_size: 1
    .uses_dynamic_stack: false
    .vgpr_count:     0
    .vgpr_spill_count: 0
    .wavefront_size: 32
    .workgroup_processor_mode: 1
  - .args:
      - .offset:         0
        .size:           56
        .value_kind:     by_value
    .group_segment_fixed_size: 0
    .kernarg_segment_align: 8
    .kernarg_segment_size: 56
    .language:       OpenCL C
    .language_version:
      - 2
      - 0
    .max_flat_workgroup_size: 256
    .name:           _ZN7rocprim17ROCPRIM_400000_NS6detail17trampoline_kernelINS0_14default_configENS1_22reduce_config_selectorIiEEZNS1_11reduce_implILb1ES3_PiS7_iN6hipcub16HIPCUB_304000_NS6detail34convert_binary_result_type_wrapperINS9_3SumENS9_22TransformInputIteratorIbN2at6native12_GLOBAL__N_19NonZeroOpIN3c107complexINSI_4HalfEEEEEPKSL_lEEiEEEE10hipError_tPvRmT1_T2_T3_mT4_P12ihipStream_tbEUlT_E0_NS1_11comp_targetILNS1_3genE10ELNS1_11target_archE1200ELNS1_3gpuE4ELNS1_3repE0EEENS1_30default_config_static_selectorELNS0_4arch9wavefront6targetE0EEEvSU_
    .private_segment_fixed_size: 0
    .sgpr_count:     0
    .sgpr_spill_count: 0
    .symbol:         _ZN7rocprim17ROCPRIM_400000_NS6detail17trampoline_kernelINS0_14default_configENS1_22reduce_config_selectorIiEEZNS1_11reduce_implILb1ES3_PiS7_iN6hipcub16HIPCUB_304000_NS6detail34convert_binary_result_type_wrapperINS9_3SumENS9_22TransformInputIteratorIbN2at6native12_GLOBAL__N_19NonZeroOpIN3c107complexINSI_4HalfEEEEEPKSL_lEEiEEEE10hipError_tPvRmT1_T2_T3_mT4_P12ihipStream_tbEUlT_E0_NS1_11comp_targetILNS1_3genE10ELNS1_11target_archE1200ELNS1_3gpuE4ELNS1_3repE0EEENS1_30default_config_static_selectorELNS0_4arch9wavefront6targetE0EEEvSU_.kd
    .uniform_work_group_size: 1
    .uses_dynamic_stack: false
    .vgpr_count:     0
    .vgpr_spill_count: 0
    .wavefront_size: 32
    .workgroup_processor_mode: 1
  - .args:
      - .offset:         0
        .size:           56
        .value_kind:     by_value
    .group_segment_fixed_size: 64
    .kernarg_segment_align: 8
    .kernarg_segment_size: 56
    .language:       OpenCL C
    .language_version:
      - 2
      - 0
    .max_flat_workgroup_size: 256
    .name:           _ZN7rocprim17ROCPRIM_400000_NS6detail17trampoline_kernelINS0_14default_configENS1_22reduce_config_selectorIiEEZNS1_11reduce_implILb1ES3_PiS7_iN6hipcub16HIPCUB_304000_NS6detail34convert_binary_result_type_wrapperINS9_3SumENS9_22TransformInputIteratorIbN2at6native12_GLOBAL__N_19NonZeroOpIN3c107complexINSI_4HalfEEEEEPKSL_lEEiEEEE10hipError_tPvRmT1_T2_T3_mT4_P12ihipStream_tbEUlT_E0_NS1_11comp_targetILNS1_3genE9ELNS1_11target_archE1100ELNS1_3gpuE3ELNS1_3repE0EEENS1_30default_config_static_selectorELNS0_4arch9wavefront6targetE0EEEvSU_
    .private_segment_fixed_size: 0
    .sgpr_count:     24
    .sgpr_spill_count: 0
    .symbol:         _ZN7rocprim17ROCPRIM_400000_NS6detail17trampoline_kernelINS0_14default_configENS1_22reduce_config_selectorIiEEZNS1_11reduce_implILb1ES3_PiS7_iN6hipcub16HIPCUB_304000_NS6detail34convert_binary_result_type_wrapperINS9_3SumENS9_22TransformInputIteratorIbN2at6native12_GLOBAL__N_19NonZeroOpIN3c107complexINSI_4HalfEEEEEPKSL_lEEiEEEE10hipError_tPvRmT1_T2_T3_mT4_P12ihipStream_tbEUlT_E0_NS1_11comp_targetILNS1_3genE9ELNS1_11target_archE1100ELNS1_3gpuE3ELNS1_3repE0EEENS1_30default_config_static_selectorELNS0_4arch9wavefront6targetE0EEEvSU_.kd
    .uniform_work_group_size: 1
    .uses_dynamic_stack: false
    .vgpr_count:     12
    .vgpr_spill_count: 0
    .wavefront_size: 32
    .workgroup_processor_mode: 1
  - .args:
      - .offset:         0
        .size:           56
        .value_kind:     by_value
    .group_segment_fixed_size: 0
    .kernarg_segment_align: 8
    .kernarg_segment_size: 56
    .language:       OpenCL C
    .language_version:
      - 2
      - 0
    .max_flat_workgroup_size: 256
    .name:           _ZN7rocprim17ROCPRIM_400000_NS6detail17trampoline_kernelINS0_14default_configENS1_22reduce_config_selectorIiEEZNS1_11reduce_implILb1ES3_PiS7_iN6hipcub16HIPCUB_304000_NS6detail34convert_binary_result_type_wrapperINS9_3SumENS9_22TransformInputIteratorIbN2at6native12_GLOBAL__N_19NonZeroOpIN3c107complexINSI_4HalfEEEEEPKSL_lEEiEEEE10hipError_tPvRmT1_T2_T3_mT4_P12ihipStream_tbEUlT_E0_NS1_11comp_targetILNS1_3genE8ELNS1_11target_archE1030ELNS1_3gpuE2ELNS1_3repE0EEENS1_30default_config_static_selectorELNS0_4arch9wavefront6targetE0EEEvSU_
    .private_segment_fixed_size: 0
    .sgpr_count:     0
    .sgpr_spill_count: 0
    .symbol:         _ZN7rocprim17ROCPRIM_400000_NS6detail17trampoline_kernelINS0_14default_configENS1_22reduce_config_selectorIiEEZNS1_11reduce_implILb1ES3_PiS7_iN6hipcub16HIPCUB_304000_NS6detail34convert_binary_result_type_wrapperINS9_3SumENS9_22TransformInputIteratorIbN2at6native12_GLOBAL__N_19NonZeroOpIN3c107complexINSI_4HalfEEEEEPKSL_lEEiEEEE10hipError_tPvRmT1_T2_T3_mT4_P12ihipStream_tbEUlT_E0_NS1_11comp_targetILNS1_3genE8ELNS1_11target_archE1030ELNS1_3gpuE2ELNS1_3repE0EEENS1_30default_config_static_selectorELNS0_4arch9wavefront6targetE0EEEvSU_.kd
    .uniform_work_group_size: 1
    .uses_dynamic_stack: false
    .vgpr_count:     0
    .vgpr_spill_count: 0
    .wavefront_size: 32
    .workgroup_processor_mode: 1
  - .args:
      - .offset:         0
        .size:           40
        .value_kind:     by_value
    .group_segment_fixed_size: 0
    .kernarg_segment_align: 8
    .kernarg_segment_size: 40
    .language:       OpenCL C
    .language_version:
      - 2
      - 0
    .max_flat_workgroup_size: 256
    .name:           _ZN7rocprim17ROCPRIM_400000_NS6detail17trampoline_kernelINS0_14default_configENS1_22reduce_config_selectorIiEEZNS1_11reduce_implILb1ES3_PiS7_iN6hipcub16HIPCUB_304000_NS6detail34convert_binary_result_type_wrapperINS9_3SumENS9_22TransformInputIteratorIbN2at6native12_GLOBAL__N_19NonZeroOpIN3c107complexINSI_4HalfEEEEEPKSL_lEEiEEEE10hipError_tPvRmT1_T2_T3_mT4_P12ihipStream_tbEUlT_E1_NS1_11comp_targetILNS1_3genE0ELNS1_11target_archE4294967295ELNS1_3gpuE0ELNS1_3repE0EEENS1_30default_config_static_selectorELNS0_4arch9wavefront6targetE0EEEvSU_
    .private_segment_fixed_size: 0
    .sgpr_count:     0
    .sgpr_spill_count: 0
    .symbol:         _ZN7rocprim17ROCPRIM_400000_NS6detail17trampoline_kernelINS0_14default_configENS1_22reduce_config_selectorIiEEZNS1_11reduce_implILb1ES3_PiS7_iN6hipcub16HIPCUB_304000_NS6detail34convert_binary_result_type_wrapperINS9_3SumENS9_22TransformInputIteratorIbN2at6native12_GLOBAL__N_19NonZeroOpIN3c107complexINSI_4HalfEEEEEPKSL_lEEiEEEE10hipError_tPvRmT1_T2_T3_mT4_P12ihipStream_tbEUlT_E1_NS1_11comp_targetILNS1_3genE0ELNS1_11target_archE4294967295ELNS1_3gpuE0ELNS1_3repE0EEENS1_30default_config_static_selectorELNS0_4arch9wavefront6targetE0EEEvSU_.kd
    .uniform_work_group_size: 1
    .uses_dynamic_stack: false
    .vgpr_count:     0
    .vgpr_spill_count: 0
    .wavefront_size: 32
    .workgroup_processor_mode: 1
  - .args:
      - .offset:         0
        .size:           40
        .value_kind:     by_value
    .group_segment_fixed_size: 0
    .kernarg_segment_align: 8
    .kernarg_segment_size: 40
    .language:       OpenCL C
    .language_version:
      - 2
      - 0
    .max_flat_workgroup_size: 256
    .name:           _ZN7rocprim17ROCPRIM_400000_NS6detail17trampoline_kernelINS0_14default_configENS1_22reduce_config_selectorIiEEZNS1_11reduce_implILb1ES3_PiS7_iN6hipcub16HIPCUB_304000_NS6detail34convert_binary_result_type_wrapperINS9_3SumENS9_22TransformInputIteratorIbN2at6native12_GLOBAL__N_19NonZeroOpIN3c107complexINSI_4HalfEEEEEPKSL_lEEiEEEE10hipError_tPvRmT1_T2_T3_mT4_P12ihipStream_tbEUlT_E1_NS1_11comp_targetILNS1_3genE5ELNS1_11target_archE942ELNS1_3gpuE9ELNS1_3repE0EEENS1_30default_config_static_selectorELNS0_4arch9wavefront6targetE0EEEvSU_
    .private_segment_fixed_size: 0
    .sgpr_count:     0
    .sgpr_spill_count: 0
    .symbol:         _ZN7rocprim17ROCPRIM_400000_NS6detail17trampoline_kernelINS0_14default_configENS1_22reduce_config_selectorIiEEZNS1_11reduce_implILb1ES3_PiS7_iN6hipcub16HIPCUB_304000_NS6detail34convert_binary_result_type_wrapperINS9_3SumENS9_22TransformInputIteratorIbN2at6native12_GLOBAL__N_19NonZeroOpIN3c107complexINSI_4HalfEEEEEPKSL_lEEiEEEE10hipError_tPvRmT1_T2_T3_mT4_P12ihipStream_tbEUlT_E1_NS1_11comp_targetILNS1_3genE5ELNS1_11target_archE942ELNS1_3gpuE9ELNS1_3repE0EEENS1_30default_config_static_selectorELNS0_4arch9wavefront6targetE0EEEvSU_.kd
    .uniform_work_group_size: 1
    .uses_dynamic_stack: false
    .vgpr_count:     0
    .vgpr_spill_count: 0
    .wavefront_size: 32
    .workgroup_processor_mode: 1
  - .args:
      - .offset:         0
        .size:           40
        .value_kind:     by_value
    .group_segment_fixed_size: 0
    .kernarg_segment_align: 8
    .kernarg_segment_size: 40
    .language:       OpenCL C
    .language_version:
      - 2
      - 0
    .max_flat_workgroup_size: 128
    .name:           _ZN7rocprim17ROCPRIM_400000_NS6detail17trampoline_kernelINS0_14default_configENS1_22reduce_config_selectorIiEEZNS1_11reduce_implILb1ES3_PiS7_iN6hipcub16HIPCUB_304000_NS6detail34convert_binary_result_type_wrapperINS9_3SumENS9_22TransformInputIteratorIbN2at6native12_GLOBAL__N_19NonZeroOpIN3c107complexINSI_4HalfEEEEEPKSL_lEEiEEEE10hipError_tPvRmT1_T2_T3_mT4_P12ihipStream_tbEUlT_E1_NS1_11comp_targetILNS1_3genE4ELNS1_11target_archE910ELNS1_3gpuE8ELNS1_3repE0EEENS1_30default_config_static_selectorELNS0_4arch9wavefront6targetE0EEEvSU_
    .private_segment_fixed_size: 0
    .sgpr_count:     0
    .sgpr_spill_count: 0
    .symbol:         _ZN7rocprim17ROCPRIM_400000_NS6detail17trampoline_kernelINS0_14default_configENS1_22reduce_config_selectorIiEEZNS1_11reduce_implILb1ES3_PiS7_iN6hipcub16HIPCUB_304000_NS6detail34convert_binary_result_type_wrapperINS9_3SumENS9_22TransformInputIteratorIbN2at6native12_GLOBAL__N_19NonZeroOpIN3c107complexINSI_4HalfEEEEEPKSL_lEEiEEEE10hipError_tPvRmT1_T2_T3_mT4_P12ihipStream_tbEUlT_E1_NS1_11comp_targetILNS1_3genE4ELNS1_11target_archE910ELNS1_3gpuE8ELNS1_3repE0EEENS1_30default_config_static_selectorELNS0_4arch9wavefront6targetE0EEEvSU_.kd
    .uniform_work_group_size: 1
    .uses_dynamic_stack: false
    .vgpr_count:     0
    .vgpr_spill_count: 0
    .wavefront_size: 32
    .workgroup_processor_mode: 1
  - .args:
      - .offset:         0
        .size:           40
        .value_kind:     by_value
    .group_segment_fixed_size: 0
    .kernarg_segment_align: 8
    .kernarg_segment_size: 40
    .language:       OpenCL C
    .language_version:
      - 2
      - 0
    .max_flat_workgroup_size: 256
    .name:           _ZN7rocprim17ROCPRIM_400000_NS6detail17trampoline_kernelINS0_14default_configENS1_22reduce_config_selectorIiEEZNS1_11reduce_implILb1ES3_PiS7_iN6hipcub16HIPCUB_304000_NS6detail34convert_binary_result_type_wrapperINS9_3SumENS9_22TransformInputIteratorIbN2at6native12_GLOBAL__N_19NonZeroOpIN3c107complexINSI_4HalfEEEEEPKSL_lEEiEEEE10hipError_tPvRmT1_T2_T3_mT4_P12ihipStream_tbEUlT_E1_NS1_11comp_targetILNS1_3genE3ELNS1_11target_archE908ELNS1_3gpuE7ELNS1_3repE0EEENS1_30default_config_static_selectorELNS0_4arch9wavefront6targetE0EEEvSU_
    .private_segment_fixed_size: 0
    .sgpr_count:     0
    .sgpr_spill_count: 0
    .symbol:         _ZN7rocprim17ROCPRIM_400000_NS6detail17trampoline_kernelINS0_14default_configENS1_22reduce_config_selectorIiEEZNS1_11reduce_implILb1ES3_PiS7_iN6hipcub16HIPCUB_304000_NS6detail34convert_binary_result_type_wrapperINS9_3SumENS9_22TransformInputIteratorIbN2at6native12_GLOBAL__N_19NonZeroOpIN3c107complexINSI_4HalfEEEEEPKSL_lEEiEEEE10hipError_tPvRmT1_T2_T3_mT4_P12ihipStream_tbEUlT_E1_NS1_11comp_targetILNS1_3genE3ELNS1_11target_archE908ELNS1_3gpuE7ELNS1_3repE0EEENS1_30default_config_static_selectorELNS0_4arch9wavefront6targetE0EEEvSU_.kd
    .uniform_work_group_size: 1
    .uses_dynamic_stack: false
    .vgpr_count:     0
    .vgpr_spill_count: 0
    .wavefront_size: 32
    .workgroup_processor_mode: 1
  - .args:
      - .offset:         0
        .size:           40
        .value_kind:     by_value
    .group_segment_fixed_size: 0
    .kernarg_segment_align: 8
    .kernarg_segment_size: 40
    .language:       OpenCL C
    .language_version:
      - 2
      - 0
    .max_flat_workgroup_size: 256
    .name:           _ZN7rocprim17ROCPRIM_400000_NS6detail17trampoline_kernelINS0_14default_configENS1_22reduce_config_selectorIiEEZNS1_11reduce_implILb1ES3_PiS7_iN6hipcub16HIPCUB_304000_NS6detail34convert_binary_result_type_wrapperINS9_3SumENS9_22TransformInputIteratorIbN2at6native12_GLOBAL__N_19NonZeroOpIN3c107complexINSI_4HalfEEEEEPKSL_lEEiEEEE10hipError_tPvRmT1_T2_T3_mT4_P12ihipStream_tbEUlT_E1_NS1_11comp_targetILNS1_3genE2ELNS1_11target_archE906ELNS1_3gpuE6ELNS1_3repE0EEENS1_30default_config_static_selectorELNS0_4arch9wavefront6targetE0EEEvSU_
    .private_segment_fixed_size: 0
    .sgpr_count:     0
    .sgpr_spill_count: 0
    .symbol:         _ZN7rocprim17ROCPRIM_400000_NS6detail17trampoline_kernelINS0_14default_configENS1_22reduce_config_selectorIiEEZNS1_11reduce_implILb1ES3_PiS7_iN6hipcub16HIPCUB_304000_NS6detail34convert_binary_result_type_wrapperINS9_3SumENS9_22TransformInputIteratorIbN2at6native12_GLOBAL__N_19NonZeroOpIN3c107complexINSI_4HalfEEEEEPKSL_lEEiEEEE10hipError_tPvRmT1_T2_T3_mT4_P12ihipStream_tbEUlT_E1_NS1_11comp_targetILNS1_3genE2ELNS1_11target_archE906ELNS1_3gpuE6ELNS1_3repE0EEENS1_30default_config_static_selectorELNS0_4arch9wavefront6targetE0EEEvSU_.kd
    .uniform_work_group_size: 1
    .uses_dynamic_stack: false
    .vgpr_count:     0
    .vgpr_spill_count: 0
    .wavefront_size: 32
    .workgroup_processor_mode: 1
  - .args:
      - .offset:         0
        .size:           40
        .value_kind:     by_value
    .group_segment_fixed_size: 0
    .kernarg_segment_align: 8
    .kernarg_segment_size: 40
    .language:       OpenCL C
    .language_version:
      - 2
      - 0
    .max_flat_workgroup_size: 256
    .name:           _ZN7rocprim17ROCPRIM_400000_NS6detail17trampoline_kernelINS0_14default_configENS1_22reduce_config_selectorIiEEZNS1_11reduce_implILb1ES3_PiS7_iN6hipcub16HIPCUB_304000_NS6detail34convert_binary_result_type_wrapperINS9_3SumENS9_22TransformInputIteratorIbN2at6native12_GLOBAL__N_19NonZeroOpIN3c107complexINSI_4HalfEEEEEPKSL_lEEiEEEE10hipError_tPvRmT1_T2_T3_mT4_P12ihipStream_tbEUlT_E1_NS1_11comp_targetILNS1_3genE10ELNS1_11target_archE1201ELNS1_3gpuE5ELNS1_3repE0EEENS1_30default_config_static_selectorELNS0_4arch9wavefront6targetE0EEEvSU_
    .private_segment_fixed_size: 0
    .sgpr_count:     0
    .sgpr_spill_count: 0
    .symbol:         _ZN7rocprim17ROCPRIM_400000_NS6detail17trampoline_kernelINS0_14default_configENS1_22reduce_config_selectorIiEEZNS1_11reduce_implILb1ES3_PiS7_iN6hipcub16HIPCUB_304000_NS6detail34convert_binary_result_type_wrapperINS9_3SumENS9_22TransformInputIteratorIbN2at6native12_GLOBAL__N_19NonZeroOpIN3c107complexINSI_4HalfEEEEEPKSL_lEEiEEEE10hipError_tPvRmT1_T2_T3_mT4_P12ihipStream_tbEUlT_E1_NS1_11comp_targetILNS1_3genE10ELNS1_11target_archE1201ELNS1_3gpuE5ELNS1_3repE0EEENS1_30default_config_static_selectorELNS0_4arch9wavefront6targetE0EEEvSU_.kd
    .uniform_work_group_size: 1
    .uses_dynamic_stack: false
    .vgpr_count:     0
    .vgpr_spill_count: 0
    .wavefront_size: 32
    .workgroup_processor_mode: 1
  - .args:
      - .offset:         0
        .size:           40
        .value_kind:     by_value
    .group_segment_fixed_size: 0
    .kernarg_segment_align: 8
    .kernarg_segment_size: 40
    .language:       OpenCL C
    .language_version:
      - 2
      - 0
    .max_flat_workgroup_size: 256
    .name:           _ZN7rocprim17ROCPRIM_400000_NS6detail17trampoline_kernelINS0_14default_configENS1_22reduce_config_selectorIiEEZNS1_11reduce_implILb1ES3_PiS7_iN6hipcub16HIPCUB_304000_NS6detail34convert_binary_result_type_wrapperINS9_3SumENS9_22TransformInputIteratorIbN2at6native12_GLOBAL__N_19NonZeroOpIN3c107complexINSI_4HalfEEEEEPKSL_lEEiEEEE10hipError_tPvRmT1_T2_T3_mT4_P12ihipStream_tbEUlT_E1_NS1_11comp_targetILNS1_3genE10ELNS1_11target_archE1200ELNS1_3gpuE4ELNS1_3repE0EEENS1_30default_config_static_selectorELNS0_4arch9wavefront6targetE0EEEvSU_
    .private_segment_fixed_size: 0
    .sgpr_count:     0
    .sgpr_spill_count: 0
    .symbol:         _ZN7rocprim17ROCPRIM_400000_NS6detail17trampoline_kernelINS0_14default_configENS1_22reduce_config_selectorIiEEZNS1_11reduce_implILb1ES3_PiS7_iN6hipcub16HIPCUB_304000_NS6detail34convert_binary_result_type_wrapperINS9_3SumENS9_22TransformInputIteratorIbN2at6native12_GLOBAL__N_19NonZeroOpIN3c107complexINSI_4HalfEEEEEPKSL_lEEiEEEE10hipError_tPvRmT1_T2_T3_mT4_P12ihipStream_tbEUlT_E1_NS1_11comp_targetILNS1_3genE10ELNS1_11target_archE1200ELNS1_3gpuE4ELNS1_3repE0EEENS1_30default_config_static_selectorELNS0_4arch9wavefront6targetE0EEEvSU_.kd
    .uniform_work_group_size: 1
    .uses_dynamic_stack: false
    .vgpr_count:     0
    .vgpr_spill_count: 0
    .wavefront_size: 32
    .workgroup_processor_mode: 1
  - .args:
      - .offset:         0
        .size:           40
        .value_kind:     by_value
    .group_segment_fixed_size: 224
    .kernarg_segment_align: 8
    .kernarg_segment_size: 40
    .language:       OpenCL C
    .language_version:
      - 2
      - 0
    .max_flat_workgroup_size: 256
    .name:           _ZN7rocprim17ROCPRIM_400000_NS6detail17trampoline_kernelINS0_14default_configENS1_22reduce_config_selectorIiEEZNS1_11reduce_implILb1ES3_PiS7_iN6hipcub16HIPCUB_304000_NS6detail34convert_binary_result_type_wrapperINS9_3SumENS9_22TransformInputIteratorIbN2at6native12_GLOBAL__N_19NonZeroOpIN3c107complexINSI_4HalfEEEEEPKSL_lEEiEEEE10hipError_tPvRmT1_T2_T3_mT4_P12ihipStream_tbEUlT_E1_NS1_11comp_targetILNS1_3genE9ELNS1_11target_archE1100ELNS1_3gpuE3ELNS1_3repE0EEENS1_30default_config_static_selectorELNS0_4arch9wavefront6targetE0EEEvSU_
    .private_segment_fixed_size: 0
    .sgpr_count:     29
    .sgpr_spill_count: 0
    .symbol:         _ZN7rocprim17ROCPRIM_400000_NS6detail17trampoline_kernelINS0_14default_configENS1_22reduce_config_selectorIiEEZNS1_11reduce_implILb1ES3_PiS7_iN6hipcub16HIPCUB_304000_NS6detail34convert_binary_result_type_wrapperINS9_3SumENS9_22TransformInputIteratorIbN2at6native12_GLOBAL__N_19NonZeroOpIN3c107complexINSI_4HalfEEEEEPKSL_lEEiEEEE10hipError_tPvRmT1_T2_T3_mT4_P12ihipStream_tbEUlT_E1_NS1_11comp_targetILNS1_3genE9ELNS1_11target_archE1100ELNS1_3gpuE3ELNS1_3repE0EEENS1_30default_config_static_selectorELNS0_4arch9wavefront6targetE0EEEvSU_.kd
    .uniform_work_group_size: 1
    .uses_dynamic_stack: false
    .vgpr_count:     34
    .vgpr_spill_count: 0
    .wavefront_size: 32
    .workgroup_processor_mode: 1
  - .args:
      - .offset:         0
        .size:           40
        .value_kind:     by_value
    .group_segment_fixed_size: 0
    .kernarg_segment_align: 8
    .kernarg_segment_size: 40
    .language:       OpenCL C
    .language_version:
      - 2
      - 0
    .max_flat_workgroup_size: 256
    .name:           _ZN7rocprim17ROCPRIM_400000_NS6detail17trampoline_kernelINS0_14default_configENS1_22reduce_config_selectorIiEEZNS1_11reduce_implILb1ES3_PiS7_iN6hipcub16HIPCUB_304000_NS6detail34convert_binary_result_type_wrapperINS9_3SumENS9_22TransformInputIteratorIbN2at6native12_GLOBAL__N_19NonZeroOpIN3c107complexINSI_4HalfEEEEEPKSL_lEEiEEEE10hipError_tPvRmT1_T2_T3_mT4_P12ihipStream_tbEUlT_E1_NS1_11comp_targetILNS1_3genE8ELNS1_11target_archE1030ELNS1_3gpuE2ELNS1_3repE0EEENS1_30default_config_static_selectorELNS0_4arch9wavefront6targetE0EEEvSU_
    .private_segment_fixed_size: 0
    .sgpr_count:     0
    .sgpr_spill_count: 0
    .symbol:         _ZN7rocprim17ROCPRIM_400000_NS6detail17trampoline_kernelINS0_14default_configENS1_22reduce_config_selectorIiEEZNS1_11reduce_implILb1ES3_PiS7_iN6hipcub16HIPCUB_304000_NS6detail34convert_binary_result_type_wrapperINS9_3SumENS9_22TransformInputIteratorIbN2at6native12_GLOBAL__N_19NonZeroOpIN3c107complexINSI_4HalfEEEEEPKSL_lEEiEEEE10hipError_tPvRmT1_T2_T3_mT4_P12ihipStream_tbEUlT_E1_NS1_11comp_targetILNS1_3genE8ELNS1_11target_archE1030ELNS1_3gpuE2ELNS1_3repE0EEENS1_30default_config_static_selectorELNS0_4arch9wavefront6targetE0EEEvSU_.kd
    .uniform_work_group_size: 1
    .uses_dynamic_stack: false
    .vgpr_count:     0
    .vgpr_spill_count: 0
    .wavefront_size: 32
    .workgroup_processor_mode: 1
  - .args:
      - .offset:         0
        .size:           64
        .value_kind:     by_value
    .group_segment_fixed_size: 0
    .kernarg_segment_align: 8
    .kernarg_segment_size: 64
    .language:       OpenCL C
    .language_version:
      - 2
      - 0
    .max_flat_workgroup_size: 256
    .name:           _ZN7rocprim17ROCPRIM_400000_NS6detail17trampoline_kernelINS0_14default_configENS1_22reduce_config_selectorIbEEZNS1_11reduce_implILb1ES3_N6hipcub16HIPCUB_304000_NS22TransformInputIteratorIbN2at6native12_GLOBAL__N_19NonZeroOpIN3c107complexINSE_4HalfEEEEEPKSH_lEEPiiNS8_6detail34convert_binary_result_type_wrapperINS8_3SumESL_iEEEE10hipError_tPvRmT1_T2_T3_mT4_P12ihipStream_tbEUlT_E0_NS1_11comp_targetILNS1_3genE0ELNS1_11target_archE4294967295ELNS1_3gpuE0ELNS1_3repE0EEENS1_30default_config_static_selectorELNS0_4arch9wavefront6targetE0EEEvSU_
    .private_segment_fixed_size: 0
    .sgpr_count:     0
    .sgpr_spill_count: 0
    .symbol:         _ZN7rocprim17ROCPRIM_400000_NS6detail17trampoline_kernelINS0_14default_configENS1_22reduce_config_selectorIbEEZNS1_11reduce_implILb1ES3_N6hipcub16HIPCUB_304000_NS22TransformInputIteratorIbN2at6native12_GLOBAL__N_19NonZeroOpIN3c107complexINSE_4HalfEEEEEPKSH_lEEPiiNS8_6detail34convert_binary_result_type_wrapperINS8_3SumESL_iEEEE10hipError_tPvRmT1_T2_T3_mT4_P12ihipStream_tbEUlT_E0_NS1_11comp_targetILNS1_3genE0ELNS1_11target_archE4294967295ELNS1_3gpuE0ELNS1_3repE0EEENS1_30default_config_static_selectorELNS0_4arch9wavefront6targetE0EEEvSU_.kd
    .uniform_work_group_size: 1
    .uses_dynamic_stack: false
    .vgpr_count:     0
    .vgpr_spill_count: 0
    .wavefront_size: 32
    .workgroup_processor_mode: 1
  - .args:
      - .offset:         0
        .size:           64
        .value_kind:     by_value
    .group_segment_fixed_size: 0
    .kernarg_segment_align: 8
    .kernarg_segment_size: 64
    .language:       OpenCL C
    .language_version:
      - 2
      - 0
    .max_flat_workgroup_size: 256
    .name:           _ZN7rocprim17ROCPRIM_400000_NS6detail17trampoline_kernelINS0_14default_configENS1_22reduce_config_selectorIbEEZNS1_11reduce_implILb1ES3_N6hipcub16HIPCUB_304000_NS22TransformInputIteratorIbN2at6native12_GLOBAL__N_19NonZeroOpIN3c107complexINSE_4HalfEEEEEPKSH_lEEPiiNS8_6detail34convert_binary_result_type_wrapperINS8_3SumESL_iEEEE10hipError_tPvRmT1_T2_T3_mT4_P12ihipStream_tbEUlT_E0_NS1_11comp_targetILNS1_3genE5ELNS1_11target_archE942ELNS1_3gpuE9ELNS1_3repE0EEENS1_30default_config_static_selectorELNS0_4arch9wavefront6targetE0EEEvSU_
    .private_segment_fixed_size: 0
    .sgpr_count:     0
    .sgpr_spill_count: 0
    .symbol:         _ZN7rocprim17ROCPRIM_400000_NS6detail17trampoline_kernelINS0_14default_configENS1_22reduce_config_selectorIbEEZNS1_11reduce_implILb1ES3_N6hipcub16HIPCUB_304000_NS22TransformInputIteratorIbN2at6native12_GLOBAL__N_19NonZeroOpIN3c107complexINSE_4HalfEEEEEPKSH_lEEPiiNS8_6detail34convert_binary_result_type_wrapperINS8_3SumESL_iEEEE10hipError_tPvRmT1_T2_T3_mT4_P12ihipStream_tbEUlT_E0_NS1_11comp_targetILNS1_3genE5ELNS1_11target_archE942ELNS1_3gpuE9ELNS1_3repE0EEENS1_30default_config_static_selectorELNS0_4arch9wavefront6targetE0EEEvSU_.kd
    .uniform_work_group_size: 1
    .uses_dynamic_stack: false
    .vgpr_count:     0
    .vgpr_spill_count: 0
    .wavefront_size: 32
    .workgroup_processor_mode: 1
  - .args:
      - .offset:         0
        .size:           64
        .value_kind:     by_value
    .group_segment_fixed_size: 0
    .kernarg_segment_align: 8
    .kernarg_segment_size: 64
    .language:       OpenCL C
    .language_version:
      - 2
      - 0
    .max_flat_workgroup_size: 128
    .name:           _ZN7rocprim17ROCPRIM_400000_NS6detail17trampoline_kernelINS0_14default_configENS1_22reduce_config_selectorIbEEZNS1_11reduce_implILb1ES3_N6hipcub16HIPCUB_304000_NS22TransformInputIteratorIbN2at6native12_GLOBAL__N_19NonZeroOpIN3c107complexINSE_4HalfEEEEEPKSH_lEEPiiNS8_6detail34convert_binary_result_type_wrapperINS8_3SumESL_iEEEE10hipError_tPvRmT1_T2_T3_mT4_P12ihipStream_tbEUlT_E0_NS1_11comp_targetILNS1_3genE4ELNS1_11target_archE910ELNS1_3gpuE8ELNS1_3repE0EEENS1_30default_config_static_selectorELNS0_4arch9wavefront6targetE0EEEvSU_
    .private_segment_fixed_size: 0
    .sgpr_count:     0
    .sgpr_spill_count: 0
    .symbol:         _ZN7rocprim17ROCPRIM_400000_NS6detail17trampoline_kernelINS0_14default_configENS1_22reduce_config_selectorIbEEZNS1_11reduce_implILb1ES3_N6hipcub16HIPCUB_304000_NS22TransformInputIteratorIbN2at6native12_GLOBAL__N_19NonZeroOpIN3c107complexINSE_4HalfEEEEEPKSH_lEEPiiNS8_6detail34convert_binary_result_type_wrapperINS8_3SumESL_iEEEE10hipError_tPvRmT1_T2_T3_mT4_P12ihipStream_tbEUlT_E0_NS1_11comp_targetILNS1_3genE4ELNS1_11target_archE910ELNS1_3gpuE8ELNS1_3repE0EEENS1_30default_config_static_selectorELNS0_4arch9wavefront6targetE0EEEvSU_.kd
    .uniform_work_group_size: 1
    .uses_dynamic_stack: false
    .vgpr_count:     0
    .vgpr_spill_count: 0
    .wavefront_size: 32
    .workgroup_processor_mode: 1
  - .args:
      - .offset:         0
        .size:           64
        .value_kind:     by_value
    .group_segment_fixed_size: 0
    .kernarg_segment_align: 8
    .kernarg_segment_size: 64
    .language:       OpenCL C
    .language_version:
      - 2
      - 0
    .max_flat_workgroup_size: 256
    .name:           _ZN7rocprim17ROCPRIM_400000_NS6detail17trampoline_kernelINS0_14default_configENS1_22reduce_config_selectorIbEEZNS1_11reduce_implILb1ES3_N6hipcub16HIPCUB_304000_NS22TransformInputIteratorIbN2at6native12_GLOBAL__N_19NonZeroOpIN3c107complexINSE_4HalfEEEEEPKSH_lEEPiiNS8_6detail34convert_binary_result_type_wrapperINS8_3SumESL_iEEEE10hipError_tPvRmT1_T2_T3_mT4_P12ihipStream_tbEUlT_E0_NS1_11comp_targetILNS1_3genE3ELNS1_11target_archE908ELNS1_3gpuE7ELNS1_3repE0EEENS1_30default_config_static_selectorELNS0_4arch9wavefront6targetE0EEEvSU_
    .private_segment_fixed_size: 0
    .sgpr_count:     0
    .sgpr_spill_count: 0
    .symbol:         _ZN7rocprim17ROCPRIM_400000_NS6detail17trampoline_kernelINS0_14default_configENS1_22reduce_config_selectorIbEEZNS1_11reduce_implILb1ES3_N6hipcub16HIPCUB_304000_NS22TransformInputIteratorIbN2at6native12_GLOBAL__N_19NonZeroOpIN3c107complexINSE_4HalfEEEEEPKSH_lEEPiiNS8_6detail34convert_binary_result_type_wrapperINS8_3SumESL_iEEEE10hipError_tPvRmT1_T2_T3_mT4_P12ihipStream_tbEUlT_E0_NS1_11comp_targetILNS1_3genE3ELNS1_11target_archE908ELNS1_3gpuE7ELNS1_3repE0EEENS1_30default_config_static_selectorELNS0_4arch9wavefront6targetE0EEEvSU_.kd
    .uniform_work_group_size: 1
    .uses_dynamic_stack: false
    .vgpr_count:     0
    .vgpr_spill_count: 0
    .wavefront_size: 32
    .workgroup_processor_mode: 1
  - .args:
      - .offset:         0
        .size:           64
        .value_kind:     by_value
    .group_segment_fixed_size: 0
    .kernarg_segment_align: 8
    .kernarg_segment_size: 64
    .language:       OpenCL C
    .language_version:
      - 2
      - 0
    .max_flat_workgroup_size: 128
    .name:           _ZN7rocprim17ROCPRIM_400000_NS6detail17trampoline_kernelINS0_14default_configENS1_22reduce_config_selectorIbEEZNS1_11reduce_implILb1ES3_N6hipcub16HIPCUB_304000_NS22TransformInputIteratorIbN2at6native12_GLOBAL__N_19NonZeroOpIN3c107complexINSE_4HalfEEEEEPKSH_lEEPiiNS8_6detail34convert_binary_result_type_wrapperINS8_3SumESL_iEEEE10hipError_tPvRmT1_T2_T3_mT4_P12ihipStream_tbEUlT_E0_NS1_11comp_targetILNS1_3genE2ELNS1_11target_archE906ELNS1_3gpuE6ELNS1_3repE0EEENS1_30default_config_static_selectorELNS0_4arch9wavefront6targetE0EEEvSU_
    .private_segment_fixed_size: 0
    .sgpr_count:     0
    .sgpr_spill_count: 0
    .symbol:         _ZN7rocprim17ROCPRIM_400000_NS6detail17trampoline_kernelINS0_14default_configENS1_22reduce_config_selectorIbEEZNS1_11reduce_implILb1ES3_N6hipcub16HIPCUB_304000_NS22TransformInputIteratorIbN2at6native12_GLOBAL__N_19NonZeroOpIN3c107complexINSE_4HalfEEEEEPKSH_lEEPiiNS8_6detail34convert_binary_result_type_wrapperINS8_3SumESL_iEEEE10hipError_tPvRmT1_T2_T3_mT4_P12ihipStream_tbEUlT_E0_NS1_11comp_targetILNS1_3genE2ELNS1_11target_archE906ELNS1_3gpuE6ELNS1_3repE0EEENS1_30default_config_static_selectorELNS0_4arch9wavefront6targetE0EEEvSU_.kd
    .uniform_work_group_size: 1
    .uses_dynamic_stack: false
    .vgpr_count:     0
    .vgpr_spill_count: 0
    .wavefront_size: 32
    .workgroup_processor_mode: 1
  - .args:
      - .offset:         0
        .size:           64
        .value_kind:     by_value
    .group_segment_fixed_size: 0
    .kernarg_segment_align: 8
    .kernarg_segment_size: 64
    .language:       OpenCL C
    .language_version:
      - 2
      - 0
    .max_flat_workgroup_size: 256
    .name:           _ZN7rocprim17ROCPRIM_400000_NS6detail17trampoline_kernelINS0_14default_configENS1_22reduce_config_selectorIbEEZNS1_11reduce_implILb1ES3_N6hipcub16HIPCUB_304000_NS22TransformInputIteratorIbN2at6native12_GLOBAL__N_19NonZeroOpIN3c107complexINSE_4HalfEEEEEPKSH_lEEPiiNS8_6detail34convert_binary_result_type_wrapperINS8_3SumESL_iEEEE10hipError_tPvRmT1_T2_T3_mT4_P12ihipStream_tbEUlT_E0_NS1_11comp_targetILNS1_3genE10ELNS1_11target_archE1201ELNS1_3gpuE5ELNS1_3repE0EEENS1_30default_config_static_selectorELNS0_4arch9wavefront6targetE0EEEvSU_
    .private_segment_fixed_size: 0
    .sgpr_count:     0
    .sgpr_spill_count: 0
    .symbol:         _ZN7rocprim17ROCPRIM_400000_NS6detail17trampoline_kernelINS0_14default_configENS1_22reduce_config_selectorIbEEZNS1_11reduce_implILb1ES3_N6hipcub16HIPCUB_304000_NS22TransformInputIteratorIbN2at6native12_GLOBAL__N_19NonZeroOpIN3c107complexINSE_4HalfEEEEEPKSH_lEEPiiNS8_6detail34convert_binary_result_type_wrapperINS8_3SumESL_iEEEE10hipError_tPvRmT1_T2_T3_mT4_P12ihipStream_tbEUlT_E0_NS1_11comp_targetILNS1_3genE10ELNS1_11target_archE1201ELNS1_3gpuE5ELNS1_3repE0EEENS1_30default_config_static_selectorELNS0_4arch9wavefront6targetE0EEEvSU_.kd
    .uniform_work_group_size: 1
    .uses_dynamic_stack: false
    .vgpr_count:     0
    .vgpr_spill_count: 0
    .wavefront_size: 32
    .workgroup_processor_mode: 1
  - .args:
      - .offset:         0
        .size:           64
        .value_kind:     by_value
    .group_segment_fixed_size: 0
    .kernarg_segment_align: 8
    .kernarg_segment_size: 64
    .language:       OpenCL C
    .language_version:
      - 2
      - 0
    .max_flat_workgroup_size: 256
    .name:           _ZN7rocprim17ROCPRIM_400000_NS6detail17trampoline_kernelINS0_14default_configENS1_22reduce_config_selectorIbEEZNS1_11reduce_implILb1ES3_N6hipcub16HIPCUB_304000_NS22TransformInputIteratorIbN2at6native12_GLOBAL__N_19NonZeroOpIN3c107complexINSE_4HalfEEEEEPKSH_lEEPiiNS8_6detail34convert_binary_result_type_wrapperINS8_3SumESL_iEEEE10hipError_tPvRmT1_T2_T3_mT4_P12ihipStream_tbEUlT_E0_NS1_11comp_targetILNS1_3genE10ELNS1_11target_archE1200ELNS1_3gpuE4ELNS1_3repE0EEENS1_30default_config_static_selectorELNS0_4arch9wavefront6targetE0EEEvSU_
    .private_segment_fixed_size: 0
    .sgpr_count:     0
    .sgpr_spill_count: 0
    .symbol:         _ZN7rocprim17ROCPRIM_400000_NS6detail17trampoline_kernelINS0_14default_configENS1_22reduce_config_selectorIbEEZNS1_11reduce_implILb1ES3_N6hipcub16HIPCUB_304000_NS22TransformInputIteratorIbN2at6native12_GLOBAL__N_19NonZeroOpIN3c107complexINSE_4HalfEEEEEPKSH_lEEPiiNS8_6detail34convert_binary_result_type_wrapperINS8_3SumESL_iEEEE10hipError_tPvRmT1_T2_T3_mT4_P12ihipStream_tbEUlT_E0_NS1_11comp_targetILNS1_3genE10ELNS1_11target_archE1200ELNS1_3gpuE4ELNS1_3repE0EEENS1_30default_config_static_selectorELNS0_4arch9wavefront6targetE0EEEvSU_.kd
    .uniform_work_group_size: 1
    .uses_dynamic_stack: false
    .vgpr_count:     0
    .vgpr_spill_count: 0
    .wavefront_size: 32
    .workgroup_processor_mode: 1
  - .args:
      - .offset:         0
        .size:           64
        .value_kind:     by_value
    .group_segment_fixed_size: 32
    .kernarg_segment_align: 8
    .kernarg_segment_size: 64
    .language:       OpenCL C
    .language_version:
      - 2
      - 0
    .max_flat_workgroup_size: 128
    .name:           _ZN7rocprim17ROCPRIM_400000_NS6detail17trampoline_kernelINS0_14default_configENS1_22reduce_config_selectorIbEEZNS1_11reduce_implILb1ES3_N6hipcub16HIPCUB_304000_NS22TransformInputIteratorIbN2at6native12_GLOBAL__N_19NonZeroOpIN3c107complexINSE_4HalfEEEEEPKSH_lEEPiiNS8_6detail34convert_binary_result_type_wrapperINS8_3SumESL_iEEEE10hipError_tPvRmT1_T2_T3_mT4_P12ihipStream_tbEUlT_E0_NS1_11comp_targetILNS1_3genE9ELNS1_11target_archE1100ELNS1_3gpuE3ELNS1_3repE0EEENS1_30default_config_static_selectorELNS0_4arch9wavefront6targetE0EEEvSU_
    .private_segment_fixed_size: 0
    .sgpr_count:     32
    .sgpr_spill_count: 0
    .symbol:         _ZN7rocprim17ROCPRIM_400000_NS6detail17trampoline_kernelINS0_14default_configENS1_22reduce_config_selectorIbEEZNS1_11reduce_implILb1ES3_N6hipcub16HIPCUB_304000_NS22TransformInputIteratorIbN2at6native12_GLOBAL__N_19NonZeroOpIN3c107complexINSE_4HalfEEEEEPKSH_lEEPiiNS8_6detail34convert_binary_result_type_wrapperINS8_3SumESL_iEEEE10hipError_tPvRmT1_T2_T3_mT4_P12ihipStream_tbEUlT_E0_NS1_11comp_targetILNS1_3genE9ELNS1_11target_archE1100ELNS1_3gpuE3ELNS1_3repE0EEENS1_30default_config_static_selectorELNS0_4arch9wavefront6targetE0EEEvSU_.kd
    .uniform_work_group_size: 1
    .uses_dynamic_stack: false
    .vgpr_count:     27
    .vgpr_spill_count: 0
    .wavefront_size: 32
    .workgroup_processor_mode: 1
  - .args:
      - .offset:         0
        .size:           64
        .value_kind:     by_value
    .group_segment_fixed_size: 0
    .kernarg_segment_align: 8
    .kernarg_segment_size: 64
    .language:       OpenCL C
    .language_version:
      - 2
      - 0
    .max_flat_workgroup_size: 256
    .name:           _ZN7rocprim17ROCPRIM_400000_NS6detail17trampoline_kernelINS0_14default_configENS1_22reduce_config_selectorIbEEZNS1_11reduce_implILb1ES3_N6hipcub16HIPCUB_304000_NS22TransformInputIteratorIbN2at6native12_GLOBAL__N_19NonZeroOpIN3c107complexINSE_4HalfEEEEEPKSH_lEEPiiNS8_6detail34convert_binary_result_type_wrapperINS8_3SumESL_iEEEE10hipError_tPvRmT1_T2_T3_mT4_P12ihipStream_tbEUlT_E0_NS1_11comp_targetILNS1_3genE8ELNS1_11target_archE1030ELNS1_3gpuE2ELNS1_3repE0EEENS1_30default_config_static_selectorELNS0_4arch9wavefront6targetE0EEEvSU_
    .private_segment_fixed_size: 0
    .sgpr_count:     0
    .sgpr_spill_count: 0
    .symbol:         _ZN7rocprim17ROCPRIM_400000_NS6detail17trampoline_kernelINS0_14default_configENS1_22reduce_config_selectorIbEEZNS1_11reduce_implILb1ES3_N6hipcub16HIPCUB_304000_NS22TransformInputIteratorIbN2at6native12_GLOBAL__N_19NonZeroOpIN3c107complexINSE_4HalfEEEEEPKSH_lEEPiiNS8_6detail34convert_binary_result_type_wrapperINS8_3SumESL_iEEEE10hipError_tPvRmT1_T2_T3_mT4_P12ihipStream_tbEUlT_E0_NS1_11comp_targetILNS1_3genE8ELNS1_11target_archE1030ELNS1_3gpuE2ELNS1_3repE0EEENS1_30default_config_static_selectorELNS0_4arch9wavefront6targetE0EEEvSU_.kd
    .uniform_work_group_size: 1
    .uses_dynamic_stack: false
    .vgpr_count:     0
    .vgpr_spill_count: 0
    .wavefront_size: 32
    .workgroup_processor_mode: 1
  - .args:
      - .offset:         0
        .size:           48
        .value_kind:     by_value
    .group_segment_fixed_size: 0
    .kernarg_segment_align: 8
    .kernarg_segment_size: 48
    .language:       OpenCL C
    .language_version:
      - 2
      - 0
    .max_flat_workgroup_size: 256
    .name:           _ZN7rocprim17ROCPRIM_400000_NS6detail17trampoline_kernelINS0_14default_configENS1_22reduce_config_selectorIbEEZNS1_11reduce_implILb1ES3_N6hipcub16HIPCUB_304000_NS22TransformInputIteratorIbN2at6native12_GLOBAL__N_19NonZeroOpIN3c107complexINSE_4HalfEEEEEPKSH_lEEPiiNS8_6detail34convert_binary_result_type_wrapperINS8_3SumESL_iEEEE10hipError_tPvRmT1_T2_T3_mT4_P12ihipStream_tbEUlT_E1_NS1_11comp_targetILNS1_3genE0ELNS1_11target_archE4294967295ELNS1_3gpuE0ELNS1_3repE0EEENS1_30default_config_static_selectorELNS0_4arch9wavefront6targetE0EEEvSU_
    .private_segment_fixed_size: 0
    .sgpr_count:     0
    .sgpr_spill_count: 0
    .symbol:         _ZN7rocprim17ROCPRIM_400000_NS6detail17trampoline_kernelINS0_14default_configENS1_22reduce_config_selectorIbEEZNS1_11reduce_implILb1ES3_N6hipcub16HIPCUB_304000_NS22TransformInputIteratorIbN2at6native12_GLOBAL__N_19NonZeroOpIN3c107complexINSE_4HalfEEEEEPKSH_lEEPiiNS8_6detail34convert_binary_result_type_wrapperINS8_3SumESL_iEEEE10hipError_tPvRmT1_T2_T3_mT4_P12ihipStream_tbEUlT_E1_NS1_11comp_targetILNS1_3genE0ELNS1_11target_archE4294967295ELNS1_3gpuE0ELNS1_3repE0EEENS1_30default_config_static_selectorELNS0_4arch9wavefront6targetE0EEEvSU_.kd
    .uniform_work_group_size: 1
    .uses_dynamic_stack: false
    .vgpr_count:     0
    .vgpr_spill_count: 0
    .wavefront_size: 32
    .workgroup_processor_mode: 1
  - .args:
      - .offset:         0
        .size:           48
        .value_kind:     by_value
    .group_segment_fixed_size: 0
    .kernarg_segment_align: 8
    .kernarg_segment_size: 48
    .language:       OpenCL C
    .language_version:
      - 2
      - 0
    .max_flat_workgroup_size: 256
    .name:           _ZN7rocprim17ROCPRIM_400000_NS6detail17trampoline_kernelINS0_14default_configENS1_22reduce_config_selectorIbEEZNS1_11reduce_implILb1ES3_N6hipcub16HIPCUB_304000_NS22TransformInputIteratorIbN2at6native12_GLOBAL__N_19NonZeroOpIN3c107complexINSE_4HalfEEEEEPKSH_lEEPiiNS8_6detail34convert_binary_result_type_wrapperINS8_3SumESL_iEEEE10hipError_tPvRmT1_T2_T3_mT4_P12ihipStream_tbEUlT_E1_NS1_11comp_targetILNS1_3genE5ELNS1_11target_archE942ELNS1_3gpuE9ELNS1_3repE0EEENS1_30default_config_static_selectorELNS0_4arch9wavefront6targetE0EEEvSU_
    .private_segment_fixed_size: 0
    .sgpr_count:     0
    .sgpr_spill_count: 0
    .symbol:         _ZN7rocprim17ROCPRIM_400000_NS6detail17trampoline_kernelINS0_14default_configENS1_22reduce_config_selectorIbEEZNS1_11reduce_implILb1ES3_N6hipcub16HIPCUB_304000_NS22TransformInputIteratorIbN2at6native12_GLOBAL__N_19NonZeroOpIN3c107complexINSE_4HalfEEEEEPKSH_lEEPiiNS8_6detail34convert_binary_result_type_wrapperINS8_3SumESL_iEEEE10hipError_tPvRmT1_T2_T3_mT4_P12ihipStream_tbEUlT_E1_NS1_11comp_targetILNS1_3genE5ELNS1_11target_archE942ELNS1_3gpuE9ELNS1_3repE0EEENS1_30default_config_static_selectorELNS0_4arch9wavefront6targetE0EEEvSU_.kd
    .uniform_work_group_size: 1
    .uses_dynamic_stack: false
    .vgpr_count:     0
    .vgpr_spill_count: 0
    .wavefront_size: 32
    .workgroup_processor_mode: 1
  - .args:
      - .offset:         0
        .size:           48
        .value_kind:     by_value
    .group_segment_fixed_size: 0
    .kernarg_segment_align: 8
    .kernarg_segment_size: 48
    .language:       OpenCL C
    .language_version:
      - 2
      - 0
    .max_flat_workgroup_size: 128
    .name:           _ZN7rocprim17ROCPRIM_400000_NS6detail17trampoline_kernelINS0_14default_configENS1_22reduce_config_selectorIbEEZNS1_11reduce_implILb1ES3_N6hipcub16HIPCUB_304000_NS22TransformInputIteratorIbN2at6native12_GLOBAL__N_19NonZeroOpIN3c107complexINSE_4HalfEEEEEPKSH_lEEPiiNS8_6detail34convert_binary_result_type_wrapperINS8_3SumESL_iEEEE10hipError_tPvRmT1_T2_T3_mT4_P12ihipStream_tbEUlT_E1_NS1_11comp_targetILNS1_3genE4ELNS1_11target_archE910ELNS1_3gpuE8ELNS1_3repE0EEENS1_30default_config_static_selectorELNS0_4arch9wavefront6targetE0EEEvSU_
    .private_segment_fixed_size: 0
    .sgpr_count:     0
    .sgpr_spill_count: 0
    .symbol:         _ZN7rocprim17ROCPRIM_400000_NS6detail17trampoline_kernelINS0_14default_configENS1_22reduce_config_selectorIbEEZNS1_11reduce_implILb1ES3_N6hipcub16HIPCUB_304000_NS22TransformInputIteratorIbN2at6native12_GLOBAL__N_19NonZeroOpIN3c107complexINSE_4HalfEEEEEPKSH_lEEPiiNS8_6detail34convert_binary_result_type_wrapperINS8_3SumESL_iEEEE10hipError_tPvRmT1_T2_T3_mT4_P12ihipStream_tbEUlT_E1_NS1_11comp_targetILNS1_3genE4ELNS1_11target_archE910ELNS1_3gpuE8ELNS1_3repE0EEENS1_30default_config_static_selectorELNS0_4arch9wavefront6targetE0EEEvSU_.kd
    .uniform_work_group_size: 1
    .uses_dynamic_stack: false
    .vgpr_count:     0
    .vgpr_spill_count: 0
    .wavefront_size: 32
    .workgroup_processor_mode: 1
  - .args:
      - .offset:         0
        .size:           48
        .value_kind:     by_value
    .group_segment_fixed_size: 0
    .kernarg_segment_align: 8
    .kernarg_segment_size: 48
    .language:       OpenCL C
    .language_version:
      - 2
      - 0
    .max_flat_workgroup_size: 256
    .name:           _ZN7rocprim17ROCPRIM_400000_NS6detail17trampoline_kernelINS0_14default_configENS1_22reduce_config_selectorIbEEZNS1_11reduce_implILb1ES3_N6hipcub16HIPCUB_304000_NS22TransformInputIteratorIbN2at6native12_GLOBAL__N_19NonZeroOpIN3c107complexINSE_4HalfEEEEEPKSH_lEEPiiNS8_6detail34convert_binary_result_type_wrapperINS8_3SumESL_iEEEE10hipError_tPvRmT1_T2_T3_mT4_P12ihipStream_tbEUlT_E1_NS1_11comp_targetILNS1_3genE3ELNS1_11target_archE908ELNS1_3gpuE7ELNS1_3repE0EEENS1_30default_config_static_selectorELNS0_4arch9wavefront6targetE0EEEvSU_
    .private_segment_fixed_size: 0
    .sgpr_count:     0
    .sgpr_spill_count: 0
    .symbol:         _ZN7rocprim17ROCPRIM_400000_NS6detail17trampoline_kernelINS0_14default_configENS1_22reduce_config_selectorIbEEZNS1_11reduce_implILb1ES3_N6hipcub16HIPCUB_304000_NS22TransformInputIteratorIbN2at6native12_GLOBAL__N_19NonZeroOpIN3c107complexINSE_4HalfEEEEEPKSH_lEEPiiNS8_6detail34convert_binary_result_type_wrapperINS8_3SumESL_iEEEE10hipError_tPvRmT1_T2_T3_mT4_P12ihipStream_tbEUlT_E1_NS1_11comp_targetILNS1_3genE3ELNS1_11target_archE908ELNS1_3gpuE7ELNS1_3repE0EEENS1_30default_config_static_selectorELNS0_4arch9wavefront6targetE0EEEvSU_.kd
    .uniform_work_group_size: 1
    .uses_dynamic_stack: false
    .vgpr_count:     0
    .vgpr_spill_count: 0
    .wavefront_size: 32
    .workgroup_processor_mode: 1
  - .args:
      - .offset:         0
        .size:           48
        .value_kind:     by_value
    .group_segment_fixed_size: 0
    .kernarg_segment_align: 8
    .kernarg_segment_size: 48
    .language:       OpenCL C
    .language_version:
      - 2
      - 0
    .max_flat_workgroup_size: 128
    .name:           _ZN7rocprim17ROCPRIM_400000_NS6detail17trampoline_kernelINS0_14default_configENS1_22reduce_config_selectorIbEEZNS1_11reduce_implILb1ES3_N6hipcub16HIPCUB_304000_NS22TransformInputIteratorIbN2at6native12_GLOBAL__N_19NonZeroOpIN3c107complexINSE_4HalfEEEEEPKSH_lEEPiiNS8_6detail34convert_binary_result_type_wrapperINS8_3SumESL_iEEEE10hipError_tPvRmT1_T2_T3_mT4_P12ihipStream_tbEUlT_E1_NS1_11comp_targetILNS1_3genE2ELNS1_11target_archE906ELNS1_3gpuE6ELNS1_3repE0EEENS1_30default_config_static_selectorELNS0_4arch9wavefront6targetE0EEEvSU_
    .private_segment_fixed_size: 0
    .sgpr_count:     0
    .sgpr_spill_count: 0
    .symbol:         _ZN7rocprim17ROCPRIM_400000_NS6detail17trampoline_kernelINS0_14default_configENS1_22reduce_config_selectorIbEEZNS1_11reduce_implILb1ES3_N6hipcub16HIPCUB_304000_NS22TransformInputIteratorIbN2at6native12_GLOBAL__N_19NonZeroOpIN3c107complexINSE_4HalfEEEEEPKSH_lEEPiiNS8_6detail34convert_binary_result_type_wrapperINS8_3SumESL_iEEEE10hipError_tPvRmT1_T2_T3_mT4_P12ihipStream_tbEUlT_E1_NS1_11comp_targetILNS1_3genE2ELNS1_11target_archE906ELNS1_3gpuE6ELNS1_3repE0EEENS1_30default_config_static_selectorELNS0_4arch9wavefront6targetE0EEEvSU_.kd
    .uniform_work_group_size: 1
    .uses_dynamic_stack: false
    .vgpr_count:     0
    .vgpr_spill_count: 0
    .wavefront_size: 32
    .workgroup_processor_mode: 1
  - .args:
      - .offset:         0
        .size:           48
        .value_kind:     by_value
    .group_segment_fixed_size: 0
    .kernarg_segment_align: 8
    .kernarg_segment_size: 48
    .language:       OpenCL C
    .language_version:
      - 2
      - 0
    .max_flat_workgroup_size: 256
    .name:           _ZN7rocprim17ROCPRIM_400000_NS6detail17trampoline_kernelINS0_14default_configENS1_22reduce_config_selectorIbEEZNS1_11reduce_implILb1ES3_N6hipcub16HIPCUB_304000_NS22TransformInputIteratorIbN2at6native12_GLOBAL__N_19NonZeroOpIN3c107complexINSE_4HalfEEEEEPKSH_lEEPiiNS8_6detail34convert_binary_result_type_wrapperINS8_3SumESL_iEEEE10hipError_tPvRmT1_T2_T3_mT4_P12ihipStream_tbEUlT_E1_NS1_11comp_targetILNS1_3genE10ELNS1_11target_archE1201ELNS1_3gpuE5ELNS1_3repE0EEENS1_30default_config_static_selectorELNS0_4arch9wavefront6targetE0EEEvSU_
    .private_segment_fixed_size: 0
    .sgpr_count:     0
    .sgpr_spill_count: 0
    .symbol:         _ZN7rocprim17ROCPRIM_400000_NS6detail17trampoline_kernelINS0_14default_configENS1_22reduce_config_selectorIbEEZNS1_11reduce_implILb1ES3_N6hipcub16HIPCUB_304000_NS22TransformInputIteratorIbN2at6native12_GLOBAL__N_19NonZeroOpIN3c107complexINSE_4HalfEEEEEPKSH_lEEPiiNS8_6detail34convert_binary_result_type_wrapperINS8_3SumESL_iEEEE10hipError_tPvRmT1_T2_T3_mT4_P12ihipStream_tbEUlT_E1_NS1_11comp_targetILNS1_3genE10ELNS1_11target_archE1201ELNS1_3gpuE5ELNS1_3repE0EEENS1_30default_config_static_selectorELNS0_4arch9wavefront6targetE0EEEvSU_.kd
    .uniform_work_group_size: 1
    .uses_dynamic_stack: false
    .vgpr_count:     0
    .vgpr_spill_count: 0
    .wavefront_size: 32
    .workgroup_processor_mode: 1
  - .args:
      - .offset:         0
        .size:           48
        .value_kind:     by_value
    .group_segment_fixed_size: 0
    .kernarg_segment_align: 8
    .kernarg_segment_size: 48
    .language:       OpenCL C
    .language_version:
      - 2
      - 0
    .max_flat_workgroup_size: 256
    .name:           _ZN7rocprim17ROCPRIM_400000_NS6detail17trampoline_kernelINS0_14default_configENS1_22reduce_config_selectorIbEEZNS1_11reduce_implILb1ES3_N6hipcub16HIPCUB_304000_NS22TransformInputIteratorIbN2at6native12_GLOBAL__N_19NonZeroOpIN3c107complexINSE_4HalfEEEEEPKSH_lEEPiiNS8_6detail34convert_binary_result_type_wrapperINS8_3SumESL_iEEEE10hipError_tPvRmT1_T2_T3_mT4_P12ihipStream_tbEUlT_E1_NS1_11comp_targetILNS1_3genE10ELNS1_11target_archE1200ELNS1_3gpuE4ELNS1_3repE0EEENS1_30default_config_static_selectorELNS0_4arch9wavefront6targetE0EEEvSU_
    .private_segment_fixed_size: 0
    .sgpr_count:     0
    .sgpr_spill_count: 0
    .symbol:         _ZN7rocprim17ROCPRIM_400000_NS6detail17trampoline_kernelINS0_14default_configENS1_22reduce_config_selectorIbEEZNS1_11reduce_implILb1ES3_N6hipcub16HIPCUB_304000_NS22TransformInputIteratorIbN2at6native12_GLOBAL__N_19NonZeroOpIN3c107complexINSE_4HalfEEEEEPKSH_lEEPiiNS8_6detail34convert_binary_result_type_wrapperINS8_3SumESL_iEEEE10hipError_tPvRmT1_T2_T3_mT4_P12ihipStream_tbEUlT_E1_NS1_11comp_targetILNS1_3genE10ELNS1_11target_archE1200ELNS1_3gpuE4ELNS1_3repE0EEENS1_30default_config_static_selectorELNS0_4arch9wavefront6targetE0EEEvSU_.kd
    .uniform_work_group_size: 1
    .uses_dynamic_stack: false
    .vgpr_count:     0
    .vgpr_spill_count: 0
    .wavefront_size: 32
    .workgroup_processor_mode: 1
  - .args:
      - .offset:         0
        .size:           48
        .value_kind:     by_value
    .group_segment_fixed_size: 144
    .kernarg_segment_align: 8
    .kernarg_segment_size: 48
    .language:       OpenCL C
    .language_version:
      - 2
      - 0
    .max_flat_workgroup_size: 128
    .name:           _ZN7rocprim17ROCPRIM_400000_NS6detail17trampoline_kernelINS0_14default_configENS1_22reduce_config_selectorIbEEZNS1_11reduce_implILb1ES3_N6hipcub16HIPCUB_304000_NS22TransformInputIteratorIbN2at6native12_GLOBAL__N_19NonZeroOpIN3c107complexINSE_4HalfEEEEEPKSH_lEEPiiNS8_6detail34convert_binary_result_type_wrapperINS8_3SumESL_iEEEE10hipError_tPvRmT1_T2_T3_mT4_P12ihipStream_tbEUlT_E1_NS1_11comp_targetILNS1_3genE9ELNS1_11target_archE1100ELNS1_3gpuE3ELNS1_3repE0EEENS1_30default_config_static_selectorELNS0_4arch9wavefront6targetE0EEEvSU_
    .private_segment_fixed_size: 0
    .sgpr_count:     31
    .sgpr_spill_count: 0
    .symbol:         _ZN7rocprim17ROCPRIM_400000_NS6detail17trampoline_kernelINS0_14default_configENS1_22reduce_config_selectorIbEEZNS1_11reduce_implILb1ES3_N6hipcub16HIPCUB_304000_NS22TransformInputIteratorIbN2at6native12_GLOBAL__N_19NonZeroOpIN3c107complexINSE_4HalfEEEEEPKSH_lEEPiiNS8_6detail34convert_binary_result_type_wrapperINS8_3SumESL_iEEEE10hipError_tPvRmT1_T2_T3_mT4_P12ihipStream_tbEUlT_E1_NS1_11comp_targetILNS1_3genE9ELNS1_11target_archE1100ELNS1_3gpuE3ELNS1_3repE0EEENS1_30default_config_static_selectorELNS0_4arch9wavefront6targetE0EEEvSU_.kd
    .uniform_work_group_size: 1
    .uses_dynamic_stack: false
    .vgpr_count:     144
    .vgpr_spill_count: 0
    .wavefront_size: 32
    .workgroup_processor_mode: 1
  - .args:
      - .offset:         0
        .size:           48
        .value_kind:     by_value
    .group_segment_fixed_size: 0
    .kernarg_segment_align: 8
    .kernarg_segment_size: 48
    .language:       OpenCL C
    .language_version:
      - 2
      - 0
    .max_flat_workgroup_size: 256
    .name:           _ZN7rocprim17ROCPRIM_400000_NS6detail17trampoline_kernelINS0_14default_configENS1_22reduce_config_selectorIbEEZNS1_11reduce_implILb1ES3_N6hipcub16HIPCUB_304000_NS22TransformInputIteratorIbN2at6native12_GLOBAL__N_19NonZeroOpIN3c107complexINSE_4HalfEEEEEPKSH_lEEPiiNS8_6detail34convert_binary_result_type_wrapperINS8_3SumESL_iEEEE10hipError_tPvRmT1_T2_T3_mT4_P12ihipStream_tbEUlT_E1_NS1_11comp_targetILNS1_3genE8ELNS1_11target_archE1030ELNS1_3gpuE2ELNS1_3repE0EEENS1_30default_config_static_selectorELNS0_4arch9wavefront6targetE0EEEvSU_
    .private_segment_fixed_size: 0
    .sgpr_count:     0
    .sgpr_spill_count: 0
    .symbol:         _ZN7rocprim17ROCPRIM_400000_NS6detail17trampoline_kernelINS0_14default_configENS1_22reduce_config_selectorIbEEZNS1_11reduce_implILb1ES3_N6hipcub16HIPCUB_304000_NS22TransformInputIteratorIbN2at6native12_GLOBAL__N_19NonZeroOpIN3c107complexINSE_4HalfEEEEEPKSH_lEEPiiNS8_6detail34convert_binary_result_type_wrapperINS8_3SumESL_iEEEE10hipError_tPvRmT1_T2_T3_mT4_P12ihipStream_tbEUlT_E1_NS1_11comp_targetILNS1_3genE8ELNS1_11target_archE1030ELNS1_3gpuE2ELNS1_3repE0EEENS1_30default_config_static_selectorELNS0_4arch9wavefront6targetE0EEEvSU_.kd
    .uniform_work_group_size: 1
    .uses_dynamic_stack: false
    .vgpr_count:     0
    .vgpr_spill_count: 0
    .wavefront_size: 32
    .workgroup_processor_mode: 1
  - .args:
      - .offset:         0
        .size:           120
        .value_kind:     by_value
    .group_segment_fixed_size: 0
    .kernarg_segment_align: 8
    .kernarg_segment_size: 120
    .language:       OpenCL C
    .language_version:
      - 2
      - 0
    .max_flat_workgroup_size: 128
    .name:           _ZN7rocprim17ROCPRIM_400000_NS6detail17trampoline_kernelINS0_14default_configENS1_25partition_config_selectorILNS1_17partition_subalgoE5ElNS0_10empty_typeEbEEZZNS1_14partition_implILS5_5ELb0ES3_mN6hipcub16HIPCUB_304000_NS21CountingInputIteratorIllEEPS6_NSA_22TransformInputIteratorIbN2at6native12_GLOBAL__N_19NonZeroOpIN3c107complexINSJ_4HalfEEEEEPKSM_lEENS0_5tupleIJPlS6_EEENSR_IJSD_SD_EEES6_PiJS6_EEE10hipError_tPvRmT3_T4_T5_T6_T7_T9_mT8_P12ihipStream_tbDpT10_ENKUlT_T0_E_clISt17integral_constantIbLb0EES1F_EEDaS1A_S1B_EUlS1A_E_NS1_11comp_targetILNS1_3genE0ELNS1_11target_archE4294967295ELNS1_3gpuE0ELNS1_3repE0EEENS1_30default_config_static_selectorELNS0_4arch9wavefront6targetE0EEEvT1_
    .private_segment_fixed_size: 0
    .sgpr_count:     0
    .sgpr_spill_count: 0
    .symbol:         _ZN7rocprim17ROCPRIM_400000_NS6detail17trampoline_kernelINS0_14default_configENS1_25partition_config_selectorILNS1_17partition_subalgoE5ElNS0_10empty_typeEbEEZZNS1_14partition_implILS5_5ELb0ES3_mN6hipcub16HIPCUB_304000_NS21CountingInputIteratorIllEEPS6_NSA_22TransformInputIteratorIbN2at6native12_GLOBAL__N_19NonZeroOpIN3c107complexINSJ_4HalfEEEEEPKSM_lEENS0_5tupleIJPlS6_EEENSR_IJSD_SD_EEES6_PiJS6_EEE10hipError_tPvRmT3_T4_T5_T6_T7_T9_mT8_P12ihipStream_tbDpT10_ENKUlT_T0_E_clISt17integral_constantIbLb0EES1F_EEDaS1A_S1B_EUlS1A_E_NS1_11comp_targetILNS1_3genE0ELNS1_11target_archE4294967295ELNS1_3gpuE0ELNS1_3repE0EEENS1_30default_config_static_selectorELNS0_4arch9wavefront6targetE0EEEvT1_.kd
    .uniform_work_group_size: 1
    .uses_dynamic_stack: false
    .vgpr_count:     0
    .vgpr_spill_count: 0
    .wavefront_size: 32
    .workgroup_processor_mode: 1
  - .args:
      - .offset:         0
        .size:           120
        .value_kind:     by_value
    .group_segment_fixed_size: 0
    .kernarg_segment_align: 8
    .kernarg_segment_size: 120
    .language:       OpenCL C
    .language_version:
      - 2
      - 0
    .max_flat_workgroup_size: 512
    .name:           _ZN7rocprim17ROCPRIM_400000_NS6detail17trampoline_kernelINS0_14default_configENS1_25partition_config_selectorILNS1_17partition_subalgoE5ElNS0_10empty_typeEbEEZZNS1_14partition_implILS5_5ELb0ES3_mN6hipcub16HIPCUB_304000_NS21CountingInputIteratorIllEEPS6_NSA_22TransformInputIteratorIbN2at6native12_GLOBAL__N_19NonZeroOpIN3c107complexINSJ_4HalfEEEEEPKSM_lEENS0_5tupleIJPlS6_EEENSR_IJSD_SD_EEES6_PiJS6_EEE10hipError_tPvRmT3_T4_T5_T6_T7_T9_mT8_P12ihipStream_tbDpT10_ENKUlT_T0_E_clISt17integral_constantIbLb0EES1F_EEDaS1A_S1B_EUlS1A_E_NS1_11comp_targetILNS1_3genE5ELNS1_11target_archE942ELNS1_3gpuE9ELNS1_3repE0EEENS1_30default_config_static_selectorELNS0_4arch9wavefront6targetE0EEEvT1_
    .private_segment_fixed_size: 0
    .sgpr_count:     0
    .sgpr_spill_count: 0
    .symbol:         _ZN7rocprim17ROCPRIM_400000_NS6detail17trampoline_kernelINS0_14default_configENS1_25partition_config_selectorILNS1_17partition_subalgoE5ElNS0_10empty_typeEbEEZZNS1_14partition_implILS5_5ELb0ES3_mN6hipcub16HIPCUB_304000_NS21CountingInputIteratorIllEEPS6_NSA_22TransformInputIteratorIbN2at6native12_GLOBAL__N_19NonZeroOpIN3c107complexINSJ_4HalfEEEEEPKSM_lEENS0_5tupleIJPlS6_EEENSR_IJSD_SD_EEES6_PiJS6_EEE10hipError_tPvRmT3_T4_T5_T6_T7_T9_mT8_P12ihipStream_tbDpT10_ENKUlT_T0_E_clISt17integral_constantIbLb0EES1F_EEDaS1A_S1B_EUlS1A_E_NS1_11comp_targetILNS1_3genE5ELNS1_11target_archE942ELNS1_3gpuE9ELNS1_3repE0EEENS1_30default_config_static_selectorELNS0_4arch9wavefront6targetE0EEEvT1_.kd
    .uniform_work_group_size: 1
    .uses_dynamic_stack: false
    .vgpr_count:     0
    .vgpr_spill_count: 0
    .wavefront_size: 32
    .workgroup_processor_mode: 1
  - .args:
      - .offset:         0
        .size:           120
        .value_kind:     by_value
    .group_segment_fixed_size: 0
    .kernarg_segment_align: 8
    .kernarg_segment_size: 120
    .language:       OpenCL C
    .language_version:
      - 2
      - 0
    .max_flat_workgroup_size: 192
    .name:           _ZN7rocprim17ROCPRIM_400000_NS6detail17trampoline_kernelINS0_14default_configENS1_25partition_config_selectorILNS1_17partition_subalgoE5ElNS0_10empty_typeEbEEZZNS1_14partition_implILS5_5ELb0ES3_mN6hipcub16HIPCUB_304000_NS21CountingInputIteratorIllEEPS6_NSA_22TransformInputIteratorIbN2at6native12_GLOBAL__N_19NonZeroOpIN3c107complexINSJ_4HalfEEEEEPKSM_lEENS0_5tupleIJPlS6_EEENSR_IJSD_SD_EEES6_PiJS6_EEE10hipError_tPvRmT3_T4_T5_T6_T7_T9_mT8_P12ihipStream_tbDpT10_ENKUlT_T0_E_clISt17integral_constantIbLb0EES1F_EEDaS1A_S1B_EUlS1A_E_NS1_11comp_targetILNS1_3genE4ELNS1_11target_archE910ELNS1_3gpuE8ELNS1_3repE0EEENS1_30default_config_static_selectorELNS0_4arch9wavefront6targetE0EEEvT1_
    .private_segment_fixed_size: 0
    .sgpr_count:     0
    .sgpr_spill_count: 0
    .symbol:         _ZN7rocprim17ROCPRIM_400000_NS6detail17trampoline_kernelINS0_14default_configENS1_25partition_config_selectorILNS1_17partition_subalgoE5ElNS0_10empty_typeEbEEZZNS1_14partition_implILS5_5ELb0ES3_mN6hipcub16HIPCUB_304000_NS21CountingInputIteratorIllEEPS6_NSA_22TransformInputIteratorIbN2at6native12_GLOBAL__N_19NonZeroOpIN3c107complexINSJ_4HalfEEEEEPKSM_lEENS0_5tupleIJPlS6_EEENSR_IJSD_SD_EEES6_PiJS6_EEE10hipError_tPvRmT3_T4_T5_T6_T7_T9_mT8_P12ihipStream_tbDpT10_ENKUlT_T0_E_clISt17integral_constantIbLb0EES1F_EEDaS1A_S1B_EUlS1A_E_NS1_11comp_targetILNS1_3genE4ELNS1_11target_archE910ELNS1_3gpuE8ELNS1_3repE0EEENS1_30default_config_static_selectorELNS0_4arch9wavefront6targetE0EEEvT1_.kd
    .uniform_work_group_size: 1
    .uses_dynamic_stack: false
    .vgpr_count:     0
    .vgpr_spill_count: 0
    .wavefront_size: 32
    .workgroup_processor_mode: 1
  - .args:
      - .offset:         0
        .size:           120
        .value_kind:     by_value
    .group_segment_fixed_size: 0
    .kernarg_segment_align: 8
    .kernarg_segment_size: 120
    .language:       OpenCL C
    .language_version:
      - 2
      - 0
    .max_flat_workgroup_size: 128
    .name:           _ZN7rocprim17ROCPRIM_400000_NS6detail17trampoline_kernelINS0_14default_configENS1_25partition_config_selectorILNS1_17partition_subalgoE5ElNS0_10empty_typeEbEEZZNS1_14partition_implILS5_5ELb0ES3_mN6hipcub16HIPCUB_304000_NS21CountingInputIteratorIllEEPS6_NSA_22TransformInputIteratorIbN2at6native12_GLOBAL__N_19NonZeroOpIN3c107complexINSJ_4HalfEEEEEPKSM_lEENS0_5tupleIJPlS6_EEENSR_IJSD_SD_EEES6_PiJS6_EEE10hipError_tPvRmT3_T4_T5_T6_T7_T9_mT8_P12ihipStream_tbDpT10_ENKUlT_T0_E_clISt17integral_constantIbLb0EES1F_EEDaS1A_S1B_EUlS1A_E_NS1_11comp_targetILNS1_3genE3ELNS1_11target_archE908ELNS1_3gpuE7ELNS1_3repE0EEENS1_30default_config_static_selectorELNS0_4arch9wavefront6targetE0EEEvT1_
    .private_segment_fixed_size: 0
    .sgpr_count:     0
    .sgpr_spill_count: 0
    .symbol:         _ZN7rocprim17ROCPRIM_400000_NS6detail17trampoline_kernelINS0_14default_configENS1_25partition_config_selectorILNS1_17partition_subalgoE5ElNS0_10empty_typeEbEEZZNS1_14partition_implILS5_5ELb0ES3_mN6hipcub16HIPCUB_304000_NS21CountingInputIteratorIllEEPS6_NSA_22TransformInputIteratorIbN2at6native12_GLOBAL__N_19NonZeroOpIN3c107complexINSJ_4HalfEEEEEPKSM_lEENS0_5tupleIJPlS6_EEENSR_IJSD_SD_EEES6_PiJS6_EEE10hipError_tPvRmT3_T4_T5_T6_T7_T9_mT8_P12ihipStream_tbDpT10_ENKUlT_T0_E_clISt17integral_constantIbLb0EES1F_EEDaS1A_S1B_EUlS1A_E_NS1_11comp_targetILNS1_3genE3ELNS1_11target_archE908ELNS1_3gpuE7ELNS1_3repE0EEENS1_30default_config_static_selectorELNS0_4arch9wavefront6targetE0EEEvT1_.kd
    .uniform_work_group_size: 1
    .uses_dynamic_stack: false
    .vgpr_count:     0
    .vgpr_spill_count: 0
    .wavefront_size: 32
    .workgroup_processor_mode: 1
  - .args:
      - .offset:         0
        .size:           120
        .value_kind:     by_value
    .group_segment_fixed_size: 0
    .kernarg_segment_align: 8
    .kernarg_segment_size: 120
    .language:       OpenCL C
    .language_version:
      - 2
      - 0
    .max_flat_workgroup_size: 256
    .name:           _ZN7rocprim17ROCPRIM_400000_NS6detail17trampoline_kernelINS0_14default_configENS1_25partition_config_selectorILNS1_17partition_subalgoE5ElNS0_10empty_typeEbEEZZNS1_14partition_implILS5_5ELb0ES3_mN6hipcub16HIPCUB_304000_NS21CountingInputIteratorIllEEPS6_NSA_22TransformInputIteratorIbN2at6native12_GLOBAL__N_19NonZeroOpIN3c107complexINSJ_4HalfEEEEEPKSM_lEENS0_5tupleIJPlS6_EEENSR_IJSD_SD_EEES6_PiJS6_EEE10hipError_tPvRmT3_T4_T5_T6_T7_T9_mT8_P12ihipStream_tbDpT10_ENKUlT_T0_E_clISt17integral_constantIbLb0EES1F_EEDaS1A_S1B_EUlS1A_E_NS1_11comp_targetILNS1_3genE2ELNS1_11target_archE906ELNS1_3gpuE6ELNS1_3repE0EEENS1_30default_config_static_selectorELNS0_4arch9wavefront6targetE0EEEvT1_
    .private_segment_fixed_size: 0
    .sgpr_count:     0
    .sgpr_spill_count: 0
    .symbol:         _ZN7rocprim17ROCPRIM_400000_NS6detail17trampoline_kernelINS0_14default_configENS1_25partition_config_selectorILNS1_17partition_subalgoE5ElNS0_10empty_typeEbEEZZNS1_14partition_implILS5_5ELb0ES3_mN6hipcub16HIPCUB_304000_NS21CountingInputIteratorIllEEPS6_NSA_22TransformInputIteratorIbN2at6native12_GLOBAL__N_19NonZeroOpIN3c107complexINSJ_4HalfEEEEEPKSM_lEENS0_5tupleIJPlS6_EEENSR_IJSD_SD_EEES6_PiJS6_EEE10hipError_tPvRmT3_T4_T5_T6_T7_T9_mT8_P12ihipStream_tbDpT10_ENKUlT_T0_E_clISt17integral_constantIbLb0EES1F_EEDaS1A_S1B_EUlS1A_E_NS1_11comp_targetILNS1_3genE2ELNS1_11target_archE906ELNS1_3gpuE6ELNS1_3repE0EEENS1_30default_config_static_selectorELNS0_4arch9wavefront6targetE0EEEvT1_.kd
    .uniform_work_group_size: 1
    .uses_dynamic_stack: false
    .vgpr_count:     0
    .vgpr_spill_count: 0
    .wavefront_size: 32
    .workgroup_processor_mode: 1
  - .args:
      - .offset:         0
        .size:           120
        .value_kind:     by_value
    .group_segment_fixed_size: 0
    .kernarg_segment_align: 8
    .kernarg_segment_size: 120
    .language:       OpenCL C
    .language_version:
      - 2
      - 0
    .max_flat_workgroup_size: 256
    .name:           _ZN7rocprim17ROCPRIM_400000_NS6detail17trampoline_kernelINS0_14default_configENS1_25partition_config_selectorILNS1_17partition_subalgoE5ElNS0_10empty_typeEbEEZZNS1_14partition_implILS5_5ELb0ES3_mN6hipcub16HIPCUB_304000_NS21CountingInputIteratorIllEEPS6_NSA_22TransformInputIteratorIbN2at6native12_GLOBAL__N_19NonZeroOpIN3c107complexINSJ_4HalfEEEEEPKSM_lEENS0_5tupleIJPlS6_EEENSR_IJSD_SD_EEES6_PiJS6_EEE10hipError_tPvRmT3_T4_T5_T6_T7_T9_mT8_P12ihipStream_tbDpT10_ENKUlT_T0_E_clISt17integral_constantIbLb0EES1F_EEDaS1A_S1B_EUlS1A_E_NS1_11comp_targetILNS1_3genE10ELNS1_11target_archE1200ELNS1_3gpuE4ELNS1_3repE0EEENS1_30default_config_static_selectorELNS0_4arch9wavefront6targetE0EEEvT1_
    .private_segment_fixed_size: 0
    .sgpr_count:     0
    .sgpr_spill_count: 0
    .symbol:         _ZN7rocprim17ROCPRIM_400000_NS6detail17trampoline_kernelINS0_14default_configENS1_25partition_config_selectorILNS1_17partition_subalgoE5ElNS0_10empty_typeEbEEZZNS1_14partition_implILS5_5ELb0ES3_mN6hipcub16HIPCUB_304000_NS21CountingInputIteratorIllEEPS6_NSA_22TransformInputIteratorIbN2at6native12_GLOBAL__N_19NonZeroOpIN3c107complexINSJ_4HalfEEEEEPKSM_lEENS0_5tupleIJPlS6_EEENSR_IJSD_SD_EEES6_PiJS6_EEE10hipError_tPvRmT3_T4_T5_T6_T7_T9_mT8_P12ihipStream_tbDpT10_ENKUlT_T0_E_clISt17integral_constantIbLb0EES1F_EEDaS1A_S1B_EUlS1A_E_NS1_11comp_targetILNS1_3genE10ELNS1_11target_archE1200ELNS1_3gpuE4ELNS1_3repE0EEENS1_30default_config_static_selectorELNS0_4arch9wavefront6targetE0EEEvT1_.kd
    .uniform_work_group_size: 1
    .uses_dynamic_stack: false
    .vgpr_count:     0
    .vgpr_spill_count: 0
    .wavefront_size: 32
    .workgroup_processor_mode: 1
  - .args:
      - .offset:         0
        .size:           120
        .value_kind:     by_value
    .group_segment_fixed_size: 6160
    .kernarg_segment_align: 8
    .kernarg_segment_size: 120
    .language:       OpenCL C
    .language_version:
      - 2
      - 0
    .max_flat_workgroup_size: 128
    .name:           _ZN7rocprim17ROCPRIM_400000_NS6detail17trampoline_kernelINS0_14default_configENS1_25partition_config_selectorILNS1_17partition_subalgoE5ElNS0_10empty_typeEbEEZZNS1_14partition_implILS5_5ELb0ES3_mN6hipcub16HIPCUB_304000_NS21CountingInputIteratorIllEEPS6_NSA_22TransformInputIteratorIbN2at6native12_GLOBAL__N_19NonZeroOpIN3c107complexINSJ_4HalfEEEEEPKSM_lEENS0_5tupleIJPlS6_EEENSR_IJSD_SD_EEES6_PiJS6_EEE10hipError_tPvRmT3_T4_T5_T6_T7_T9_mT8_P12ihipStream_tbDpT10_ENKUlT_T0_E_clISt17integral_constantIbLb0EES1F_EEDaS1A_S1B_EUlS1A_E_NS1_11comp_targetILNS1_3genE9ELNS1_11target_archE1100ELNS1_3gpuE3ELNS1_3repE0EEENS1_30default_config_static_selectorELNS0_4arch9wavefront6targetE0EEEvT1_
    .private_segment_fixed_size: 0
    .sgpr_count:     23
    .sgpr_spill_count: 0
    .symbol:         _ZN7rocprim17ROCPRIM_400000_NS6detail17trampoline_kernelINS0_14default_configENS1_25partition_config_selectorILNS1_17partition_subalgoE5ElNS0_10empty_typeEbEEZZNS1_14partition_implILS5_5ELb0ES3_mN6hipcub16HIPCUB_304000_NS21CountingInputIteratorIllEEPS6_NSA_22TransformInputIteratorIbN2at6native12_GLOBAL__N_19NonZeroOpIN3c107complexINSJ_4HalfEEEEEPKSM_lEENS0_5tupleIJPlS6_EEENSR_IJSD_SD_EEES6_PiJS6_EEE10hipError_tPvRmT3_T4_T5_T6_T7_T9_mT8_P12ihipStream_tbDpT10_ENKUlT_T0_E_clISt17integral_constantIbLb0EES1F_EEDaS1A_S1B_EUlS1A_E_NS1_11comp_targetILNS1_3genE9ELNS1_11target_archE1100ELNS1_3gpuE3ELNS1_3repE0EEENS1_30default_config_static_selectorELNS0_4arch9wavefront6targetE0EEEvT1_.kd
    .uniform_work_group_size: 1
    .uses_dynamic_stack: false
    .vgpr_count:     57
    .vgpr_spill_count: 0
    .wavefront_size: 32
    .workgroup_processor_mode: 1
  - .args:
      - .offset:         0
        .size:           120
        .value_kind:     by_value
    .group_segment_fixed_size: 0
    .kernarg_segment_align: 8
    .kernarg_segment_size: 120
    .language:       OpenCL C
    .language_version:
      - 2
      - 0
    .max_flat_workgroup_size: 512
    .name:           _ZN7rocprim17ROCPRIM_400000_NS6detail17trampoline_kernelINS0_14default_configENS1_25partition_config_selectorILNS1_17partition_subalgoE5ElNS0_10empty_typeEbEEZZNS1_14partition_implILS5_5ELb0ES3_mN6hipcub16HIPCUB_304000_NS21CountingInputIteratorIllEEPS6_NSA_22TransformInputIteratorIbN2at6native12_GLOBAL__N_19NonZeroOpIN3c107complexINSJ_4HalfEEEEEPKSM_lEENS0_5tupleIJPlS6_EEENSR_IJSD_SD_EEES6_PiJS6_EEE10hipError_tPvRmT3_T4_T5_T6_T7_T9_mT8_P12ihipStream_tbDpT10_ENKUlT_T0_E_clISt17integral_constantIbLb0EES1F_EEDaS1A_S1B_EUlS1A_E_NS1_11comp_targetILNS1_3genE8ELNS1_11target_archE1030ELNS1_3gpuE2ELNS1_3repE0EEENS1_30default_config_static_selectorELNS0_4arch9wavefront6targetE0EEEvT1_
    .private_segment_fixed_size: 0
    .sgpr_count:     0
    .sgpr_spill_count: 0
    .symbol:         _ZN7rocprim17ROCPRIM_400000_NS6detail17trampoline_kernelINS0_14default_configENS1_25partition_config_selectorILNS1_17partition_subalgoE5ElNS0_10empty_typeEbEEZZNS1_14partition_implILS5_5ELb0ES3_mN6hipcub16HIPCUB_304000_NS21CountingInputIteratorIllEEPS6_NSA_22TransformInputIteratorIbN2at6native12_GLOBAL__N_19NonZeroOpIN3c107complexINSJ_4HalfEEEEEPKSM_lEENS0_5tupleIJPlS6_EEENSR_IJSD_SD_EEES6_PiJS6_EEE10hipError_tPvRmT3_T4_T5_T6_T7_T9_mT8_P12ihipStream_tbDpT10_ENKUlT_T0_E_clISt17integral_constantIbLb0EES1F_EEDaS1A_S1B_EUlS1A_E_NS1_11comp_targetILNS1_3genE8ELNS1_11target_archE1030ELNS1_3gpuE2ELNS1_3repE0EEENS1_30default_config_static_selectorELNS0_4arch9wavefront6targetE0EEEvT1_.kd
    .uniform_work_group_size: 1
    .uses_dynamic_stack: false
    .vgpr_count:     0
    .vgpr_spill_count: 0
    .wavefront_size: 32
    .workgroup_processor_mode: 1
  - .args:
      - .offset:         0
        .size:           136
        .value_kind:     by_value
    .group_segment_fixed_size: 0
    .kernarg_segment_align: 8
    .kernarg_segment_size: 136
    .language:       OpenCL C
    .language_version:
      - 2
      - 0
    .max_flat_workgroup_size: 128
    .name:           _ZN7rocprim17ROCPRIM_400000_NS6detail17trampoline_kernelINS0_14default_configENS1_25partition_config_selectorILNS1_17partition_subalgoE5ElNS0_10empty_typeEbEEZZNS1_14partition_implILS5_5ELb0ES3_mN6hipcub16HIPCUB_304000_NS21CountingInputIteratorIllEEPS6_NSA_22TransformInputIteratorIbN2at6native12_GLOBAL__N_19NonZeroOpIN3c107complexINSJ_4HalfEEEEEPKSM_lEENS0_5tupleIJPlS6_EEENSR_IJSD_SD_EEES6_PiJS6_EEE10hipError_tPvRmT3_T4_T5_T6_T7_T9_mT8_P12ihipStream_tbDpT10_ENKUlT_T0_E_clISt17integral_constantIbLb1EES1F_EEDaS1A_S1B_EUlS1A_E_NS1_11comp_targetILNS1_3genE0ELNS1_11target_archE4294967295ELNS1_3gpuE0ELNS1_3repE0EEENS1_30default_config_static_selectorELNS0_4arch9wavefront6targetE0EEEvT1_
    .private_segment_fixed_size: 0
    .sgpr_count:     0
    .sgpr_spill_count: 0
    .symbol:         _ZN7rocprim17ROCPRIM_400000_NS6detail17trampoline_kernelINS0_14default_configENS1_25partition_config_selectorILNS1_17partition_subalgoE5ElNS0_10empty_typeEbEEZZNS1_14partition_implILS5_5ELb0ES3_mN6hipcub16HIPCUB_304000_NS21CountingInputIteratorIllEEPS6_NSA_22TransformInputIteratorIbN2at6native12_GLOBAL__N_19NonZeroOpIN3c107complexINSJ_4HalfEEEEEPKSM_lEENS0_5tupleIJPlS6_EEENSR_IJSD_SD_EEES6_PiJS6_EEE10hipError_tPvRmT3_T4_T5_T6_T7_T9_mT8_P12ihipStream_tbDpT10_ENKUlT_T0_E_clISt17integral_constantIbLb1EES1F_EEDaS1A_S1B_EUlS1A_E_NS1_11comp_targetILNS1_3genE0ELNS1_11target_archE4294967295ELNS1_3gpuE0ELNS1_3repE0EEENS1_30default_config_static_selectorELNS0_4arch9wavefront6targetE0EEEvT1_.kd
    .uniform_work_group_size: 1
    .uses_dynamic_stack: false
    .vgpr_count:     0
    .vgpr_spill_count: 0
    .wavefront_size: 32
    .workgroup_processor_mode: 1
  - .args:
      - .offset:         0
        .size:           136
        .value_kind:     by_value
    .group_segment_fixed_size: 0
    .kernarg_segment_align: 8
    .kernarg_segment_size: 136
    .language:       OpenCL C
    .language_version:
      - 2
      - 0
    .max_flat_workgroup_size: 512
    .name:           _ZN7rocprim17ROCPRIM_400000_NS6detail17trampoline_kernelINS0_14default_configENS1_25partition_config_selectorILNS1_17partition_subalgoE5ElNS0_10empty_typeEbEEZZNS1_14partition_implILS5_5ELb0ES3_mN6hipcub16HIPCUB_304000_NS21CountingInputIteratorIllEEPS6_NSA_22TransformInputIteratorIbN2at6native12_GLOBAL__N_19NonZeroOpIN3c107complexINSJ_4HalfEEEEEPKSM_lEENS0_5tupleIJPlS6_EEENSR_IJSD_SD_EEES6_PiJS6_EEE10hipError_tPvRmT3_T4_T5_T6_T7_T9_mT8_P12ihipStream_tbDpT10_ENKUlT_T0_E_clISt17integral_constantIbLb1EES1F_EEDaS1A_S1B_EUlS1A_E_NS1_11comp_targetILNS1_3genE5ELNS1_11target_archE942ELNS1_3gpuE9ELNS1_3repE0EEENS1_30default_config_static_selectorELNS0_4arch9wavefront6targetE0EEEvT1_
    .private_segment_fixed_size: 0
    .sgpr_count:     0
    .sgpr_spill_count: 0
    .symbol:         _ZN7rocprim17ROCPRIM_400000_NS6detail17trampoline_kernelINS0_14default_configENS1_25partition_config_selectorILNS1_17partition_subalgoE5ElNS0_10empty_typeEbEEZZNS1_14partition_implILS5_5ELb0ES3_mN6hipcub16HIPCUB_304000_NS21CountingInputIteratorIllEEPS6_NSA_22TransformInputIteratorIbN2at6native12_GLOBAL__N_19NonZeroOpIN3c107complexINSJ_4HalfEEEEEPKSM_lEENS0_5tupleIJPlS6_EEENSR_IJSD_SD_EEES6_PiJS6_EEE10hipError_tPvRmT3_T4_T5_T6_T7_T9_mT8_P12ihipStream_tbDpT10_ENKUlT_T0_E_clISt17integral_constantIbLb1EES1F_EEDaS1A_S1B_EUlS1A_E_NS1_11comp_targetILNS1_3genE5ELNS1_11target_archE942ELNS1_3gpuE9ELNS1_3repE0EEENS1_30default_config_static_selectorELNS0_4arch9wavefront6targetE0EEEvT1_.kd
    .uniform_work_group_size: 1
    .uses_dynamic_stack: false
    .vgpr_count:     0
    .vgpr_spill_count: 0
    .wavefront_size: 32
    .workgroup_processor_mode: 1
  - .args:
      - .offset:         0
        .size:           136
        .value_kind:     by_value
    .group_segment_fixed_size: 0
    .kernarg_segment_align: 8
    .kernarg_segment_size: 136
    .language:       OpenCL C
    .language_version:
      - 2
      - 0
    .max_flat_workgroup_size: 192
    .name:           _ZN7rocprim17ROCPRIM_400000_NS6detail17trampoline_kernelINS0_14default_configENS1_25partition_config_selectorILNS1_17partition_subalgoE5ElNS0_10empty_typeEbEEZZNS1_14partition_implILS5_5ELb0ES3_mN6hipcub16HIPCUB_304000_NS21CountingInputIteratorIllEEPS6_NSA_22TransformInputIteratorIbN2at6native12_GLOBAL__N_19NonZeroOpIN3c107complexINSJ_4HalfEEEEEPKSM_lEENS0_5tupleIJPlS6_EEENSR_IJSD_SD_EEES6_PiJS6_EEE10hipError_tPvRmT3_T4_T5_T6_T7_T9_mT8_P12ihipStream_tbDpT10_ENKUlT_T0_E_clISt17integral_constantIbLb1EES1F_EEDaS1A_S1B_EUlS1A_E_NS1_11comp_targetILNS1_3genE4ELNS1_11target_archE910ELNS1_3gpuE8ELNS1_3repE0EEENS1_30default_config_static_selectorELNS0_4arch9wavefront6targetE0EEEvT1_
    .private_segment_fixed_size: 0
    .sgpr_count:     0
    .sgpr_spill_count: 0
    .symbol:         _ZN7rocprim17ROCPRIM_400000_NS6detail17trampoline_kernelINS0_14default_configENS1_25partition_config_selectorILNS1_17partition_subalgoE5ElNS0_10empty_typeEbEEZZNS1_14partition_implILS5_5ELb0ES3_mN6hipcub16HIPCUB_304000_NS21CountingInputIteratorIllEEPS6_NSA_22TransformInputIteratorIbN2at6native12_GLOBAL__N_19NonZeroOpIN3c107complexINSJ_4HalfEEEEEPKSM_lEENS0_5tupleIJPlS6_EEENSR_IJSD_SD_EEES6_PiJS6_EEE10hipError_tPvRmT3_T4_T5_T6_T7_T9_mT8_P12ihipStream_tbDpT10_ENKUlT_T0_E_clISt17integral_constantIbLb1EES1F_EEDaS1A_S1B_EUlS1A_E_NS1_11comp_targetILNS1_3genE4ELNS1_11target_archE910ELNS1_3gpuE8ELNS1_3repE0EEENS1_30default_config_static_selectorELNS0_4arch9wavefront6targetE0EEEvT1_.kd
    .uniform_work_group_size: 1
    .uses_dynamic_stack: false
    .vgpr_count:     0
    .vgpr_spill_count: 0
    .wavefront_size: 32
    .workgroup_processor_mode: 1
  - .args:
      - .offset:         0
        .size:           136
        .value_kind:     by_value
    .group_segment_fixed_size: 0
    .kernarg_segment_align: 8
    .kernarg_segment_size: 136
    .language:       OpenCL C
    .language_version:
      - 2
      - 0
    .max_flat_workgroup_size: 128
    .name:           _ZN7rocprim17ROCPRIM_400000_NS6detail17trampoline_kernelINS0_14default_configENS1_25partition_config_selectorILNS1_17partition_subalgoE5ElNS0_10empty_typeEbEEZZNS1_14partition_implILS5_5ELb0ES3_mN6hipcub16HIPCUB_304000_NS21CountingInputIteratorIllEEPS6_NSA_22TransformInputIteratorIbN2at6native12_GLOBAL__N_19NonZeroOpIN3c107complexINSJ_4HalfEEEEEPKSM_lEENS0_5tupleIJPlS6_EEENSR_IJSD_SD_EEES6_PiJS6_EEE10hipError_tPvRmT3_T4_T5_T6_T7_T9_mT8_P12ihipStream_tbDpT10_ENKUlT_T0_E_clISt17integral_constantIbLb1EES1F_EEDaS1A_S1B_EUlS1A_E_NS1_11comp_targetILNS1_3genE3ELNS1_11target_archE908ELNS1_3gpuE7ELNS1_3repE0EEENS1_30default_config_static_selectorELNS0_4arch9wavefront6targetE0EEEvT1_
    .private_segment_fixed_size: 0
    .sgpr_count:     0
    .sgpr_spill_count: 0
    .symbol:         _ZN7rocprim17ROCPRIM_400000_NS6detail17trampoline_kernelINS0_14default_configENS1_25partition_config_selectorILNS1_17partition_subalgoE5ElNS0_10empty_typeEbEEZZNS1_14partition_implILS5_5ELb0ES3_mN6hipcub16HIPCUB_304000_NS21CountingInputIteratorIllEEPS6_NSA_22TransformInputIteratorIbN2at6native12_GLOBAL__N_19NonZeroOpIN3c107complexINSJ_4HalfEEEEEPKSM_lEENS0_5tupleIJPlS6_EEENSR_IJSD_SD_EEES6_PiJS6_EEE10hipError_tPvRmT3_T4_T5_T6_T7_T9_mT8_P12ihipStream_tbDpT10_ENKUlT_T0_E_clISt17integral_constantIbLb1EES1F_EEDaS1A_S1B_EUlS1A_E_NS1_11comp_targetILNS1_3genE3ELNS1_11target_archE908ELNS1_3gpuE7ELNS1_3repE0EEENS1_30default_config_static_selectorELNS0_4arch9wavefront6targetE0EEEvT1_.kd
    .uniform_work_group_size: 1
    .uses_dynamic_stack: false
    .vgpr_count:     0
    .vgpr_spill_count: 0
    .wavefront_size: 32
    .workgroup_processor_mode: 1
  - .args:
      - .offset:         0
        .size:           136
        .value_kind:     by_value
    .group_segment_fixed_size: 0
    .kernarg_segment_align: 8
    .kernarg_segment_size: 136
    .language:       OpenCL C
    .language_version:
      - 2
      - 0
    .max_flat_workgroup_size: 256
    .name:           _ZN7rocprim17ROCPRIM_400000_NS6detail17trampoline_kernelINS0_14default_configENS1_25partition_config_selectorILNS1_17partition_subalgoE5ElNS0_10empty_typeEbEEZZNS1_14partition_implILS5_5ELb0ES3_mN6hipcub16HIPCUB_304000_NS21CountingInputIteratorIllEEPS6_NSA_22TransformInputIteratorIbN2at6native12_GLOBAL__N_19NonZeroOpIN3c107complexINSJ_4HalfEEEEEPKSM_lEENS0_5tupleIJPlS6_EEENSR_IJSD_SD_EEES6_PiJS6_EEE10hipError_tPvRmT3_T4_T5_T6_T7_T9_mT8_P12ihipStream_tbDpT10_ENKUlT_T0_E_clISt17integral_constantIbLb1EES1F_EEDaS1A_S1B_EUlS1A_E_NS1_11comp_targetILNS1_3genE2ELNS1_11target_archE906ELNS1_3gpuE6ELNS1_3repE0EEENS1_30default_config_static_selectorELNS0_4arch9wavefront6targetE0EEEvT1_
    .private_segment_fixed_size: 0
    .sgpr_count:     0
    .sgpr_spill_count: 0
    .symbol:         _ZN7rocprim17ROCPRIM_400000_NS6detail17trampoline_kernelINS0_14default_configENS1_25partition_config_selectorILNS1_17partition_subalgoE5ElNS0_10empty_typeEbEEZZNS1_14partition_implILS5_5ELb0ES3_mN6hipcub16HIPCUB_304000_NS21CountingInputIteratorIllEEPS6_NSA_22TransformInputIteratorIbN2at6native12_GLOBAL__N_19NonZeroOpIN3c107complexINSJ_4HalfEEEEEPKSM_lEENS0_5tupleIJPlS6_EEENSR_IJSD_SD_EEES6_PiJS6_EEE10hipError_tPvRmT3_T4_T5_T6_T7_T9_mT8_P12ihipStream_tbDpT10_ENKUlT_T0_E_clISt17integral_constantIbLb1EES1F_EEDaS1A_S1B_EUlS1A_E_NS1_11comp_targetILNS1_3genE2ELNS1_11target_archE906ELNS1_3gpuE6ELNS1_3repE0EEENS1_30default_config_static_selectorELNS0_4arch9wavefront6targetE0EEEvT1_.kd
    .uniform_work_group_size: 1
    .uses_dynamic_stack: false
    .vgpr_count:     0
    .vgpr_spill_count: 0
    .wavefront_size: 32
    .workgroup_processor_mode: 1
  - .args:
      - .offset:         0
        .size:           136
        .value_kind:     by_value
    .group_segment_fixed_size: 0
    .kernarg_segment_align: 8
    .kernarg_segment_size: 136
    .language:       OpenCL C
    .language_version:
      - 2
      - 0
    .max_flat_workgroup_size: 256
    .name:           _ZN7rocprim17ROCPRIM_400000_NS6detail17trampoline_kernelINS0_14default_configENS1_25partition_config_selectorILNS1_17partition_subalgoE5ElNS0_10empty_typeEbEEZZNS1_14partition_implILS5_5ELb0ES3_mN6hipcub16HIPCUB_304000_NS21CountingInputIteratorIllEEPS6_NSA_22TransformInputIteratorIbN2at6native12_GLOBAL__N_19NonZeroOpIN3c107complexINSJ_4HalfEEEEEPKSM_lEENS0_5tupleIJPlS6_EEENSR_IJSD_SD_EEES6_PiJS6_EEE10hipError_tPvRmT3_T4_T5_T6_T7_T9_mT8_P12ihipStream_tbDpT10_ENKUlT_T0_E_clISt17integral_constantIbLb1EES1F_EEDaS1A_S1B_EUlS1A_E_NS1_11comp_targetILNS1_3genE10ELNS1_11target_archE1200ELNS1_3gpuE4ELNS1_3repE0EEENS1_30default_config_static_selectorELNS0_4arch9wavefront6targetE0EEEvT1_
    .private_segment_fixed_size: 0
    .sgpr_count:     0
    .sgpr_spill_count: 0
    .symbol:         _ZN7rocprim17ROCPRIM_400000_NS6detail17trampoline_kernelINS0_14default_configENS1_25partition_config_selectorILNS1_17partition_subalgoE5ElNS0_10empty_typeEbEEZZNS1_14partition_implILS5_5ELb0ES3_mN6hipcub16HIPCUB_304000_NS21CountingInputIteratorIllEEPS6_NSA_22TransformInputIteratorIbN2at6native12_GLOBAL__N_19NonZeroOpIN3c107complexINSJ_4HalfEEEEEPKSM_lEENS0_5tupleIJPlS6_EEENSR_IJSD_SD_EEES6_PiJS6_EEE10hipError_tPvRmT3_T4_T5_T6_T7_T9_mT8_P12ihipStream_tbDpT10_ENKUlT_T0_E_clISt17integral_constantIbLb1EES1F_EEDaS1A_S1B_EUlS1A_E_NS1_11comp_targetILNS1_3genE10ELNS1_11target_archE1200ELNS1_3gpuE4ELNS1_3repE0EEENS1_30default_config_static_selectorELNS0_4arch9wavefront6targetE0EEEvT1_.kd
    .uniform_work_group_size: 1
    .uses_dynamic_stack: false
    .vgpr_count:     0
    .vgpr_spill_count: 0
    .wavefront_size: 32
    .workgroup_processor_mode: 1
  - .args:
      - .offset:         0
        .size:           136
        .value_kind:     by_value
    .group_segment_fixed_size: 6160
    .kernarg_segment_align: 8
    .kernarg_segment_size: 136
    .language:       OpenCL C
    .language_version:
      - 2
      - 0
    .max_flat_workgroup_size: 128
    .name:           _ZN7rocprim17ROCPRIM_400000_NS6detail17trampoline_kernelINS0_14default_configENS1_25partition_config_selectorILNS1_17partition_subalgoE5ElNS0_10empty_typeEbEEZZNS1_14partition_implILS5_5ELb0ES3_mN6hipcub16HIPCUB_304000_NS21CountingInputIteratorIllEEPS6_NSA_22TransformInputIteratorIbN2at6native12_GLOBAL__N_19NonZeroOpIN3c107complexINSJ_4HalfEEEEEPKSM_lEENS0_5tupleIJPlS6_EEENSR_IJSD_SD_EEES6_PiJS6_EEE10hipError_tPvRmT3_T4_T5_T6_T7_T9_mT8_P12ihipStream_tbDpT10_ENKUlT_T0_E_clISt17integral_constantIbLb1EES1F_EEDaS1A_S1B_EUlS1A_E_NS1_11comp_targetILNS1_3genE9ELNS1_11target_archE1100ELNS1_3gpuE3ELNS1_3repE0EEENS1_30default_config_static_selectorELNS0_4arch9wavefront6targetE0EEEvT1_
    .private_segment_fixed_size: 0
    .sgpr_count:     26
    .sgpr_spill_count: 0
    .symbol:         _ZN7rocprim17ROCPRIM_400000_NS6detail17trampoline_kernelINS0_14default_configENS1_25partition_config_selectorILNS1_17partition_subalgoE5ElNS0_10empty_typeEbEEZZNS1_14partition_implILS5_5ELb0ES3_mN6hipcub16HIPCUB_304000_NS21CountingInputIteratorIllEEPS6_NSA_22TransformInputIteratorIbN2at6native12_GLOBAL__N_19NonZeroOpIN3c107complexINSJ_4HalfEEEEEPKSM_lEENS0_5tupleIJPlS6_EEENSR_IJSD_SD_EEES6_PiJS6_EEE10hipError_tPvRmT3_T4_T5_T6_T7_T9_mT8_P12ihipStream_tbDpT10_ENKUlT_T0_E_clISt17integral_constantIbLb1EES1F_EEDaS1A_S1B_EUlS1A_E_NS1_11comp_targetILNS1_3genE9ELNS1_11target_archE1100ELNS1_3gpuE3ELNS1_3repE0EEENS1_30default_config_static_selectorELNS0_4arch9wavefront6targetE0EEEvT1_.kd
    .uniform_work_group_size: 1
    .uses_dynamic_stack: false
    .vgpr_count:     57
    .vgpr_spill_count: 0
    .wavefront_size: 32
    .workgroup_processor_mode: 1
  - .args:
      - .offset:         0
        .size:           136
        .value_kind:     by_value
    .group_segment_fixed_size: 0
    .kernarg_segment_align: 8
    .kernarg_segment_size: 136
    .language:       OpenCL C
    .language_version:
      - 2
      - 0
    .max_flat_workgroup_size: 512
    .name:           _ZN7rocprim17ROCPRIM_400000_NS6detail17trampoline_kernelINS0_14default_configENS1_25partition_config_selectorILNS1_17partition_subalgoE5ElNS0_10empty_typeEbEEZZNS1_14partition_implILS5_5ELb0ES3_mN6hipcub16HIPCUB_304000_NS21CountingInputIteratorIllEEPS6_NSA_22TransformInputIteratorIbN2at6native12_GLOBAL__N_19NonZeroOpIN3c107complexINSJ_4HalfEEEEEPKSM_lEENS0_5tupleIJPlS6_EEENSR_IJSD_SD_EEES6_PiJS6_EEE10hipError_tPvRmT3_T4_T5_T6_T7_T9_mT8_P12ihipStream_tbDpT10_ENKUlT_T0_E_clISt17integral_constantIbLb1EES1F_EEDaS1A_S1B_EUlS1A_E_NS1_11comp_targetILNS1_3genE8ELNS1_11target_archE1030ELNS1_3gpuE2ELNS1_3repE0EEENS1_30default_config_static_selectorELNS0_4arch9wavefront6targetE0EEEvT1_
    .private_segment_fixed_size: 0
    .sgpr_count:     0
    .sgpr_spill_count: 0
    .symbol:         _ZN7rocprim17ROCPRIM_400000_NS6detail17trampoline_kernelINS0_14default_configENS1_25partition_config_selectorILNS1_17partition_subalgoE5ElNS0_10empty_typeEbEEZZNS1_14partition_implILS5_5ELb0ES3_mN6hipcub16HIPCUB_304000_NS21CountingInputIteratorIllEEPS6_NSA_22TransformInputIteratorIbN2at6native12_GLOBAL__N_19NonZeroOpIN3c107complexINSJ_4HalfEEEEEPKSM_lEENS0_5tupleIJPlS6_EEENSR_IJSD_SD_EEES6_PiJS6_EEE10hipError_tPvRmT3_T4_T5_T6_T7_T9_mT8_P12ihipStream_tbDpT10_ENKUlT_T0_E_clISt17integral_constantIbLb1EES1F_EEDaS1A_S1B_EUlS1A_E_NS1_11comp_targetILNS1_3genE8ELNS1_11target_archE1030ELNS1_3gpuE2ELNS1_3repE0EEENS1_30default_config_static_selectorELNS0_4arch9wavefront6targetE0EEEvT1_.kd
    .uniform_work_group_size: 1
    .uses_dynamic_stack: false
    .vgpr_count:     0
    .vgpr_spill_count: 0
    .wavefront_size: 32
    .workgroup_processor_mode: 1
  - .args:
      - .offset:         0
        .size:           120
        .value_kind:     by_value
    .group_segment_fixed_size: 0
    .kernarg_segment_align: 8
    .kernarg_segment_size: 120
    .language:       OpenCL C
    .language_version:
      - 2
      - 0
    .max_flat_workgroup_size: 128
    .name:           _ZN7rocprim17ROCPRIM_400000_NS6detail17trampoline_kernelINS0_14default_configENS1_25partition_config_selectorILNS1_17partition_subalgoE5ElNS0_10empty_typeEbEEZZNS1_14partition_implILS5_5ELb0ES3_mN6hipcub16HIPCUB_304000_NS21CountingInputIteratorIllEEPS6_NSA_22TransformInputIteratorIbN2at6native12_GLOBAL__N_19NonZeroOpIN3c107complexINSJ_4HalfEEEEEPKSM_lEENS0_5tupleIJPlS6_EEENSR_IJSD_SD_EEES6_PiJS6_EEE10hipError_tPvRmT3_T4_T5_T6_T7_T9_mT8_P12ihipStream_tbDpT10_ENKUlT_T0_E_clISt17integral_constantIbLb1EES1E_IbLb0EEEEDaS1A_S1B_EUlS1A_E_NS1_11comp_targetILNS1_3genE0ELNS1_11target_archE4294967295ELNS1_3gpuE0ELNS1_3repE0EEENS1_30default_config_static_selectorELNS0_4arch9wavefront6targetE0EEEvT1_
    .private_segment_fixed_size: 0
    .sgpr_count:     0
    .sgpr_spill_count: 0
    .symbol:         _ZN7rocprim17ROCPRIM_400000_NS6detail17trampoline_kernelINS0_14default_configENS1_25partition_config_selectorILNS1_17partition_subalgoE5ElNS0_10empty_typeEbEEZZNS1_14partition_implILS5_5ELb0ES3_mN6hipcub16HIPCUB_304000_NS21CountingInputIteratorIllEEPS6_NSA_22TransformInputIteratorIbN2at6native12_GLOBAL__N_19NonZeroOpIN3c107complexINSJ_4HalfEEEEEPKSM_lEENS0_5tupleIJPlS6_EEENSR_IJSD_SD_EEES6_PiJS6_EEE10hipError_tPvRmT3_T4_T5_T6_T7_T9_mT8_P12ihipStream_tbDpT10_ENKUlT_T0_E_clISt17integral_constantIbLb1EES1E_IbLb0EEEEDaS1A_S1B_EUlS1A_E_NS1_11comp_targetILNS1_3genE0ELNS1_11target_archE4294967295ELNS1_3gpuE0ELNS1_3repE0EEENS1_30default_config_static_selectorELNS0_4arch9wavefront6targetE0EEEvT1_.kd
    .uniform_work_group_size: 1
    .uses_dynamic_stack: false
    .vgpr_count:     0
    .vgpr_spill_count: 0
    .wavefront_size: 32
    .workgroup_processor_mode: 1
  - .args:
      - .offset:         0
        .size:           120
        .value_kind:     by_value
    .group_segment_fixed_size: 0
    .kernarg_segment_align: 8
    .kernarg_segment_size: 120
    .language:       OpenCL C
    .language_version:
      - 2
      - 0
    .max_flat_workgroup_size: 512
    .name:           _ZN7rocprim17ROCPRIM_400000_NS6detail17trampoline_kernelINS0_14default_configENS1_25partition_config_selectorILNS1_17partition_subalgoE5ElNS0_10empty_typeEbEEZZNS1_14partition_implILS5_5ELb0ES3_mN6hipcub16HIPCUB_304000_NS21CountingInputIteratorIllEEPS6_NSA_22TransformInputIteratorIbN2at6native12_GLOBAL__N_19NonZeroOpIN3c107complexINSJ_4HalfEEEEEPKSM_lEENS0_5tupleIJPlS6_EEENSR_IJSD_SD_EEES6_PiJS6_EEE10hipError_tPvRmT3_T4_T5_T6_T7_T9_mT8_P12ihipStream_tbDpT10_ENKUlT_T0_E_clISt17integral_constantIbLb1EES1E_IbLb0EEEEDaS1A_S1B_EUlS1A_E_NS1_11comp_targetILNS1_3genE5ELNS1_11target_archE942ELNS1_3gpuE9ELNS1_3repE0EEENS1_30default_config_static_selectorELNS0_4arch9wavefront6targetE0EEEvT1_
    .private_segment_fixed_size: 0
    .sgpr_count:     0
    .sgpr_spill_count: 0
    .symbol:         _ZN7rocprim17ROCPRIM_400000_NS6detail17trampoline_kernelINS0_14default_configENS1_25partition_config_selectorILNS1_17partition_subalgoE5ElNS0_10empty_typeEbEEZZNS1_14partition_implILS5_5ELb0ES3_mN6hipcub16HIPCUB_304000_NS21CountingInputIteratorIllEEPS6_NSA_22TransformInputIteratorIbN2at6native12_GLOBAL__N_19NonZeroOpIN3c107complexINSJ_4HalfEEEEEPKSM_lEENS0_5tupleIJPlS6_EEENSR_IJSD_SD_EEES6_PiJS6_EEE10hipError_tPvRmT3_T4_T5_T6_T7_T9_mT8_P12ihipStream_tbDpT10_ENKUlT_T0_E_clISt17integral_constantIbLb1EES1E_IbLb0EEEEDaS1A_S1B_EUlS1A_E_NS1_11comp_targetILNS1_3genE5ELNS1_11target_archE942ELNS1_3gpuE9ELNS1_3repE0EEENS1_30default_config_static_selectorELNS0_4arch9wavefront6targetE0EEEvT1_.kd
    .uniform_work_group_size: 1
    .uses_dynamic_stack: false
    .vgpr_count:     0
    .vgpr_spill_count: 0
    .wavefront_size: 32
    .workgroup_processor_mode: 1
  - .args:
      - .offset:         0
        .size:           120
        .value_kind:     by_value
    .group_segment_fixed_size: 0
    .kernarg_segment_align: 8
    .kernarg_segment_size: 120
    .language:       OpenCL C
    .language_version:
      - 2
      - 0
    .max_flat_workgroup_size: 192
    .name:           _ZN7rocprim17ROCPRIM_400000_NS6detail17trampoline_kernelINS0_14default_configENS1_25partition_config_selectorILNS1_17partition_subalgoE5ElNS0_10empty_typeEbEEZZNS1_14partition_implILS5_5ELb0ES3_mN6hipcub16HIPCUB_304000_NS21CountingInputIteratorIllEEPS6_NSA_22TransformInputIteratorIbN2at6native12_GLOBAL__N_19NonZeroOpIN3c107complexINSJ_4HalfEEEEEPKSM_lEENS0_5tupleIJPlS6_EEENSR_IJSD_SD_EEES6_PiJS6_EEE10hipError_tPvRmT3_T4_T5_T6_T7_T9_mT8_P12ihipStream_tbDpT10_ENKUlT_T0_E_clISt17integral_constantIbLb1EES1E_IbLb0EEEEDaS1A_S1B_EUlS1A_E_NS1_11comp_targetILNS1_3genE4ELNS1_11target_archE910ELNS1_3gpuE8ELNS1_3repE0EEENS1_30default_config_static_selectorELNS0_4arch9wavefront6targetE0EEEvT1_
    .private_segment_fixed_size: 0
    .sgpr_count:     0
    .sgpr_spill_count: 0
    .symbol:         _ZN7rocprim17ROCPRIM_400000_NS6detail17trampoline_kernelINS0_14default_configENS1_25partition_config_selectorILNS1_17partition_subalgoE5ElNS0_10empty_typeEbEEZZNS1_14partition_implILS5_5ELb0ES3_mN6hipcub16HIPCUB_304000_NS21CountingInputIteratorIllEEPS6_NSA_22TransformInputIteratorIbN2at6native12_GLOBAL__N_19NonZeroOpIN3c107complexINSJ_4HalfEEEEEPKSM_lEENS0_5tupleIJPlS6_EEENSR_IJSD_SD_EEES6_PiJS6_EEE10hipError_tPvRmT3_T4_T5_T6_T7_T9_mT8_P12ihipStream_tbDpT10_ENKUlT_T0_E_clISt17integral_constantIbLb1EES1E_IbLb0EEEEDaS1A_S1B_EUlS1A_E_NS1_11comp_targetILNS1_3genE4ELNS1_11target_archE910ELNS1_3gpuE8ELNS1_3repE0EEENS1_30default_config_static_selectorELNS0_4arch9wavefront6targetE0EEEvT1_.kd
    .uniform_work_group_size: 1
    .uses_dynamic_stack: false
    .vgpr_count:     0
    .vgpr_spill_count: 0
    .wavefront_size: 32
    .workgroup_processor_mode: 1
  - .args:
      - .offset:         0
        .size:           120
        .value_kind:     by_value
    .group_segment_fixed_size: 0
    .kernarg_segment_align: 8
    .kernarg_segment_size: 120
    .language:       OpenCL C
    .language_version:
      - 2
      - 0
    .max_flat_workgroup_size: 128
    .name:           _ZN7rocprim17ROCPRIM_400000_NS6detail17trampoline_kernelINS0_14default_configENS1_25partition_config_selectorILNS1_17partition_subalgoE5ElNS0_10empty_typeEbEEZZNS1_14partition_implILS5_5ELb0ES3_mN6hipcub16HIPCUB_304000_NS21CountingInputIteratorIllEEPS6_NSA_22TransformInputIteratorIbN2at6native12_GLOBAL__N_19NonZeroOpIN3c107complexINSJ_4HalfEEEEEPKSM_lEENS0_5tupleIJPlS6_EEENSR_IJSD_SD_EEES6_PiJS6_EEE10hipError_tPvRmT3_T4_T5_T6_T7_T9_mT8_P12ihipStream_tbDpT10_ENKUlT_T0_E_clISt17integral_constantIbLb1EES1E_IbLb0EEEEDaS1A_S1B_EUlS1A_E_NS1_11comp_targetILNS1_3genE3ELNS1_11target_archE908ELNS1_3gpuE7ELNS1_3repE0EEENS1_30default_config_static_selectorELNS0_4arch9wavefront6targetE0EEEvT1_
    .private_segment_fixed_size: 0
    .sgpr_count:     0
    .sgpr_spill_count: 0
    .symbol:         _ZN7rocprim17ROCPRIM_400000_NS6detail17trampoline_kernelINS0_14default_configENS1_25partition_config_selectorILNS1_17partition_subalgoE5ElNS0_10empty_typeEbEEZZNS1_14partition_implILS5_5ELb0ES3_mN6hipcub16HIPCUB_304000_NS21CountingInputIteratorIllEEPS6_NSA_22TransformInputIteratorIbN2at6native12_GLOBAL__N_19NonZeroOpIN3c107complexINSJ_4HalfEEEEEPKSM_lEENS0_5tupleIJPlS6_EEENSR_IJSD_SD_EEES6_PiJS6_EEE10hipError_tPvRmT3_T4_T5_T6_T7_T9_mT8_P12ihipStream_tbDpT10_ENKUlT_T0_E_clISt17integral_constantIbLb1EES1E_IbLb0EEEEDaS1A_S1B_EUlS1A_E_NS1_11comp_targetILNS1_3genE3ELNS1_11target_archE908ELNS1_3gpuE7ELNS1_3repE0EEENS1_30default_config_static_selectorELNS0_4arch9wavefront6targetE0EEEvT1_.kd
    .uniform_work_group_size: 1
    .uses_dynamic_stack: false
    .vgpr_count:     0
    .vgpr_spill_count: 0
    .wavefront_size: 32
    .workgroup_processor_mode: 1
  - .args:
      - .offset:         0
        .size:           120
        .value_kind:     by_value
    .group_segment_fixed_size: 0
    .kernarg_segment_align: 8
    .kernarg_segment_size: 120
    .language:       OpenCL C
    .language_version:
      - 2
      - 0
    .max_flat_workgroup_size: 256
    .name:           _ZN7rocprim17ROCPRIM_400000_NS6detail17trampoline_kernelINS0_14default_configENS1_25partition_config_selectorILNS1_17partition_subalgoE5ElNS0_10empty_typeEbEEZZNS1_14partition_implILS5_5ELb0ES3_mN6hipcub16HIPCUB_304000_NS21CountingInputIteratorIllEEPS6_NSA_22TransformInputIteratorIbN2at6native12_GLOBAL__N_19NonZeroOpIN3c107complexINSJ_4HalfEEEEEPKSM_lEENS0_5tupleIJPlS6_EEENSR_IJSD_SD_EEES6_PiJS6_EEE10hipError_tPvRmT3_T4_T5_T6_T7_T9_mT8_P12ihipStream_tbDpT10_ENKUlT_T0_E_clISt17integral_constantIbLb1EES1E_IbLb0EEEEDaS1A_S1B_EUlS1A_E_NS1_11comp_targetILNS1_3genE2ELNS1_11target_archE906ELNS1_3gpuE6ELNS1_3repE0EEENS1_30default_config_static_selectorELNS0_4arch9wavefront6targetE0EEEvT1_
    .private_segment_fixed_size: 0
    .sgpr_count:     0
    .sgpr_spill_count: 0
    .symbol:         _ZN7rocprim17ROCPRIM_400000_NS6detail17trampoline_kernelINS0_14default_configENS1_25partition_config_selectorILNS1_17partition_subalgoE5ElNS0_10empty_typeEbEEZZNS1_14partition_implILS5_5ELb0ES3_mN6hipcub16HIPCUB_304000_NS21CountingInputIteratorIllEEPS6_NSA_22TransformInputIteratorIbN2at6native12_GLOBAL__N_19NonZeroOpIN3c107complexINSJ_4HalfEEEEEPKSM_lEENS0_5tupleIJPlS6_EEENSR_IJSD_SD_EEES6_PiJS6_EEE10hipError_tPvRmT3_T4_T5_T6_T7_T9_mT8_P12ihipStream_tbDpT10_ENKUlT_T0_E_clISt17integral_constantIbLb1EES1E_IbLb0EEEEDaS1A_S1B_EUlS1A_E_NS1_11comp_targetILNS1_3genE2ELNS1_11target_archE906ELNS1_3gpuE6ELNS1_3repE0EEENS1_30default_config_static_selectorELNS0_4arch9wavefront6targetE0EEEvT1_.kd
    .uniform_work_group_size: 1
    .uses_dynamic_stack: false
    .vgpr_count:     0
    .vgpr_spill_count: 0
    .wavefront_size: 32
    .workgroup_processor_mode: 1
  - .args:
      - .offset:         0
        .size:           120
        .value_kind:     by_value
    .group_segment_fixed_size: 0
    .kernarg_segment_align: 8
    .kernarg_segment_size: 120
    .language:       OpenCL C
    .language_version:
      - 2
      - 0
    .max_flat_workgroup_size: 256
    .name:           _ZN7rocprim17ROCPRIM_400000_NS6detail17trampoline_kernelINS0_14default_configENS1_25partition_config_selectorILNS1_17partition_subalgoE5ElNS0_10empty_typeEbEEZZNS1_14partition_implILS5_5ELb0ES3_mN6hipcub16HIPCUB_304000_NS21CountingInputIteratorIllEEPS6_NSA_22TransformInputIteratorIbN2at6native12_GLOBAL__N_19NonZeroOpIN3c107complexINSJ_4HalfEEEEEPKSM_lEENS0_5tupleIJPlS6_EEENSR_IJSD_SD_EEES6_PiJS6_EEE10hipError_tPvRmT3_T4_T5_T6_T7_T9_mT8_P12ihipStream_tbDpT10_ENKUlT_T0_E_clISt17integral_constantIbLb1EES1E_IbLb0EEEEDaS1A_S1B_EUlS1A_E_NS1_11comp_targetILNS1_3genE10ELNS1_11target_archE1200ELNS1_3gpuE4ELNS1_3repE0EEENS1_30default_config_static_selectorELNS0_4arch9wavefront6targetE0EEEvT1_
    .private_segment_fixed_size: 0
    .sgpr_count:     0
    .sgpr_spill_count: 0
    .symbol:         _ZN7rocprim17ROCPRIM_400000_NS6detail17trampoline_kernelINS0_14default_configENS1_25partition_config_selectorILNS1_17partition_subalgoE5ElNS0_10empty_typeEbEEZZNS1_14partition_implILS5_5ELb0ES3_mN6hipcub16HIPCUB_304000_NS21CountingInputIteratorIllEEPS6_NSA_22TransformInputIteratorIbN2at6native12_GLOBAL__N_19NonZeroOpIN3c107complexINSJ_4HalfEEEEEPKSM_lEENS0_5tupleIJPlS6_EEENSR_IJSD_SD_EEES6_PiJS6_EEE10hipError_tPvRmT3_T4_T5_T6_T7_T9_mT8_P12ihipStream_tbDpT10_ENKUlT_T0_E_clISt17integral_constantIbLb1EES1E_IbLb0EEEEDaS1A_S1B_EUlS1A_E_NS1_11comp_targetILNS1_3genE10ELNS1_11target_archE1200ELNS1_3gpuE4ELNS1_3repE0EEENS1_30default_config_static_selectorELNS0_4arch9wavefront6targetE0EEEvT1_.kd
    .uniform_work_group_size: 1
    .uses_dynamic_stack: false
    .vgpr_count:     0
    .vgpr_spill_count: 0
    .wavefront_size: 32
    .workgroup_processor_mode: 1
  - .args:
      - .offset:         0
        .size:           120
        .value_kind:     by_value
    .group_segment_fixed_size: 6160
    .kernarg_segment_align: 8
    .kernarg_segment_size: 120
    .language:       OpenCL C
    .language_version:
      - 2
      - 0
    .max_flat_workgroup_size: 128
    .name:           _ZN7rocprim17ROCPRIM_400000_NS6detail17trampoline_kernelINS0_14default_configENS1_25partition_config_selectorILNS1_17partition_subalgoE5ElNS0_10empty_typeEbEEZZNS1_14partition_implILS5_5ELb0ES3_mN6hipcub16HIPCUB_304000_NS21CountingInputIteratorIllEEPS6_NSA_22TransformInputIteratorIbN2at6native12_GLOBAL__N_19NonZeroOpIN3c107complexINSJ_4HalfEEEEEPKSM_lEENS0_5tupleIJPlS6_EEENSR_IJSD_SD_EEES6_PiJS6_EEE10hipError_tPvRmT3_T4_T5_T6_T7_T9_mT8_P12ihipStream_tbDpT10_ENKUlT_T0_E_clISt17integral_constantIbLb1EES1E_IbLb0EEEEDaS1A_S1B_EUlS1A_E_NS1_11comp_targetILNS1_3genE9ELNS1_11target_archE1100ELNS1_3gpuE3ELNS1_3repE0EEENS1_30default_config_static_selectorELNS0_4arch9wavefront6targetE0EEEvT1_
    .private_segment_fixed_size: 0
    .sgpr_count:     23
    .sgpr_spill_count: 0
    .symbol:         _ZN7rocprim17ROCPRIM_400000_NS6detail17trampoline_kernelINS0_14default_configENS1_25partition_config_selectorILNS1_17partition_subalgoE5ElNS0_10empty_typeEbEEZZNS1_14partition_implILS5_5ELb0ES3_mN6hipcub16HIPCUB_304000_NS21CountingInputIteratorIllEEPS6_NSA_22TransformInputIteratorIbN2at6native12_GLOBAL__N_19NonZeroOpIN3c107complexINSJ_4HalfEEEEEPKSM_lEENS0_5tupleIJPlS6_EEENSR_IJSD_SD_EEES6_PiJS6_EEE10hipError_tPvRmT3_T4_T5_T6_T7_T9_mT8_P12ihipStream_tbDpT10_ENKUlT_T0_E_clISt17integral_constantIbLb1EES1E_IbLb0EEEEDaS1A_S1B_EUlS1A_E_NS1_11comp_targetILNS1_3genE9ELNS1_11target_archE1100ELNS1_3gpuE3ELNS1_3repE0EEENS1_30default_config_static_selectorELNS0_4arch9wavefront6targetE0EEEvT1_.kd
    .uniform_work_group_size: 1
    .uses_dynamic_stack: false
    .vgpr_count:     57
    .vgpr_spill_count: 0
    .wavefront_size: 32
    .workgroup_processor_mode: 1
  - .args:
      - .offset:         0
        .size:           120
        .value_kind:     by_value
    .group_segment_fixed_size: 0
    .kernarg_segment_align: 8
    .kernarg_segment_size: 120
    .language:       OpenCL C
    .language_version:
      - 2
      - 0
    .max_flat_workgroup_size: 512
    .name:           _ZN7rocprim17ROCPRIM_400000_NS6detail17trampoline_kernelINS0_14default_configENS1_25partition_config_selectorILNS1_17partition_subalgoE5ElNS0_10empty_typeEbEEZZNS1_14partition_implILS5_5ELb0ES3_mN6hipcub16HIPCUB_304000_NS21CountingInputIteratorIllEEPS6_NSA_22TransformInputIteratorIbN2at6native12_GLOBAL__N_19NonZeroOpIN3c107complexINSJ_4HalfEEEEEPKSM_lEENS0_5tupleIJPlS6_EEENSR_IJSD_SD_EEES6_PiJS6_EEE10hipError_tPvRmT3_T4_T5_T6_T7_T9_mT8_P12ihipStream_tbDpT10_ENKUlT_T0_E_clISt17integral_constantIbLb1EES1E_IbLb0EEEEDaS1A_S1B_EUlS1A_E_NS1_11comp_targetILNS1_3genE8ELNS1_11target_archE1030ELNS1_3gpuE2ELNS1_3repE0EEENS1_30default_config_static_selectorELNS0_4arch9wavefront6targetE0EEEvT1_
    .private_segment_fixed_size: 0
    .sgpr_count:     0
    .sgpr_spill_count: 0
    .symbol:         _ZN7rocprim17ROCPRIM_400000_NS6detail17trampoline_kernelINS0_14default_configENS1_25partition_config_selectorILNS1_17partition_subalgoE5ElNS0_10empty_typeEbEEZZNS1_14partition_implILS5_5ELb0ES3_mN6hipcub16HIPCUB_304000_NS21CountingInputIteratorIllEEPS6_NSA_22TransformInputIteratorIbN2at6native12_GLOBAL__N_19NonZeroOpIN3c107complexINSJ_4HalfEEEEEPKSM_lEENS0_5tupleIJPlS6_EEENSR_IJSD_SD_EEES6_PiJS6_EEE10hipError_tPvRmT3_T4_T5_T6_T7_T9_mT8_P12ihipStream_tbDpT10_ENKUlT_T0_E_clISt17integral_constantIbLb1EES1E_IbLb0EEEEDaS1A_S1B_EUlS1A_E_NS1_11comp_targetILNS1_3genE8ELNS1_11target_archE1030ELNS1_3gpuE2ELNS1_3repE0EEENS1_30default_config_static_selectorELNS0_4arch9wavefront6targetE0EEEvT1_.kd
    .uniform_work_group_size: 1
    .uses_dynamic_stack: false
    .vgpr_count:     0
    .vgpr_spill_count: 0
    .wavefront_size: 32
    .workgroup_processor_mode: 1
  - .args:
      - .offset:         0
        .size:           136
        .value_kind:     by_value
    .group_segment_fixed_size: 0
    .kernarg_segment_align: 8
    .kernarg_segment_size: 136
    .language:       OpenCL C
    .language_version:
      - 2
      - 0
    .max_flat_workgroup_size: 128
    .name:           _ZN7rocprim17ROCPRIM_400000_NS6detail17trampoline_kernelINS0_14default_configENS1_25partition_config_selectorILNS1_17partition_subalgoE5ElNS0_10empty_typeEbEEZZNS1_14partition_implILS5_5ELb0ES3_mN6hipcub16HIPCUB_304000_NS21CountingInputIteratorIllEEPS6_NSA_22TransformInputIteratorIbN2at6native12_GLOBAL__N_19NonZeroOpIN3c107complexINSJ_4HalfEEEEEPKSM_lEENS0_5tupleIJPlS6_EEENSR_IJSD_SD_EEES6_PiJS6_EEE10hipError_tPvRmT3_T4_T5_T6_T7_T9_mT8_P12ihipStream_tbDpT10_ENKUlT_T0_E_clISt17integral_constantIbLb0EES1E_IbLb1EEEEDaS1A_S1B_EUlS1A_E_NS1_11comp_targetILNS1_3genE0ELNS1_11target_archE4294967295ELNS1_3gpuE0ELNS1_3repE0EEENS1_30default_config_static_selectorELNS0_4arch9wavefront6targetE0EEEvT1_
    .private_segment_fixed_size: 0
    .sgpr_count:     0
    .sgpr_spill_count: 0
    .symbol:         _ZN7rocprim17ROCPRIM_400000_NS6detail17trampoline_kernelINS0_14default_configENS1_25partition_config_selectorILNS1_17partition_subalgoE5ElNS0_10empty_typeEbEEZZNS1_14partition_implILS5_5ELb0ES3_mN6hipcub16HIPCUB_304000_NS21CountingInputIteratorIllEEPS6_NSA_22TransformInputIteratorIbN2at6native12_GLOBAL__N_19NonZeroOpIN3c107complexINSJ_4HalfEEEEEPKSM_lEENS0_5tupleIJPlS6_EEENSR_IJSD_SD_EEES6_PiJS6_EEE10hipError_tPvRmT3_T4_T5_T6_T7_T9_mT8_P12ihipStream_tbDpT10_ENKUlT_T0_E_clISt17integral_constantIbLb0EES1E_IbLb1EEEEDaS1A_S1B_EUlS1A_E_NS1_11comp_targetILNS1_3genE0ELNS1_11target_archE4294967295ELNS1_3gpuE0ELNS1_3repE0EEENS1_30default_config_static_selectorELNS0_4arch9wavefront6targetE0EEEvT1_.kd
    .uniform_work_group_size: 1
    .uses_dynamic_stack: false
    .vgpr_count:     0
    .vgpr_spill_count: 0
    .wavefront_size: 32
    .workgroup_processor_mode: 1
  - .args:
      - .offset:         0
        .size:           136
        .value_kind:     by_value
    .group_segment_fixed_size: 0
    .kernarg_segment_align: 8
    .kernarg_segment_size: 136
    .language:       OpenCL C
    .language_version:
      - 2
      - 0
    .max_flat_workgroup_size: 512
    .name:           _ZN7rocprim17ROCPRIM_400000_NS6detail17trampoline_kernelINS0_14default_configENS1_25partition_config_selectorILNS1_17partition_subalgoE5ElNS0_10empty_typeEbEEZZNS1_14partition_implILS5_5ELb0ES3_mN6hipcub16HIPCUB_304000_NS21CountingInputIteratorIllEEPS6_NSA_22TransformInputIteratorIbN2at6native12_GLOBAL__N_19NonZeroOpIN3c107complexINSJ_4HalfEEEEEPKSM_lEENS0_5tupleIJPlS6_EEENSR_IJSD_SD_EEES6_PiJS6_EEE10hipError_tPvRmT3_T4_T5_T6_T7_T9_mT8_P12ihipStream_tbDpT10_ENKUlT_T0_E_clISt17integral_constantIbLb0EES1E_IbLb1EEEEDaS1A_S1B_EUlS1A_E_NS1_11comp_targetILNS1_3genE5ELNS1_11target_archE942ELNS1_3gpuE9ELNS1_3repE0EEENS1_30default_config_static_selectorELNS0_4arch9wavefront6targetE0EEEvT1_
    .private_segment_fixed_size: 0
    .sgpr_count:     0
    .sgpr_spill_count: 0
    .symbol:         _ZN7rocprim17ROCPRIM_400000_NS6detail17trampoline_kernelINS0_14default_configENS1_25partition_config_selectorILNS1_17partition_subalgoE5ElNS0_10empty_typeEbEEZZNS1_14partition_implILS5_5ELb0ES3_mN6hipcub16HIPCUB_304000_NS21CountingInputIteratorIllEEPS6_NSA_22TransformInputIteratorIbN2at6native12_GLOBAL__N_19NonZeroOpIN3c107complexINSJ_4HalfEEEEEPKSM_lEENS0_5tupleIJPlS6_EEENSR_IJSD_SD_EEES6_PiJS6_EEE10hipError_tPvRmT3_T4_T5_T6_T7_T9_mT8_P12ihipStream_tbDpT10_ENKUlT_T0_E_clISt17integral_constantIbLb0EES1E_IbLb1EEEEDaS1A_S1B_EUlS1A_E_NS1_11comp_targetILNS1_3genE5ELNS1_11target_archE942ELNS1_3gpuE9ELNS1_3repE0EEENS1_30default_config_static_selectorELNS0_4arch9wavefront6targetE0EEEvT1_.kd
    .uniform_work_group_size: 1
    .uses_dynamic_stack: false
    .vgpr_count:     0
    .vgpr_spill_count: 0
    .wavefront_size: 32
    .workgroup_processor_mode: 1
  - .args:
      - .offset:         0
        .size:           136
        .value_kind:     by_value
    .group_segment_fixed_size: 0
    .kernarg_segment_align: 8
    .kernarg_segment_size: 136
    .language:       OpenCL C
    .language_version:
      - 2
      - 0
    .max_flat_workgroup_size: 192
    .name:           _ZN7rocprim17ROCPRIM_400000_NS6detail17trampoline_kernelINS0_14default_configENS1_25partition_config_selectorILNS1_17partition_subalgoE5ElNS0_10empty_typeEbEEZZNS1_14partition_implILS5_5ELb0ES3_mN6hipcub16HIPCUB_304000_NS21CountingInputIteratorIllEEPS6_NSA_22TransformInputIteratorIbN2at6native12_GLOBAL__N_19NonZeroOpIN3c107complexINSJ_4HalfEEEEEPKSM_lEENS0_5tupleIJPlS6_EEENSR_IJSD_SD_EEES6_PiJS6_EEE10hipError_tPvRmT3_T4_T5_T6_T7_T9_mT8_P12ihipStream_tbDpT10_ENKUlT_T0_E_clISt17integral_constantIbLb0EES1E_IbLb1EEEEDaS1A_S1B_EUlS1A_E_NS1_11comp_targetILNS1_3genE4ELNS1_11target_archE910ELNS1_3gpuE8ELNS1_3repE0EEENS1_30default_config_static_selectorELNS0_4arch9wavefront6targetE0EEEvT1_
    .private_segment_fixed_size: 0
    .sgpr_count:     0
    .sgpr_spill_count: 0
    .symbol:         _ZN7rocprim17ROCPRIM_400000_NS6detail17trampoline_kernelINS0_14default_configENS1_25partition_config_selectorILNS1_17partition_subalgoE5ElNS0_10empty_typeEbEEZZNS1_14partition_implILS5_5ELb0ES3_mN6hipcub16HIPCUB_304000_NS21CountingInputIteratorIllEEPS6_NSA_22TransformInputIteratorIbN2at6native12_GLOBAL__N_19NonZeroOpIN3c107complexINSJ_4HalfEEEEEPKSM_lEENS0_5tupleIJPlS6_EEENSR_IJSD_SD_EEES6_PiJS6_EEE10hipError_tPvRmT3_T4_T5_T6_T7_T9_mT8_P12ihipStream_tbDpT10_ENKUlT_T0_E_clISt17integral_constantIbLb0EES1E_IbLb1EEEEDaS1A_S1B_EUlS1A_E_NS1_11comp_targetILNS1_3genE4ELNS1_11target_archE910ELNS1_3gpuE8ELNS1_3repE0EEENS1_30default_config_static_selectorELNS0_4arch9wavefront6targetE0EEEvT1_.kd
    .uniform_work_group_size: 1
    .uses_dynamic_stack: false
    .vgpr_count:     0
    .vgpr_spill_count: 0
    .wavefront_size: 32
    .workgroup_processor_mode: 1
  - .args:
      - .offset:         0
        .size:           136
        .value_kind:     by_value
    .group_segment_fixed_size: 0
    .kernarg_segment_align: 8
    .kernarg_segment_size: 136
    .language:       OpenCL C
    .language_version:
      - 2
      - 0
    .max_flat_workgroup_size: 128
    .name:           _ZN7rocprim17ROCPRIM_400000_NS6detail17trampoline_kernelINS0_14default_configENS1_25partition_config_selectorILNS1_17partition_subalgoE5ElNS0_10empty_typeEbEEZZNS1_14partition_implILS5_5ELb0ES3_mN6hipcub16HIPCUB_304000_NS21CountingInputIteratorIllEEPS6_NSA_22TransformInputIteratorIbN2at6native12_GLOBAL__N_19NonZeroOpIN3c107complexINSJ_4HalfEEEEEPKSM_lEENS0_5tupleIJPlS6_EEENSR_IJSD_SD_EEES6_PiJS6_EEE10hipError_tPvRmT3_T4_T5_T6_T7_T9_mT8_P12ihipStream_tbDpT10_ENKUlT_T0_E_clISt17integral_constantIbLb0EES1E_IbLb1EEEEDaS1A_S1B_EUlS1A_E_NS1_11comp_targetILNS1_3genE3ELNS1_11target_archE908ELNS1_3gpuE7ELNS1_3repE0EEENS1_30default_config_static_selectorELNS0_4arch9wavefront6targetE0EEEvT1_
    .private_segment_fixed_size: 0
    .sgpr_count:     0
    .sgpr_spill_count: 0
    .symbol:         _ZN7rocprim17ROCPRIM_400000_NS6detail17trampoline_kernelINS0_14default_configENS1_25partition_config_selectorILNS1_17partition_subalgoE5ElNS0_10empty_typeEbEEZZNS1_14partition_implILS5_5ELb0ES3_mN6hipcub16HIPCUB_304000_NS21CountingInputIteratorIllEEPS6_NSA_22TransformInputIteratorIbN2at6native12_GLOBAL__N_19NonZeroOpIN3c107complexINSJ_4HalfEEEEEPKSM_lEENS0_5tupleIJPlS6_EEENSR_IJSD_SD_EEES6_PiJS6_EEE10hipError_tPvRmT3_T4_T5_T6_T7_T9_mT8_P12ihipStream_tbDpT10_ENKUlT_T0_E_clISt17integral_constantIbLb0EES1E_IbLb1EEEEDaS1A_S1B_EUlS1A_E_NS1_11comp_targetILNS1_3genE3ELNS1_11target_archE908ELNS1_3gpuE7ELNS1_3repE0EEENS1_30default_config_static_selectorELNS0_4arch9wavefront6targetE0EEEvT1_.kd
    .uniform_work_group_size: 1
    .uses_dynamic_stack: false
    .vgpr_count:     0
    .vgpr_spill_count: 0
    .wavefront_size: 32
    .workgroup_processor_mode: 1
  - .args:
      - .offset:         0
        .size:           136
        .value_kind:     by_value
    .group_segment_fixed_size: 0
    .kernarg_segment_align: 8
    .kernarg_segment_size: 136
    .language:       OpenCL C
    .language_version:
      - 2
      - 0
    .max_flat_workgroup_size: 256
    .name:           _ZN7rocprim17ROCPRIM_400000_NS6detail17trampoline_kernelINS0_14default_configENS1_25partition_config_selectorILNS1_17partition_subalgoE5ElNS0_10empty_typeEbEEZZNS1_14partition_implILS5_5ELb0ES3_mN6hipcub16HIPCUB_304000_NS21CountingInputIteratorIllEEPS6_NSA_22TransformInputIteratorIbN2at6native12_GLOBAL__N_19NonZeroOpIN3c107complexINSJ_4HalfEEEEEPKSM_lEENS0_5tupleIJPlS6_EEENSR_IJSD_SD_EEES6_PiJS6_EEE10hipError_tPvRmT3_T4_T5_T6_T7_T9_mT8_P12ihipStream_tbDpT10_ENKUlT_T0_E_clISt17integral_constantIbLb0EES1E_IbLb1EEEEDaS1A_S1B_EUlS1A_E_NS1_11comp_targetILNS1_3genE2ELNS1_11target_archE906ELNS1_3gpuE6ELNS1_3repE0EEENS1_30default_config_static_selectorELNS0_4arch9wavefront6targetE0EEEvT1_
    .private_segment_fixed_size: 0
    .sgpr_count:     0
    .sgpr_spill_count: 0
    .symbol:         _ZN7rocprim17ROCPRIM_400000_NS6detail17trampoline_kernelINS0_14default_configENS1_25partition_config_selectorILNS1_17partition_subalgoE5ElNS0_10empty_typeEbEEZZNS1_14partition_implILS5_5ELb0ES3_mN6hipcub16HIPCUB_304000_NS21CountingInputIteratorIllEEPS6_NSA_22TransformInputIteratorIbN2at6native12_GLOBAL__N_19NonZeroOpIN3c107complexINSJ_4HalfEEEEEPKSM_lEENS0_5tupleIJPlS6_EEENSR_IJSD_SD_EEES6_PiJS6_EEE10hipError_tPvRmT3_T4_T5_T6_T7_T9_mT8_P12ihipStream_tbDpT10_ENKUlT_T0_E_clISt17integral_constantIbLb0EES1E_IbLb1EEEEDaS1A_S1B_EUlS1A_E_NS1_11comp_targetILNS1_3genE2ELNS1_11target_archE906ELNS1_3gpuE6ELNS1_3repE0EEENS1_30default_config_static_selectorELNS0_4arch9wavefront6targetE0EEEvT1_.kd
    .uniform_work_group_size: 1
    .uses_dynamic_stack: false
    .vgpr_count:     0
    .vgpr_spill_count: 0
    .wavefront_size: 32
    .workgroup_processor_mode: 1
  - .args:
      - .offset:         0
        .size:           136
        .value_kind:     by_value
    .group_segment_fixed_size: 0
    .kernarg_segment_align: 8
    .kernarg_segment_size: 136
    .language:       OpenCL C
    .language_version:
      - 2
      - 0
    .max_flat_workgroup_size: 256
    .name:           _ZN7rocprim17ROCPRIM_400000_NS6detail17trampoline_kernelINS0_14default_configENS1_25partition_config_selectorILNS1_17partition_subalgoE5ElNS0_10empty_typeEbEEZZNS1_14partition_implILS5_5ELb0ES3_mN6hipcub16HIPCUB_304000_NS21CountingInputIteratorIllEEPS6_NSA_22TransformInputIteratorIbN2at6native12_GLOBAL__N_19NonZeroOpIN3c107complexINSJ_4HalfEEEEEPKSM_lEENS0_5tupleIJPlS6_EEENSR_IJSD_SD_EEES6_PiJS6_EEE10hipError_tPvRmT3_T4_T5_T6_T7_T9_mT8_P12ihipStream_tbDpT10_ENKUlT_T0_E_clISt17integral_constantIbLb0EES1E_IbLb1EEEEDaS1A_S1B_EUlS1A_E_NS1_11comp_targetILNS1_3genE10ELNS1_11target_archE1200ELNS1_3gpuE4ELNS1_3repE0EEENS1_30default_config_static_selectorELNS0_4arch9wavefront6targetE0EEEvT1_
    .private_segment_fixed_size: 0
    .sgpr_count:     0
    .sgpr_spill_count: 0
    .symbol:         _ZN7rocprim17ROCPRIM_400000_NS6detail17trampoline_kernelINS0_14default_configENS1_25partition_config_selectorILNS1_17partition_subalgoE5ElNS0_10empty_typeEbEEZZNS1_14partition_implILS5_5ELb0ES3_mN6hipcub16HIPCUB_304000_NS21CountingInputIteratorIllEEPS6_NSA_22TransformInputIteratorIbN2at6native12_GLOBAL__N_19NonZeroOpIN3c107complexINSJ_4HalfEEEEEPKSM_lEENS0_5tupleIJPlS6_EEENSR_IJSD_SD_EEES6_PiJS6_EEE10hipError_tPvRmT3_T4_T5_T6_T7_T9_mT8_P12ihipStream_tbDpT10_ENKUlT_T0_E_clISt17integral_constantIbLb0EES1E_IbLb1EEEEDaS1A_S1B_EUlS1A_E_NS1_11comp_targetILNS1_3genE10ELNS1_11target_archE1200ELNS1_3gpuE4ELNS1_3repE0EEENS1_30default_config_static_selectorELNS0_4arch9wavefront6targetE0EEEvT1_.kd
    .uniform_work_group_size: 1
    .uses_dynamic_stack: false
    .vgpr_count:     0
    .vgpr_spill_count: 0
    .wavefront_size: 32
    .workgroup_processor_mode: 1
  - .args:
      - .offset:         0
        .size:           136
        .value_kind:     by_value
    .group_segment_fixed_size: 6160
    .kernarg_segment_align: 8
    .kernarg_segment_size: 136
    .language:       OpenCL C
    .language_version:
      - 2
      - 0
    .max_flat_workgroup_size: 128
    .name:           _ZN7rocprim17ROCPRIM_400000_NS6detail17trampoline_kernelINS0_14default_configENS1_25partition_config_selectorILNS1_17partition_subalgoE5ElNS0_10empty_typeEbEEZZNS1_14partition_implILS5_5ELb0ES3_mN6hipcub16HIPCUB_304000_NS21CountingInputIteratorIllEEPS6_NSA_22TransformInputIteratorIbN2at6native12_GLOBAL__N_19NonZeroOpIN3c107complexINSJ_4HalfEEEEEPKSM_lEENS0_5tupleIJPlS6_EEENSR_IJSD_SD_EEES6_PiJS6_EEE10hipError_tPvRmT3_T4_T5_T6_T7_T9_mT8_P12ihipStream_tbDpT10_ENKUlT_T0_E_clISt17integral_constantIbLb0EES1E_IbLb1EEEEDaS1A_S1B_EUlS1A_E_NS1_11comp_targetILNS1_3genE9ELNS1_11target_archE1100ELNS1_3gpuE3ELNS1_3repE0EEENS1_30default_config_static_selectorELNS0_4arch9wavefront6targetE0EEEvT1_
    .private_segment_fixed_size: 0
    .sgpr_count:     26
    .sgpr_spill_count: 0
    .symbol:         _ZN7rocprim17ROCPRIM_400000_NS6detail17trampoline_kernelINS0_14default_configENS1_25partition_config_selectorILNS1_17partition_subalgoE5ElNS0_10empty_typeEbEEZZNS1_14partition_implILS5_5ELb0ES3_mN6hipcub16HIPCUB_304000_NS21CountingInputIteratorIllEEPS6_NSA_22TransformInputIteratorIbN2at6native12_GLOBAL__N_19NonZeroOpIN3c107complexINSJ_4HalfEEEEEPKSM_lEENS0_5tupleIJPlS6_EEENSR_IJSD_SD_EEES6_PiJS6_EEE10hipError_tPvRmT3_T4_T5_T6_T7_T9_mT8_P12ihipStream_tbDpT10_ENKUlT_T0_E_clISt17integral_constantIbLb0EES1E_IbLb1EEEEDaS1A_S1B_EUlS1A_E_NS1_11comp_targetILNS1_3genE9ELNS1_11target_archE1100ELNS1_3gpuE3ELNS1_3repE0EEENS1_30default_config_static_selectorELNS0_4arch9wavefront6targetE0EEEvT1_.kd
    .uniform_work_group_size: 1
    .uses_dynamic_stack: false
    .vgpr_count:     57
    .vgpr_spill_count: 0
    .wavefront_size: 32
    .workgroup_processor_mode: 1
  - .args:
      - .offset:         0
        .size:           136
        .value_kind:     by_value
    .group_segment_fixed_size: 0
    .kernarg_segment_align: 8
    .kernarg_segment_size: 136
    .language:       OpenCL C
    .language_version:
      - 2
      - 0
    .max_flat_workgroup_size: 512
    .name:           _ZN7rocprim17ROCPRIM_400000_NS6detail17trampoline_kernelINS0_14default_configENS1_25partition_config_selectorILNS1_17partition_subalgoE5ElNS0_10empty_typeEbEEZZNS1_14partition_implILS5_5ELb0ES3_mN6hipcub16HIPCUB_304000_NS21CountingInputIteratorIllEEPS6_NSA_22TransformInputIteratorIbN2at6native12_GLOBAL__N_19NonZeroOpIN3c107complexINSJ_4HalfEEEEEPKSM_lEENS0_5tupleIJPlS6_EEENSR_IJSD_SD_EEES6_PiJS6_EEE10hipError_tPvRmT3_T4_T5_T6_T7_T9_mT8_P12ihipStream_tbDpT10_ENKUlT_T0_E_clISt17integral_constantIbLb0EES1E_IbLb1EEEEDaS1A_S1B_EUlS1A_E_NS1_11comp_targetILNS1_3genE8ELNS1_11target_archE1030ELNS1_3gpuE2ELNS1_3repE0EEENS1_30default_config_static_selectorELNS0_4arch9wavefront6targetE0EEEvT1_
    .private_segment_fixed_size: 0
    .sgpr_count:     0
    .sgpr_spill_count: 0
    .symbol:         _ZN7rocprim17ROCPRIM_400000_NS6detail17trampoline_kernelINS0_14default_configENS1_25partition_config_selectorILNS1_17partition_subalgoE5ElNS0_10empty_typeEbEEZZNS1_14partition_implILS5_5ELb0ES3_mN6hipcub16HIPCUB_304000_NS21CountingInputIteratorIllEEPS6_NSA_22TransformInputIteratorIbN2at6native12_GLOBAL__N_19NonZeroOpIN3c107complexINSJ_4HalfEEEEEPKSM_lEENS0_5tupleIJPlS6_EEENSR_IJSD_SD_EEES6_PiJS6_EEE10hipError_tPvRmT3_T4_T5_T6_T7_T9_mT8_P12ihipStream_tbDpT10_ENKUlT_T0_E_clISt17integral_constantIbLb0EES1E_IbLb1EEEEDaS1A_S1B_EUlS1A_E_NS1_11comp_targetILNS1_3genE8ELNS1_11target_archE1030ELNS1_3gpuE2ELNS1_3repE0EEENS1_30default_config_static_selectorELNS0_4arch9wavefront6targetE0EEEvT1_.kd
    .uniform_work_group_size: 1
    .uses_dynamic_stack: false
    .vgpr_count:     0
    .vgpr_spill_count: 0
    .wavefront_size: 32
    .workgroup_processor_mode: 1
  - .args:
      - .offset:         0
        .size:           56
        .value_kind:     by_value
    .group_segment_fixed_size: 0
    .kernarg_segment_align: 8
    .kernarg_segment_size: 56
    .language:       OpenCL C
    .language_version:
      - 2
      - 0
    .max_flat_workgroup_size: 256
    .name:           _ZN7rocprim17ROCPRIM_400000_NS6detail17trampoline_kernelINS0_14default_configENS1_22reduce_config_selectorIiEEZNS1_11reduce_implILb1ES3_PiS7_iN6hipcub16HIPCUB_304000_NS6detail34convert_binary_result_type_wrapperINS9_3SumENS9_22TransformInputIteratorIbN2at6native12_GLOBAL__N_19NonZeroOpIbEEPKblEEiEEEE10hipError_tPvRmT1_T2_T3_mT4_P12ihipStream_tbEUlT_E0_NS1_11comp_targetILNS1_3genE0ELNS1_11target_archE4294967295ELNS1_3gpuE0ELNS1_3repE0EEENS1_30default_config_static_selectorELNS0_4arch9wavefront6targetE0EEEvSQ_
    .private_segment_fixed_size: 0
    .sgpr_count:     0
    .sgpr_spill_count: 0
    .symbol:         _ZN7rocprim17ROCPRIM_400000_NS6detail17trampoline_kernelINS0_14default_configENS1_22reduce_config_selectorIiEEZNS1_11reduce_implILb1ES3_PiS7_iN6hipcub16HIPCUB_304000_NS6detail34convert_binary_result_type_wrapperINS9_3SumENS9_22TransformInputIteratorIbN2at6native12_GLOBAL__N_19NonZeroOpIbEEPKblEEiEEEE10hipError_tPvRmT1_T2_T3_mT4_P12ihipStream_tbEUlT_E0_NS1_11comp_targetILNS1_3genE0ELNS1_11target_archE4294967295ELNS1_3gpuE0ELNS1_3repE0EEENS1_30default_config_static_selectorELNS0_4arch9wavefront6targetE0EEEvSQ_.kd
    .uniform_work_group_size: 1
    .uses_dynamic_stack: false
    .vgpr_count:     0
    .vgpr_spill_count: 0
    .wavefront_size: 32
    .workgroup_processor_mode: 1
  - .args:
      - .offset:         0
        .size:           56
        .value_kind:     by_value
    .group_segment_fixed_size: 0
    .kernarg_segment_align: 8
    .kernarg_segment_size: 56
    .language:       OpenCL C
    .language_version:
      - 2
      - 0
    .max_flat_workgroup_size: 256
    .name:           _ZN7rocprim17ROCPRIM_400000_NS6detail17trampoline_kernelINS0_14default_configENS1_22reduce_config_selectorIiEEZNS1_11reduce_implILb1ES3_PiS7_iN6hipcub16HIPCUB_304000_NS6detail34convert_binary_result_type_wrapperINS9_3SumENS9_22TransformInputIteratorIbN2at6native12_GLOBAL__N_19NonZeroOpIbEEPKblEEiEEEE10hipError_tPvRmT1_T2_T3_mT4_P12ihipStream_tbEUlT_E0_NS1_11comp_targetILNS1_3genE5ELNS1_11target_archE942ELNS1_3gpuE9ELNS1_3repE0EEENS1_30default_config_static_selectorELNS0_4arch9wavefront6targetE0EEEvSQ_
    .private_segment_fixed_size: 0
    .sgpr_count:     0
    .sgpr_spill_count: 0
    .symbol:         _ZN7rocprim17ROCPRIM_400000_NS6detail17trampoline_kernelINS0_14default_configENS1_22reduce_config_selectorIiEEZNS1_11reduce_implILb1ES3_PiS7_iN6hipcub16HIPCUB_304000_NS6detail34convert_binary_result_type_wrapperINS9_3SumENS9_22TransformInputIteratorIbN2at6native12_GLOBAL__N_19NonZeroOpIbEEPKblEEiEEEE10hipError_tPvRmT1_T2_T3_mT4_P12ihipStream_tbEUlT_E0_NS1_11comp_targetILNS1_3genE5ELNS1_11target_archE942ELNS1_3gpuE9ELNS1_3repE0EEENS1_30default_config_static_selectorELNS0_4arch9wavefront6targetE0EEEvSQ_.kd
    .uniform_work_group_size: 1
    .uses_dynamic_stack: false
    .vgpr_count:     0
    .vgpr_spill_count: 0
    .wavefront_size: 32
    .workgroup_processor_mode: 1
  - .args:
      - .offset:         0
        .size:           56
        .value_kind:     by_value
    .group_segment_fixed_size: 0
    .kernarg_segment_align: 8
    .kernarg_segment_size: 56
    .language:       OpenCL C
    .language_version:
      - 2
      - 0
    .max_flat_workgroup_size: 128
    .name:           _ZN7rocprim17ROCPRIM_400000_NS6detail17trampoline_kernelINS0_14default_configENS1_22reduce_config_selectorIiEEZNS1_11reduce_implILb1ES3_PiS7_iN6hipcub16HIPCUB_304000_NS6detail34convert_binary_result_type_wrapperINS9_3SumENS9_22TransformInputIteratorIbN2at6native12_GLOBAL__N_19NonZeroOpIbEEPKblEEiEEEE10hipError_tPvRmT1_T2_T3_mT4_P12ihipStream_tbEUlT_E0_NS1_11comp_targetILNS1_3genE4ELNS1_11target_archE910ELNS1_3gpuE8ELNS1_3repE0EEENS1_30default_config_static_selectorELNS0_4arch9wavefront6targetE0EEEvSQ_
    .private_segment_fixed_size: 0
    .sgpr_count:     0
    .sgpr_spill_count: 0
    .symbol:         _ZN7rocprim17ROCPRIM_400000_NS6detail17trampoline_kernelINS0_14default_configENS1_22reduce_config_selectorIiEEZNS1_11reduce_implILb1ES3_PiS7_iN6hipcub16HIPCUB_304000_NS6detail34convert_binary_result_type_wrapperINS9_3SumENS9_22TransformInputIteratorIbN2at6native12_GLOBAL__N_19NonZeroOpIbEEPKblEEiEEEE10hipError_tPvRmT1_T2_T3_mT4_P12ihipStream_tbEUlT_E0_NS1_11comp_targetILNS1_3genE4ELNS1_11target_archE910ELNS1_3gpuE8ELNS1_3repE0EEENS1_30default_config_static_selectorELNS0_4arch9wavefront6targetE0EEEvSQ_.kd
    .uniform_work_group_size: 1
    .uses_dynamic_stack: false
    .vgpr_count:     0
    .vgpr_spill_count: 0
    .wavefront_size: 32
    .workgroup_processor_mode: 1
  - .args:
      - .offset:         0
        .size:           56
        .value_kind:     by_value
    .group_segment_fixed_size: 0
    .kernarg_segment_align: 8
    .kernarg_segment_size: 56
    .language:       OpenCL C
    .language_version:
      - 2
      - 0
    .max_flat_workgroup_size: 256
    .name:           _ZN7rocprim17ROCPRIM_400000_NS6detail17trampoline_kernelINS0_14default_configENS1_22reduce_config_selectorIiEEZNS1_11reduce_implILb1ES3_PiS7_iN6hipcub16HIPCUB_304000_NS6detail34convert_binary_result_type_wrapperINS9_3SumENS9_22TransformInputIteratorIbN2at6native12_GLOBAL__N_19NonZeroOpIbEEPKblEEiEEEE10hipError_tPvRmT1_T2_T3_mT4_P12ihipStream_tbEUlT_E0_NS1_11comp_targetILNS1_3genE3ELNS1_11target_archE908ELNS1_3gpuE7ELNS1_3repE0EEENS1_30default_config_static_selectorELNS0_4arch9wavefront6targetE0EEEvSQ_
    .private_segment_fixed_size: 0
    .sgpr_count:     0
    .sgpr_spill_count: 0
    .symbol:         _ZN7rocprim17ROCPRIM_400000_NS6detail17trampoline_kernelINS0_14default_configENS1_22reduce_config_selectorIiEEZNS1_11reduce_implILb1ES3_PiS7_iN6hipcub16HIPCUB_304000_NS6detail34convert_binary_result_type_wrapperINS9_3SumENS9_22TransformInputIteratorIbN2at6native12_GLOBAL__N_19NonZeroOpIbEEPKblEEiEEEE10hipError_tPvRmT1_T2_T3_mT4_P12ihipStream_tbEUlT_E0_NS1_11comp_targetILNS1_3genE3ELNS1_11target_archE908ELNS1_3gpuE7ELNS1_3repE0EEENS1_30default_config_static_selectorELNS0_4arch9wavefront6targetE0EEEvSQ_.kd
    .uniform_work_group_size: 1
    .uses_dynamic_stack: false
    .vgpr_count:     0
    .vgpr_spill_count: 0
    .wavefront_size: 32
    .workgroup_processor_mode: 1
  - .args:
      - .offset:         0
        .size:           56
        .value_kind:     by_value
    .group_segment_fixed_size: 0
    .kernarg_segment_align: 8
    .kernarg_segment_size: 56
    .language:       OpenCL C
    .language_version:
      - 2
      - 0
    .max_flat_workgroup_size: 256
    .name:           _ZN7rocprim17ROCPRIM_400000_NS6detail17trampoline_kernelINS0_14default_configENS1_22reduce_config_selectorIiEEZNS1_11reduce_implILb1ES3_PiS7_iN6hipcub16HIPCUB_304000_NS6detail34convert_binary_result_type_wrapperINS9_3SumENS9_22TransformInputIteratorIbN2at6native12_GLOBAL__N_19NonZeroOpIbEEPKblEEiEEEE10hipError_tPvRmT1_T2_T3_mT4_P12ihipStream_tbEUlT_E0_NS1_11comp_targetILNS1_3genE2ELNS1_11target_archE906ELNS1_3gpuE6ELNS1_3repE0EEENS1_30default_config_static_selectorELNS0_4arch9wavefront6targetE0EEEvSQ_
    .private_segment_fixed_size: 0
    .sgpr_count:     0
    .sgpr_spill_count: 0
    .symbol:         _ZN7rocprim17ROCPRIM_400000_NS6detail17trampoline_kernelINS0_14default_configENS1_22reduce_config_selectorIiEEZNS1_11reduce_implILb1ES3_PiS7_iN6hipcub16HIPCUB_304000_NS6detail34convert_binary_result_type_wrapperINS9_3SumENS9_22TransformInputIteratorIbN2at6native12_GLOBAL__N_19NonZeroOpIbEEPKblEEiEEEE10hipError_tPvRmT1_T2_T3_mT4_P12ihipStream_tbEUlT_E0_NS1_11comp_targetILNS1_3genE2ELNS1_11target_archE906ELNS1_3gpuE6ELNS1_3repE0EEENS1_30default_config_static_selectorELNS0_4arch9wavefront6targetE0EEEvSQ_.kd
    .uniform_work_group_size: 1
    .uses_dynamic_stack: false
    .vgpr_count:     0
    .vgpr_spill_count: 0
    .wavefront_size: 32
    .workgroup_processor_mode: 1
  - .args:
      - .offset:         0
        .size:           56
        .value_kind:     by_value
    .group_segment_fixed_size: 0
    .kernarg_segment_align: 8
    .kernarg_segment_size: 56
    .language:       OpenCL C
    .language_version:
      - 2
      - 0
    .max_flat_workgroup_size: 256
    .name:           _ZN7rocprim17ROCPRIM_400000_NS6detail17trampoline_kernelINS0_14default_configENS1_22reduce_config_selectorIiEEZNS1_11reduce_implILb1ES3_PiS7_iN6hipcub16HIPCUB_304000_NS6detail34convert_binary_result_type_wrapperINS9_3SumENS9_22TransformInputIteratorIbN2at6native12_GLOBAL__N_19NonZeroOpIbEEPKblEEiEEEE10hipError_tPvRmT1_T2_T3_mT4_P12ihipStream_tbEUlT_E0_NS1_11comp_targetILNS1_3genE10ELNS1_11target_archE1201ELNS1_3gpuE5ELNS1_3repE0EEENS1_30default_config_static_selectorELNS0_4arch9wavefront6targetE0EEEvSQ_
    .private_segment_fixed_size: 0
    .sgpr_count:     0
    .sgpr_spill_count: 0
    .symbol:         _ZN7rocprim17ROCPRIM_400000_NS6detail17trampoline_kernelINS0_14default_configENS1_22reduce_config_selectorIiEEZNS1_11reduce_implILb1ES3_PiS7_iN6hipcub16HIPCUB_304000_NS6detail34convert_binary_result_type_wrapperINS9_3SumENS9_22TransformInputIteratorIbN2at6native12_GLOBAL__N_19NonZeroOpIbEEPKblEEiEEEE10hipError_tPvRmT1_T2_T3_mT4_P12ihipStream_tbEUlT_E0_NS1_11comp_targetILNS1_3genE10ELNS1_11target_archE1201ELNS1_3gpuE5ELNS1_3repE0EEENS1_30default_config_static_selectorELNS0_4arch9wavefront6targetE0EEEvSQ_.kd
    .uniform_work_group_size: 1
    .uses_dynamic_stack: false
    .vgpr_count:     0
    .vgpr_spill_count: 0
    .wavefront_size: 32
    .workgroup_processor_mode: 1
  - .args:
      - .offset:         0
        .size:           56
        .value_kind:     by_value
    .group_segment_fixed_size: 0
    .kernarg_segment_align: 8
    .kernarg_segment_size: 56
    .language:       OpenCL C
    .language_version:
      - 2
      - 0
    .max_flat_workgroup_size: 256
    .name:           _ZN7rocprim17ROCPRIM_400000_NS6detail17trampoline_kernelINS0_14default_configENS1_22reduce_config_selectorIiEEZNS1_11reduce_implILb1ES3_PiS7_iN6hipcub16HIPCUB_304000_NS6detail34convert_binary_result_type_wrapperINS9_3SumENS9_22TransformInputIteratorIbN2at6native12_GLOBAL__N_19NonZeroOpIbEEPKblEEiEEEE10hipError_tPvRmT1_T2_T3_mT4_P12ihipStream_tbEUlT_E0_NS1_11comp_targetILNS1_3genE10ELNS1_11target_archE1200ELNS1_3gpuE4ELNS1_3repE0EEENS1_30default_config_static_selectorELNS0_4arch9wavefront6targetE0EEEvSQ_
    .private_segment_fixed_size: 0
    .sgpr_count:     0
    .sgpr_spill_count: 0
    .symbol:         _ZN7rocprim17ROCPRIM_400000_NS6detail17trampoline_kernelINS0_14default_configENS1_22reduce_config_selectorIiEEZNS1_11reduce_implILb1ES3_PiS7_iN6hipcub16HIPCUB_304000_NS6detail34convert_binary_result_type_wrapperINS9_3SumENS9_22TransformInputIteratorIbN2at6native12_GLOBAL__N_19NonZeroOpIbEEPKblEEiEEEE10hipError_tPvRmT1_T2_T3_mT4_P12ihipStream_tbEUlT_E0_NS1_11comp_targetILNS1_3genE10ELNS1_11target_archE1200ELNS1_3gpuE4ELNS1_3repE0EEENS1_30default_config_static_selectorELNS0_4arch9wavefront6targetE0EEEvSQ_.kd
    .uniform_work_group_size: 1
    .uses_dynamic_stack: false
    .vgpr_count:     0
    .vgpr_spill_count: 0
    .wavefront_size: 32
    .workgroup_processor_mode: 1
  - .args:
      - .offset:         0
        .size:           56
        .value_kind:     by_value
    .group_segment_fixed_size: 64
    .kernarg_segment_align: 8
    .kernarg_segment_size: 56
    .language:       OpenCL C
    .language_version:
      - 2
      - 0
    .max_flat_workgroup_size: 256
    .name:           _ZN7rocprim17ROCPRIM_400000_NS6detail17trampoline_kernelINS0_14default_configENS1_22reduce_config_selectorIiEEZNS1_11reduce_implILb1ES3_PiS7_iN6hipcub16HIPCUB_304000_NS6detail34convert_binary_result_type_wrapperINS9_3SumENS9_22TransformInputIteratorIbN2at6native12_GLOBAL__N_19NonZeroOpIbEEPKblEEiEEEE10hipError_tPvRmT1_T2_T3_mT4_P12ihipStream_tbEUlT_E0_NS1_11comp_targetILNS1_3genE9ELNS1_11target_archE1100ELNS1_3gpuE3ELNS1_3repE0EEENS1_30default_config_static_selectorELNS0_4arch9wavefront6targetE0EEEvSQ_
    .private_segment_fixed_size: 0
    .sgpr_count:     24
    .sgpr_spill_count: 0
    .symbol:         _ZN7rocprim17ROCPRIM_400000_NS6detail17trampoline_kernelINS0_14default_configENS1_22reduce_config_selectorIiEEZNS1_11reduce_implILb1ES3_PiS7_iN6hipcub16HIPCUB_304000_NS6detail34convert_binary_result_type_wrapperINS9_3SumENS9_22TransformInputIteratorIbN2at6native12_GLOBAL__N_19NonZeroOpIbEEPKblEEiEEEE10hipError_tPvRmT1_T2_T3_mT4_P12ihipStream_tbEUlT_E0_NS1_11comp_targetILNS1_3genE9ELNS1_11target_archE1100ELNS1_3gpuE3ELNS1_3repE0EEENS1_30default_config_static_selectorELNS0_4arch9wavefront6targetE0EEEvSQ_.kd
    .uniform_work_group_size: 1
    .uses_dynamic_stack: false
    .vgpr_count:     12
    .vgpr_spill_count: 0
    .wavefront_size: 32
    .workgroup_processor_mode: 1
  - .args:
      - .offset:         0
        .size:           56
        .value_kind:     by_value
    .group_segment_fixed_size: 0
    .kernarg_segment_align: 8
    .kernarg_segment_size: 56
    .language:       OpenCL C
    .language_version:
      - 2
      - 0
    .max_flat_workgroup_size: 256
    .name:           _ZN7rocprim17ROCPRIM_400000_NS6detail17trampoline_kernelINS0_14default_configENS1_22reduce_config_selectorIiEEZNS1_11reduce_implILb1ES3_PiS7_iN6hipcub16HIPCUB_304000_NS6detail34convert_binary_result_type_wrapperINS9_3SumENS9_22TransformInputIteratorIbN2at6native12_GLOBAL__N_19NonZeroOpIbEEPKblEEiEEEE10hipError_tPvRmT1_T2_T3_mT4_P12ihipStream_tbEUlT_E0_NS1_11comp_targetILNS1_3genE8ELNS1_11target_archE1030ELNS1_3gpuE2ELNS1_3repE0EEENS1_30default_config_static_selectorELNS0_4arch9wavefront6targetE0EEEvSQ_
    .private_segment_fixed_size: 0
    .sgpr_count:     0
    .sgpr_spill_count: 0
    .symbol:         _ZN7rocprim17ROCPRIM_400000_NS6detail17trampoline_kernelINS0_14default_configENS1_22reduce_config_selectorIiEEZNS1_11reduce_implILb1ES3_PiS7_iN6hipcub16HIPCUB_304000_NS6detail34convert_binary_result_type_wrapperINS9_3SumENS9_22TransformInputIteratorIbN2at6native12_GLOBAL__N_19NonZeroOpIbEEPKblEEiEEEE10hipError_tPvRmT1_T2_T3_mT4_P12ihipStream_tbEUlT_E0_NS1_11comp_targetILNS1_3genE8ELNS1_11target_archE1030ELNS1_3gpuE2ELNS1_3repE0EEENS1_30default_config_static_selectorELNS0_4arch9wavefront6targetE0EEEvSQ_.kd
    .uniform_work_group_size: 1
    .uses_dynamic_stack: false
    .vgpr_count:     0
    .vgpr_spill_count: 0
    .wavefront_size: 32
    .workgroup_processor_mode: 1
  - .args:
      - .offset:         0
        .size:           40
        .value_kind:     by_value
    .group_segment_fixed_size: 0
    .kernarg_segment_align: 8
    .kernarg_segment_size: 40
    .language:       OpenCL C
    .language_version:
      - 2
      - 0
    .max_flat_workgroup_size: 256
    .name:           _ZN7rocprim17ROCPRIM_400000_NS6detail17trampoline_kernelINS0_14default_configENS1_22reduce_config_selectorIiEEZNS1_11reduce_implILb1ES3_PiS7_iN6hipcub16HIPCUB_304000_NS6detail34convert_binary_result_type_wrapperINS9_3SumENS9_22TransformInputIteratorIbN2at6native12_GLOBAL__N_19NonZeroOpIbEEPKblEEiEEEE10hipError_tPvRmT1_T2_T3_mT4_P12ihipStream_tbEUlT_E1_NS1_11comp_targetILNS1_3genE0ELNS1_11target_archE4294967295ELNS1_3gpuE0ELNS1_3repE0EEENS1_30default_config_static_selectorELNS0_4arch9wavefront6targetE0EEEvSQ_
    .private_segment_fixed_size: 0
    .sgpr_count:     0
    .sgpr_spill_count: 0
    .symbol:         _ZN7rocprim17ROCPRIM_400000_NS6detail17trampoline_kernelINS0_14default_configENS1_22reduce_config_selectorIiEEZNS1_11reduce_implILb1ES3_PiS7_iN6hipcub16HIPCUB_304000_NS6detail34convert_binary_result_type_wrapperINS9_3SumENS9_22TransformInputIteratorIbN2at6native12_GLOBAL__N_19NonZeroOpIbEEPKblEEiEEEE10hipError_tPvRmT1_T2_T3_mT4_P12ihipStream_tbEUlT_E1_NS1_11comp_targetILNS1_3genE0ELNS1_11target_archE4294967295ELNS1_3gpuE0ELNS1_3repE0EEENS1_30default_config_static_selectorELNS0_4arch9wavefront6targetE0EEEvSQ_.kd
    .uniform_work_group_size: 1
    .uses_dynamic_stack: false
    .vgpr_count:     0
    .vgpr_spill_count: 0
    .wavefront_size: 32
    .workgroup_processor_mode: 1
  - .args:
      - .offset:         0
        .size:           40
        .value_kind:     by_value
    .group_segment_fixed_size: 0
    .kernarg_segment_align: 8
    .kernarg_segment_size: 40
    .language:       OpenCL C
    .language_version:
      - 2
      - 0
    .max_flat_workgroup_size: 256
    .name:           _ZN7rocprim17ROCPRIM_400000_NS6detail17trampoline_kernelINS0_14default_configENS1_22reduce_config_selectorIiEEZNS1_11reduce_implILb1ES3_PiS7_iN6hipcub16HIPCUB_304000_NS6detail34convert_binary_result_type_wrapperINS9_3SumENS9_22TransformInputIteratorIbN2at6native12_GLOBAL__N_19NonZeroOpIbEEPKblEEiEEEE10hipError_tPvRmT1_T2_T3_mT4_P12ihipStream_tbEUlT_E1_NS1_11comp_targetILNS1_3genE5ELNS1_11target_archE942ELNS1_3gpuE9ELNS1_3repE0EEENS1_30default_config_static_selectorELNS0_4arch9wavefront6targetE0EEEvSQ_
    .private_segment_fixed_size: 0
    .sgpr_count:     0
    .sgpr_spill_count: 0
    .symbol:         _ZN7rocprim17ROCPRIM_400000_NS6detail17trampoline_kernelINS0_14default_configENS1_22reduce_config_selectorIiEEZNS1_11reduce_implILb1ES3_PiS7_iN6hipcub16HIPCUB_304000_NS6detail34convert_binary_result_type_wrapperINS9_3SumENS9_22TransformInputIteratorIbN2at6native12_GLOBAL__N_19NonZeroOpIbEEPKblEEiEEEE10hipError_tPvRmT1_T2_T3_mT4_P12ihipStream_tbEUlT_E1_NS1_11comp_targetILNS1_3genE5ELNS1_11target_archE942ELNS1_3gpuE9ELNS1_3repE0EEENS1_30default_config_static_selectorELNS0_4arch9wavefront6targetE0EEEvSQ_.kd
    .uniform_work_group_size: 1
    .uses_dynamic_stack: false
    .vgpr_count:     0
    .vgpr_spill_count: 0
    .wavefront_size: 32
    .workgroup_processor_mode: 1
  - .args:
      - .offset:         0
        .size:           40
        .value_kind:     by_value
    .group_segment_fixed_size: 0
    .kernarg_segment_align: 8
    .kernarg_segment_size: 40
    .language:       OpenCL C
    .language_version:
      - 2
      - 0
    .max_flat_workgroup_size: 128
    .name:           _ZN7rocprim17ROCPRIM_400000_NS6detail17trampoline_kernelINS0_14default_configENS1_22reduce_config_selectorIiEEZNS1_11reduce_implILb1ES3_PiS7_iN6hipcub16HIPCUB_304000_NS6detail34convert_binary_result_type_wrapperINS9_3SumENS9_22TransformInputIteratorIbN2at6native12_GLOBAL__N_19NonZeroOpIbEEPKblEEiEEEE10hipError_tPvRmT1_T2_T3_mT4_P12ihipStream_tbEUlT_E1_NS1_11comp_targetILNS1_3genE4ELNS1_11target_archE910ELNS1_3gpuE8ELNS1_3repE0EEENS1_30default_config_static_selectorELNS0_4arch9wavefront6targetE0EEEvSQ_
    .private_segment_fixed_size: 0
    .sgpr_count:     0
    .sgpr_spill_count: 0
    .symbol:         _ZN7rocprim17ROCPRIM_400000_NS6detail17trampoline_kernelINS0_14default_configENS1_22reduce_config_selectorIiEEZNS1_11reduce_implILb1ES3_PiS7_iN6hipcub16HIPCUB_304000_NS6detail34convert_binary_result_type_wrapperINS9_3SumENS9_22TransformInputIteratorIbN2at6native12_GLOBAL__N_19NonZeroOpIbEEPKblEEiEEEE10hipError_tPvRmT1_T2_T3_mT4_P12ihipStream_tbEUlT_E1_NS1_11comp_targetILNS1_3genE4ELNS1_11target_archE910ELNS1_3gpuE8ELNS1_3repE0EEENS1_30default_config_static_selectorELNS0_4arch9wavefront6targetE0EEEvSQ_.kd
    .uniform_work_group_size: 1
    .uses_dynamic_stack: false
    .vgpr_count:     0
    .vgpr_spill_count: 0
    .wavefront_size: 32
    .workgroup_processor_mode: 1
  - .args:
      - .offset:         0
        .size:           40
        .value_kind:     by_value
    .group_segment_fixed_size: 0
    .kernarg_segment_align: 8
    .kernarg_segment_size: 40
    .language:       OpenCL C
    .language_version:
      - 2
      - 0
    .max_flat_workgroup_size: 256
    .name:           _ZN7rocprim17ROCPRIM_400000_NS6detail17trampoline_kernelINS0_14default_configENS1_22reduce_config_selectorIiEEZNS1_11reduce_implILb1ES3_PiS7_iN6hipcub16HIPCUB_304000_NS6detail34convert_binary_result_type_wrapperINS9_3SumENS9_22TransformInputIteratorIbN2at6native12_GLOBAL__N_19NonZeroOpIbEEPKblEEiEEEE10hipError_tPvRmT1_T2_T3_mT4_P12ihipStream_tbEUlT_E1_NS1_11comp_targetILNS1_3genE3ELNS1_11target_archE908ELNS1_3gpuE7ELNS1_3repE0EEENS1_30default_config_static_selectorELNS0_4arch9wavefront6targetE0EEEvSQ_
    .private_segment_fixed_size: 0
    .sgpr_count:     0
    .sgpr_spill_count: 0
    .symbol:         _ZN7rocprim17ROCPRIM_400000_NS6detail17trampoline_kernelINS0_14default_configENS1_22reduce_config_selectorIiEEZNS1_11reduce_implILb1ES3_PiS7_iN6hipcub16HIPCUB_304000_NS6detail34convert_binary_result_type_wrapperINS9_3SumENS9_22TransformInputIteratorIbN2at6native12_GLOBAL__N_19NonZeroOpIbEEPKblEEiEEEE10hipError_tPvRmT1_T2_T3_mT4_P12ihipStream_tbEUlT_E1_NS1_11comp_targetILNS1_3genE3ELNS1_11target_archE908ELNS1_3gpuE7ELNS1_3repE0EEENS1_30default_config_static_selectorELNS0_4arch9wavefront6targetE0EEEvSQ_.kd
    .uniform_work_group_size: 1
    .uses_dynamic_stack: false
    .vgpr_count:     0
    .vgpr_spill_count: 0
    .wavefront_size: 32
    .workgroup_processor_mode: 1
  - .args:
      - .offset:         0
        .size:           40
        .value_kind:     by_value
    .group_segment_fixed_size: 0
    .kernarg_segment_align: 8
    .kernarg_segment_size: 40
    .language:       OpenCL C
    .language_version:
      - 2
      - 0
    .max_flat_workgroup_size: 256
    .name:           _ZN7rocprim17ROCPRIM_400000_NS6detail17trampoline_kernelINS0_14default_configENS1_22reduce_config_selectorIiEEZNS1_11reduce_implILb1ES3_PiS7_iN6hipcub16HIPCUB_304000_NS6detail34convert_binary_result_type_wrapperINS9_3SumENS9_22TransformInputIteratorIbN2at6native12_GLOBAL__N_19NonZeroOpIbEEPKblEEiEEEE10hipError_tPvRmT1_T2_T3_mT4_P12ihipStream_tbEUlT_E1_NS1_11comp_targetILNS1_3genE2ELNS1_11target_archE906ELNS1_3gpuE6ELNS1_3repE0EEENS1_30default_config_static_selectorELNS0_4arch9wavefront6targetE0EEEvSQ_
    .private_segment_fixed_size: 0
    .sgpr_count:     0
    .sgpr_spill_count: 0
    .symbol:         _ZN7rocprim17ROCPRIM_400000_NS6detail17trampoline_kernelINS0_14default_configENS1_22reduce_config_selectorIiEEZNS1_11reduce_implILb1ES3_PiS7_iN6hipcub16HIPCUB_304000_NS6detail34convert_binary_result_type_wrapperINS9_3SumENS9_22TransformInputIteratorIbN2at6native12_GLOBAL__N_19NonZeroOpIbEEPKblEEiEEEE10hipError_tPvRmT1_T2_T3_mT4_P12ihipStream_tbEUlT_E1_NS1_11comp_targetILNS1_3genE2ELNS1_11target_archE906ELNS1_3gpuE6ELNS1_3repE0EEENS1_30default_config_static_selectorELNS0_4arch9wavefront6targetE0EEEvSQ_.kd
    .uniform_work_group_size: 1
    .uses_dynamic_stack: false
    .vgpr_count:     0
    .vgpr_spill_count: 0
    .wavefront_size: 32
    .workgroup_processor_mode: 1
  - .args:
      - .offset:         0
        .size:           40
        .value_kind:     by_value
    .group_segment_fixed_size: 0
    .kernarg_segment_align: 8
    .kernarg_segment_size: 40
    .language:       OpenCL C
    .language_version:
      - 2
      - 0
    .max_flat_workgroup_size: 256
    .name:           _ZN7rocprim17ROCPRIM_400000_NS6detail17trampoline_kernelINS0_14default_configENS1_22reduce_config_selectorIiEEZNS1_11reduce_implILb1ES3_PiS7_iN6hipcub16HIPCUB_304000_NS6detail34convert_binary_result_type_wrapperINS9_3SumENS9_22TransformInputIteratorIbN2at6native12_GLOBAL__N_19NonZeroOpIbEEPKblEEiEEEE10hipError_tPvRmT1_T2_T3_mT4_P12ihipStream_tbEUlT_E1_NS1_11comp_targetILNS1_3genE10ELNS1_11target_archE1201ELNS1_3gpuE5ELNS1_3repE0EEENS1_30default_config_static_selectorELNS0_4arch9wavefront6targetE0EEEvSQ_
    .private_segment_fixed_size: 0
    .sgpr_count:     0
    .sgpr_spill_count: 0
    .symbol:         _ZN7rocprim17ROCPRIM_400000_NS6detail17trampoline_kernelINS0_14default_configENS1_22reduce_config_selectorIiEEZNS1_11reduce_implILb1ES3_PiS7_iN6hipcub16HIPCUB_304000_NS6detail34convert_binary_result_type_wrapperINS9_3SumENS9_22TransformInputIteratorIbN2at6native12_GLOBAL__N_19NonZeroOpIbEEPKblEEiEEEE10hipError_tPvRmT1_T2_T3_mT4_P12ihipStream_tbEUlT_E1_NS1_11comp_targetILNS1_3genE10ELNS1_11target_archE1201ELNS1_3gpuE5ELNS1_3repE0EEENS1_30default_config_static_selectorELNS0_4arch9wavefront6targetE0EEEvSQ_.kd
    .uniform_work_group_size: 1
    .uses_dynamic_stack: false
    .vgpr_count:     0
    .vgpr_spill_count: 0
    .wavefront_size: 32
    .workgroup_processor_mode: 1
  - .args:
      - .offset:         0
        .size:           40
        .value_kind:     by_value
    .group_segment_fixed_size: 0
    .kernarg_segment_align: 8
    .kernarg_segment_size: 40
    .language:       OpenCL C
    .language_version:
      - 2
      - 0
    .max_flat_workgroup_size: 256
    .name:           _ZN7rocprim17ROCPRIM_400000_NS6detail17trampoline_kernelINS0_14default_configENS1_22reduce_config_selectorIiEEZNS1_11reduce_implILb1ES3_PiS7_iN6hipcub16HIPCUB_304000_NS6detail34convert_binary_result_type_wrapperINS9_3SumENS9_22TransformInputIteratorIbN2at6native12_GLOBAL__N_19NonZeroOpIbEEPKblEEiEEEE10hipError_tPvRmT1_T2_T3_mT4_P12ihipStream_tbEUlT_E1_NS1_11comp_targetILNS1_3genE10ELNS1_11target_archE1200ELNS1_3gpuE4ELNS1_3repE0EEENS1_30default_config_static_selectorELNS0_4arch9wavefront6targetE0EEEvSQ_
    .private_segment_fixed_size: 0
    .sgpr_count:     0
    .sgpr_spill_count: 0
    .symbol:         _ZN7rocprim17ROCPRIM_400000_NS6detail17trampoline_kernelINS0_14default_configENS1_22reduce_config_selectorIiEEZNS1_11reduce_implILb1ES3_PiS7_iN6hipcub16HIPCUB_304000_NS6detail34convert_binary_result_type_wrapperINS9_3SumENS9_22TransformInputIteratorIbN2at6native12_GLOBAL__N_19NonZeroOpIbEEPKblEEiEEEE10hipError_tPvRmT1_T2_T3_mT4_P12ihipStream_tbEUlT_E1_NS1_11comp_targetILNS1_3genE10ELNS1_11target_archE1200ELNS1_3gpuE4ELNS1_3repE0EEENS1_30default_config_static_selectorELNS0_4arch9wavefront6targetE0EEEvSQ_.kd
    .uniform_work_group_size: 1
    .uses_dynamic_stack: false
    .vgpr_count:     0
    .vgpr_spill_count: 0
    .wavefront_size: 32
    .workgroup_processor_mode: 1
  - .args:
      - .offset:         0
        .size:           40
        .value_kind:     by_value
    .group_segment_fixed_size: 224
    .kernarg_segment_align: 8
    .kernarg_segment_size: 40
    .language:       OpenCL C
    .language_version:
      - 2
      - 0
    .max_flat_workgroup_size: 256
    .name:           _ZN7rocprim17ROCPRIM_400000_NS6detail17trampoline_kernelINS0_14default_configENS1_22reduce_config_selectorIiEEZNS1_11reduce_implILb1ES3_PiS7_iN6hipcub16HIPCUB_304000_NS6detail34convert_binary_result_type_wrapperINS9_3SumENS9_22TransformInputIteratorIbN2at6native12_GLOBAL__N_19NonZeroOpIbEEPKblEEiEEEE10hipError_tPvRmT1_T2_T3_mT4_P12ihipStream_tbEUlT_E1_NS1_11comp_targetILNS1_3genE9ELNS1_11target_archE1100ELNS1_3gpuE3ELNS1_3repE0EEENS1_30default_config_static_selectorELNS0_4arch9wavefront6targetE0EEEvSQ_
    .private_segment_fixed_size: 0
    .sgpr_count:     29
    .sgpr_spill_count: 0
    .symbol:         _ZN7rocprim17ROCPRIM_400000_NS6detail17trampoline_kernelINS0_14default_configENS1_22reduce_config_selectorIiEEZNS1_11reduce_implILb1ES3_PiS7_iN6hipcub16HIPCUB_304000_NS6detail34convert_binary_result_type_wrapperINS9_3SumENS9_22TransformInputIteratorIbN2at6native12_GLOBAL__N_19NonZeroOpIbEEPKblEEiEEEE10hipError_tPvRmT1_T2_T3_mT4_P12ihipStream_tbEUlT_E1_NS1_11comp_targetILNS1_3genE9ELNS1_11target_archE1100ELNS1_3gpuE3ELNS1_3repE0EEENS1_30default_config_static_selectorELNS0_4arch9wavefront6targetE0EEEvSQ_.kd
    .uniform_work_group_size: 1
    .uses_dynamic_stack: false
    .vgpr_count:     34
    .vgpr_spill_count: 0
    .wavefront_size: 32
    .workgroup_processor_mode: 1
  - .args:
      - .offset:         0
        .size:           40
        .value_kind:     by_value
    .group_segment_fixed_size: 0
    .kernarg_segment_align: 8
    .kernarg_segment_size: 40
    .language:       OpenCL C
    .language_version:
      - 2
      - 0
    .max_flat_workgroup_size: 256
    .name:           _ZN7rocprim17ROCPRIM_400000_NS6detail17trampoline_kernelINS0_14default_configENS1_22reduce_config_selectorIiEEZNS1_11reduce_implILb1ES3_PiS7_iN6hipcub16HIPCUB_304000_NS6detail34convert_binary_result_type_wrapperINS9_3SumENS9_22TransformInputIteratorIbN2at6native12_GLOBAL__N_19NonZeroOpIbEEPKblEEiEEEE10hipError_tPvRmT1_T2_T3_mT4_P12ihipStream_tbEUlT_E1_NS1_11comp_targetILNS1_3genE8ELNS1_11target_archE1030ELNS1_3gpuE2ELNS1_3repE0EEENS1_30default_config_static_selectorELNS0_4arch9wavefront6targetE0EEEvSQ_
    .private_segment_fixed_size: 0
    .sgpr_count:     0
    .sgpr_spill_count: 0
    .symbol:         _ZN7rocprim17ROCPRIM_400000_NS6detail17trampoline_kernelINS0_14default_configENS1_22reduce_config_selectorIiEEZNS1_11reduce_implILb1ES3_PiS7_iN6hipcub16HIPCUB_304000_NS6detail34convert_binary_result_type_wrapperINS9_3SumENS9_22TransformInputIteratorIbN2at6native12_GLOBAL__N_19NonZeroOpIbEEPKblEEiEEEE10hipError_tPvRmT1_T2_T3_mT4_P12ihipStream_tbEUlT_E1_NS1_11comp_targetILNS1_3genE8ELNS1_11target_archE1030ELNS1_3gpuE2ELNS1_3repE0EEENS1_30default_config_static_selectorELNS0_4arch9wavefront6targetE0EEEvSQ_.kd
    .uniform_work_group_size: 1
    .uses_dynamic_stack: false
    .vgpr_count:     0
    .vgpr_spill_count: 0
    .wavefront_size: 32
    .workgroup_processor_mode: 1
  - .args:
      - .offset:         0
        .size:           64
        .value_kind:     by_value
    .group_segment_fixed_size: 0
    .kernarg_segment_align: 8
    .kernarg_segment_size: 64
    .language:       OpenCL C
    .language_version:
      - 2
      - 0
    .max_flat_workgroup_size: 256
    .name:           _ZN7rocprim17ROCPRIM_400000_NS6detail17trampoline_kernelINS0_14default_configENS1_22reduce_config_selectorIbEEZNS1_11reduce_implILb1ES3_N6hipcub16HIPCUB_304000_NS22TransformInputIteratorIbN2at6native12_GLOBAL__N_19NonZeroOpIbEEPKblEEPiiNS8_6detail34convert_binary_result_type_wrapperINS8_3SumESH_iEEEE10hipError_tPvRmT1_T2_T3_mT4_P12ihipStream_tbEUlT_E0_NS1_11comp_targetILNS1_3genE0ELNS1_11target_archE4294967295ELNS1_3gpuE0ELNS1_3repE0EEENS1_30default_config_static_selectorELNS0_4arch9wavefront6targetE0EEEvSQ_
    .private_segment_fixed_size: 0
    .sgpr_count:     0
    .sgpr_spill_count: 0
    .symbol:         _ZN7rocprim17ROCPRIM_400000_NS6detail17trampoline_kernelINS0_14default_configENS1_22reduce_config_selectorIbEEZNS1_11reduce_implILb1ES3_N6hipcub16HIPCUB_304000_NS22TransformInputIteratorIbN2at6native12_GLOBAL__N_19NonZeroOpIbEEPKblEEPiiNS8_6detail34convert_binary_result_type_wrapperINS8_3SumESH_iEEEE10hipError_tPvRmT1_T2_T3_mT4_P12ihipStream_tbEUlT_E0_NS1_11comp_targetILNS1_3genE0ELNS1_11target_archE4294967295ELNS1_3gpuE0ELNS1_3repE0EEENS1_30default_config_static_selectorELNS0_4arch9wavefront6targetE0EEEvSQ_.kd
    .uniform_work_group_size: 1
    .uses_dynamic_stack: false
    .vgpr_count:     0
    .vgpr_spill_count: 0
    .wavefront_size: 32
    .workgroup_processor_mode: 1
  - .args:
      - .offset:         0
        .size:           64
        .value_kind:     by_value
    .group_segment_fixed_size: 0
    .kernarg_segment_align: 8
    .kernarg_segment_size: 64
    .language:       OpenCL C
    .language_version:
      - 2
      - 0
    .max_flat_workgroup_size: 256
    .name:           _ZN7rocprim17ROCPRIM_400000_NS6detail17trampoline_kernelINS0_14default_configENS1_22reduce_config_selectorIbEEZNS1_11reduce_implILb1ES3_N6hipcub16HIPCUB_304000_NS22TransformInputIteratorIbN2at6native12_GLOBAL__N_19NonZeroOpIbEEPKblEEPiiNS8_6detail34convert_binary_result_type_wrapperINS8_3SumESH_iEEEE10hipError_tPvRmT1_T2_T3_mT4_P12ihipStream_tbEUlT_E0_NS1_11comp_targetILNS1_3genE5ELNS1_11target_archE942ELNS1_3gpuE9ELNS1_3repE0EEENS1_30default_config_static_selectorELNS0_4arch9wavefront6targetE0EEEvSQ_
    .private_segment_fixed_size: 0
    .sgpr_count:     0
    .sgpr_spill_count: 0
    .symbol:         _ZN7rocprim17ROCPRIM_400000_NS6detail17trampoline_kernelINS0_14default_configENS1_22reduce_config_selectorIbEEZNS1_11reduce_implILb1ES3_N6hipcub16HIPCUB_304000_NS22TransformInputIteratorIbN2at6native12_GLOBAL__N_19NonZeroOpIbEEPKblEEPiiNS8_6detail34convert_binary_result_type_wrapperINS8_3SumESH_iEEEE10hipError_tPvRmT1_T2_T3_mT4_P12ihipStream_tbEUlT_E0_NS1_11comp_targetILNS1_3genE5ELNS1_11target_archE942ELNS1_3gpuE9ELNS1_3repE0EEENS1_30default_config_static_selectorELNS0_4arch9wavefront6targetE0EEEvSQ_.kd
    .uniform_work_group_size: 1
    .uses_dynamic_stack: false
    .vgpr_count:     0
    .vgpr_spill_count: 0
    .wavefront_size: 32
    .workgroup_processor_mode: 1
  - .args:
      - .offset:         0
        .size:           64
        .value_kind:     by_value
    .group_segment_fixed_size: 0
    .kernarg_segment_align: 8
    .kernarg_segment_size: 64
    .language:       OpenCL C
    .language_version:
      - 2
      - 0
    .max_flat_workgroup_size: 128
    .name:           _ZN7rocprim17ROCPRIM_400000_NS6detail17trampoline_kernelINS0_14default_configENS1_22reduce_config_selectorIbEEZNS1_11reduce_implILb1ES3_N6hipcub16HIPCUB_304000_NS22TransformInputIteratorIbN2at6native12_GLOBAL__N_19NonZeroOpIbEEPKblEEPiiNS8_6detail34convert_binary_result_type_wrapperINS8_3SumESH_iEEEE10hipError_tPvRmT1_T2_T3_mT4_P12ihipStream_tbEUlT_E0_NS1_11comp_targetILNS1_3genE4ELNS1_11target_archE910ELNS1_3gpuE8ELNS1_3repE0EEENS1_30default_config_static_selectorELNS0_4arch9wavefront6targetE0EEEvSQ_
    .private_segment_fixed_size: 0
    .sgpr_count:     0
    .sgpr_spill_count: 0
    .symbol:         _ZN7rocprim17ROCPRIM_400000_NS6detail17trampoline_kernelINS0_14default_configENS1_22reduce_config_selectorIbEEZNS1_11reduce_implILb1ES3_N6hipcub16HIPCUB_304000_NS22TransformInputIteratorIbN2at6native12_GLOBAL__N_19NonZeroOpIbEEPKblEEPiiNS8_6detail34convert_binary_result_type_wrapperINS8_3SumESH_iEEEE10hipError_tPvRmT1_T2_T3_mT4_P12ihipStream_tbEUlT_E0_NS1_11comp_targetILNS1_3genE4ELNS1_11target_archE910ELNS1_3gpuE8ELNS1_3repE0EEENS1_30default_config_static_selectorELNS0_4arch9wavefront6targetE0EEEvSQ_.kd
    .uniform_work_group_size: 1
    .uses_dynamic_stack: false
    .vgpr_count:     0
    .vgpr_spill_count: 0
    .wavefront_size: 32
    .workgroup_processor_mode: 1
  - .args:
      - .offset:         0
        .size:           64
        .value_kind:     by_value
    .group_segment_fixed_size: 0
    .kernarg_segment_align: 8
    .kernarg_segment_size: 64
    .language:       OpenCL C
    .language_version:
      - 2
      - 0
    .max_flat_workgroup_size: 256
    .name:           _ZN7rocprim17ROCPRIM_400000_NS6detail17trampoline_kernelINS0_14default_configENS1_22reduce_config_selectorIbEEZNS1_11reduce_implILb1ES3_N6hipcub16HIPCUB_304000_NS22TransformInputIteratorIbN2at6native12_GLOBAL__N_19NonZeroOpIbEEPKblEEPiiNS8_6detail34convert_binary_result_type_wrapperINS8_3SumESH_iEEEE10hipError_tPvRmT1_T2_T3_mT4_P12ihipStream_tbEUlT_E0_NS1_11comp_targetILNS1_3genE3ELNS1_11target_archE908ELNS1_3gpuE7ELNS1_3repE0EEENS1_30default_config_static_selectorELNS0_4arch9wavefront6targetE0EEEvSQ_
    .private_segment_fixed_size: 0
    .sgpr_count:     0
    .sgpr_spill_count: 0
    .symbol:         _ZN7rocprim17ROCPRIM_400000_NS6detail17trampoline_kernelINS0_14default_configENS1_22reduce_config_selectorIbEEZNS1_11reduce_implILb1ES3_N6hipcub16HIPCUB_304000_NS22TransformInputIteratorIbN2at6native12_GLOBAL__N_19NonZeroOpIbEEPKblEEPiiNS8_6detail34convert_binary_result_type_wrapperINS8_3SumESH_iEEEE10hipError_tPvRmT1_T2_T3_mT4_P12ihipStream_tbEUlT_E0_NS1_11comp_targetILNS1_3genE3ELNS1_11target_archE908ELNS1_3gpuE7ELNS1_3repE0EEENS1_30default_config_static_selectorELNS0_4arch9wavefront6targetE0EEEvSQ_.kd
    .uniform_work_group_size: 1
    .uses_dynamic_stack: false
    .vgpr_count:     0
    .vgpr_spill_count: 0
    .wavefront_size: 32
    .workgroup_processor_mode: 1
  - .args:
      - .offset:         0
        .size:           64
        .value_kind:     by_value
    .group_segment_fixed_size: 0
    .kernarg_segment_align: 8
    .kernarg_segment_size: 64
    .language:       OpenCL C
    .language_version:
      - 2
      - 0
    .max_flat_workgroup_size: 128
    .name:           _ZN7rocprim17ROCPRIM_400000_NS6detail17trampoline_kernelINS0_14default_configENS1_22reduce_config_selectorIbEEZNS1_11reduce_implILb1ES3_N6hipcub16HIPCUB_304000_NS22TransformInputIteratorIbN2at6native12_GLOBAL__N_19NonZeroOpIbEEPKblEEPiiNS8_6detail34convert_binary_result_type_wrapperINS8_3SumESH_iEEEE10hipError_tPvRmT1_T2_T3_mT4_P12ihipStream_tbEUlT_E0_NS1_11comp_targetILNS1_3genE2ELNS1_11target_archE906ELNS1_3gpuE6ELNS1_3repE0EEENS1_30default_config_static_selectorELNS0_4arch9wavefront6targetE0EEEvSQ_
    .private_segment_fixed_size: 0
    .sgpr_count:     0
    .sgpr_spill_count: 0
    .symbol:         _ZN7rocprim17ROCPRIM_400000_NS6detail17trampoline_kernelINS0_14default_configENS1_22reduce_config_selectorIbEEZNS1_11reduce_implILb1ES3_N6hipcub16HIPCUB_304000_NS22TransformInputIteratorIbN2at6native12_GLOBAL__N_19NonZeroOpIbEEPKblEEPiiNS8_6detail34convert_binary_result_type_wrapperINS8_3SumESH_iEEEE10hipError_tPvRmT1_T2_T3_mT4_P12ihipStream_tbEUlT_E0_NS1_11comp_targetILNS1_3genE2ELNS1_11target_archE906ELNS1_3gpuE6ELNS1_3repE0EEENS1_30default_config_static_selectorELNS0_4arch9wavefront6targetE0EEEvSQ_.kd
    .uniform_work_group_size: 1
    .uses_dynamic_stack: false
    .vgpr_count:     0
    .vgpr_spill_count: 0
    .wavefront_size: 32
    .workgroup_processor_mode: 1
  - .args:
      - .offset:         0
        .size:           64
        .value_kind:     by_value
    .group_segment_fixed_size: 0
    .kernarg_segment_align: 8
    .kernarg_segment_size: 64
    .language:       OpenCL C
    .language_version:
      - 2
      - 0
    .max_flat_workgroup_size: 256
    .name:           _ZN7rocprim17ROCPRIM_400000_NS6detail17trampoline_kernelINS0_14default_configENS1_22reduce_config_selectorIbEEZNS1_11reduce_implILb1ES3_N6hipcub16HIPCUB_304000_NS22TransformInputIteratorIbN2at6native12_GLOBAL__N_19NonZeroOpIbEEPKblEEPiiNS8_6detail34convert_binary_result_type_wrapperINS8_3SumESH_iEEEE10hipError_tPvRmT1_T2_T3_mT4_P12ihipStream_tbEUlT_E0_NS1_11comp_targetILNS1_3genE10ELNS1_11target_archE1201ELNS1_3gpuE5ELNS1_3repE0EEENS1_30default_config_static_selectorELNS0_4arch9wavefront6targetE0EEEvSQ_
    .private_segment_fixed_size: 0
    .sgpr_count:     0
    .sgpr_spill_count: 0
    .symbol:         _ZN7rocprim17ROCPRIM_400000_NS6detail17trampoline_kernelINS0_14default_configENS1_22reduce_config_selectorIbEEZNS1_11reduce_implILb1ES3_N6hipcub16HIPCUB_304000_NS22TransformInputIteratorIbN2at6native12_GLOBAL__N_19NonZeroOpIbEEPKblEEPiiNS8_6detail34convert_binary_result_type_wrapperINS8_3SumESH_iEEEE10hipError_tPvRmT1_T2_T3_mT4_P12ihipStream_tbEUlT_E0_NS1_11comp_targetILNS1_3genE10ELNS1_11target_archE1201ELNS1_3gpuE5ELNS1_3repE0EEENS1_30default_config_static_selectorELNS0_4arch9wavefront6targetE0EEEvSQ_.kd
    .uniform_work_group_size: 1
    .uses_dynamic_stack: false
    .vgpr_count:     0
    .vgpr_spill_count: 0
    .wavefront_size: 32
    .workgroup_processor_mode: 1
  - .args:
      - .offset:         0
        .size:           64
        .value_kind:     by_value
    .group_segment_fixed_size: 0
    .kernarg_segment_align: 8
    .kernarg_segment_size: 64
    .language:       OpenCL C
    .language_version:
      - 2
      - 0
    .max_flat_workgroup_size: 256
    .name:           _ZN7rocprim17ROCPRIM_400000_NS6detail17trampoline_kernelINS0_14default_configENS1_22reduce_config_selectorIbEEZNS1_11reduce_implILb1ES3_N6hipcub16HIPCUB_304000_NS22TransformInputIteratorIbN2at6native12_GLOBAL__N_19NonZeroOpIbEEPKblEEPiiNS8_6detail34convert_binary_result_type_wrapperINS8_3SumESH_iEEEE10hipError_tPvRmT1_T2_T3_mT4_P12ihipStream_tbEUlT_E0_NS1_11comp_targetILNS1_3genE10ELNS1_11target_archE1200ELNS1_3gpuE4ELNS1_3repE0EEENS1_30default_config_static_selectorELNS0_4arch9wavefront6targetE0EEEvSQ_
    .private_segment_fixed_size: 0
    .sgpr_count:     0
    .sgpr_spill_count: 0
    .symbol:         _ZN7rocprim17ROCPRIM_400000_NS6detail17trampoline_kernelINS0_14default_configENS1_22reduce_config_selectorIbEEZNS1_11reduce_implILb1ES3_N6hipcub16HIPCUB_304000_NS22TransformInputIteratorIbN2at6native12_GLOBAL__N_19NonZeroOpIbEEPKblEEPiiNS8_6detail34convert_binary_result_type_wrapperINS8_3SumESH_iEEEE10hipError_tPvRmT1_T2_T3_mT4_P12ihipStream_tbEUlT_E0_NS1_11comp_targetILNS1_3genE10ELNS1_11target_archE1200ELNS1_3gpuE4ELNS1_3repE0EEENS1_30default_config_static_selectorELNS0_4arch9wavefront6targetE0EEEvSQ_.kd
    .uniform_work_group_size: 1
    .uses_dynamic_stack: false
    .vgpr_count:     0
    .vgpr_spill_count: 0
    .wavefront_size: 32
    .workgroup_processor_mode: 1
  - .args:
      - .offset:         0
        .size:           64
        .value_kind:     by_value
    .group_segment_fixed_size: 32
    .kernarg_segment_align: 8
    .kernarg_segment_size: 64
    .language:       OpenCL C
    .language_version:
      - 2
      - 0
    .max_flat_workgroup_size: 128
    .name:           _ZN7rocprim17ROCPRIM_400000_NS6detail17trampoline_kernelINS0_14default_configENS1_22reduce_config_selectorIbEEZNS1_11reduce_implILb1ES3_N6hipcub16HIPCUB_304000_NS22TransformInputIteratorIbN2at6native12_GLOBAL__N_19NonZeroOpIbEEPKblEEPiiNS8_6detail34convert_binary_result_type_wrapperINS8_3SumESH_iEEEE10hipError_tPvRmT1_T2_T3_mT4_P12ihipStream_tbEUlT_E0_NS1_11comp_targetILNS1_3genE9ELNS1_11target_archE1100ELNS1_3gpuE3ELNS1_3repE0EEENS1_30default_config_static_selectorELNS0_4arch9wavefront6targetE0EEEvSQ_
    .private_segment_fixed_size: 0
    .sgpr_count:     32
    .sgpr_spill_count: 0
    .symbol:         _ZN7rocprim17ROCPRIM_400000_NS6detail17trampoline_kernelINS0_14default_configENS1_22reduce_config_selectorIbEEZNS1_11reduce_implILb1ES3_N6hipcub16HIPCUB_304000_NS22TransformInputIteratorIbN2at6native12_GLOBAL__N_19NonZeroOpIbEEPKblEEPiiNS8_6detail34convert_binary_result_type_wrapperINS8_3SumESH_iEEEE10hipError_tPvRmT1_T2_T3_mT4_P12ihipStream_tbEUlT_E0_NS1_11comp_targetILNS1_3genE9ELNS1_11target_archE1100ELNS1_3gpuE3ELNS1_3repE0EEENS1_30default_config_static_selectorELNS0_4arch9wavefront6targetE0EEEvSQ_.kd
    .uniform_work_group_size: 1
    .uses_dynamic_stack: false
    .vgpr_count:     19
    .vgpr_spill_count: 0
    .wavefront_size: 32
    .workgroup_processor_mode: 1
  - .args:
      - .offset:         0
        .size:           64
        .value_kind:     by_value
    .group_segment_fixed_size: 0
    .kernarg_segment_align: 8
    .kernarg_segment_size: 64
    .language:       OpenCL C
    .language_version:
      - 2
      - 0
    .max_flat_workgroup_size: 256
    .name:           _ZN7rocprim17ROCPRIM_400000_NS6detail17trampoline_kernelINS0_14default_configENS1_22reduce_config_selectorIbEEZNS1_11reduce_implILb1ES3_N6hipcub16HIPCUB_304000_NS22TransformInputIteratorIbN2at6native12_GLOBAL__N_19NonZeroOpIbEEPKblEEPiiNS8_6detail34convert_binary_result_type_wrapperINS8_3SumESH_iEEEE10hipError_tPvRmT1_T2_T3_mT4_P12ihipStream_tbEUlT_E0_NS1_11comp_targetILNS1_3genE8ELNS1_11target_archE1030ELNS1_3gpuE2ELNS1_3repE0EEENS1_30default_config_static_selectorELNS0_4arch9wavefront6targetE0EEEvSQ_
    .private_segment_fixed_size: 0
    .sgpr_count:     0
    .sgpr_spill_count: 0
    .symbol:         _ZN7rocprim17ROCPRIM_400000_NS6detail17trampoline_kernelINS0_14default_configENS1_22reduce_config_selectorIbEEZNS1_11reduce_implILb1ES3_N6hipcub16HIPCUB_304000_NS22TransformInputIteratorIbN2at6native12_GLOBAL__N_19NonZeroOpIbEEPKblEEPiiNS8_6detail34convert_binary_result_type_wrapperINS8_3SumESH_iEEEE10hipError_tPvRmT1_T2_T3_mT4_P12ihipStream_tbEUlT_E0_NS1_11comp_targetILNS1_3genE8ELNS1_11target_archE1030ELNS1_3gpuE2ELNS1_3repE0EEENS1_30default_config_static_selectorELNS0_4arch9wavefront6targetE0EEEvSQ_.kd
    .uniform_work_group_size: 1
    .uses_dynamic_stack: false
    .vgpr_count:     0
    .vgpr_spill_count: 0
    .wavefront_size: 32
    .workgroup_processor_mode: 1
  - .args:
      - .offset:         0
        .size:           48
        .value_kind:     by_value
    .group_segment_fixed_size: 0
    .kernarg_segment_align: 8
    .kernarg_segment_size: 48
    .language:       OpenCL C
    .language_version:
      - 2
      - 0
    .max_flat_workgroup_size: 256
    .name:           _ZN7rocprim17ROCPRIM_400000_NS6detail17trampoline_kernelINS0_14default_configENS1_22reduce_config_selectorIbEEZNS1_11reduce_implILb1ES3_N6hipcub16HIPCUB_304000_NS22TransformInputIteratorIbN2at6native12_GLOBAL__N_19NonZeroOpIbEEPKblEEPiiNS8_6detail34convert_binary_result_type_wrapperINS8_3SumESH_iEEEE10hipError_tPvRmT1_T2_T3_mT4_P12ihipStream_tbEUlT_E1_NS1_11comp_targetILNS1_3genE0ELNS1_11target_archE4294967295ELNS1_3gpuE0ELNS1_3repE0EEENS1_30default_config_static_selectorELNS0_4arch9wavefront6targetE0EEEvSQ_
    .private_segment_fixed_size: 0
    .sgpr_count:     0
    .sgpr_spill_count: 0
    .symbol:         _ZN7rocprim17ROCPRIM_400000_NS6detail17trampoline_kernelINS0_14default_configENS1_22reduce_config_selectorIbEEZNS1_11reduce_implILb1ES3_N6hipcub16HIPCUB_304000_NS22TransformInputIteratorIbN2at6native12_GLOBAL__N_19NonZeroOpIbEEPKblEEPiiNS8_6detail34convert_binary_result_type_wrapperINS8_3SumESH_iEEEE10hipError_tPvRmT1_T2_T3_mT4_P12ihipStream_tbEUlT_E1_NS1_11comp_targetILNS1_3genE0ELNS1_11target_archE4294967295ELNS1_3gpuE0ELNS1_3repE0EEENS1_30default_config_static_selectorELNS0_4arch9wavefront6targetE0EEEvSQ_.kd
    .uniform_work_group_size: 1
    .uses_dynamic_stack: false
    .vgpr_count:     0
    .vgpr_spill_count: 0
    .wavefront_size: 32
    .workgroup_processor_mode: 1
  - .args:
      - .offset:         0
        .size:           48
        .value_kind:     by_value
    .group_segment_fixed_size: 0
    .kernarg_segment_align: 8
    .kernarg_segment_size: 48
    .language:       OpenCL C
    .language_version:
      - 2
      - 0
    .max_flat_workgroup_size: 256
    .name:           _ZN7rocprim17ROCPRIM_400000_NS6detail17trampoline_kernelINS0_14default_configENS1_22reduce_config_selectorIbEEZNS1_11reduce_implILb1ES3_N6hipcub16HIPCUB_304000_NS22TransformInputIteratorIbN2at6native12_GLOBAL__N_19NonZeroOpIbEEPKblEEPiiNS8_6detail34convert_binary_result_type_wrapperINS8_3SumESH_iEEEE10hipError_tPvRmT1_T2_T3_mT4_P12ihipStream_tbEUlT_E1_NS1_11comp_targetILNS1_3genE5ELNS1_11target_archE942ELNS1_3gpuE9ELNS1_3repE0EEENS1_30default_config_static_selectorELNS0_4arch9wavefront6targetE0EEEvSQ_
    .private_segment_fixed_size: 0
    .sgpr_count:     0
    .sgpr_spill_count: 0
    .symbol:         _ZN7rocprim17ROCPRIM_400000_NS6detail17trampoline_kernelINS0_14default_configENS1_22reduce_config_selectorIbEEZNS1_11reduce_implILb1ES3_N6hipcub16HIPCUB_304000_NS22TransformInputIteratorIbN2at6native12_GLOBAL__N_19NonZeroOpIbEEPKblEEPiiNS8_6detail34convert_binary_result_type_wrapperINS8_3SumESH_iEEEE10hipError_tPvRmT1_T2_T3_mT4_P12ihipStream_tbEUlT_E1_NS1_11comp_targetILNS1_3genE5ELNS1_11target_archE942ELNS1_3gpuE9ELNS1_3repE0EEENS1_30default_config_static_selectorELNS0_4arch9wavefront6targetE0EEEvSQ_.kd
    .uniform_work_group_size: 1
    .uses_dynamic_stack: false
    .vgpr_count:     0
    .vgpr_spill_count: 0
    .wavefront_size: 32
    .workgroup_processor_mode: 1
  - .args:
      - .offset:         0
        .size:           48
        .value_kind:     by_value
    .group_segment_fixed_size: 0
    .kernarg_segment_align: 8
    .kernarg_segment_size: 48
    .language:       OpenCL C
    .language_version:
      - 2
      - 0
    .max_flat_workgroup_size: 128
    .name:           _ZN7rocprim17ROCPRIM_400000_NS6detail17trampoline_kernelINS0_14default_configENS1_22reduce_config_selectorIbEEZNS1_11reduce_implILb1ES3_N6hipcub16HIPCUB_304000_NS22TransformInputIteratorIbN2at6native12_GLOBAL__N_19NonZeroOpIbEEPKblEEPiiNS8_6detail34convert_binary_result_type_wrapperINS8_3SumESH_iEEEE10hipError_tPvRmT1_T2_T3_mT4_P12ihipStream_tbEUlT_E1_NS1_11comp_targetILNS1_3genE4ELNS1_11target_archE910ELNS1_3gpuE8ELNS1_3repE0EEENS1_30default_config_static_selectorELNS0_4arch9wavefront6targetE0EEEvSQ_
    .private_segment_fixed_size: 0
    .sgpr_count:     0
    .sgpr_spill_count: 0
    .symbol:         _ZN7rocprim17ROCPRIM_400000_NS6detail17trampoline_kernelINS0_14default_configENS1_22reduce_config_selectorIbEEZNS1_11reduce_implILb1ES3_N6hipcub16HIPCUB_304000_NS22TransformInputIteratorIbN2at6native12_GLOBAL__N_19NonZeroOpIbEEPKblEEPiiNS8_6detail34convert_binary_result_type_wrapperINS8_3SumESH_iEEEE10hipError_tPvRmT1_T2_T3_mT4_P12ihipStream_tbEUlT_E1_NS1_11comp_targetILNS1_3genE4ELNS1_11target_archE910ELNS1_3gpuE8ELNS1_3repE0EEENS1_30default_config_static_selectorELNS0_4arch9wavefront6targetE0EEEvSQ_.kd
    .uniform_work_group_size: 1
    .uses_dynamic_stack: false
    .vgpr_count:     0
    .vgpr_spill_count: 0
    .wavefront_size: 32
    .workgroup_processor_mode: 1
  - .args:
      - .offset:         0
        .size:           48
        .value_kind:     by_value
    .group_segment_fixed_size: 0
    .kernarg_segment_align: 8
    .kernarg_segment_size: 48
    .language:       OpenCL C
    .language_version:
      - 2
      - 0
    .max_flat_workgroup_size: 256
    .name:           _ZN7rocprim17ROCPRIM_400000_NS6detail17trampoline_kernelINS0_14default_configENS1_22reduce_config_selectorIbEEZNS1_11reduce_implILb1ES3_N6hipcub16HIPCUB_304000_NS22TransformInputIteratorIbN2at6native12_GLOBAL__N_19NonZeroOpIbEEPKblEEPiiNS8_6detail34convert_binary_result_type_wrapperINS8_3SumESH_iEEEE10hipError_tPvRmT1_T2_T3_mT4_P12ihipStream_tbEUlT_E1_NS1_11comp_targetILNS1_3genE3ELNS1_11target_archE908ELNS1_3gpuE7ELNS1_3repE0EEENS1_30default_config_static_selectorELNS0_4arch9wavefront6targetE0EEEvSQ_
    .private_segment_fixed_size: 0
    .sgpr_count:     0
    .sgpr_spill_count: 0
    .symbol:         _ZN7rocprim17ROCPRIM_400000_NS6detail17trampoline_kernelINS0_14default_configENS1_22reduce_config_selectorIbEEZNS1_11reduce_implILb1ES3_N6hipcub16HIPCUB_304000_NS22TransformInputIteratorIbN2at6native12_GLOBAL__N_19NonZeroOpIbEEPKblEEPiiNS8_6detail34convert_binary_result_type_wrapperINS8_3SumESH_iEEEE10hipError_tPvRmT1_T2_T3_mT4_P12ihipStream_tbEUlT_E1_NS1_11comp_targetILNS1_3genE3ELNS1_11target_archE908ELNS1_3gpuE7ELNS1_3repE0EEENS1_30default_config_static_selectorELNS0_4arch9wavefront6targetE0EEEvSQ_.kd
    .uniform_work_group_size: 1
    .uses_dynamic_stack: false
    .vgpr_count:     0
    .vgpr_spill_count: 0
    .wavefront_size: 32
    .workgroup_processor_mode: 1
  - .args:
      - .offset:         0
        .size:           48
        .value_kind:     by_value
    .group_segment_fixed_size: 0
    .kernarg_segment_align: 8
    .kernarg_segment_size: 48
    .language:       OpenCL C
    .language_version:
      - 2
      - 0
    .max_flat_workgroup_size: 128
    .name:           _ZN7rocprim17ROCPRIM_400000_NS6detail17trampoline_kernelINS0_14default_configENS1_22reduce_config_selectorIbEEZNS1_11reduce_implILb1ES3_N6hipcub16HIPCUB_304000_NS22TransformInputIteratorIbN2at6native12_GLOBAL__N_19NonZeroOpIbEEPKblEEPiiNS8_6detail34convert_binary_result_type_wrapperINS8_3SumESH_iEEEE10hipError_tPvRmT1_T2_T3_mT4_P12ihipStream_tbEUlT_E1_NS1_11comp_targetILNS1_3genE2ELNS1_11target_archE906ELNS1_3gpuE6ELNS1_3repE0EEENS1_30default_config_static_selectorELNS0_4arch9wavefront6targetE0EEEvSQ_
    .private_segment_fixed_size: 0
    .sgpr_count:     0
    .sgpr_spill_count: 0
    .symbol:         _ZN7rocprim17ROCPRIM_400000_NS6detail17trampoline_kernelINS0_14default_configENS1_22reduce_config_selectorIbEEZNS1_11reduce_implILb1ES3_N6hipcub16HIPCUB_304000_NS22TransformInputIteratorIbN2at6native12_GLOBAL__N_19NonZeroOpIbEEPKblEEPiiNS8_6detail34convert_binary_result_type_wrapperINS8_3SumESH_iEEEE10hipError_tPvRmT1_T2_T3_mT4_P12ihipStream_tbEUlT_E1_NS1_11comp_targetILNS1_3genE2ELNS1_11target_archE906ELNS1_3gpuE6ELNS1_3repE0EEENS1_30default_config_static_selectorELNS0_4arch9wavefront6targetE0EEEvSQ_.kd
    .uniform_work_group_size: 1
    .uses_dynamic_stack: false
    .vgpr_count:     0
    .vgpr_spill_count: 0
    .wavefront_size: 32
    .workgroup_processor_mode: 1
  - .args:
      - .offset:         0
        .size:           48
        .value_kind:     by_value
    .group_segment_fixed_size: 0
    .kernarg_segment_align: 8
    .kernarg_segment_size: 48
    .language:       OpenCL C
    .language_version:
      - 2
      - 0
    .max_flat_workgroup_size: 256
    .name:           _ZN7rocprim17ROCPRIM_400000_NS6detail17trampoline_kernelINS0_14default_configENS1_22reduce_config_selectorIbEEZNS1_11reduce_implILb1ES3_N6hipcub16HIPCUB_304000_NS22TransformInputIteratorIbN2at6native12_GLOBAL__N_19NonZeroOpIbEEPKblEEPiiNS8_6detail34convert_binary_result_type_wrapperINS8_3SumESH_iEEEE10hipError_tPvRmT1_T2_T3_mT4_P12ihipStream_tbEUlT_E1_NS1_11comp_targetILNS1_3genE10ELNS1_11target_archE1201ELNS1_3gpuE5ELNS1_3repE0EEENS1_30default_config_static_selectorELNS0_4arch9wavefront6targetE0EEEvSQ_
    .private_segment_fixed_size: 0
    .sgpr_count:     0
    .sgpr_spill_count: 0
    .symbol:         _ZN7rocprim17ROCPRIM_400000_NS6detail17trampoline_kernelINS0_14default_configENS1_22reduce_config_selectorIbEEZNS1_11reduce_implILb1ES3_N6hipcub16HIPCUB_304000_NS22TransformInputIteratorIbN2at6native12_GLOBAL__N_19NonZeroOpIbEEPKblEEPiiNS8_6detail34convert_binary_result_type_wrapperINS8_3SumESH_iEEEE10hipError_tPvRmT1_T2_T3_mT4_P12ihipStream_tbEUlT_E1_NS1_11comp_targetILNS1_3genE10ELNS1_11target_archE1201ELNS1_3gpuE5ELNS1_3repE0EEENS1_30default_config_static_selectorELNS0_4arch9wavefront6targetE0EEEvSQ_.kd
    .uniform_work_group_size: 1
    .uses_dynamic_stack: false
    .vgpr_count:     0
    .vgpr_spill_count: 0
    .wavefront_size: 32
    .workgroup_processor_mode: 1
  - .args:
      - .offset:         0
        .size:           48
        .value_kind:     by_value
    .group_segment_fixed_size: 0
    .kernarg_segment_align: 8
    .kernarg_segment_size: 48
    .language:       OpenCL C
    .language_version:
      - 2
      - 0
    .max_flat_workgroup_size: 256
    .name:           _ZN7rocprim17ROCPRIM_400000_NS6detail17trampoline_kernelINS0_14default_configENS1_22reduce_config_selectorIbEEZNS1_11reduce_implILb1ES3_N6hipcub16HIPCUB_304000_NS22TransformInputIteratorIbN2at6native12_GLOBAL__N_19NonZeroOpIbEEPKblEEPiiNS8_6detail34convert_binary_result_type_wrapperINS8_3SumESH_iEEEE10hipError_tPvRmT1_T2_T3_mT4_P12ihipStream_tbEUlT_E1_NS1_11comp_targetILNS1_3genE10ELNS1_11target_archE1200ELNS1_3gpuE4ELNS1_3repE0EEENS1_30default_config_static_selectorELNS0_4arch9wavefront6targetE0EEEvSQ_
    .private_segment_fixed_size: 0
    .sgpr_count:     0
    .sgpr_spill_count: 0
    .symbol:         _ZN7rocprim17ROCPRIM_400000_NS6detail17trampoline_kernelINS0_14default_configENS1_22reduce_config_selectorIbEEZNS1_11reduce_implILb1ES3_N6hipcub16HIPCUB_304000_NS22TransformInputIteratorIbN2at6native12_GLOBAL__N_19NonZeroOpIbEEPKblEEPiiNS8_6detail34convert_binary_result_type_wrapperINS8_3SumESH_iEEEE10hipError_tPvRmT1_T2_T3_mT4_P12ihipStream_tbEUlT_E1_NS1_11comp_targetILNS1_3genE10ELNS1_11target_archE1200ELNS1_3gpuE4ELNS1_3repE0EEENS1_30default_config_static_selectorELNS0_4arch9wavefront6targetE0EEEvSQ_.kd
    .uniform_work_group_size: 1
    .uses_dynamic_stack: false
    .vgpr_count:     0
    .vgpr_spill_count: 0
    .wavefront_size: 32
    .workgroup_processor_mode: 1
  - .args:
      - .offset:         0
        .size:           48
        .value_kind:     by_value
    .group_segment_fixed_size: 144
    .kernarg_segment_align: 8
    .kernarg_segment_size: 48
    .language:       OpenCL C
    .language_version:
      - 2
      - 0
    .max_flat_workgroup_size: 128
    .name:           _ZN7rocprim17ROCPRIM_400000_NS6detail17trampoline_kernelINS0_14default_configENS1_22reduce_config_selectorIbEEZNS1_11reduce_implILb1ES3_N6hipcub16HIPCUB_304000_NS22TransformInputIteratorIbN2at6native12_GLOBAL__N_19NonZeroOpIbEEPKblEEPiiNS8_6detail34convert_binary_result_type_wrapperINS8_3SumESH_iEEEE10hipError_tPvRmT1_T2_T3_mT4_P12ihipStream_tbEUlT_E1_NS1_11comp_targetILNS1_3genE9ELNS1_11target_archE1100ELNS1_3gpuE3ELNS1_3repE0EEENS1_30default_config_static_selectorELNS0_4arch9wavefront6targetE0EEEvSQ_
    .private_segment_fixed_size: 0
    .sgpr_count:     31
    .sgpr_spill_count: 0
    .symbol:         _ZN7rocprim17ROCPRIM_400000_NS6detail17trampoline_kernelINS0_14default_configENS1_22reduce_config_selectorIbEEZNS1_11reduce_implILb1ES3_N6hipcub16HIPCUB_304000_NS22TransformInputIteratorIbN2at6native12_GLOBAL__N_19NonZeroOpIbEEPKblEEPiiNS8_6detail34convert_binary_result_type_wrapperINS8_3SumESH_iEEEE10hipError_tPvRmT1_T2_T3_mT4_P12ihipStream_tbEUlT_E1_NS1_11comp_targetILNS1_3genE9ELNS1_11target_archE1100ELNS1_3gpuE3ELNS1_3repE0EEENS1_30default_config_static_selectorELNS0_4arch9wavefront6targetE0EEEvSQ_.kd
    .uniform_work_group_size: 1
    .uses_dynamic_stack: false
    .vgpr_count:     130
    .vgpr_spill_count: 0
    .wavefront_size: 32
    .workgroup_processor_mode: 1
  - .args:
      - .offset:         0
        .size:           48
        .value_kind:     by_value
    .group_segment_fixed_size: 0
    .kernarg_segment_align: 8
    .kernarg_segment_size: 48
    .language:       OpenCL C
    .language_version:
      - 2
      - 0
    .max_flat_workgroup_size: 256
    .name:           _ZN7rocprim17ROCPRIM_400000_NS6detail17trampoline_kernelINS0_14default_configENS1_22reduce_config_selectorIbEEZNS1_11reduce_implILb1ES3_N6hipcub16HIPCUB_304000_NS22TransformInputIteratorIbN2at6native12_GLOBAL__N_19NonZeroOpIbEEPKblEEPiiNS8_6detail34convert_binary_result_type_wrapperINS8_3SumESH_iEEEE10hipError_tPvRmT1_T2_T3_mT4_P12ihipStream_tbEUlT_E1_NS1_11comp_targetILNS1_3genE8ELNS1_11target_archE1030ELNS1_3gpuE2ELNS1_3repE0EEENS1_30default_config_static_selectorELNS0_4arch9wavefront6targetE0EEEvSQ_
    .private_segment_fixed_size: 0
    .sgpr_count:     0
    .sgpr_spill_count: 0
    .symbol:         _ZN7rocprim17ROCPRIM_400000_NS6detail17trampoline_kernelINS0_14default_configENS1_22reduce_config_selectorIbEEZNS1_11reduce_implILb1ES3_N6hipcub16HIPCUB_304000_NS22TransformInputIteratorIbN2at6native12_GLOBAL__N_19NonZeroOpIbEEPKblEEPiiNS8_6detail34convert_binary_result_type_wrapperINS8_3SumESH_iEEEE10hipError_tPvRmT1_T2_T3_mT4_P12ihipStream_tbEUlT_E1_NS1_11comp_targetILNS1_3genE8ELNS1_11target_archE1030ELNS1_3gpuE2ELNS1_3repE0EEENS1_30default_config_static_selectorELNS0_4arch9wavefront6targetE0EEEvSQ_.kd
    .uniform_work_group_size: 1
    .uses_dynamic_stack: false
    .vgpr_count:     0
    .vgpr_spill_count: 0
    .wavefront_size: 32
    .workgroup_processor_mode: 1
  - .args:
      - .offset:         0
        .size:           120
        .value_kind:     by_value
    .group_segment_fixed_size: 0
    .kernarg_segment_align: 8
    .kernarg_segment_size: 120
    .language:       OpenCL C
    .language_version:
      - 2
      - 0
    .max_flat_workgroup_size: 128
    .name:           _ZN7rocprim17ROCPRIM_400000_NS6detail17trampoline_kernelINS0_14default_configENS1_25partition_config_selectorILNS1_17partition_subalgoE5ElNS0_10empty_typeEbEEZZNS1_14partition_implILS5_5ELb0ES3_mN6hipcub16HIPCUB_304000_NS21CountingInputIteratorIllEEPS6_NSA_22TransformInputIteratorIbN2at6native12_GLOBAL__N_19NonZeroOpIbEEPKblEENS0_5tupleIJPlS6_EEENSN_IJSD_SD_EEES6_PiJS6_EEE10hipError_tPvRmT3_T4_T5_T6_T7_T9_mT8_P12ihipStream_tbDpT10_ENKUlT_T0_E_clISt17integral_constantIbLb0EES1B_EEDaS16_S17_EUlS16_E_NS1_11comp_targetILNS1_3genE0ELNS1_11target_archE4294967295ELNS1_3gpuE0ELNS1_3repE0EEENS1_30default_config_static_selectorELNS0_4arch9wavefront6targetE0EEEvT1_
    .private_segment_fixed_size: 0
    .sgpr_count:     0
    .sgpr_spill_count: 0
    .symbol:         _ZN7rocprim17ROCPRIM_400000_NS6detail17trampoline_kernelINS0_14default_configENS1_25partition_config_selectorILNS1_17partition_subalgoE5ElNS0_10empty_typeEbEEZZNS1_14partition_implILS5_5ELb0ES3_mN6hipcub16HIPCUB_304000_NS21CountingInputIteratorIllEEPS6_NSA_22TransformInputIteratorIbN2at6native12_GLOBAL__N_19NonZeroOpIbEEPKblEENS0_5tupleIJPlS6_EEENSN_IJSD_SD_EEES6_PiJS6_EEE10hipError_tPvRmT3_T4_T5_T6_T7_T9_mT8_P12ihipStream_tbDpT10_ENKUlT_T0_E_clISt17integral_constantIbLb0EES1B_EEDaS16_S17_EUlS16_E_NS1_11comp_targetILNS1_3genE0ELNS1_11target_archE4294967295ELNS1_3gpuE0ELNS1_3repE0EEENS1_30default_config_static_selectorELNS0_4arch9wavefront6targetE0EEEvT1_.kd
    .uniform_work_group_size: 1
    .uses_dynamic_stack: false
    .vgpr_count:     0
    .vgpr_spill_count: 0
    .wavefront_size: 32
    .workgroup_processor_mode: 1
  - .args:
      - .offset:         0
        .size:           120
        .value_kind:     by_value
    .group_segment_fixed_size: 0
    .kernarg_segment_align: 8
    .kernarg_segment_size: 120
    .language:       OpenCL C
    .language_version:
      - 2
      - 0
    .max_flat_workgroup_size: 512
    .name:           _ZN7rocprim17ROCPRIM_400000_NS6detail17trampoline_kernelINS0_14default_configENS1_25partition_config_selectorILNS1_17partition_subalgoE5ElNS0_10empty_typeEbEEZZNS1_14partition_implILS5_5ELb0ES3_mN6hipcub16HIPCUB_304000_NS21CountingInputIteratorIllEEPS6_NSA_22TransformInputIteratorIbN2at6native12_GLOBAL__N_19NonZeroOpIbEEPKblEENS0_5tupleIJPlS6_EEENSN_IJSD_SD_EEES6_PiJS6_EEE10hipError_tPvRmT3_T4_T5_T6_T7_T9_mT8_P12ihipStream_tbDpT10_ENKUlT_T0_E_clISt17integral_constantIbLb0EES1B_EEDaS16_S17_EUlS16_E_NS1_11comp_targetILNS1_3genE5ELNS1_11target_archE942ELNS1_3gpuE9ELNS1_3repE0EEENS1_30default_config_static_selectorELNS0_4arch9wavefront6targetE0EEEvT1_
    .private_segment_fixed_size: 0
    .sgpr_count:     0
    .sgpr_spill_count: 0
    .symbol:         _ZN7rocprim17ROCPRIM_400000_NS6detail17trampoline_kernelINS0_14default_configENS1_25partition_config_selectorILNS1_17partition_subalgoE5ElNS0_10empty_typeEbEEZZNS1_14partition_implILS5_5ELb0ES3_mN6hipcub16HIPCUB_304000_NS21CountingInputIteratorIllEEPS6_NSA_22TransformInputIteratorIbN2at6native12_GLOBAL__N_19NonZeroOpIbEEPKblEENS0_5tupleIJPlS6_EEENSN_IJSD_SD_EEES6_PiJS6_EEE10hipError_tPvRmT3_T4_T5_T6_T7_T9_mT8_P12ihipStream_tbDpT10_ENKUlT_T0_E_clISt17integral_constantIbLb0EES1B_EEDaS16_S17_EUlS16_E_NS1_11comp_targetILNS1_3genE5ELNS1_11target_archE942ELNS1_3gpuE9ELNS1_3repE0EEENS1_30default_config_static_selectorELNS0_4arch9wavefront6targetE0EEEvT1_.kd
    .uniform_work_group_size: 1
    .uses_dynamic_stack: false
    .vgpr_count:     0
    .vgpr_spill_count: 0
    .wavefront_size: 32
    .workgroup_processor_mode: 1
  - .args:
      - .offset:         0
        .size:           120
        .value_kind:     by_value
    .group_segment_fixed_size: 0
    .kernarg_segment_align: 8
    .kernarg_segment_size: 120
    .language:       OpenCL C
    .language_version:
      - 2
      - 0
    .max_flat_workgroup_size: 192
    .name:           _ZN7rocprim17ROCPRIM_400000_NS6detail17trampoline_kernelINS0_14default_configENS1_25partition_config_selectorILNS1_17partition_subalgoE5ElNS0_10empty_typeEbEEZZNS1_14partition_implILS5_5ELb0ES3_mN6hipcub16HIPCUB_304000_NS21CountingInputIteratorIllEEPS6_NSA_22TransformInputIteratorIbN2at6native12_GLOBAL__N_19NonZeroOpIbEEPKblEENS0_5tupleIJPlS6_EEENSN_IJSD_SD_EEES6_PiJS6_EEE10hipError_tPvRmT3_T4_T5_T6_T7_T9_mT8_P12ihipStream_tbDpT10_ENKUlT_T0_E_clISt17integral_constantIbLb0EES1B_EEDaS16_S17_EUlS16_E_NS1_11comp_targetILNS1_3genE4ELNS1_11target_archE910ELNS1_3gpuE8ELNS1_3repE0EEENS1_30default_config_static_selectorELNS0_4arch9wavefront6targetE0EEEvT1_
    .private_segment_fixed_size: 0
    .sgpr_count:     0
    .sgpr_spill_count: 0
    .symbol:         _ZN7rocprim17ROCPRIM_400000_NS6detail17trampoline_kernelINS0_14default_configENS1_25partition_config_selectorILNS1_17partition_subalgoE5ElNS0_10empty_typeEbEEZZNS1_14partition_implILS5_5ELb0ES3_mN6hipcub16HIPCUB_304000_NS21CountingInputIteratorIllEEPS6_NSA_22TransformInputIteratorIbN2at6native12_GLOBAL__N_19NonZeroOpIbEEPKblEENS0_5tupleIJPlS6_EEENSN_IJSD_SD_EEES6_PiJS6_EEE10hipError_tPvRmT3_T4_T5_T6_T7_T9_mT8_P12ihipStream_tbDpT10_ENKUlT_T0_E_clISt17integral_constantIbLb0EES1B_EEDaS16_S17_EUlS16_E_NS1_11comp_targetILNS1_3genE4ELNS1_11target_archE910ELNS1_3gpuE8ELNS1_3repE0EEENS1_30default_config_static_selectorELNS0_4arch9wavefront6targetE0EEEvT1_.kd
    .uniform_work_group_size: 1
    .uses_dynamic_stack: false
    .vgpr_count:     0
    .vgpr_spill_count: 0
    .wavefront_size: 32
    .workgroup_processor_mode: 1
  - .args:
      - .offset:         0
        .size:           120
        .value_kind:     by_value
    .group_segment_fixed_size: 0
    .kernarg_segment_align: 8
    .kernarg_segment_size: 120
    .language:       OpenCL C
    .language_version:
      - 2
      - 0
    .max_flat_workgroup_size: 128
    .name:           _ZN7rocprim17ROCPRIM_400000_NS6detail17trampoline_kernelINS0_14default_configENS1_25partition_config_selectorILNS1_17partition_subalgoE5ElNS0_10empty_typeEbEEZZNS1_14partition_implILS5_5ELb0ES3_mN6hipcub16HIPCUB_304000_NS21CountingInputIteratorIllEEPS6_NSA_22TransformInputIteratorIbN2at6native12_GLOBAL__N_19NonZeroOpIbEEPKblEENS0_5tupleIJPlS6_EEENSN_IJSD_SD_EEES6_PiJS6_EEE10hipError_tPvRmT3_T4_T5_T6_T7_T9_mT8_P12ihipStream_tbDpT10_ENKUlT_T0_E_clISt17integral_constantIbLb0EES1B_EEDaS16_S17_EUlS16_E_NS1_11comp_targetILNS1_3genE3ELNS1_11target_archE908ELNS1_3gpuE7ELNS1_3repE0EEENS1_30default_config_static_selectorELNS0_4arch9wavefront6targetE0EEEvT1_
    .private_segment_fixed_size: 0
    .sgpr_count:     0
    .sgpr_spill_count: 0
    .symbol:         _ZN7rocprim17ROCPRIM_400000_NS6detail17trampoline_kernelINS0_14default_configENS1_25partition_config_selectorILNS1_17partition_subalgoE5ElNS0_10empty_typeEbEEZZNS1_14partition_implILS5_5ELb0ES3_mN6hipcub16HIPCUB_304000_NS21CountingInputIteratorIllEEPS6_NSA_22TransformInputIteratorIbN2at6native12_GLOBAL__N_19NonZeroOpIbEEPKblEENS0_5tupleIJPlS6_EEENSN_IJSD_SD_EEES6_PiJS6_EEE10hipError_tPvRmT3_T4_T5_T6_T7_T9_mT8_P12ihipStream_tbDpT10_ENKUlT_T0_E_clISt17integral_constantIbLb0EES1B_EEDaS16_S17_EUlS16_E_NS1_11comp_targetILNS1_3genE3ELNS1_11target_archE908ELNS1_3gpuE7ELNS1_3repE0EEENS1_30default_config_static_selectorELNS0_4arch9wavefront6targetE0EEEvT1_.kd
    .uniform_work_group_size: 1
    .uses_dynamic_stack: false
    .vgpr_count:     0
    .vgpr_spill_count: 0
    .wavefront_size: 32
    .workgroup_processor_mode: 1
  - .args:
      - .offset:         0
        .size:           120
        .value_kind:     by_value
    .group_segment_fixed_size: 0
    .kernarg_segment_align: 8
    .kernarg_segment_size: 120
    .language:       OpenCL C
    .language_version:
      - 2
      - 0
    .max_flat_workgroup_size: 256
    .name:           _ZN7rocprim17ROCPRIM_400000_NS6detail17trampoline_kernelINS0_14default_configENS1_25partition_config_selectorILNS1_17partition_subalgoE5ElNS0_10empty_typeEbEEZZNS1_14partition_implILS5_5ELb0ES3_mN6hipcub16HIPCUB_304000_NS21CountingInputIteratorIllEEPS6_NSA_22TransformInputIteratorIbN2at6native12_GLOBAL__N_19NonZeroOpIbEEPKblEENS0_5tupleIJPlS6_EEENSN_IJSD_SD_EEES6_PiJS6_EEE10hipError_tPvRmT3_T4_T5_T6_T7_T9_mT8_P12ihipStream_tbDpT10_ENKUlT_T0_E_clISt17integral_constantIbLb0EES1B_EEDaS16_S17_EUlS16_E_NS1_11comp_targetILNS1_3genE2ELNS1_11target_archE906ELNS1_3gpuE6ELNS1_3repE0EEENS1_30default_config_static_selectorELNS0_4arch9wavefront6targetE0EEEvT1_
    .private_segment_fixed_size: 0
    .sgpr_count:     0
    .sgpr_spill_count: 0
    .symbol:         _ZN7rocprim17ROCPRIM_400000_NS6detail17trampoline_kernelINS0_14default_configENS1_25partition_config_selectorILNS1_17partition_subalgoE5ElNS0_10empty_typeEbEEZZNS1_14partition_implILS5_5ELb0ES3_mN6hipcub16HIPCUB_304000_NS21CountingInputIteratorIllEEPS6_NSA_22TransformInputIteratorIbN2at6native12_GLOBAL__N_19NonZeroOpIbEEPKblEENS0_5tupleIJPlS6_EEENSN_IJSD_SD_EEES6_PiJS6_EEE10hipError_tPvRmT3_T4_T5_T6_T7_T9_mT8_P12ihipStream_tbDpT10_ENKUlT_T0_E_clISt17integral_constantIbLb0EES1B_EEDaS16_S17_EUlS16_E_NS1_11comp_targetILNS1_3genE2ELNS1_11target_archE906ELNS1_3gpuE6ELNS1_3repE0EEENS1_30default_config_static_selectorELNS0_4arch9wavefront6targetE0EEEvT1_.kd
    .uniform_work_group_size: 1
    .uses_dynamic_stack: false
    .vgpr_count:     0
    .vgpr_spill_count: 0
    .wavefront_size: 32
    .workgroup_processor_mode: 1
  - .args:
      - .offset:         0
        .size:           120
        .value_kind:     by_value
    .group_segment_fixed_size: 0
    .kernarg_segment_align: 8
    .kernarg_segment_size: 120
    .language:       OpenCL C
    .language_version:
      - 2
      - 0
    .max_flat_workgroup_size: 256
    .name:           _ZN7rocprim17ROCPRIM_400000_NS6detail17trampoline_kernelINS0_14default_configENS1_25partition_config_selectorILNS1_17partition_subalgoE5ElNS0_10empty_typeEbEEZZNS1_14partition_implILS5_5ELb0ES3_mN6hipcub16HIPCUB_304000_NS21CountingInputIteratorIllEEPS6_NSA_22TransformInputIteratorIbN2at6native12_GLOBAL__N_19NonZeroOpIbEEPKblEENS0_5tupleIJPlS6_EEENSN_IJSD_SD_EEES6_PiJS6_EEE10hipError_tPvRmT3_T4_T5_T6_T7_T9_mT8_P12ihipStream_tbDpT10_ENKUlT_T0_E_clISt17integral_constantIbLb0EES1B_EEDaS16_S17_EUlS16_E_NS1_11comp_targetILNS1_3genE10ELNS1_11target_archE1200ELNS1_3gpuE4ELNS1_3repE0EEENS1_30default_config_static_selectorELNS0_4arch9wavefront6targetE0EEEvT1_
    .private_segment_fixed_size: 0
    .sgpr_count:     0
    .sgpr_spill_count: 0
    .symbol:         _ZN7rocprim17ROCPRIM_400000_NS6detail17trampoline_kernelINS0_14default_configENS1_25partition_config_selectorILNS1_17partition_subalgoE5ElNS0_10empty_typeEbEEZZNS1_14partition_implILS5_5ELb0ES3_mN6hipcub16HIPCUB_304000_NS21CountingInputIteratorIllEEPS6_NSA_22TransformInputIteratorIbN2at6native12_GLOBAL__N_19NonZeroOpIbEEPKblEENS0_5tupleIJPlS6_EEENSN_IJSD_SD_EEES6_PiJS6_EEE10hipError_tPvRmT3_T4_T5_T6_T7_T9_mT8_P12ihipStream_tbDpT10_ENKUlT_T0_E_clISt17integral_constantIbLb0EES1B_EEDaS16_S17_EUlS16_E_NS1_11comp_targetILNS1_3genE10ELNS1_11target_archE1200ELNS1_3gpuE4ELNS1_3repE0EEENS1_30default_config_static_selectorELNS0_4arch9wavefront6targetE0EEEvT1_.kd
    .uniform_work_group_size: 1
    .uses_dynamic_stack: false
    .vgpr_count:     0
    .vgpr_spill_count: 0
    .wavefront_size: 32
    .workgroup_processor_mode: 1
  - .args:
      - .offset:         0
        .size:           120
        .value_kind:     by_value
    .group_segment_fixed_size: 6160
    .kernarg_segment_align: 8
    .kernarg_segment_size: 120
    .language:       OpenCL C
    .language_version:
      - 2
      - 0
    .max_flat_workgroup_size: 128
    .name:           _ZN7rocprim17ROCPRIM_400000_NS6detail17trampoline_kernelINS0_14default_configENS1_25partition_config_selectorILNS1_17partition_subalgoE5ElNS0_10empty_typeEbEEZZNS1_14partition_implILS5_5ELb0ES3_mN6hipcub16HIPCUB_304000_NS21CountingInputIteratorIllEEPS6_NSA_22TransformInputIteratorIbN2at6native12_GLOBAL__N_19NonZeroOpIbEEPKblEENS0_5tupleIJPlS6_EEENSN_IJSD_SD_EEES6_PiJS6_EEE10hipError_tPvRmT3_T4_T5_T6_T7_T9_mT8_P12ihipStream_tbDpT10_ENKUlT_T0_E_clISt17integral_constantIbLb0EES1B_EEDaS16_S17_EUlS16_E_NS1_11comp_targetILNS1_3genE9ELNS1_11target_archE1100ELNS1_3gpuE3ELNS1_3repE0EEENS1_30default_config_static_selectorELNS0_4arch9wavefront6targetE0EEEvT1_
    .private_segment_fixed_size: 0
    .sgpr_count:     22
    .sgpr_spill_count: 0
    .symbol:         _ZN7rocprim17ROCPRIM_400000_NS6detail17trampoline_kernelINS0_14default_configENS1_25partition_config_selectorILNS1_17partition_subalgoE5ElNS0_10empty_typeEbEEZZNS1_14partition_implILS5_5ELb0ES3_mN6hipcub16HIPCUB_304000_NS21CountingInputIteratorIllEEPS6_NSA_22TransformInputIteratorIbN2at6native12_GLOBAL__N_19NonZeroOpIbEEPKblEENS0_5tupleIJPlS6_EEENSN_IJSD_SD_EEES6_PiJS6_EEE10hipError_tPvRmT3_T4_T5_T6_T7_T9_mT8_P12ihipStream_tbDpT10_ENKUlT_T0_E_clISt17integral_constantIbLb0EES1B_EEDaS16_S17_EUlS16_E_NS1_11comp_targetILNS1_3genE9ELNS1_11target_archE1100ELNS1_3gpuE3ELNS1_3repE0EEENS1_30default_config_static_selectorELNS0_4arch9wavefront6targetE0EEEvT1_.kd
    .uniform_work_group_size: 1
    .uses_dynamic_stack: false
    .vgpr_count:     57
    .vgpr_spill_count: 0
    .wavefront_size: 32
    .workgroup_processor_mode: 1
  - .args:
      - .offset:         0
        .size:           120
        .value_kind:     by_value
    .group_segment_fixed_size: 0
    .kernarg_segment_align: 8
    .kernarg_segment_size: 120
    .language:       OpenCL C
    .language_version:
      - 2
      - 0
    .max_flat_workgroup_size: 512
    .name:           _ZN7rocprim17ROCPRIM_400000_NS6detail17trampoline_kernelINS0_14default_configENS1_25partition_config_selectorILNS1_17partition_subalgoE5ElNS0_10empty_typeEbEEZZNS1_14partition_implILS5_5ELb0ES3_mN6hipcub16HIPCUB_304000_NS21CountingInputIteratorIllEEPS6_NSA_22TransformInputIteratorIbN2at6native12_GLOBAL__N_19NonZeroOpIbEEPKblEENS0_5tupleIJPlS6_EEENSN_IJSD_SD_EEES6_PiJS6_EEE10hipError_tPvRmT3_T4_T5_T6_T7_T9_mT8_P12ihipStream_tbDpT10_ENKUlT_T0_E_clISt17integral_constantIbLb0EES1B_EEDaS16_S17_EUlS16_E_NS1_11comp_targetILNS1_3genE8ELNS1_11target_archE1030ELNS1_3gpuE2ELNS1_3repE0EEENS1_30default_config_static_selectorELNS0_4arch9wavefront6targetE0EEEvT1_
    .private_segment_fixed_size: 0
    .sgpr_count:     0
    .sgpr_spill_count: 0
    .symbol:         _ZN7rocprim17ROCPRIM_400000_NS6detail17trampoline_kernelINS0_14default_configENS1_25partition_config_selectorILNS1_17partition_subalgoE5ElNS0_10empty_typeEbEEZZNS1_14partition_implILS5_5ELb0ES3_mN6hipcub16HIPCUB_304000_NS21CountingInputIteratorIllEEPS6_NSA_22TransformInputIteratorIbN2at6native12_GLOBAL__N_19NonZeroOpIbEEPKblEENS0_5tupleIJPlS6_EEENSN_IJSD_SD_EEES6_PiJS6_EEE10hipError_tPvRmT3_T4_T5_T6_T7_T9_mT8_P12ihipStream_tbDpT10_ENKUlT_T0_E_clISt17integral_constantIbLb0EES1B_EEDaS16_S17_EUlS16_E_NS1_11comp_targetILNS1_3genE8ELNS1_11target_archE1030ELNS1_3gpuE2ELNS1_3repE0EEENS1_30default_config_static_selectorELNS0_4arch9wavefront6targetE0EEEvT1_.kd
    .uniform_work_group_size: 1
    .uses_dynamic_stack: false
    .vgpr_count:     0
    .vgpr_spill_count: 0
    .wavefront_size: 32
    .workgroup_processor_mode: 1
  - .args:
      - .offset:         0
        .size:           136
        .value_kind:     by_value
    .group_segment_fixed_size: 0
    .kernarg_segment_align: 8
    .kernarg_segment_size: 136
    .language:       OpenCL C
    .language_version:
      - 2
      - 0
    .max_flat_workgroup_size: 128
    .name:           _ZN7rocprim17ROCPRIM_400000_NS6detail17trampoline_kernelINS0_14default_configENS1_25partition_config_selectorILNS1_17partition_subalgoE5ElNS0_10empty_typeEbEEZZNS1_14partition_implILS5_5ELb0ES3_mN6hipcub16HIPCUB_304000_NS21CountingInputIteratorIllEEPS6_NSA_22TransformInputIteratorIbN2at6native12_GLOBAL__N_19NonZeroOpIbEEPKblEENS0_5tupleIJPlS6_EEENSN_IJSD_SD_EEES6_PiJS6_EEE10hipError_tPvRmT3_T4_T5_T6_T7_T9_mT8_P12ihipStream_tbDpT10_ENKUlT_T0_E_clISt17integral_constantIbLb1EES1B_EEDaS16_S17_EUlS16_E_NS1_11comp_targetILNS1_3genE0ELNS1_11target_archE4294967295ELNS1_3gpuE0ELNS1_3repE0EEENS1_30default_config_static_selectorELNS0_4arch9wavefront6targetE0EEEvT1_
    .private_segment_fixed_size: 0
    .sgpr_count:     0
    .sgpr_spill_count: 0
    .symbol:         _ZN7rocprim17ROCPRIM_400000_NS6detail17trampoline_kernelINS0_14default_configENS1_25partition_config_selectorILNS1_17partition_subalgoE5ElNS0_10empty_typeEbEEZZNS1_14partition_implILS5_5ELb0ES3_mN6hipcub16HIPCUB_304000_NS21CountingInputIteratorIllEEPS6_NSA_22TransformInputIteratorIbN2at6native12_GLOBAL__N_19NonZeroOpIbEEPKblEENS0_5tupleIJPlS6_EEENSN_IJSD_SD_EEES6_PiJS6_EEE10hipError_tPvRmT3_T4_T5_T6_T7_T9_mT8_P12ihipStream_tbDpT10_ENKUlT_T0_E_clISt17integral_constantIbLb1EES1B_EEDaS16_S17_EUlS16_E_NS1_11comp_targetILNS1_3genE0ELNS1_11target_archE4294967295ELNS1_3gpuE0ELNS1_3repE0EEENS1_30default_config_static_selectorELNS0_4arch9wavefront6targetE0EEEvT1_.kd
    .uniform_work_group_size: 1
    .uses_dynamic_stack: false
    .vgpr_count:     0
    .vgpr_spill_count: 0
    .wavefront_size: 32
    .workgroup_processor_mode: 1
  - .args:
      - .offset:         0
        .size:           136
        .value_kind:     by_value
    .group_segment_fixed_size: 0
    .kernarg_segment_align: 8
    .kernarg_segment_size: 136
    .language:       OpenCL C
    .language_version:
      - 2
      - 0
    .max_flat_workgroup_size: 512
    .name:           _ZN7rocprim17ROCPRIM_400000_NS6detail17trampoline_kernelINS0_14default_configENS1_25partition_config_selectorILNS1_17partition_subalgoE5ElNS0_10empty_typeEbEEZZNS1_14partition_implILS5_5ELb0ES3_mN6hipcub16HIPCUB_304000_NS21CountingInputIteratorIllEEPS6_NSA_22TransformInputIteratorIbN2at6native12_GLOBAL__N_19NonZeroOpIbEEPKblEENS0_5tupleIJPlS6_EEENSN_IJSD_SD_EEES6_PiJS6_EEE10hipError_tPvRmT3_T4_T5_T6_T7_T9_mT8_P12ihipStream_tbDpT10_ENKUlT_T0_E_clISt17integral_constantIbLb1EES1B_EEDaS16_S17_EUlS16_E_NS1_11comp_targetILNS1_3genE5ELNS1_11target_archE942ELNS1_3gpuE9ELNS1_3repE0EEENS1_30default_config_static_selectorELNS0_4arch9wavefront6targetE0EEEvT1_
    .private_segment_fixed_size: 0
    .sgpr_count:     0
    .sgpr_spill_count: 0
    .symbol:         _ZN7rocprim17ROCPRIM_400000_NS6detail17trampoline_kernelINS0_14default_configENS1_25partition_config_selectorILNS1_17partition_subalgoE5ElNS0_10empty_typeEbEEZZNS1_14partition_implILS5_5ELb0ES3_mN6hipcub16HIPCUB_304000_NS21CountingInputIteratorIllEEPS6_NSA_22TransformInputIteratorIbN2at6native12_GLOBAL__N_19NonZeroOpIbEEPKblEENS0_5tupleIJPlS6_EEENSN_IJSD_SD_EEES6_PiJS6_EEE10hipError_tPvRmT3_T4_T5_T6_T7_T9_mT8_P12ihipStream_tbDpT10_ENKUlT_T0_E_clISt17integral_constantIbLb1EES1B_EEDaS16_S17_EUlS16_E_NS1_11comp_targetILNS1_3genE5ELNS1_11target_archE942ELNS1_3gpuE9ELNS1_3repE0EEENS1_30default_config_static_selectorELNS0_4arch9wavefront6targetE0EEEvT1_.kd
    .uniform_work_group_size: 1
    .uses_dynamic_stack: false
    .vgpr_count:     0
    .vgpr_spill_count: 0
    .wavefront_size: 32
    .workgroup_processor_mode: 1
  - .args:
      - .offset:         0
        .size:           136
        .value_kind:     by_value
    .group_segment_fixed_size: 0
    .kernarg_segment_align: 8
    .kernarg_segment_size: 136
    .language:       OpenCL C
    .language_version:
      - 2
      - 0
    .max_flat_workgroup_size: 192
    .name:           _ZN7rocprim17ROCPRIM_400000_NS6detail17trampoline_kernelINS0_14default_configENS1_25partition_config_selectorILNS1_17partition_subalgoE5ElNS0_10empty_typeEbEEZZNS1_14partition_implILS5_5ELb0ES3_mN6hipcub16HIPCUB_304000_NS21CountingInputIteratorIllEEPS6_NSA_22TransformInputIteratorIbN2at6native12_GLOBAL__N_19NonZeroOpIbEEPKblEENS0_5tupleIJPlS6_EEENSN_IJSD_SD_EEES6_PiJS6_EEE10hipError_tPvRmT3_T4_T5_T6_T7_T9_mT8_P12ihipStream_tbDpT10_ENKUlT_T0_E_clISt17integral_constantIbLb1EES1B_EEDaS16_S17_EUlS16_E_NS1_11comp_targetILNS1_3genE4ELNS1_11target_archE910ELNS1_3gpuE8ELNS1_3repE0EEENS1_30default_config_static_selectorELNS0_4arch9wavefront6targetE0EEEvT1_
    .private_segment_fixed_size: 0
    .sgpr_count:     0
    .sgpr_spill_count: 0
    .symbol:         _ZN7rocprim17ROCPRIM_400000_NS6detail17trampoline_kernelINS0_14default_configENS1_25partition_config_selectorILNS1_17partition_subalgoE5ElNS0_10empty_typeEbEEZZNS1_14partition_implILS5_5ELb0ES3_mN6hipcub16HIPCUB_304000_NS21CountingInputIteratorIllEEPS6_NSA_22TransformInputIteratorIbN2at6native12_GLOBAL__N_19NonZeroOpIbEEPKblEENS0_5tupleIJPlS6_EEENSN_IJSD_SD_EEES6_PiJS6_EEE10hipError_tPvRmT3_T4_T5_T6_T7_T9_mT8_P12ihipStream_tbDpT10_ENKUlT_T0_E_clISt17integral_constantIbLb1EES1B_EEDaS16_S17_EUlS16_E_NS1_11comp_targetILNS1_3genE4ELNS1_11target_archE910ELNS1_3gpuE8ELNS1_3repE0EEENS1_30default_config_static_selectorELNS0_4arch9wavefront6targetE0EEEvT1_.kd
    .uniform_work_group_size: 1
    .uses_dynamic_stack: false
    .vgpr_count:     0
    .vgpr_spill_count: 0
    .wavefront_size: 32
    .workgroup_processor_mode: 1
  - .args:
      - .offset:         0
        .size:           136
        .value_kind:     by_value
    .group_segment_fixed_size: 0
    .kernarg_segment_align: 8
    .kernarg_segment_size: 136
    .language:       OpenCL C
    .language_version:
      - 2
      - 0
    .max_flat_workgroup_size: 128
    .name:           _ZN7rocprim17ROCPRIM_400000_NS6detail17trampoline_kernelINS0_14default_configENS1_25partition_config_selectorILNS1_17partition_subalgoE5ElNS0_10empty_typeEbEEZZNS1_14partition_implILS5_5ELb0ES3_mN6hipcub16HIPCUB_304000_NS21CountingInputIteratorIllEEPS6_NSA_22TransformInputIteratorIbN2at6native12_GLOBAL__N_19NonZeroOpIbEEPKblEENS0_5tupleIJPlS6_EEENSN_IJSD_SD_EEES6_PiJS6_EEE10hipError_tPvRmT3_T4_T5_T6_T7_T9_mT8_P12ihipStream_tbDpT10_ENKUlT_T0_E_clISt17integral_constantIbLb1EES1B_EEDaS16_S17_EUlS16_E_NS1_11comp_targetILNS1_3genE3ELNS1_11target_archE908ELNS1_3gpuE7ELNS1_3repE0EEENS1_30default_config_static_selectorELNS0_4arch9wavefront6targetE0EEEvT1_
    .private_segment_fixed_size: 0
    .sgpr_count:     0
    .sgpr_spill_count: 0
    .symbol:         _ZN7rocprim17ROCPRIM_400000_NS6detail17trampoline_kernelINS0_14default_configENS1_25partition_config_selectorILNS1_17partition_subalgoE5ElNS0_10empty_typeEbEEZZNS1_14partition_implILS5_5ELb0ES3_mN6hipcub16HIPCUB_304000_NS21CountingInputIteratorIllEEPS6_NSA_22TransformInputIteratorIbN2at6native12_GLOBAL__N_19NonZeroOpIbEEPKblEENS0_5tupleIJPlS6_EEENSN_IJSD_SD_EEES6_PiJS6_EEE10hipError_tPvRmT3_T4_T5_T6_T7_T9_mT8_P12ihipStream_tbDpT10_ENKUlT_T0_E_clISt17integral_constantIbLb1EES1B_EEDaS16_S17_EUlS16_E_NS1_11comp_targetILNS1_3genE3ELNS1_11target_archE908ELNS1_3gpuE7ELNS1_3repE0EEENS1_30default_config_static_selectorELNS0_4arch9wavefront6targetE0EEEvT1_.kd
    .uniform_work_group_size: 1
    .uses_dynamic_stack: false
    .vgpr_count:     0
    .vgpr_spill_count: 0
    .wavefront_size: 32
    .workgroup_processor_mode: 1
  - .args:
      - .offset:         0
        .size:           136
        .value_kind:     by_value
    .group_segment_fixed_size: 0
    .kernarg_segment_align: 8
    .kernarg_segment_size: 136
    .language:       OpenCL C
    .language_version:
      - 2
      - 0
    .max_flat_workgroup_size: 256
    .name:           _ZN7rocprim17ROCPRIM_400000_NS6detail17trampoline_kernelINS0_14default_configENS1_25partition_config_selectorILNS1_17partition_subalgoE5ElNS0_10empty_typeEbEEZZNS1_14partition_implILS5_5ELb0ES3_mN6hipcub16HIPCUB_304000_NS21CountingInputIteratorIllEEPS6_NSA_22TransformInputIteratorIbN2at6native12_GLOBAL__N_19NonZeroOpIbEEPKblEENS0_5tupleIJPlS6_EEENSN_IJSD_SD_EEES6_PiJS6_EEE10hipError_tPvRmT3_T4_T5_T6_T7_T9_mT8_P12ihipStream_tbDpT10_ENKUlT_T0_E_clISt17integral_constantIbLb1EES1B_EEDaS16_S17_EUlS16_E_NS1_11comp_targetILNS1_3genE2ELNS1_11target_archE906ELNS1_3gpuE6ELNS1_3repE0EEENS1_30default_config_static_selectorELNS0_4arch9wavefront6targetE0EEEvT1_
    .private_segment_fixed_size: 0
    .sgpr_count:     0
    .sgpr_spill_count: 0
    .symbol:         _ZN7rocprim17ROCPRIM_400000_NS6detail17trampoline_kernelINS0_14default_configENS1_25partition_config_selectorILNS1_17partition_subalgoE5ElNS0_10empty_typeEbEEZZNS1_14partition_implILS5_5ELb0ES3_mN6hipcub16HIPCUB_304000_NS21CountingInputIteratorIllEEPS6_NSA_22TransformInputIteratorIbN2at6native12_GLOBAL__N_19NonZeroOpIbEEPKblEENS0_5tupleIJPlS6_EEENSN_IJSD_SD_EEES6_PiJS6_EEE10hipError_tPvRmT3_T4_T5_T6_T7_T9_mT8_P12ihipStream_tbDpT10_ENKUlT_T0_E_clISt17integral_constantIbLb1EES1B_EEDaS16_S17_EUlS16_E_NS1_11comp_targetILNS1_3genE2ELNS1_11target_archE906ELNS1_3gpuE6ELNS1_3repE0EEENS1_30default_config_static_selectorELNS0_4arch9wavefront6targetE0EEEvT1_.kd
    .uniform_work_group_size: 1
    .uses_dynamic_stack: false
    .vgpr_count:     0
    .vgpr_spill_count: 0
    .wavefront_size: 32
    .workgroup_processor_mode: 1
  - .args:
      - .offset:         0
        .size:           136
        .value_kind:     by_value
    .group_segment_fixed_size: 0
    .kernarg_segment_align: 8
    .kernarg_segment_size: 136
    .language:       OpenCL C
    .language_version:
      - 2
      - 0
    .max_flat_workgroup_size: 256
    .name:           _ZN7rocprim17ROCPRIM_400000_NS6detail17trampoline_kernelINS0_14default_configENS1_25partition_config_selectorILNS1_17partition_subalgoE5ElNS0_10empty_typeEbEEZZNS1_14partition_implILS5_5ELb0ES3_mN6hipcub16HIPCUB_304000_NS21CountingInputIteratorIllEEPS6_NSA_22TransformInputIteratorIbN2at6native12_GLOBAL__N_19NonZeroOpIbEEPKblEENS0_5tupleIJPlS6_EEENSN_IJSD_SD_EEES6_PiJS6_EEE10hipError_tPvRmT3_T4_T5_T6_T7_T9_mT8_P12ihipStream_tbDpT10_ENKUlT_T0_E_clISt17integral_constantIbLb1EES1B_EEDaS16_S17_EUlS16_E_NS1_11comp_targetILNS1_3genE10ELNS1_11target_archE1200ELNS1_3gpuE4ELNS1_3repE0EEENS1_30default_config_static_selectorELNS0_4arch9wavefront6targetE0EEEvT1_
    .private_segment_fixed_size: 0
    .sgpr_count:     0
    .sgpr_spill_count: 0
    .symbol:         _ZN7rocprim17ROCPRIM_400000_NS6detail17trampoline_kernelINS0_14default_configENS1_25partition_config_selectorILNS1_17partition_subalgoE5ElNS0_10empty_typeEbEEZZNS1_14partition_implILS5_5ELb0ES3_mN6hipcub16HIPCUB_304000_NS21CountingInputIteratorIllEEPS6_NSA_22TransformInputIteratorIbN2at6native12_GLOBAL__N_19NonZeroOpIbEEPKblEENS0_5tupleIJPlS6_EEENSN_IJSD_SD_EEES6_PiJS6_EEE10hipError_tPvRmT3_T4_T5_T6_T7_T9_mT8_P12ihipStream_tbDpT10_ENKUlT_T0_E_clISt17integral_constantIbLb1EES1B_EEDaS16_S17_EUlS16_E_NS1_11comp_targetILNS1_3genE10ELNS1_11target_archE1200ELNS1_3gpuE4ELNS1_3repE0EEENS1_30default_config_static_selectorELNS0_4arch9wavefront6targetE0EEEvT1_.kd
    .uniform_work_group_size: 1
    .uses_dynamic_stack: false
    .vgpr_count:     0
    .vgpr_spill_count: 0
    .wavefront_size: 32
    .workgroup_processor_mode: 1
  - .args:
      - .offset:         0
        .size:           136
        .value_kind:     by_value
    .group_segment_fixed_size: 6160
    .kernarg_segment_align: 8
    .kernarg_segment_size: 136
    .language:       OpenCL C
    .language_version:
      - 2
      - 0
    .max_flat_workgroup_size: 128
    .name:           _ZN7rocprim17ROCPRIM_400000_NS6detail17trampoline_kernelINS0_14default_configENS1_25partition_config_selectorILNS1_17partition_subalgoE5ElNS0_10empty_typeEbEEZZNS1_14partition_implILS5_5ELb0ES3_mN6hipcub16HIPCUB_304000_NS21CountingInputIteratorIllEEPS6_NSA_22TransformInputIteratorIbN2at6native12_GLOBAL__N_19NonZeroOpIbEEPKblEENS0_5tupleIJPlS6_EEENSN_IJSD_SD_EEES6_PiJS6_EEE10hipError_tPvRmT3_T4_T5_T6_T7_T9_mT8_P12ihipStream_tbDpT10_ENKUlT_T0_E_clISt17integral_constantIbLb1EES1B_EEDaS16_S17_EUlS16_E_NS1_11comp_targetILNS1_3genE9ELNS1_11target_archE1100ELNS1_3gpuE3ELNS1_3repE0EEENS1_30default_config_static_selectorELNS0_4arch9wavefront6targetE0EEEvT1_
    .private_segment_fixed_size: 0
    .sgpr_count:     25
    .sgpr_spill_count: 0
    .symbol:         _ZN7rocprim17ROCPRIM_400000_NS6detail17trampoline_kernelINS0_14default_configENS1_25partition_config_selectorILNS1_17partition_subalgoE5ElNS0_10empty_typeEbEEZZNS1_14partition_implILS5_5ELb0ES3_mN6hipcub16HIPCUB_304000_NS21CountingInputIteratorIllEEPS6_NSA_22TransformInputIteratorIbN2at6native12_GLOBAL__N_19NonZeroOpIbEEPKblEENS0_5tupleIJPlS6_EEENSN_IJSD_SD_EEES6_PiJS6_EEE10hipError_tPvRmT3_T4_T5_T6_T7_T9_mT8_P12ihipStream_tbDpT10_ENKUlT_T0_E_clISt17integral_constantIbLb1EES1B_EEDaS16_S17_EUlS16_E_NS1_11comp_targetILNS1_3genE9ELNS1_11target_archE1100ELNS1_3gpuE3ELNS1_3repE0EEENS1_30default_config_static_selectorELNS0_4arch9wavefront6targetE0EEEvT1_.kd
    .uniform_work_group_size: 1
    .uses_dynamic_stack: false
    .vgpr_count:     57
    .vgpr_spill_count: 0
    .wavefront_size: 32
    .workgroup_processor_mode: 1
  - .args:
      - .offset:         0
        .size:           136
        .value_kind:     by_value
    .group_segment_fixed_size: 0
    .kernarg_segment_align: 8
    .kernarg_segment_size: 136
    .language:       OpenCL C
    .language_version:
      - 2
      - 0
    .max_flat_workgroup_size: 512
    .name:           _ZN7rocprim17ROCPRIM_400000_NS6detail17trampoline_kernelINS0_14default_configENS1_25partition_config_selectorILNS1_17partition_subalgoE5ElNS0_10empty_typeEbEEZZNS1_14partition_implILS5_5ELb0ES3_mN6hipcub16HIPCUB_304000_NS21CountingInputIteratorIllEEPS6_NSA_22TransformInputIteratorIbN2at6native12_GLOBAL__N_19NonZeroOpIbEEPKblEENS0_5tupleIJPlS6_EEENSN_IJSD_SD_EEES6_PiJS6_EEE10hipError_tPvRmT3_T4_T5_T6_T7_T9_mT8_P12ihipStream_tbDpT10_ENKUlT_T0_E_clISt17integral_constantIbLb1EES1B_EEDaS16_S17_EUlS16_E_NS1_11comp_targetILNS1_3genE8ELNS1_11target_archE1030ELNS1_3gpuE2ELNS1_3repE0EEENS1_30default_config_static_selectorELNS0_4arch9wavefront6targetE0EEEvT1_
    .private_segment_fixed_size: 0
    .sgpr_count:     0
    .sgpr_spill_count: 0
    .symbol:         _ZN7rocprim17ROCPRIM_400000_NS6detail17trampoline_kernelINS0_14default_configENS1_25partition_config_selectorILNS1_17partition_subalgoE5ElNS0_10empty_typeEbEEZZNS1_14partition_implILS5_5ELb0ES3_mN6hipcub16HIPCUB_304000_NS21CountingInputIteratorIllEEPS6_NSA_22TransformInputIteratorIbN2at6native12_GLOBAL__N_19NonZeroOpIbEEPKblEENS0_5tupleIJPlS6_EEENSN_IJSD_SD_EEES6_PiJS6_EEE10hipError_tPvRmT3_T4_T5_T6_T7_T9_mT8_P12ihipStream_tbDpT10_ENKUlT_T0_E_clISt17integral_constantIbLb1EES1B_EEDaS16_S17_EUlS16_E_NS1_11comp_targetILNS1_3genE8ELNS1_11target_archE1030ELNS1_3gpuE2ELNS1_3repE0EEENS1_30default_config_static_selectorELNS0_4arch9wavefront6targetE0EEEvT1_.kd
    .uniform_work_group_size: 1
    .uses_dynamic_stack: false
    .vgpr_count:     0
    .vgpr_spill_count: 0
    .wavefront_size: 32
    .workgroup_processor_mode: 1
  - .args:
      - .offset:         0
        .size:           120
        .value_kind:     by_value
    .group_segment_fixed_size: 0
    .kernarg_segment_align: 8
    .kernarg_segment_size: 120
    .language:       OpenCL C
    .language_version:
      - 2
      - 0
    .max_flat_workgroup_size: 128
    .name:           _ZN7rocprim17ROCPRIM_400000_NS6detail17trampoline_kernelINS0_14default_configENS1_25partition_config_selectorILNS1_17partition_subalgoE5ElNS0_10empty_typeEbEEZZNS1_14partition_implILS5_5ELb0ES3_mN6hipcub16HIPCUB_304000_NS21CountingInputIteratorIllEEPS6_NSA_22TransformInputIteratorIbN2at6native12_GLOBAL__N_19NonZeroOpIbEEPKblEENS0_5tupleIJPlS6_EEENSN_IJSD_SD_EEES6_PiJS6_EEE10hipError_tPvRmT3_T4_T5_T6_T7_T9_mT8_P12ihipStream_tbDpT10_ENKUlT_T0_E_clISt17integral_constantIbLb1EES1A_IbLb0EEEEDaS16_S17_EUlS16_E_NS1_11comp_targetILNS1_3genE0ELNS1_11target_archE4294967295ELNS1_3gpuE0ELNS1_3repE0EEENS1_30default_config_static_selectorELNS0_4arch9wavefront6targetE0EEEvT1_
    .private_segment_fixed_size: 0
    .sgpr_count:     0
    .sgpr_spill_count: 0
    .symbol:         _ZN7rocprim17ROCPRIM_400000_NS6detail17trampoline_kernelINS0_14default_configENS1_25partition_config_selectorILNS1_17partition_subalgoE5ElNS0_10empty_typeEbEEZZNS1_14partition_implILS5_5ELb0ES3_mN6hipcub16HIPCUB_304000_NS21CountingInputIteratorIllEEPS6_NSA_22TransformInputIteratorIbN2at6native12_GLOBAL__N_19NonZeroOpIbEEPKblEENS0_5tupleIJPlS6_EEENSN_IJSD_SD_EEES6_PiJS6_EEE10hipError_tPvRmT3_T4_T5_T6_T7_T9_mT8_P12ihipStream_tbDpT10_ENKUlT_T0_E_clISt17integral_constantIbLb1EES1A_IbLb0EEEEDaS16_S17_EUlS16_E_NS1_11comp_targetILNS1_3genE0ELNS1_11target_archE4294967295ELNS1_3gpuE0ELNS1_3repE0EEENS1_30default_config_static_selectorELNS0_4arch9wavefront6targetE0EEEvT1_.kd
    .uniform_work_group_size: 1
    .uses_dynamic_stack: false
    .vgpr_count:     0
    .vgpr_spill_count: 0
    .wavefront_size: 32
    .workgroup_processor_mode: 1
  - .args:
      - .offset:         0
        .size:           120
        .value_kind:     by_value
    .group_segment_fixed_size: 0
    .kernarg_segment_align: 8
    .kernarg_segment_size: 120
    .language:       OpenCL C
    .language_version:
      - 2
      - 0
    .max_flat_workgroup_size: 512
    .name:           _ZN7rocprim17ROCPRIM_400000_NS6detail17trampoline_kernelINS0_14default_configENS1_25partition_config_selectorILNS1_17partition_subalgoE5ElNS0_10empty_typeEbEEZZNS1_14partition_implILS5_5ELb0ES3_mN6hipcub16HIPCUB_304000_NS21CountingInputIteratorIllEEPS6_NSA_22TransformInputIteratorIbN2at6native12_GLOBAL__N_19NonZeroOpIbEEPKblEENS0_5tupleIJPlS6_EEENSN_IJSD_SD_EEES6_PiJS6_EEE10hipError_tPvRmT3_T4_T5_T6_T7_T9_mT8_P12ihipStream_tbDpT10_ENKUlT_T0_E_clISt17integral_constantIbLb1EES1A_IbLb0EEEEDaS16_S17_EUlS16_E_NS1_11comp_targetILNS1_3genE5ELNS1_11target_archE942ELNS1_3gpuE9ELNS1_3repE0EEENS1_30default_config_static_selectorELNS0_4arch9wavefront6targetE0EEEvT1_
    .private_segment_fixed_size: 0
    .sgpr_count:     0
    .sgpr_spill_count: 0
    .symbol:         _ZN7rocprim17ROCPRIM_400000_NS6detail17trampoline_kernelINS0_14default_configENS1_25partition_config_selectorILNS1_17partition_subalgoE5ElNS0_10empty_typeEbEEZZNS1_14partition_implILS5_5ELb0ES3_mN6hipcub16HIPCUB_304000_NS21CountingInputIteratorIllEEPS6_NSA_22TransformInputIteratorIbN2at6native12_GLOBAL__N_19NonZeroOpIbEEPKblEENS0_5tupleIJPlS6_EEENSN_IJSD_SD_EEES6_PiJS6_EEE10hipError_tPvRmT3_T4_T5_T6_T7_T9_mT8_P12ihipStream_tbDpT10_ENKUlT_T0_E_clISt17integral_constantIbLb1EES1A_IbLb0EEEEDaS16_S17_EUlS16_E_NS1_11comp_targetILNS1_3genE5ELNS1_11target_archE942ELNS1_3gpuE9ELNS1_3repE0EEENS1_30default_config_static_selectorELNS0_4arch9wavefront6targetE0EEEvT1_.kd
    .uniform_work_group_size: 1
    .uses_dynamic_stack: false
    .vgpr_count:     0
    .vgpr_spill_count: 0
    .wavefront_size: 32
    .workgroup_processor_mode: 1
  - .args:
      - .offset:         0
        .size:           120
        .value_kind:     by_value
    .group_segment_fixed_size: 0
    .kernarg_segment_align: 8
    .kernarg_segment_size: 120
    .language:       OpenCL C
    .language_version:
      - 2
      - 0
    .max_flat_workgroup_size: 192
    .name:           _ZN7rocprim17ROCPRIM_400000_NS6detail17trampoline_kernelINS0_14default_configENS1_25partition_config_selectorILNS1_17partition_subalgoE5ElNS0_10empty_typeEbEEZZNS1_14partition_implILS5_5ELb0ES3_mN6hipcub16HIPCUB_304000_NS21CountingInputIteratorIllEEPS6_NSA_22TransformInputIteratorIbN2at6native12_GLOBAL__N_19NonZeroOpIbEEPKblEENS0_5tupleIJPlS6_EEENSN_IJSD_SD_EEES6_PiJS6_EEE10hipError_tPvRmT3_T4_T5_T6_T7_T9_mT8_P12ihipStream_tbDpT10_ENKUlT_T0_E_clISt17integral_constantIbLb1EES1A_IbLb0EEEEDaS16_S17_EUlS16_E_NS1_11comp_targetILNS1_3genE4ELNS1_11target_archE910ELNS1_3gpuE8ELNS1_3repE0EEENS1_30default_config_static_selectorELNS0_4arch9wavefront6targetE0EEEvT1_
    .private_segment_fixed_size: 0
    .sgpr_count:     0
    .sgpr_spill_count: 0
    .symbol:         _ZN7rocprim17ROCPRIM_400000_NS6detail17trampoline_kernelINS0_14default_configENS1_25partition_config_selectorILNS1_17partition_subalgoE5ElNS0_10empty_typeEbEEZZNS1_14partition_implILS5_5ELb0ES3_mN6hipcub16HIPCUB_304000_NS21CountingInputIteratorIllEEPS6_NSA_22TransformInputIteratorIbN2at6native12_GLOBAL__N_19NonZeroOpIbEEPKblEENS0_5tupleIJPlS6_EEENSN_IJSD_SD_EEES6_PiJS6_EEE10hipError_tPvRmT3_T4_T5_T6_T7_T9_mT8_P12ihipStream_tbDpT10_ENKUlT_T0_E_clISt17integral_constantIbLb1EES1A_IbLb0EEEEDaS16_S17_EUlS16_E_NS1_11comp_targetILNS1_3genE4ELNS1_11target_archE910ELNS1_3gpuE8ELNS1_3repE0EEENS1_30default_config_static_selectorELNS0_4arch9wavefront6targetE0EEEvT1_.kd
    .uniform_work_group_size: 1
    .uses_dynamic_stack: false
    .vgpr_count:     0
    .vgpr_spill_count: 0
    .wavefront_size: 32
    .workgroup_processor_mode: 1
  - .args:
      - .offset:         0
        .size:           120
        .value_kind:     by_value
    .group_segment_fixed_size: 0
    .kernarg_segment_align: 8
    .kernarg_segment_size: 120
    .language:       OpenCL C
    .language_version:
      - 2
      - 0
    .max_flat_workgroup_size: 128
    .name:           _ZN7rocprim17ROCPRIM_400000_NS6detail17trampoline_kernelINS0_14default_configENS1_25partition_config_selectorILNS1_17partition_subalgoE5ElNS0_10empty_typeEbEEZZNS1_14partition_implILS5_5ELb0ES3_mN6hipcub16HIPCUB_304000_NS21CountingInputIteratorIllEEPS6_NSA_22TransformInputIteratorIbN2at6native12_GLOBAL__N_19NonZeroOpIbEEPKblEENS0_5tupleIJPlS6_EEENSN_IJSD_SD_EEES6_PiJS6_EEE10hipError_tPvRmT3_T4_T5_T6_T7_T9_mT8_P12ihipStream_tbDpT10_ENKUlT_T0_E_clISt17integral_constantIbLb1EES1A_IbLb0EEEEDaS16_S17_EUlS16_E_NS1_11comp_targetILNS1_3genE3ELNS1_11target_archE908ELNS1_3gpuE7ELNS1_3repE0EEENS1_30default_config_static_selectorELNS0_4arch9wavefront6targetE0EEEvT1_
    .private_segment_fixed_size: 0
    .sgpr_count:     0
    .sgpr_spill_count: 0
    .symbol:         _ZN7rocprim17ROCPRIM_400000_NS6detail17trampoline_kernelINS0_14default_configENS1_25partition_config_selectorILNS1_17partition_subalgoE5ElNS0_10empty_typeEbEEZZNS1_14partition_implILS5_5ELb0ES3_mN6hipcub16HIPCUB_304000_NS21CountingInputIteratorIllEEPS6_NSA_22TransformInputIteratorIbN2at6native12_GLOBAL__N_19NonZeroOpIbEEPKblEENS0_5tupleIJPlS6_EEENSN_IJSD_SD_EEES6_PiJS6_EEE10hipError_tPvRmT3_T4_T5_T6_T7_T9_mT8_P12ihipStream_tbDpT10_ENKUlT_T0_E_clISt17integral_constantIbLb1EES1A_IbLb0EEEEDaS16_S17_EUlS16_E_NS1_11comp_targetILNS1_3genE3ELNS1_11target_archE908ELNS1_3gpuE7ELNS1_3repE0EEENS1_30default_config_static_selectorELNS0_4arch9wavefront6targetE0EEEvT1_.kd
    .uniform_work_group_size: 1
    .uses_dynamic_stack: false
    .vgpr_count:     0
    .vgpr_spill_count: 0
    .wavefront_size: 32
    .workgroup_processor_mode: 1
  - .args:
      - .offset:         0
        .size:           120
        .value_kind:     by_value
    .group_segment_fixed_size: 0
    .kernarg_segment_align: 8
    .kernarg_segment_size: 120
    .language:       OpenCL C
    .language_version:
      - 2
      - 0
    .max_flat_workgroup_size: 256
    .name:           _ZN7rocprim17ROCPRIM_400000_NS6detail17trampoline_kernelINS0_14default_configENS1_25partition_config_selectorILNS1_17partition_subalgoE5ElNS0_10empty_typeEbEEZZNS1_14partition_implILS5_5ELb0ES3_mN6hipcub16HIPCUB_304000_NS21CountingInputIteratorIllEEPS6_NSA_22TransformInputIteratorIbN2at6native12_GLOBAL__N_19NonZeroOpIbEEPKblEENS0_5tupleIJPlS6_EEENSN_IJSD_SD_EEES6_PiJS6_EEE10hipError_tPvRmT3_T4_T5_T6_T7_T9_mT8_P12ihipStream_tbDpT10_ENKUlT_T0_E_clISt17integral_constantIbLb1EES1A_IbLb0EEEEDaS16_S17_EUlS16_E_NS1_11comp_targetILNS1_3genE2ELNS1_11target_archE906ELNS1_3gpuE6ELNS1_3repE0EEENS1_30default_config_static_selectorELNS0_4arch9wavefront6targetE0EEEvT1_
    .private_segment_fixed_size: 0
    .sgpr_count:     0
    .sgpr_spill_count: 0
    .symbol:         _ZN7rocprim17ROCPRIM_400000_NS6detail17trampoline_kernelINS0_14default_configENS1_25partition_config_selectorILNS1_17partition_subalgoE5ElNS0_10empty_typeEbEEZZNS1_14partition_implILS5_5ELb0ES3_mN6hipcub16HIPCUB_304000_NS21CountingInputIteratorIllEEPS6_NSA_22TransformInputIteratorIbN2at6native12_GLOBAL__N_19NonZeroOpIbEEPKblEENS0_5tupleIJPlS6_EEENSN_IJSD_SD_EEES6_PiJS6_EEE10hipError_tPvRmT3_T4_T5_T6_T7_T9_mT8_P12ihipStream_tbDpT10_ENKUlT_T0_E_clISt17integral_constantIbLb1EES1A_IbLb0EEEEDaS16_S17_EUlS16_E_NS1_11comp_targetILNS1_3genE2ELNS1_11target_archE906ELNS1_3gpuE6ELNS1_3repE0EEENS1_30default_config_static_selectorELNS0_4arch9wavefront6targetE0EEEvT1_.kd
    .uniform_work_group_size: 1
    .uses_dynamic_stack: false
    .vgpr_count:     0
    .vgpr_spill_count: 0
    .wavefront_size: 32
    .workgroup_processor_mode: 1
  - .args:
      - .offset:         0
        .size:           120
        .value_kind:     by_value
    .group_segment_fixed_size: 0
    .kernarg_segment_align: 8
    .kernarg_segment_size: 120
    .language:       OpenCL C
    .language_version:
      - 2
      - 0
    .max_flat_workgroup_size: 256
    .name:           _ZN7rocprim17ROCPRIM_400000_NS6detail17trampoline_kernelINS0_14default_configENS1_25partition_config_selectorILNS1_17partition_subalgoE5ElNS0_10empty_typeEbEEZZNS1_14partition_implILS5_5ELb0ES3_mN6hipcub16HIPCUB_304000_NS21CountingInputIteratorIllEEPS6_NSA_22TransformInputIteratorIbN2at6native12_GLOBAL__N_19NonZeroOpIbEEPKblEENS0_5tupleIJPlS6_EEENSN_IJSD_SD_EEES6_PiJS6_EEE10hipError_tPvRmT3_T4_T5_T6_T7_T9_mT8_P12ihipStream_tbDpT10_ENKUlT_T0_E_clISt17integral_constantIbLb1EES1A_IbLb0EEEEDaS16_S17_EUlS16_E_NS1_11comp_targetILNS1_3genE10ELNS1_11target_archE1200ELNS1_3gpuE4ELNS1_3repE0EEENS1_30default_config_static_selectorELNS0_4arch9wavefront6targetE0EEEvT1_
    .private_segment_fixed_size: 0
    .sgpr_count:     0
    .sgpr_spill_count: 0
    .symbol:         _ZN7rocprim17ROCPRIM_400000_NS6detail17trampoline_kernelINS0_14default_configENS1_25partition_config_selectorILNS1_17partition_subalgoE5ElNS0_10empty_typeEbEEZZNS1_14partition_implILS5_5ELb0ES3_mN6hipcub16HIPCUB_304000_NS21CountingInputIteratorIllEEPS6_NSA_22TransformInputIteratorIbN2at6native12_GLOBAL__N_19NonZeroOpIbEEPKblEENS0_5tupleIJPlS6_EEENSN_IJSD_SD_EEES6_PiJS6_EEE10hipError_tPvRmT3_T4_T5_T6_T7_T9_mT8_P12ihipStream_tbDpT10_ENKUlT_T0_E_clISt17integral_constantIbLb1EES1A_IbLb0EEEEDaS16_S17_EUlS16_E_NS1_11comp_targetILNS1_3genE10ELNS1_11target_archE1200ELNS1_3gpuE4ELNS1_3repE0EEENS1_30default_config_static_selectorELNS0_4arch9wavefront6targetE0EEEvT1_.kd
    .uniform_work_group_size: 1
    .uses_dynamic_stack: false
    .vgpr_count:     0
    .vgpr_spill_count: 0
    .wavefront_size: 32
    .workgroup_processor_mode: 1
  - .args:
      - .offset:         0
        .size:           120
        .value_kind:     by_value
    .group_segment_fixed_size: 6160
    .kernarg_segment_align: 8
    .kernarg_segment_size: 120
    .language:       OpenCL C
    .language_version:
      - 2
      - 0
    .max_flat_workgroup_size: 128
    .name:           _ZN7rocprim17ROCPRIM_400000_NS6detail17trampoline_kernelINS0_14default_configENS1_25partition_config_selectorILNS1_17partition_subalgoE5ElNS0_10empty_typeEbEEZZNS1_14partition_implILS5_5ELb0ES3_mN6hipcub16HIPCUB_304000_NS21CountingInputIteratorIllEEPS6_NSA_22TransformInputIteratorIbN2at6native12_GLOBAL__N_19NonZeroOpIbEEPKblEENS0_5tupleIJPlS6_EEENSN_IJSD_SD_EEES6_PiJS6_EEE10hipError_tPvRmT3_T4_T5_T6_T7_T9_mT8_P12ihipStream_tbDpT10_ENKUlT_T0_E_clISt17integral_constantIbLb1EES1A_IbLb0EEEEDaS16_S17_EUlS16_E_NS1_11comp_targetILNS1_3genE9ELNS1_11target_archE1100ELNS1_3gpuE3ELNS1_3repE0EEENS1_30default_config_static_selectorELNS0_4arch9wavefront6targetE0EEEvT1_
    .private_segment_fixed_size: 0
    .sgpr_count:     22
    .sgpr_spill_count: 0
    .symbol:         _ZN7rocprim17ROCPRIM_400000_NS6detail17trampoline_kernelINS0_14default_configENS1_25partition_config_selectorILNS1_17partition_subalgoE5ElNS0_10empty_typeEbEEZZNS1_14partition_implILS5_5ELb0ES3_mN6hipcub16HIPCUB_304000_NS21CountingInputIteratorIllEEPS6_NSA_22TransformInputIteratorIbN2at6native12_GLOBAL__N_19NonZeroOpIbEEPKblEENS0_5tupleIJPlS6_EEENSN_IJSD_SD_EEES6_PiJS6_EEE10hipError_tPvRmT3_T4_T5_T6_T7_T9_mT8_P12ihipStream_tbDpT10_ENKUlT_T0_E_clISt17integral_constantIbLb1EES1A_IbLb0EEEEDaS16_S17_EUlS16_E_NS1_11comp_targetILNS1_3genE9ELNS1_11target_archE1100ELNS1_3gpuE3ELNS1_3repE0EEENS1_30default_config_static_selectorELNS0_4arch9wavefront6targetE0EEEvT1_.kd
    .uniform_work_group_size: 1
    .uses_dynamic_stack: false
    .vgpr_count:     57
    .vgpr_spill_count: 0
    .wavefront_size: 32
    .workgroup_processor_mode: 1
  - .args:
      - .offset:         0
        .size:           120
        .value_kind:     by_value
    .group_segment_fixed_size: 0
    .kernarg_segment_align: 8
    .kernarg_segment_size: 120
    .language:       OpenCL C
    .language_version:
      - 2
      - 0
    .max_flat_workgroup_size: 512
    .name:           _ZN7rocprim17ROCPRIM_400000_NS6detail17trampoline_kernelINS0_14default_configENS1_25partition_config_selectorILNS1_17partition_subalgoE5ElNS0_10empty_typeEbEEZZNS1_14partition_implILS5_5ELb0ES3_mN6hipcub16HIPCUB_304000_NS21CountingInputIteratorIllEEPS6_NSA_22TransformInputIteratorIbN2at6native12_GLOBAL__N_19NonZeroOpIbEEPKblEENS0_5tupleIJPlS6_EEENSN_IJSD_SD_EEES6_PiJS6_EEE10hipError_tPvRmT3_T4_T5_T6_T7_T9_mT8_P12ihipStream_tbDpT10_ENKUlT_T0_E_clISt17integral_constantIbLb1EES1A_IbLb0EEEEDaS16_S17_EUlS16_E_NS1_11comp_targetILNS1_3genE8ELNS1_11target_archE1030ELNS1_3gpuE2ELNS1_3repE0EEENS1_30default_config_static_selectorELNS0_4arch9wavefront6targetE0EEEvT1_
    .private_segment_fixed_size: 0
    .sgpr_count:     0
    .sgpr_spill_count: 0
    .symbol:         _ZN7rocprim17ROCPRIM_400000_NS6detail17trampoline_kernelINS0_14default_configENS1_25partition_config_selectorILNS1_17partition_subalgoE5ElNS0_10empty_typeEbEEZZNS1_14partition_implILS5_5ELb0ES3_mN6hipcub16HIPCUB_304000_NS21CountingInputIteratorIllEEPS6_NSA_22TransformInputIteratorIbN2at6native12_GLOBAL__N_19NonZeroOpIbEEPKblEENS0_5tupleIJPlS6_EEENSN_IJSD_SD_EEES6_PiJS6_EEE10hipError_tPvRmT3_T4_T5_T6_T7_T9_mT8_P12ihipStream_tbDpT10_ENKUlT_T0_E_clISt17integral_constantIbLb1EES1A_IbLb0EEEEDaS16_S17_EUlS16_E_NS1_11comp_targetILNS1_3genE8ELNS1_11target_archE1030ELNS1_3gpuE2ELNS1_3repE0EEENS1_30default_config_static_selectorELNS0_4arch9wavefront6targetE0EEEvT1_.kd
    .uniform_work_group_size: 1
    .uses_dynamic_stack: false
    .vgpr_count:     0
    .vgpr_spill_count: 0
    .wavefront_size: 32
    .workgroup_processor_mode: 1
  - .args:
      - .offset:         0
        .size:           136
        .value_kind:     by_value
    .group_segment_fixed_size: 0
    .kernarg_segment_align: 8
    .kernarg_segment_size: 136
    .language:       OpenCL C
    .language_version:
      - 2
      - 0
    .max_flat_workgroup_size: 128
    .name:           _ZN7rocprim17ROCPRIM_400000_NS6detail17trampoline_kernelINS0_14default_configENS1_25partition_config_selectorILNS1_17partition_subalgoE5ElNS0_10empty_typeEbEEZZNS1_14partition_implILS5_5ELb0ES3_mN6hipcub16HIPCUB_304000_NS21CountingInputIteratorIllEEPS6_NSA_22TransformInputIteratorIbN2at6native12_GLOBAL__N_19NonZeroOpIbEEPKblEENS0_5tupleIJPlS6_EEENSN_IJSD_SD_EEES6_PiJS6_EEE10hipError_tPvRmT3_T4_T5_T6_T7_T9_mT8_P12ihipStream_tbDpT10_ENKUlT_T0_E_clISt17integral_constantIbLb0EES1A_IbLb1EEEEDaS16_S17_EUlS16_E_NS1_11comp_targetILNS1_3genE0ELNS1_11target_archE4294967295ELNS1_3gpuE0ELNS1_3repE0EEENS1_30default_config_static_selectorELNS0_4arch9wavefront6targetE0EEEvT1_
    .private_segment_fixed_size: 0
    .sgpr_count:     0
    .sgpr_spill_count: 0
    .symbol:         _ZN7rocprim17ROCPRIM_400000_NS6detail17trampoline_kernelINS0_14default_configENS1_25partition_config_selectorILNS1_17partition_subalgoE5ElNS0_10empty_typeEbEEZZNS1_14partition_implILS5_5ELb0ES3_mN6hipcub16HIPCUB_304000_NS21CountingInputIteratorIllEEPS6_NSA_22TransformInputIteratorIbN2at6native12_GLOBAL__N_19NonZeroOpIbEEPKblEENS0_5tupleIJPlS6_EEENSN_IJSD_SD_EEES6_PiJS6_EEE10hipError_tPvRmT3_T4_T5_T6_T7_T9_mT8_P12ihipStream_tbDpT10_ENKUlT_T0_E_clISt17integral_constantIbLb0EES1A_IbLb1EEEEDaS16_S17_EUlS16_E_NS1_11comp_targetILNS1_3genE0ELNS1_11target_archE4294967295ELNS1_3gpuE0ELNS1_3repE0EEENS1_30default_config_static_selectorELNS0_4arch9wavefront6targetE0EEEvT1_.kd
    .uniform_work_group_size: 1
    .uses_dynamic_stack: false
    .vgpr_count:     0
    .vgpr_spill_count: 0
    .wavefront_size: 32
    .workgroup_processor_mode: 1
  - .args:
      - .offset:         0
        .size:           136
        .value_kind:     by_value
    .group_segment_fixed_size: 0
    .kernarg_segment_align: 8
    .kernarg_segment_size: 136
    .language:       OpenCL C
    .language_version:
      - 2
      - 0
    .max_flat_workgroup_size: 512
    .name:           _ZN7rocprim17ROCPRIM_400000_NS6detail17trampoline_kernelINS0_14default_configENS1_25partition_config_selectorILNS1_17partition_subalgoE5ElNS0_10empty_typeEbEEZZNS1_14partition_implILS5_5ELb0ES3_mN6hipcub16HIPCUB_304000_NS21CountingInputIteratorIllEEPS6_NSA_22TransformInputIteratorIbN2at6native12_GLOBAL__N_19NonZeroOpIbEEPKblEENS0_5tupleIJPlS6_EEENSN_IJSD_SD_EEES6_PiJS6_EEE10hipError_tPvRmT3_T4_T5_T6_T7_T9_mT8_P12ihipStream_tbDpT10_ENKUlT_T0_E_clISt17integral_constantIbLb0EES1A_IbLb1EEEEDaS16_S17_EUlS16_E_NS1_11comp_targetILNS1_3genE5ELNS1_11target_archE942ELNS1_3gpuE9ELNS1_3repE0EEENS1_30default_config_static_selectorELNS0_4arch9wavefront6targetE0EEEvT1_
    .private_segment_fixed_size: 0
    .sgpr_count:     0
    .sgpr_spill_count: 0
    .symbol:         _ZN7rocprim17ROCPRIM_400000_NS6detail17trampoline_kernelINS0_14default_configENS1_25partition_config_selectorILNS1_17partition_subalgoE5ElNS0_10empty_typeEbEEZZNS1_14partition_implILS5_5ELb0ES3_mN6hipcub16HIPCUB_304000_NS21CountingInputIteratorIllEEPS6_NSA_22TransformInputIteratorIbN2at6native12_GLOBAL__N_19NonZeroOpIbEEPKblEENS0_5tupleIJPlS6_EEENSN_IJSD_SD_EEES6_PiJS6_EEE10hipError_tPvRmT3_T4_T5_T6_T7_T9_mT8_P12ihipStream_tbDpT10_ENKUlT_T0_E_clISt17integral_constantIbLb0EES1A_IbLb1EEEEDaS16_S17_EUlS16_E_NS1_11comp_targetILNS1_3genE5ELNS1_11target_archE942ELNS1_3gpuE9ELNS1_3repE0EEENS1_30default_config_static_selectorELNS0_4arch9wavefront6targetE0EEEvT1_.kd
    .uniform_work_group_size: 1
    .uses_dynamic_stack: false
    .vgpr_count:     0
    .vgpr_spill_count: 0
    .wavefront_size: 32
    .workgroup_processor_mode: 1
  - .args:
      - .offset:         0
        .size:           136
        .value_kind:     by_value
    .group_segment_fixed_size: 0
    .kernarg_segment_align: 8
    .kernarg_segment_size: 136
    .language:       OpenCL C
    .language_version:
      - 2
      - 0
    .max_flat_workgroup_size: 192
    .name:           _ZN7rocprim17ROCPRIM_400000_NS6detail17trampoline_kernelINS0_14default_configENS1_25partition_config_selectorILNS1_17partition_subalgoE5ElNS0_10empty_typeEbEEZZNS1_14partition_implILS5_5ELb0ES3_mN6hipcub16HIPCUB_304000_NS21CountingInputIteratorIllEEPS6_NSA_22TransformInputIteratorIbN2at6native12_GLOBAL__N_19NonZeroOpIbEEPKblEENS0_5tupleIJPlS6_EEENSN_IJSD_SD_EEES6_PiJS6_EEE10hipError_tPvRmT3_T4_T5_T6_T7_T9_mT8_P12ihipStream_tbDpT10_ENKUlT_T0_E_clISt17integral_constantIbLb0EES1A_IbLb1EEEEDaS16_S17_EUlS16_E_NS1_11comp_targetILNS1_3genE4ELNS1_11target_archE910ELNS1_3gpuE8ELNS1_3repE0EEENS1_30default_config_static_selectorELNS0_4arch9wavefront6targetE0EEEvT1_
    .private_segment_fixed_size: 0
    .sgpr_count:     0
    .sgpr_spill_count: 0
    .symbol:         _ZN7rocprim17ROCPRIM_400000_NS6detail17trampoline_kernelINS0_14default_configENS1_25partition_config_selectorILNS1_17partition_subalgoE5ElNS0_10empty_typeEbEEZZNS1_14partition_implILS5_5ELb0ES3_mN6hipcub16HIPCUB_304000_NS21CountingInputIteratorIllEEPS6_NSA_22TransformInputIteratorIbN2at6native12_GLOBAL__N_19NonZeroOpIbEEPKblEENS0_5tupleIJPlS6_EEENSN_IJSD_SD_EEES6_PiJS6_EEE10hipError_tPvRmT3_T4_T5_T6_T7_T9_mT8_P12ihipStream_tbDpT10_ENKUlT_T0_E_clISt17integral_constantIbLb0EES1A_IbLb1EEEEDaS16_S17_EUlS16_E_NS1_11comp_targetILNS1_3genE4ELNS1_11target_archE910ELNS1_3gpuE8ELNS1_3repE0EEENS1_30default_config_static_selectorELNS0_4arch9wavefront6targetE0EEEvT1_.kd
    .uniform_work_group_size: 1
    .uses_dynamic_stack: false
    .vgpr_count:     0
    .vgpr_spill_count: 0
    .wavefront_size: 32
    .workgroup_processor_mode: 1
  - .args:
      - .offset:         0
        .size:           136
        .value_kind:     by_value
    .group_segment_fixed_size: 0
    .kernarg_segment_align: 8
    .kernarg_segment_size: 136
    .language:       OpenCL C
    .language_version:
      - 2
      - 0
    .max_flat_workgroup_size: 128
    .name:           _ZN7rocprim17ROCPRIM_400000_NS6detail17trampoline_kernelINS0_14default_configENS1_25partition_config_selectorILNS1_17partition_subalgoE5ElNS0_10empty_typeEbEEZZNS1_14partition_implILS5_5ELb0ES3_mN6hipcub16HIPCUB_304000_NS21CountingInputIteratorIllEEPS6_NSA_22TransformInputIteratorIbN2at6native12_GLOBAL__N_19NonZeroOpIbEEPKblEENS0_5tupleIJPlS6_EEENSN_IJSD_SD_EEES6_PiJS6_EEE10hipError_tPvRmT3_T4_T5_T6_T7_T9_mT8_P12ihipStream_tbDpT10_ENKUlT_T0_E_clISt17integral_constantIbLb0EES1A_IbLb1EEEEDaS16_S17_EUlS16_E_NS1_11comp_targetILNS1_3genE3ELNS1_11target_archE908ELNS1_3gpuE7ELNS1_3repE0EEENS1_30default_config_static_selectorELNS0_4arch9wavefront6targetE0EEEvT1_
    .private_segment_fixed_size: 0
    .sgpr_count:     0
    .sgpr_spill_count: 0
    .symbol:         _ZN7rocprim17ROCPRIM_400000_NS6detail17trampoline_kernelINS0_14default_configENS1_25partition_config_selectorILNS1_17partition_subalgoE5ElNS0_10empty_typeEbEEZZNS1_14partition_implILS5_5ELb0ES3_mN6hipcub16HIPCUB_304000_NS21CountingInputIteratorIllEEPS6_NSA_22TransformInputIteratorIbN2at6native12_GLOBAL__N_19NonZeroOpIbEEPKblEENS0_5tupleIJPlS6_EEENSN_IJSD_SD_EEES6_PiJS6_EEE10hipError_tPvRmT3_T4_T5_T6_T7_T9_mT8_P12ihipStream_tbDpT10_ENKUlT_T0_E_clISt17integral_constantIbLb0EES1A_IbLb1EEEEDaS16_S17_EUlS16_E_NS1_11comp_targetILNS1_3genE3ELNS1_11target_archE908ELNS1_3gpuE7ELNS1_3repE0EEENS1_30default_config_static_selectorELNS0_4arch9wavefront6targetE0EEEvT1_.kd
    .uniform_work_group_size: 1
    .uses_dynamic_stack: false
    .vgpr_count:     0
    .vgpr_spill_count: 0
    .wavefront_size: 32
    .workgroup_processor_mode: 1
  - .args:
      - .offset:         0
        .size:           136
        .value_kind:     by_value
    .group_segment_fixed_size: 0
    .kernarg_segment_align: 8
    .kernarg_segment_size: 136
    .language:       OpenCL C
    .language_version:
      - 2
      - 0
    .max_flat_workgroup_size: 256
    .name:           _ZN7rocprim17ROCPRIM_400000_NS6detail17trampoline_kernelINS0_14default_configENS1_25partition_config_selectorILNS1_17partition_subalgoE5ElNS0_10empty_typeEbEEZZNS1_14partition_implILS5_5ELb0ES3_mN6hipcub16HIPCUB_304000_NS21CountingInputIteratorIllEEPS6_NSA_22TransformInputIteratorIbN2at6native12_GLOBAL__N_19NonZeroOpIbEEPKblEENS0_5tupleIJPlS6_EEENSN_IJSD_SD_EEES6_PiJS6_EEE10hipError_tPvRmT3_T4_T5_T6_T7_T9_mT8_P12ihipStream_tbDpT10_ENKUlT_T0_E_clISt17integral_constantIbLb0EES1A_IbLb1EEEEDaS16_S17_EUlS16_E_NS1_11comp_targetILNS1_3genE2ELNS1_11target_archE906ELNS1_3gpuE6ELNS1_3repE0EEENS1_30default_config_static_selectorELNS0_4arch9wavefront6targetE0EEEvT1_
    .private_segment_fixed_size: 0
    .sgpr_count:     0
    .sgpr_spill_count: 0
    .symbol:         _ZN7rocprim17ROCPRIM_400000_NS6detail17trampoline_kernelINS0_14default_configENS1_25partition_config_selectorILNS1_17partition_subalgoE5ElNS0_10empty_typeEbEEZZNS1_14partition_implILS5_5ELb0ES3_mN6hipcub16HIPCUB_304000_NS21CountingInputIteratorIllEEPS6_NSA_22TransformInputIteratorIbN2at6native12_GLOBAL__N_19NonZeroOpIbEEPKblEENS0_5tupleIJPlS6_EEENSN_IJSD_SD_EEES6_PiJS6_EEE10hipError_tPvRmT3_T4_T5_T6_T7_T9_mT8_P12ihipStream_tbDpT10_ENKUlT_T0_E_clISt17integral_constantIbLb0EES1A_IbLb1EEEEDaS16_S17_EUlS16_E_NS1_11comp_targetILNS1_3genE2ELNS1_11target_archE906ELNS1_3gpuE6ELNS1_3repE0EEENS1_30default_config_static_selectorELNS0_4arch9wavefront6targetE0EEEvT1_.kd
    .uniform_work_group_size: 1
    .uses_dynamic_stack: false
    .vgpr_count:     0
    .vgpr_spill_count: 0
    .wavefront_size: 32
    .workgroup_processor_mode: 1
  - .args:
      - .offset:         0
        .size:           136
        .value_kind:     by_value
    .group_segment_fixed_size: 0
    .kernarg_segment_align: 8
    .kernarg_segment_size: 136
    .language:       OpenCL C
    .language_version:
      - 2
      - 0
    .max_flat_workgroup_size: 256
    .name:           _ZN7rocprim17ROCPRIM_400000_NS6detail17trampoline_kernelINS0_14default_configENS1_25partition_config_selectorILNS1_17partition_subalgoE5ElNS0_10empty_typeEbEEZZNS1_14partition_implILS5_5ELb0ES3_mN6hipcub16HIPCUB_304000_NS21CountingInputIteratorIllEEPS6_NSA_22TransformInputIteratorIbN2at6native12_GLOBAL__N_19NonZeroOpIbEEPKblEENS0_5tupleIJPlS6_EEENSN_IJSD_SD_EEES6_PiJS6_EEE10hipError_tPvRmT3_T4_T5_T6_T7_T9_mT8_P12ihipStream_tbDpT10_ENKUlT_T0_E_clISt17integral_constantIbLb0EES1A_IbLb1EEEEDaS16_S17_EUlS16_E_NS1_11comp_targetILNS1_3genE10ELNS1_11target_archE1200ELNS1_3gpuE4ELNS1_3repE0EEENS1_30default_config_static_selectorELNS0_4arch9wavefront6targetE0EEEvT1_
    .private_segment_fixed_size: 0
    .sgpr_count:     0
    .sgpr_spill_count: 0
    .symbol:         _ZN7rocprim17ROCPRIM_400000_NS6detail17trampoline_kernelINS0_14default_configENS1_25partition_config_selectorILNS1_17partition_subalgoE5ElNS0_10empty_typeEbEEZZNS1_14partition_implILS5_5ELb0ES3_mN6hipcub16HIPCUB_304000_NS21CountingInputIteratorIllEEPS6_NSA_22TransformInputIteratorIbN2at6native12_GLOBAL__N_19NonZeroOpIbEEPKblEENS0_5tupleIJPlS6_EEENSN_IJSD_SD_EEES6_PiJS6_EEE10hipError_tPvRmT3_T4_T5_T6_T7_T9_mT8_P12ihipStream_tbDpT10_ENKUlT_T0_E_clISt17integral_constantIbLb0EES1A_IbLb1EEEEDaS16_S17_EUlS16_E_NS1_11comp_targetILNS1_3genE10ELNS1_11target_archE1200ELNS1_3gpuE4ELNS1_3repE0EEENS1_30default_config_static_selectorELNS0_4arch9wavefront6targetE0EEEvT1_.kd
    .uniform_work_group_size: 1
    .uses_dynamic_stack: false
    .vgpr_count:     0
    .vgpr_spill_count: 0
    .wavefront_size: 32
    .workgroup_processor_mode: 1
  - .args:
      - .offset:         0
        .size:           136
        .value_kind:     by_value
    .group_segment_fixed_size: 6160
    .kernarg_segment_align: 8
    .kernarg_segment_size: 136
    .language:       OpenCL C
    .language_version:
      - 2
      - 0
    .max_flat_workgroup_size: 128
    .name:           _ZN7rocprim17ROCPRIM_400000_NS6detail17trampoline_kernelINS0_14default_configENS1_25partition_config_selectorILNS1_17partition_subalgoE5ElNS0_10empty_typeEbEEZZNS1_14partition_implILS5_5ELb0ES3_mN6hipcub16HIPCUB_304000_NS21CountingInputIteratorIllEEPS6_NSA_22TransformInputIteratorIbN2at6native12_GLOBAL__N_19NonZeroOpIbEEPKblEENS0_5tupleIJPlS6_EEENSN_IJSD_SD_EEES6_PiJS6_EEE10hipError_tPvRmT3_T4_T5_T6_T7_T9_mT8_P12ihipStream_tbDpT10_ENKUlT_T0_E_clISt17integral_constantIbLb0EES1A_IbLb1EEEEDaS16_S17_EUlS16_E_NS1_11comp_targetILNS1_3genE9ELNS1_11target_archE1100ELNS1_3gpuE3ELNS1_3repE0EEENS1_30default_config_static_selectorELNS0_4arch9wavefront6targetE0EEEvT1_
    .private_segment_fixed_size: 0
    .sgpr_count:     25
    .sgpr_spill_count: 0
    .symbol:         _ZN7rocprim17ROCPRIM_400000_NS6detail17trampoline_kernelINS0_14default_configENS1_25partition_config_selectorILNS1_17partition_subalgoE5ElNS0_10empty_typeEbEEZZNS1_14partition_implILS5_5ELb0ES3_mN6hipcub16HIPCUB_304000_NS21CountingInputIteratorIllEEPS6_NSA_22TransformInputIteratorIbN2at6native12_GLOBAL__N_19NonZeroOpIbEEPKblEENS0_5tupleIJPlS6_EEENSN_IJSD_SD_EEES6_PiJS6_EEE10hipError_tPvRmT3_T4_T5_T6_T7_T9_mT8_P12ihipStream_tbDpT10_ENKUlT_T0_E_clISt17integral_constantIbLb0EES1A_IbLb1EEEEDaS16_S17_EUlS16_E_NS1_11comp_targetILNS1_3genE9ELNS1_11target_archE1100ELNS1_3gpuE3ELNS1_3repE0EEENS1_30default_config_static_selectorELNS0_4arch9wavefront6targetE0EEEvT1_.kd
    .uniform_work_group_size: 1
    .uses_dynamic_stack: false
    .vgpr_count:     57
    .vgpr_spill_count: 0
    .wavefront_size: 32
    .workgroup_processor_mode: 1
  - .args:
      - .offset:         0
        .size:           136
        .value_kind:     by_value
    .group_segment_fixed_size: 0
    .kernarg_segment_align: 8
    .kernarg_segment_size: 136
    .language:       OpenCL C
    .language_version:
      - 2
      - 0
    .max_flat_workgroup_size: 512
    .name:           _ZN7rocprim17ROCPRIM_400000_NS6detail17trampoline_kernelINS0_14default_configENS1_25partition_config_selectorILNS1_17partition_subalgoE5ElNS0_10empty_typeEbEEZZNS1_14partition_implILS5_5ELb0ES3_mN6hipcub16HIPCUB_304000_NS21CountingInputIteratorIllEEPS6_NSA_22TransformInputIteratorIbN2at6native12_GLOBAL__N_19NonZeroOpIbEEPKblEENS0_5tupleIJPlS6_EEENSN_IJSD_SD_EEES6_PiJS6_EEE10hipError_tPvRmT3_T4_T5_T6_T7_T9_mT8_P12ihipStream_tbDpT10_ENKUlT_T0_E_clISt17integral_constantIbLb0EES1A_IbLb1EEEEDaS16_S17_EUlS16_E_NS1_11comp_targetILNS1_3genE8ELNS1_11target_archE1030ELNS1_3gpuE2ELNS1_3repE0EEENS1_30default_config_static_selectorELNS0_4arch9wavefront6targetE0EEEvT1_
    .private_segment_fixed_size: 0
    .sgpr_count:     0
    .sgpr_spill_count: 0
    .symbol:         _ZN7rocprim17ROCPRIM_400000_NS6detail17trampoline_kernelINS0_14default_configENS1_25partition_config_selectorILNS1_17partition_subalgoE5ElNS0_10empty_typeEbEEZZNS1_14partition_implILS5_5ELb0ES3_mN6hipcub16HIPCUB_304000_NS21CountingInputIteratorIllEEPS6_NSA_22TransformInputIteratorIbN2at6native12_GLOBAL__N_19NonZeroOpIbEEPKblEENS0_5tupleIJPlS6_EEENSN_IJSD_SD_EEES6_PiJS6_EEE10hipError_tPvRmT3_T4_T5_T6_T7_T9_mT8_P12ihipStream_tbDpT10_ENKUlT_T0_E_clISt17integral_constantIbLb0EES1A_IbLb1EEEEDaS16_S17_EUlS16_E_NS1_11comp_targetILNS1_3genE8ELNS1_11target_archE1030ELNS1_3gpuE2ELNS1_3repE0EEENS1_30default_config_static_selectorELNS0_4arch9wavefront6targetE0EEEvT1_.kd
    .uniform_work_group_size: 1
    .uses_dynamic_stack: false
    .vgpr_count:     0
    .vgpr_spill_count: 0
    .wavefront_size: 32
    .workgroup_processor_mode: 1
  - .args:
      - .offset:         0
        .size:           56
        .value_kind:     by_value
    .group_segment_fixed_size: 0
    .kernarg_segment_align: 8
    .kernarg_segment_size: 56
    .language:       OpenCL C
    .language_version:
      - 2
      - 0
    .max_flat_workgroup_size: 256
    .name:           _ZN7rocprim17ROCPRIM_400000_NS6detail17trampoline_kernelINS0_14default_configENS1_22reduce_config_selectorIiEEZNS1_11reduce_implILb1ES3_PiS7_iN6hipcub16HIPCUB_304000_NS6detail34convert_binary_result_type_wrapperINS9_3SumENS9_22TransformInputIteratorIbN2at6native12_GLOBAL__N_19NonZeroOpIN3c108BFloat16EEEPKSJ_lEEiEEEE10hipError_tPvRmT1_T2_T3_mT4_P12ihipStream_tbEUlT_E0_NS1_11comp_targetILNS1_3genE0ELNS1_11target_archE4294967295ELNS1_3gpuE0ELNS1_3repE0EEENS1_30default_config_static_selectorELNS0_4arch9wavefront6targetE0EEEvSS_
    .private_segment_fixed_size: 0
    .sgpr_count:     0
    .sgpr_spill_count: 0
    .symbol:         _ZN7rocprim17ROCPRIM_400000_NS6detail17trampoline_kernelINS0_14default_configENS1_22reduce_config_selectorIiEEZNS1_11reduce_implILb1ES3_PiS7_iN6hipcub16HIPCUB_304000_NS6detail34convert_binary_result_type_wrapperINS9_3SumENS9_22TransformInputIteratorIbN2at6native12_GLOBAL__N_19NonZeroOpIN3c108BFloat16EEEPKSJ_lEEiEEEE10hipError_tPvRmT1_T2_T3_mT4_P12ihipStream_tbEUlT_E0_NS1_11comp_targetILNS1_3genE0ELNS1_11target_archE4294967295ELNS1_3gpuE0ELNS1_3repE0EEENS1_30default_config_static_selectorELNS0_4arch9wavefront6targetE0EEEvSS_.kd
    .uniform_work_group_size: 1
    .uses_dynamic_stack: false
    .vgpr_count:     0
    .vgpr_spill_count: 0
    .wavefront_size: 32
    .workgroup_processor_mode: 1
  - .args:
      - .offset:         0
        .size:           56
        .value_kind:     by_value
    .group_segment_fixed_size: 0
    .kernarg_segment_align: 8
    .kernarg_segment_size: 56
    .language:       OpenCL C
    .language_version:
      - 2
      - 0
    .max_flat_workgroup_size: 256
    .name:           _ZN7rocprim17ROCPRIM_400000_NS6detail17trampoline_kernelINS0_14default_configENS1_22reduce_config_selectorIiEEZNS1_11reduce_implILb1ES3_PiS7_iN6hipcub16HIPCUB_304000_NS6detail34convert_binary_result_type_wrapperINS9_3SumENS9_22TransformInputIteratorIbN2at6native12_GLOBAL__N_19NonZeroOpIN3c108BFloat16EEEPKSJ_lEEiEEEE10hipError_tPvRmT1_T2_T3_mT4_P12ihipStream_tbEUlT_E0_NS1_11comp_targetILNS1_3genE5ELNS1_11target_archE942ELNS1_3gpuE9ELNS1_3repE0EEENS1_30default_config_static_selectorELNS0_4arch9wavefront6targetE0EEEvSS_
    .private_segment_fixed_size: 0
    .sgpr_count:     0
    .sgpr_spill_count: 0
    .symbol:         _ZN7rocprim17ROCPRIM_400000_NS6detail17trampoline_kernelINS0_14default_configENS1_22reduce_config_selectorIiEEZNS1_11reduce_implILb1ES3_PiS7_iN6hipcub16HIPCUB_304000_NS6detail34convert_binary_result_type_wrapperINS9_3SumENS9_22TransformInputIteratorIbN2at6native12_GLOBAL__N_19NonZeroOpIN3c108BFloat16EEEPKSJ_lEEiEEEE10hipError_tPvRmT1_T2_T3_mT4_P12ihipStream_tbEUlT_E0_NS1_11comp_targetILNS1_3genE5ELNS1_11target_archE942ELNS1_3gpuE9ELNS1_3repE0EEENS1_30default_config_static_selectorELNS0_4arch9wavefront6targetE0EEEvSS_.kd
    .uniform_work_group_size: 1
    .uses_dynamic_stack: false
    .vgpr_count:     0
    .vgpr_spill_count: 0
    .wavefront_size: 32
    .workgroup_processor_mode: 1
  - .args:
      - .offset:         0
        .size:           56
        .value_kind:     by_value
    .group_segment_fixed_size: 0
    .kernarg_segment_align: 8
    .kernarg_segment_size: 56
    .language:       OpenCL C
    .language_version:
      - 2
      - 0
    .max_flat_workgroup_size: 128
    .name:           _ZN7rocprim17ROCPRIM_400000_NS6detail17trampoline_kernelINS0_14default_configENS1_22reduce_config_selectorIiEEZNS1_11reduce_implILb1ES3_PiS7_iN6hipcub16HIPCUB_304000_NS6detail34convert_binary_result_type_wrapperINS9_3SumENS9_22TransformInputIteratorIbN2at6native12_GLOBAL__N_19NonZeroOpIN3c108BFloat16EEEPKSJ_lEEiEEEE10hipError_tPvRmT1_T2_T3_mT4_P12ihipStream_tbEUlT_E0_NS1_11comp_targetILNS1_3genE4ELNS1_11target_archE910ELNS1_3gpuE8ELNS1_3repE0EEENS1_30default_config_static_selectorELNS0_4arch9wavefront6targetE0EEEvSS_
    .private_segment_fixed_size: 0
    .sgpr_count:     0
    .sgpr_spill_count: 0
    .symbol:         _ZN7rocprim17ROCPRIM_400000_NS6detail17trampoline_kernelINS0_14default_configENS1_22reduce_config_selectorIiEEZNS1_11reduce_implILb1ES3_PiS7_iN6hipcub16HIPCUB_304000_NS6detail34convert_binary_result_type_wrapperINS9_3SumENS9_22TransformInputIteratorIbN2at6native12_GLOBAL__N_19NonZeroOpIN3c108BFloat16EEEPKSJ_lEEiEEEE10hipError_tPvRmT1_T2_T3_mT4_P12ihipStream_tbEUlT_E0_NS1_11comp_targetILNS1_3genE4ELNS1_11target_archE910ELNS1_3gpuE8ELNS1_3repE0EEENS1_30default_config_static_selectorELNS0_4arch9wavefront6targetE0EEEvSS_.kd
    .uniform_work_group_size: 1
    .uses_dynamic_stack: false
    .vgpr_count:     0
    .vgpr_spill_count: 0
    .wavefront_size: 32
    .workgroup_processor_mode: 1
  - .args:
      - .offset:         0
        .size:           56
        .value_kind:     by_value
    .group_segment_fixed_size: 0
    .kernarg_segment_align: 8
    .kernarg_segment_size: 56
    .language:       OpenCL C
    .language_version:
      - 2
      - 0
    .max_flat_workgroup_size: 256
    .name:           _ZN7rocprim17ROCPRIM_400000_NS6detail17trampoline_kernelINS0_14default_configENS1_22reduce_config_selectorIiEEZNS1_11reduce_implILb1ES3_PiS7_iN6hipcub16HIPCUB_304000_NS6detail34convert_binary_result_type_wrapperINS9_3SumENS9_22TransformInputIteratorIbN2at6native12_GLOBAL__N_19NonZeroOpIN3c108BFloat16EEEPKSJ_lEEiEEEE10hipError_tPvRmT1_T2_T3_mT4_P12ihipStream_tbEUlT_E0_NS1_11comp_targetILNS1_3genE3ELNS1_11target_archE908ELNS1_3gpuE7ELNS1_3repE0EEENS1_30default_config_static_selectorELNS0_4arch9wavefront6targetE0EEEvSS_
    .private_segment_fixed_size: 0
    .sgpr_count:     0
    .sgpr_spill_count: 0
    .symbol:         _ZN7rocprim17ROCPRIM_400000_NS6detail17trampoline_kernelINS0_14default_configENS1_22reduce_config_selectorIiEEZNS1_11reduce_implILb1ES3_PiS7_iN6hipcub16HIPCUB_304000_NS6detail34convert_binary_result_type_wrapperINS9_3SumENS9_22TransformInputIteratorIbN2at6native12_GLOBAL__N_19NonZeroOpIN3c108BFloat16EEEPKSJ_lEEiEEEE10hipError_tPvRmT1_T2_T3_mT4_P12ihipStream_tbEUlT_E0_NS1_11comp_targetILNS1_3genE3ELNS1_11target_archE908ELNS1_3gpuE7ELNS1_3repE0EEENS1_30default_config_static_selectorELNS0_4arch9wavefront6targetE0EEEvSS_.kd
    .uniform_work_group_size: 1
    .uses_dynamic_stack: false
    .vgpr_count:     0
    .vgpr_spill_count: 0
    .wavefront_size: 32
    .workgroup_processor_mode: 1
  - .args:
      - .offset:         0
        .size:           56
        .value_kind:     by_value
    .group_segment_fixed_size: 0
    .kernarg_segment_align: 8
    .kernarg_segment_size: 56
    .language:       OpenCL C
    .language_version:
      - 2
      - 0
    .max_flat_workgroup_size: 256
    .name:           _ZN7rocprim17ROCPRIM_400000_NS6detail17trampoline_kernelINS0_14default_configENS1_22reduce_config_selectorIiEEZNS1_11reduce_implILb1ES3_PiS7_iN6hipcub16HIPCUB_304000_NS6detail34convert_binary_result_type_wrapperINS9_3SumENS9_22TransformInputIteratorIbN2at6native12_GLOBAL__N_19NonZeroOpIN3c108BFloat16EEEPKSJ_lEEiEEEE10hipError_tPvRmT1_T2_T3_mT4_P12ihipStream_tbEUlT_E0_NS1_11comp_targetILNS1_3genE2ELNS1_11target_archE906ELNS1_3gpuE6ELNS1_3repE0EEENS1_30default_config_static_selectorELNS0_4arch9wavefront6targetE0EEEvSS_
    .private_segment_fixed_size: 0
    .sgpr_count:     0
    .sgpr_spill_count: 0
    .symbol:         _ZN7rocprim17ROCPRIM_400000_NS6detail17trampoline_kernelINS0_14default_configENS1_22reduce_config_selectorIiEEZNS1_11reduce_implILb1ES3_PiS7_iN6hipcub16HIPCUB_304000_NS6detail34convert_binary_result_type_wrapperINS9_3SumENS9_22TransformInputIteratorIbN2at6native12_GLOBAL__N_19NonZeroOpIN3c108BFloat16EEEPKSJ_lEEiEEEE10hipError_tPvRmT1_T2_T3_mT4_P12ihipStream_tbEUlT_E0_NS1_11comp_targetILNS1_3genE2ELNS1_11target_archE906ELNS1_3gpuE6ELNS1_3repE0EEENS1_30default_config_static_selectorELNS0_4arch9wavefront6targetE0EEEvSS_.kd
    .uniform_work_group_size: 1
    .uses_dynamic_stack: false
    .vgpr_count:     0
    .vgpr_spill_count: 0
    .wavefront_size: 32
    .workgroup_processor_mode: 1
  - .args:
      - .offset:         0
        .size:           56
        .value_kind:     by_value
    .group_segment_fixed_size: 0
    .kernarg_segment_align: 8
    .kernarg_segment_size: 56
    .language:       OpenCL C
    .language_version:
      - 2
      - 0
    .max_flat_workgroup_size: 256
    .name:           _ZN7rocprim17ROCPRIM_400000_NS6detail17trampoline_kernelINS0_14default_configENS1_22reduce_config_selectorIiEEZNS1_11reduce_implILb1ES3_PiS7_iN6hipcub16HIPCUB_304000_NS6detail34convert_binary_result_type_wrapperINS9_3SumENS9_22TransformInputIteratorIbN2at6native12_GLOBAL__N_19NonZeroOpIN3c108BFloat16EEEPKSJ_lEEiEEEE10hipError_tPvRmT1_T2_T3_mT4_P12ihipStream_tbEUlT_E0_NS1_11comp_targetILNS1_3genE10ELNS1_11target_archE1201ELNS1_3gpuE5ELNS1_3repE0EEENS1_30default_config_static_selectorELNS0_4arch9wavefront6targetE0EEEvSS_
    .private_segment_fixed_size: 0
    .sgpr_count:     0
    .sgpr_spill_count: 0
    .symbol:         _ZN7rocprim17ROCPRIM_400000_NS6detail17trampoline_kernelINS0_14default_configENS1_22reduce_config_selectorIiEEZNS1_11reduce_implILb1ES3_PiS7_iN6hipcub16HIPCUB_304000_NS6detail34convert_binary_result_type_wrapperINS9_3SumENS9_22TransformInputIteratorIbN2at6native12_GLOBAL__N_19NonZeroOpIN3c108BFloat16EEEPKSJ_lEEiEEEE10hipError_tPvRmT1_T2_T3_mT4_P12ihipStream_tbEUlT_E0_NS1_11comp_targetILNS1_3genE10ELNS1_11target_archE1201ELNS1_3gpuE5ELNS1_3repE0EEENS1_30default_config_static_selectorELNS0_4arch9wavefront6targetE0EEEvSS_.kd
    .uniform_work_group_size: 1
    .uses_dynamic_stack: false
    .vgpr_count:     0
    .vgpr_spill_count: 0
    .wavefront_size: 32
    .workgroup_processor_mode: 1
  - .args:
      - .offset:         0
        .size:           56
        .value_kind:     by_value
    .group_segment_fixed_size: 0
    .kernarg_segment_align: 8
    .kernarg_segment_size: 56
    .language:       OpenCL C
    .language_version:
      - 2
      - 0
    .max_flat_workgroup_size: 256
    .name:           _ZN7rocprim17ROCPRIM_400000_NS6detail17trampoline_kernelINS0_14default_configENS1_22reduce_config_selectorIiEEZNS1_11reduce_implILb1ES3_PiS7_iN6hipcub16HIPCUB_304000_NS6detail34convert_binary_result_type_wrapperINS9_3SumENS9_22TransformInputIteratorIbN2at6native12_GLOBAL__N_19NonZeroOpIN3c108BFloat16EEEPKSJ_lEEiEEEE10hipError_tPvRmT1_T2_T3_mT4_P12ihipStream_tbEUlT_E0_NS1_11comp_targetILNS1_3genE10ELNS1_11target_archE1200ELNS1_3gpuE4ELNS1_3repE0EEENS1_30default_config_static_selectorELNS0_4arch9wavefront6targetE0EEEvSS_
    .private_segment_fixed_size: 0
    .sgpr_count:     0
    .sgpr_spill_count: 0
    .symbol:         _ZN7rocprim17ROCPRIM_400000_NS6detail17trampoline_kernelINS0_14default_configENS1_22reduce_config_selectorIiEEZNS1_11reduce_implILb1ES3_PiS7_iN6hipcub16HIPCUB_304000_NS6detail34convert_binary_result_type_wrapperINS9_3SumENS9_22TransformInputIteratorIbN2at6native12_GLOBAL__N_19NonZeroOpIN3c108BFloat16EEEPKSJ_lEEiEEEE10hipError_tPvRmT1_T2_T3_mT4_P12ihipStream_tbEUlT_E0_NS1_11comp_targetILNS1_3genE10ELNS1_11target_archE1200ELNS1_3gpuE4ELNS1_3repE0EEENS1_30default_config_static_selectorELNS0_4arch9wavefront6targetE0EEEvSS_.kd
    .uniform_work_group_size: 1
    .uses_dynamic_stack: false
    .vgpr_count:     0
    .vgpr_spill_count: 0
    .wavefront_size: 32
    .workgroup_processor_mode: 1
  - .args:
      - .offset:         0
        .size:           56
        .value_kind:     by_value
    .group_segment_fixed_size: 64
    .kernarg_segment_align: 8
    .kernarg_segment_size: 56
    .language:       OpenCL C
    .language_version:
      - 2
      - 0
    .max_flat_workgroup_size: 256
    .name:           _ZN7rocprim17ROCPRIM_400000_NS6detail17trampoline_kernelINS0_14default_configENS1_22reduce_config_selectorIiEEZNS1_11reduce_implILb1ES3_PiS7_iN6hipcub16HIPCUB_304000_NS6detail34convert_binary_result_type_wrapperINS9_3SumENS9_22TransformInputIteratorIbN2at6native12_GLOBAL__N_19NonZeroOpIN3c108BFloat16EEEPKSJ_lEEiEEEE10hipError_tPvRmT1_T2_T3_mT4_P12ihipStream_tbEUlT_E0_NS1_11comp_targetILNS1_3genE9ELNS1_11target_archE1100ELNS1_3gpuE3ELNS1_3repE0EEENS1_30default_config_static_selectorELNS0_4arch9wavefront6targetE0EEEvSS_
    .private_segment_fixed_size: 0
    .sgpr_count:     24
    .sgpr_spill_count: 0
    .symbol:         _ZN7rocprim17ROCPRIM_400000_NS6detail17trampoline_kernelINS0_14default_configENS1_22reduce_config_selectorIiEEZNS1_11reduce_implILb1ES3_PiS7_iN6hipcub16HIPCUB_304000_NS6detail34convert_binary_result_type_wrapperINS9_3SumENS9_22TransformInputIteratorIbN2at6native12_GLOBAL__N_19NonZeroOpIN3c108BFloat16EEEPKSJ_lEEiEEEE10hipError_tPvRmT1_T2_T3_mT4_P12ihipStream_tbEUlT_E0_NS1_11comp_targetILNS1_3genE9ELNS1_11target_archE1100ELNS1_3gpuE3ELNS1_3repE0EEENS1_30default_config_static_selectorELNS0_4arch9wavefront6targetE0EEEvSS_.kd
    .uniform_work_group_size: 1
    .uses_dynamic_stack: false
    .vgpr_count:     12
    .vgpr_spill_count: 0
    .wavefront_size: 32
    .workgroup_processor_mode: 1
  - .args:
      - .offset:         0
        .size:           56
        .value_kind:     by_value
    .group_segment_fixed_size: 0
    .kernarg_segment_align: 8
    .kernarg_segment_size: 56
    .language:       OpenCL C
    .language_version:
      - 2
      - 0
    .max_flat_workgroup_size: 256
    .name:           _ZN7rocprim17ROCPRIM_400000_NS6detail17trampoline_kernelINS0_14default_configENS1_22reduce_config_selectorIiEEZNS1_11reduce_implILb1ES3_PiS7_iN6hipcub16HIPCUB_304000_NS6detail34convert_binary_result_type_wrapperINS9_3SumENS9_22TransformInputIteratorIbN2at6native12_GLOBAL__N_19NonZeroOpIN3c108BFloat16EEEPKSJ_lEEiEEEE10hipError_tPvRmT1_T2_T3_mT4_P12ihipStream_tbEUlT_E0_NS1_11comp_targetILNS1_3genE8ELNS1_11target_archE1030ELNS1_3gpuE2ELNS1_3repE0EEENS1_30default_config_static_selectorELNS0_4arch9wavefront6targetE0EEEvSS_
    .private_segment_fixed_size: 0
    .sgpr_count:     0
    .sgpr_spill_count: 0
    .symbol:         _ZN7rocprim17ROCPRIM_400000_NS6detail17trampoline_kernelINS0_14default_configENS1_22reduce_config_selectorIiEEZNS1_11reduce_implILb1ES3_PiS7_iN6hipcub16HIPCUB_304000_NS6detail34convert_binary_result_type_wrapperINS9_3SumENS9_22TransformInputIteratorIbN2at6native12_GLOBAL__N_19NonZeroOpIN3c108BFloat16EEEPKSJ_lEEiEEEE10hipError_tPvRmT1_T2_T3_mT4_P12ihipStream_tbEUlT_E0_NS1_11comp_targetILNS1_3genE8ELNS1_11target_archE1030ELNS1_3gpuE2ELNS1_3repE0EEENS1_30default_config_static_selectorELNS0_4arch9wavefront6targetE0EEEvSS_.kd
    .uniform_work_group_size: 1
    .uses_dynamic_stack: false
    .vgpr_count:     0
    .vgpr_spill_count: 0
    .wavefront_size: 32
    .workgroup_processor_mode: 1
  - .args:
      - .offset:         0
        .size:           40
        .value_kind:     by_value
    .group_segment_fixed_size: 0
    .kernarg_segment_align: 8
    .kernarg_segment_size: 40
    .language:       OpenCL C
    .language_version:
      - 2
      - 0
    .max_flat_workgroup_size: 256
    .name:           _ZN7rocprim17ROCPRIM_400000_NS6detail17trampoline_kernelINS0_14default_configENS1_22reduce_config_selectorIiEEZNS1_11reduce_implILb1ES3_PiS7_iN6hipcub16HIPCUB_304000_NS6detail34convert_binary_result_type_wrapperINS9_3SumENS9_22TransformInputIteratorIbN2at6native12_GLOBAL__N_19NonZeroOpIN3c108BFloat16EEEPKSJ_lEEiEEEE10hipError_tPvRmT1_T2_T3_mT4_P12ihipStream_tbEUlT_E1_NS1_11comp_targetILNS1_3genE0ELNS1_11target_archE4294967295ELNS1_3gpuE0ELNS1_3repE0EEENS1_30default_config_static_selectorELNS0_4arch9wavefront6targetE0EEEvSS_
    .private_segment_fixed_size: 0
    .sgpr_count:     0
    .sgpr_spill_count: 0
    .symbol:         _ZN7rocprim17ROCPRIM_400000_NS6detail17trampoline_kernelINS0_14default_configENS1_22reduce_config_selectorIiEEZNS1_11reduce_implILb1ES3_PiS7_iN6hipcub16HIPCUB_304000_NS6detail34convert_binary_result_type_wrapperINS9_3SumENS9_22TransformInputIteratorIbN2at6native12_GLOBAL__N_19NonZeroOpIN3c108BFloat16EEEPKSJ_lEEiEEEE10hipError_tPvRmT1_T2_T3_mT4_P12ihipStream_tbEUlT_E1_NS1_11comp_targetILNS1_3genE0ELNS1_11target_archE4294967295ELNS1_3gpuE0ELNS1_3repE0EEENS1_30default_config_static_selectorELNS0_4arch9wavefront6targetE0EEEvSS_.kd
    .uniform_work_group_size: 1
    .uses_dynamic_stack: false
    .vgpr_count:     0
    .vgpr_spill_count: 0
    .wavefront_size: 32
    .workgroup_processor_mode: 1
  - .args:
      - .offset:         0
        .size:           40
        .value_kind:     by_value
    .group_segment_fixed_size: 0
    .kernarg_segment_align: 8
    .kernarg_segment_size: 40
    .language:       OpenCL C
    .language_version:
      - 2
      - 0
    .max_flat_workgroup_size: 256
    .name:           _ZN7rocprim17ROCPRIM_400000_NS6detail17trampoline_kernelINS0_14default_configENS1_22reduce_config_selectorIiEEZNS1_11reduce_implILb1ES3_PiS7_iN6hipcub16HIPCUB_304000_NS6detail34convert_binary_result_type_wrapperINS9_3SumENS9_22TransformInputIteratorIbN2at6native12_GLOBAL__N_19NonZeroOpIN3c108BFloat16EEEPKSJ_lEEiEEEE10hipError_tPvRmT1_T2_T3_mT4_P12ihipStream_tbEUlT_E1_NS1_11comp_targetILNS1_3genE5ELNS1_11target_archE942ELNS1_3gpuE9ELNS1_3repE0EEENS1_30default_config_static_selectorELNS0_4arch9wavefront6targetE0EEEvSS_
    .private_segment_fixed_size: 0
    .sgpr_count:     0
    .sgpr_spill_count: 0
    .symbol:         _ZN7rocprim17ROCPRIM_400000_NS6detail17trampoline_kernelINS0_14default_configENS1_22reduce_config_selectorIiEEZNS1_11reduce_implILb1ES3_PiS7_iN6hipcub16HIPCUB_304000_NS6detail34convert_binary_result_type_wrapperINS9_3SumENS9_22TransformInputIteratorIbN2at6native12_GLOBAL__N_19NonZeroOpIN3c108BFloat16EEEPKSJ_lEEiEEEE10hipError_tPvRmT1_T2_T3_mT4_P12ihipStream_tbEUlT_E1_NS1_11comp_targetILNS1_3genE5ELNS1_11target_archE942ELNS1_3gpuE9ELNS1_3repE0EEENS1_30default_config_static_selectorELNS0_4arch9wavefront6targetE0EEEvSS_.kd
    .uniform_work_group_size: 1
    .uses_dynamic_stack: false
    .vgpr_count:     0
    .vgpr_spill_count: 0
    .wavefront_size: 32
    .workgroup_processor_mode: 1
  - .args:
      - .offset:         0
        .size:           40
        .value_kind:     by_value
    .group_segment_fixed_size: 0
    .kernarg_segment_align: 8
    .kernarg_segment_size: 40
    .language:       OpenCL C
    .language_version:
      - 2
      - 0
    .max_flat_workgroup_size: 128
    .name:           _ZN7rocprim17ROCPRIM_400000_NS6detail17trampoline_kernelINS0_14default_configENS1_22reduce_config_selectorIiEEZNS1_11reduce_implILb1ES3_PiS7_iN6hipcub16HIPCUB_304000_NS6detail34convert_binary_result_type_wrapperINS9_3SumENS9_22TransformInputIteratorIbN2at6native12_GLOBAL__N_19NonZeroOpIN3c108BFloat16EEEPKSJ_lEEiEEEE10hipError_tPvRmT1_T2_T3_mT4_P12ihipStream_tbEUlT_E1_NS1_11comp_targetILNS1_3genE4ELNS1_11target_archE910ELNS1_3gpuE8ELNS1_3repE0EEENS1_30default_config_static_selectorELNS0_4arch9wavefront6targetE0EEEvSS_
    .private_segment_fixed_size: 0
    .sgpr_count:     0
    .sgpr_spill_count: 0
    .symbol:         _ZN7rocprim17ROCPRIM_400000_NS6detail17trampoline_kernelINS0_14default_configENS1_22reduce_config_selectorIiEEZNS1_11reduce_implILb1ES3_PiS7_iN6hipcub16HIPCUB_304000_NS6detail34convert_binary_result_type_wrapperINS9_3SumENS9_22TransformInputIteratorIbN2at6native12_GLOBAL__N_19NonZeroOpIN3c108BFloat16EEEPKSJ_lEEiEEEE10hipError_tPvRmT1_T2_T3_mT4_P12ihipStream_tbEUlT_E1_NS1_11comp_targetILNS1_3genE4ELNS1_11target_archE910ELNS1_3gpuE8ELNS1_3repE0EEENS1_30default_config_static_selectorELNS0_4arch9wavefront6targetE0EEEvSS_.kd
    .uniform_work_group_size: 1
    .uses_dynamic_stack: false
    .vgpr_count:     0
    .vgpr_spill_count: 0
    .wavefront_size: 32
    .workgroup_processor_mode: 1
  - .args:
      - .offset:         0
        .size:           40
        .value_kind:     by_value
    .group_segment_fixed_size: 0
    .kernarg_segment_align: 8
    .kernarg_segment_size: 40
    .language:       OpenCL C
    .language_version:
      - 2
      - 0
    .max_flat_workgroup_size: 256
    .name:           _ZN7rocprim17ROCPRIM_400000_NS6detail17trampoline_kernelINS0_14default_configENS1_22reduce_config_selectorIiEEZNS1_11reduce_implILb1ES3_PiS7_iN6hipcub16HIPCUB_304000_NS6detail34convert_binary_result_type_wrapperINS9_3SumENS9_22TransformInputIteratorIbN2at6native12_GLOBAL__N_19NonZeroOpIN3c108BFloat16EEEPKSJ_lEEiEEEE10hipError_tPvRmT1_T2_T3_mT4_P12ihipStream_tbEUlT_E1_NS1_11comp_targetILNS1_3genE3ELNS1_11target_archE908ELNS1_3gpuE7ELNS1_3repE0EEENS1_30default_config_static_selectorELNS0_4arch9wavefront6targetE0EEEvSS_
    .private_segment_fixed_size: 0
    .sgpr_count:     0
    .sgpr_spill_count: 0
    .symbol:         _ZN7rocprim17ROCPRIM_400000_NS6detail17trampoline_kernelINS0_14default_configENS1_22reduce_config_selectorIiEEZNS1_11reduce_implILb1ES3_PiS7_iN6hipcub16HIPCUB_304000_NS6detail34convert_binary_result_type_wrapperINS9_3SumENS9_22TransformInputIteratorIbN2at6native12_GLOBAL__N_19NonZeroOpIN3c108BFloat16EEEPKSJ_lEEiEEEE10hipError_tPvRmT1_T2_T3_mT4_P12ihipStream_tbEUlT_E1_NS1_11comp_targetILNS1_3genE3ELNS1_11target_archE908ELNS1_3gpuE7ELNS1_3repE0EEENS1_30default_config_static_selectorELNS0_4arch9wavefront6targetE0EEEvSS_.kd
    .uniform_work_group_size: 1
    .uses_dynamic_stack: false
    .vgpr_count:     0
    .vgpr_spill_count: 0
    .wavefront_size: 32
    .workgroup_processor_mode: 1
  - .args:
      - .offset:         0
        .size:           40
        .value_kind:     by_value
    .group_segment_fixed_size: 0
    .kernarg_segment_align: 8
    .kernarg_segment_size: 40
    .language:       OpenCL C
    .language_version:
      - 2
      - 0
    .max_flat_workgroup_size: 256
    .name:           _ZN7rocprim17ROCPRIM_400000_NS6detail17trampoline_kernelINS0_14default_configENS1_22reduce_config_selectorIiEEZNS1_11reduce_implILb1ES3_PiS7_iN6hipcub16HIPCUB_304000_NS6detail34convert_binary_result_type_wrapperINS9_3SumENS9_22TransformInputIteratorIbN2at6native12_GLOBAL__N_19NonZeroOpIN3c108BFloat16EEEPKSJ_lEEiEEEE10hipError_tPvRmT1_T2_T3_mT4_P12ihipStream_tbEUlT_E1_NS1_11comp_targetILNS1_3genE2ELNS1_11target_archE906ELNS1_3gpuE6ELNS1_3repE0EEENS1_30default_config_static_selectorELNS0_4arch9wavefront6targetE0EEEvSS_
    .private_segment_fixed_size: 0
    .sgpr_count:     0
    .sgpr_spill_count: 0
    .symbol:         _ZN7rocprim17ROCPRIM_400000_NS6detail17trampoline_kernelINS0_14default_configENS1_22reduce_config_selectorIiEEZNS1_11reduce_implILb1ES3_PiS7_iN6hipcub16HIPCUB_304000_NS6detail34convert_binary_result_type_wrapperINS9_3SumENS9_22TransformInputIteratorIbN2at6native12_GLOBAL__N_19NonZeroOpIN3c108BFloat16EEEPKSJ_lEEiEEEE10hipError_tPvRmT1_T2_T3_mT4_P12ihipStream_tbEUlT_E1_NS1_11comp_targetILNS1_3genE2ELNS1_11target_archE906ELNS1_3gpuE6ELNS1_3repE0EEENS1_30default_config_static_selectorELNS0_4arch9wavefront6targetE0EEEvSS_.kd
    .uniform_work_group_size: 1
    .uses_dynamic_stack: false
    .vgpr_count:     0
    .vgpr_spill_count: 0
    .wavefront_size: 32
    .workgroup_processor_mode: 1
  - .args:
      - .offset:         0
        .size:           40
        .value_kind:     by_value
    .group_segment_fixed_size: 0
    .kernarg_segment_align: 8
    .kernarg_segment_size: 40
    .language:       OpenCL C
    .language_version:
      - 2
      - 0
    .max_flat_workgroup_size: 256
    .name:           _ZN7rocprim17ROCPRIM_400000_NS6detail17trampoline_kernelINS0_14default_configENS1_22reduce_config_selectorIiEEZNS1_11reduce_implILb1ES3_PiS7_iN6hipcub16HIPCUB_304000_NS6detail34convert_binary_result_type_wrapperINS9_3SumENS9_22TransformInputIteratorIbN2at6native12_GLOBAL__N_19NonZeroOpIN3c108BFloat16EEEPKSJ_lEEiEEEE10hipError_tPvRmT1_T2_T3_mT4_P12ihipStream_tbEUlT_E1_NS1_11comp_targetILNS1_3genE10ELNS1_11target_archE1201ELNS1_3gpuE5ELNS1_3repE0EEENS1_30default_config_static_selectorELNS0_4arch9wavefront6targetE0EEEvSS_
    .private_segment_fixed_size: 0
    .sgpr_count:     0
    .sgpr_spill_count: 0
    .symbol:         _ZN7rocprim17ROCPRIM_400000_NS6detail17trampoline_kernelINS0_14default_configENS1_22reduce_config_selectorIiEEZNS1_11reduce_implILb1ES3_PiS7_iN6hipcub16HIPCUB_304000_NS6detail34convert_binary_result_type_wrapperINS9_3SumENS9_22TransformInputIteratorIbN2at6native12_GLOBAL__N_19NonZeroOpIN3c108BFloat16EEEPKSJ_lEEiEEEE10hipError_tPvRmT1_T2_T3_mT4_P12ihipStream_tbEUlT_E1_NS1_11comp_targetILNS1_3genE10ELNS1_11target_archE1201ELNS1_3gpuE5ELNS1_3repE0EEENS1_30default_config_static_selectorELNS0_4arch9wavefront6targetE0EEEvSS_.kd
    .uniform_work_group_size: 1
    .uses_dynamic_stack: false
    .vgpr_count:     0
    .vgpr_spill_count: 0
    .wavefront_size: 32
    .workgroup_processor_mode: 1
  - .args:
      - .offset:         0
        .size:           40
        .value_kind:     by_value
    .group_segment_fixed_size: 0
    .kernarg_segment_align: 8
    .kernarg_segment_size: 40
    .language:       OpenCL C
    .language_version:
      - 2
      - 0
    .max_flat_workgroup_size: 256
    .name:           _ZN7rocprim17ROCPRIM_400000_NS6detail17trampoline_kernelINS0_14default_configENS1_22reduce_config_selectorIiEEZNS1_11reduce_implILb1ES3_PiS7_iN6hipcub16HIPCUB_304000_NS6detail34convert_binary_result_type_wrapperINS9_3SumENS9_22TransformInputIteratorIbN2at6native12_GLOBAL__N_19NonZeroOpIN3c108BFloat16EEEPKSJ_lEEiEEEE10hipError_tPvRmT1_T2_T3_mT4_P12ihipStream_tbEUlT_E1_NS1_11comp_targetILNS1_3genE10ELNS1_11target_archE1200ELNS1_3gpuE4ELNS1_3repE0EEENS1_30default_config_static_selectorELNS0_4arch9wavefront6targetE0EEEvSS_
    .private_segment_fixed_size: 0
    .sgpr_count:     0
    .sgpr_spill_count: 0
    .symbol:         _ZN7rocprim17ROCPRIM_400000_NS6detail17trampoline_kernelINS0_14default_configENS1_22reduce_config_selectorIiEEZNS1_11reduce_implILb1ES3_PiS7_iN6hipcub16HIPCUB_304000_NS6detail34convert_binary_result_type_wrapperINS9_3SumENS9_22TransformInputIteratorIbN2at6native12_GLOBAL__N_19NonZeroOpIN3c108BFloat16EEEPKSJ_lEEiEEEE10hipError_tPvRmT1_T2_T3_mT4_P12ihipStream_tbEUlT_E1_NS1_11comp_targetILNS1_3genE10ELNS1_11target_archE1200ELNS1_3gpuE4ELNS1_3repE0EEENS1_30default_config_static_selectorELNS0_4arch9wavefront6targetE0EEEvSS_.kd
    .uniform_work_group_size: 1
    .uses_dynamic_stack: false
    .vgpr_count:     0
    .vgpr_spill_count: 0
    .wavefront_size: 32
    .workgroup_processor_mode: 1
  - .args:
      - .offset:         0
        .size:           40
        .value_kind:     by_value
    .group_segment_fixed_size: 224
    .kernarg_segment_align: 8
    .kernarg_segment_size: 40
    .language:       OpenCL C
    .language_version:
      - 2
      - 0
    .max_flat_workgroup_size: 256
    .name:           _ZN7rocprim17ROCPRIM_400000_NS6detail17trampoline_kernelINS0_14default_configENS1_22reduce_config_selectorIiEEZNS1_11reduce_implILb1ES3_PiS7_iN6hipcub16HIPCUB_304000_NS6detail34convert_binary_result_type_wrapperINS9_3SumENS9_22TransformInputIteratorIbN2at6native12_GLOBAL__N_19NonZeroOpIN3c108BFloat16EEEPKSJ_lEEiEEEE10hipError_tPvRmT1_T2_T3_mT4_P12ihipStream_tbEUlT_E1_NS1_11comp_targetILNS1_3genE9ELNS1_11target_archE1100ELNS1_3gpuE3ELNS1_3repE0EEENS1_30default_config_static_selectorELNS0_4arch9wavefront6targetE0EEEvSS_
    .private_segment_fixed_size: 0
    .sgpr_count:     29
    .sgpr_spill_count: 0
    .symbol:         _ZN7rocprim17ROCPRIM_400000_NS6detail17trampoline_kernelINS0_14default_configENS1_22reduce_config_selectorIiEEZNS1_11reduce_implILb1ES3_PiS7_iN6hipcub16HIPCUB_304000_NS6detail34convert_binary_result_type_wrapperINS9_3SumENS9_22TransformInputIteratorIbN2at6native12_GLOBAL__N_19NonZeroOpIN3c108BFloat16EEEPKSJ_lEEiEEEE10hipError_tPvRmT1_T2_T3_mT4_P12ihipStream_tbEUlT_E1_NS1_11comp_targetILNS1_3genE9ELNS1_11target_archE1100ELNS1_3gpuE3ELNS1_3repE0EEENS1_30default_config_static_selectorELNS0_4arch9wavefront6targetE0EEEvSS_.kd
    .uniform_work_group_size: 1
    .uses_dynamic_stack: false
    .vgpr_count:     34
    .vgpr_spill_count: 0
    .wavefront_size: 32
    .workgroup_processor_mode: 1
  - .args:
      - .offset:         0
        .size:           40
        .value_kind:     by_value
    .group_segment_fixed_size: 0
    .kernarg_segment_align: 8
    .kernarg_segment_size: 40
    .language:       OpenCL C
    .language_version:
      - 2
      - 0
    .max_flat_workgroup_size: 256
    .name:           _ZN7rocprim17ROCPRIM_400000_NS6detail17trampoline_kernelINS0_14default_configENS1_22reduce_config_selectorIiEEZNS1_11reduce_implILb1ES3_PiS7_iN6hipcub16HIPCUB_304000_NS6detail34convert_binary_result_type_wrapperINS9_3SumENS9_22TransformInputIteratorIbN2at6native12_GLOBAL__N_19NonZeroOpIN3c108BFloat16EEEPKSJ_lEEiEEEE10hipError_tPvRmT1_T2_T3_mT4_P12ihipStream_tbEUlT_E1_NS1_11comp_targetILNS1_3genE8ELNS1_11target_archE1030ELNS1_3gpuE2ELNS1_3repE0EEENS1_30default_config_static_selectorELNS0_4arch9wavefront6targetE0EEEvSS_
    .private_segment_fixed_size: 0
    .sgpr_count:     0
    .sgpr_spill_count: 0
    .symbol:         _ZN7rocprim17ROCPRIM_400000_NS6detail17trampoline_kernelINS0_14default_configENS1_22reduce_config_selectorIiEEZNS1_11reduce_implILb1ES3_PiS7_iN6hipcub16HIPCUB_304000_NS6detail34convert_binary_result_type_wrapperINS9_3SumENS9_22TransformInputIteratorIbN2at6native12_GLOBAL__N_19NonZeroOpIN3c108BFloat16EEEPKSJ_lEEiEEEE10hipError_tPvRmT1_T2_T3_mT4_P12ihipStream_tbEUlT_E1_NS1_11comp_targetILNS1_3genE8ELNS1_11target_archE1030ELNS1_3gpuE2ELNS1_3repE0EEENS1_30default_config_static_selectorELNS0_4arch9wavefront6targetE0EEEvSS_.kd
    .uniform_work_group_size: 1
    .uses_dynamic_stack: false
    .vgpr_count:     0
    .vgpr_spill_count: 0
    .wavefront_size: 32
    .workgroup_processor_mode: 1
  - .args:
      - .offset:         0
        .size:           64
        .value_kind:     by_value
    .group_segment_fixed_size: 0
    .kernarg_segment_align: 8
    .kernarg_segment_size: 64
    .language:       OpenCL C
    .language_version:
      - 2
      - 0
    .max_flat_workgroup_size: 256
    .name:           _ZN7rocprim17ROCPRIM_400000_NS6detail17trampoline_kernelINS0_14default_configENS1_22reduce_config_selectorIbEEZNS1_11reduce_implILb1ES3_N6hipcub16HIPCUB_304000_NS22TransformInputIteratorIbN2at6native12_GLOBAL__N_19NonZeroOpIN3c108BFloat16EEEPKSF_lEEPiiNS8_6detail34convert_binary_result_type_wrapperINS8_3SumESJ_iEEEE10hipError_tPvRmT1_T2_T3_mT4_P12ihipStream_tbEUlT_E0_NS1_11comp_targetILNS1_3genE0ELNS1_11target_archE4294967295ELNS1_3gpuE0ELNS1_3repE0EEENS1_30default_config_static_selectorELNS0_4arch9wavefront6targetE0EEEvSS_
    .private_segment_fixed_size: 0
    .sgpr_count:     0
    .sgpr_spill_count: 0
    .symbol:         _ZN7rocprim17ROCPRIM_400000_NS6detail17trampoline_kernelINS0_14default_configENS1_22reduce_config_selectorIbEEZNS1_11reduce_implILb1ES3_N6hipcub16HIPCUB_304000_NS22TransformInputIteratorIbN2at6native12_GLOBAL__N_19NonZeroOpIN3c108BFloat16EEEPKSF_lEEPiiNS8_6detail34convert_binary_result_type_wrapperINS8_3SumESJ_iEEEE10hipError_tPvRmT1_T2_T3_mT4_P12ihipStream_tbEUlT_E0_NS1_11comp_targetILNS1_3genE0ELNS1_11target_archE4294967295ELNS1_3gpuE0ELNS1_3repE0EEENS1_30default_config_static_selectorELNS0_4arch9wavefront6targetE0EEEvSS_.kd
    .uniform_work_group_size: 1
    .uses_dynamic_stack: false
    .vgpr_count:     0
    .vgpr_spill_count: 0
    .wavefront_size: 32
    .workgroup_processor_mode: 1
  - .args:
      - .offset:         0
        .size:           64
        .value_kind:     by_value
    .group_segment_fixed_size: 0
    .kernarg_segment_align: 8
    .kernarg_segment_size: 64
    .language:       OpenCL C
    .language_version:
      - 2
      - 0
    .max_flat_workgroup_size: 256
    .name:           _ZN7rocprim17ROCPRIM_400000_NS6detail17trampoline_kernelINS0_14default_configENS1_22reduce_config_selectorIbEEZNS1_11reduce_implILb1ES3_N6hipcub16HIPCUB_304000_NS22TransformInputIteratorIbN2at6native12_GLOBAL__N_19NonZeroOpIN3c108BFloat16EEEPKSF_lEEPiiNS8_6detail34convert_binary_result_type_wrapperINS8_3SumESJ_iEEEE10hipError_tPvRmT1_T2_T3_mT4_P12ihipStream_tbEUlT_E0_NS1_11comp_targetILNS1_3genE5ELNS1_11target_archE942ELNS1_3gpuE9ELNS1_3repE0EEENS1_30default_config_static_selectorELNS0_4arch9wavefront6targetE0EEEvSS_
    .private_segment_fixed_size: 0
    .sgpr_count:     0
    .sgpr_spill_count: 0
    .symbol:         _ZN7rocprim17ROCPRIM_400000_NS6detail17trampoline_kernelINS0_14default_configENS1_22reduce_config_selectorIbEEZNS1_11reduce_implILb1ES3_N6hipcub16HIPCUB_304000_NS22TransformInputIteratorIbN2at6native12_GLOBAL__N_19NonZeroOpIN3c108BFloat16EEEPKSF_lEEPiiNS8_6detail34convert_binary_result_type_wrapperINS8_3SumESJ_iEEEE10hipError_tPvRmT1_T2_T3_mT4_P12ihipStream_tbEUlT_E0_NS1_11comp_targetILNS1_3genE5ELNS1_11target_archE942ELNS1_3gpuE9ELNS1_3repE0EEENS1_30default_config_static_selectorELNS0_4arch9wavefront6targetE0EEEvSS_.kd
    .uniform_work_group_size: 1
    .uses_dynamic_stack: false
    .vgpr_count:     0
    .vgpr_spill_count: 0
    .wavefront_size: 32
    .workgroup_processor_mode: 1
  - .args:
      - .offset:         0
        .size:           64
        .value_kind:     by_value
    .group_segment_fixed_size: 0
    .kernarg_segment_align: 8
    .kernarg_segment_size: 64
    .language:       OpenCL C
    .language_version:
      - 2
      - 0
    .max_flat_workgroup_size: 128
    .name:           _ZN7rocprim17ROCPRIM_400000_NS6detail17trampoline_kernelINS0_14default_configENS1_22reduce_config_selectorIbEEZNS1_11reduce_implILb1ES3_N6hipcub16HIPCUB_304000_NS22TransformInputIteratorIbN2at6native12_GLOBAL__N_19NonZeroOpIN3c108BFloat16EEEPKSF_lEEPiiNS8_6detail34convert_binary_result_type_wrapperINS8_3SumESJ_iEEEE10hipError_tPvRmT1_T2_T3_mT4_P12ihipStream_tbEUlT_E0_NS1_11comp_targetILNS1_3genE4ELNS1_11target_archE910ELNS1_3gpuE8ELNS1_3repE0EEENS1_30default_config_static_selectorELNS0_4arch9wavefront6targetE0EEEvSS_
    .private_segment_fixed_size: 0
    .sgpr_count:     0
    .sgpr_spill_count: 0
    .symbol:         _ZN7rocprim17ROCPRIM_400000_NS6detail17trampoline_kernelINS0_14default_configENS1_22reduce_config_selectorIbEEZNS1_11reduce_implILb1ES3_N6hipcub16HIPCUB_304000_NS22TransformInputIteratorIbN2at6native12_GLOBAL__N_19NonZeroOpIN3c108BFloat16EEEPKSF_lEEPiiNS8_6detail34convert_binary_result_type_wrapperINS8_3SumESJ_iEEEE10hipError_tPvRmT1_T2_T3_mT4_P12ihipStream_tbEUlT_E0_NS1_11comp_targetILNS1_3genE4ELNS1_11target_archE910ELNS1_3gpuE8ELNS1_3repE0EEENS1_30default_config_static_selectorELNS0_4arch9wavefront6targetE0EEEvSS_.kd
    .uniform_work_group_size: 1
    .uses_dynamic_stack: false
    .vgpr_count:     0
    .vgpr_spill_count: 0
    .wavefront_size: 32
    .workgroup_processor_mode: 1
  - .args:
      - .offset:         0
        .size:           64
        .value_kind:     by_value
    .group_segment_fixed_size: 0
    .kernarg_segment_align: 8
    .kernarg_segment_size: 64
    .language:       OpenCL C
    .language_version:
      - 2
      - 0
    .max_flat_workgroup_size: 256
    .name:           _ZN7rocprim17ROCPRIM_400000_NS6detail17trampoline_kernelINS0_14default_configENS1_22reduce_config_selectorIbEEZNS1_11reduce_implILb1ES3_N6hipcub16HIPCUB_304000_NS22TransformInputIteratorIbN2at6native12_GLOBAL__N_19NonZeroOpIN3c108BFloat16EEEPKSF_lEEPiiNS8_6detail34convert_binary_result_type_wrapperINS8_3SumESJ_iEEEE10hipError_tPvRmT1_T2_T3_mT4_P12ihipStream_tbEUlT_E0_NS1_11comp_targetILNS1_3genE3ELNS1_11target_archE908ELNS1_3gpuE7ELNS1_3repE0EEENS1_30default_config_static_selectorELNS0_4arch9wavefront6targetE0EEEvSS_
    .private_segment_fixed_size: 0
    .sgpr_count:     0
    .sgpr_spill_count: 0
    .symbol:         _ZN7rocprim17ROCPRIM_400000_NS6detail17trampoline_kernelINS0_14default_configENS1_22reduce_config_selectorIbEEZNS1_11reduce_implILb1ES3_N6hipcub16HIPCUB_304000_NS22TransformInputIteratorIbN2at6native12_GLOBAL__N_19NonZeroOpIN3c108BFloat16EEEPKSF_lEEPiiNS8_6detail34convert_binary_result_type_wrapperINS8_3SumESJ_iEEEE10hipError_tPvRmT1_T2_T3_mT4_P12ihipStream_tbEUlT_E0_NS1_11comp_targetILNS1_3genE3ELNS1_11target_archE908ELNS1_3gpuE7ELNS1_3repE0EEENS1_30default_config_static_selectorELNS0_4arch9wavefront6targetE0EEEvSS_.kd
    .uniform_work_group_size: 1
    .uses_dynamic_stack: false
    .vgpr_count:     0
    .vgpr_spill_count: 0
    .wavefront_size: 32
    .workgroup_processor_mode: 1
  - .args:
      - .offset:         0
        .size:           64
        .value_kind:     by_value
    .group_segment_fixed_size: 0
    .kernarg_segment_align: 8
    .kernarg_segment_size: 64
    .language:       OpenCL C
    .language_version:
      - 2
      - 0
    .max_flat_workgroup_size: 128
    .name:           _ZN7rocprim17ROCPRIM_400000_NS6detail17trampoline_kernelINS0_14default_configENS1_22reduce_config_selectorIbEEZNS1_11reduce_implILb1ES3_N6hipcub16HIPCUB_304000_NS22TransformInputIteratorIbN2at6native12_GLOBAL__N_19NonZeroOpIN3c108BFloat16EEEPKSF_lEEPiiNS8_6detail34convert_binary_result_type_wrapperINS8_3SumESJ_iEEEE10hipError_tPvRmT1_T2_T3_mT4_P12ihipStream_tbEUlT_E0_NS1_11comp_targetILNS1_3genE2ELNS1_11target_archE906ELNS1_3gpuE6ELNS1_3repE0EEENS1_30default_config_static_selectorELNS0_4arch9wavefront6targetE0EEEvSS_
    .private_segment_fixed_size: 0
    .sgpr_count:     0
    .sgpr_spill_count: 0
    .symbol:         _ZN7rocprim17ROCPRIM_400000_NS6detail17trampoline_kernelINS0_14default_configENS1_22reduce_config_selectorIbEEZNS1_11reduce_implILb1ES3_N6hipcub16HIPCUB_304000_NS22TransformInputIteratorIbN2at6native12_GLOBAL__N_19NonZeroOpIN3c108BFloat16EEEPKSF_lEEPiiNS8_6detail34convert_binary_result_type_wrapperINS8_3SumESJ_iEEEE10hipError_tPvRmT1_T2_T3_mT4_P12ihipStream_tbEUlT_E0_NS1_11comp_targetILNS1_3genE2ELNS1_11target_archE906ELNS1_3gpuE6ELNS1_3repE0EEENS1_30default_config_static_selectorELNS0_4arch9wavefront6targetE0EEEvSS_.kd
    .uniform_work_group_size: 1
    .uses_dynamic_stack: false
    .vgpr_count:     0
    .vgpr_spill_count: 0
    .wavefront_size: 32
    .workgroup_processor_mode: 1
  - .args:
      - .offset:         0
        .size:           64
        .value_kind:     by_value
    .group_segment_fixed_size: 0
    .kernarg_segment_align: 8
    .kernarg_segment_size: 64
    .language:       OpenCL C
    .language_version:
      - 2
      - 0
    .max_flat_workgroup_size: 256
    .name:           _ZN7rocprim17ROCPRIM_400000_NS6detail17trampoline_kernelINS0_14default_configENS1_22reduce_config_selectorIbEEZNS1_11reduce_implILb1ES3_N6hipcub16HIPCUB_304000_NS22TransformInputIteratorIbN2at6native12_GLOBAL__N_19NonZeroOpIN3c108BFloat16EEEPKSF_lEEPiiNS8_6detail34convert_binary_result_type_wrapperINS8_3SumESJ_iEEEE10hipError_tPvRmT1_T2_T3_mT4_P12ihipStream_tbEUlT_E0_NS1_11comp_targetILNS1_3genE10ELNS1_11target_archE1201ELNS1_3gpuE5ELNS1_3repE0EEENS1_30default_config_static_selectorELNS0_4arch9wavefront6targetE0EEEvSS_
    .private_segment_fixed_size: 0
    .sgpr_count:     0
    .sgpr_spill_count: 0
    .symbol:         _ZN7rocprim17ROCPRIM_400000_NS6detail17trampoline_kernelINS0_14default_configENS1_22reduce_config_selectorIbEEZNS1_11reduce_implILb1ES3_N6hipcub16HIPCUB_304000_NS22TransformInputIteratorIbN2at6native12_GLOBAL__N_19NonZeroOpIN3c108BFloat16EEEPKSF_lEEPiiNS8_6detail34convert_binary_result_type_wrapperINS8_3SumESJ_iEEEE10hipError_tPvRmT1_T2_T3_mT4_P12ihipStream_tbEUlT_E0_NS1_11comp_targetILNS1_3genE10ELNS1_11target_archE1201ELNS1_3gpuE5ELNS1_3repE0EEENS1_30default_config_static_selectorELNS0_4arch9wavefront6targetE0EEEvSS_.kd
    .uniform_work_group_size: 1
    .uses_dynamic_stack: false
    .vgpr_count:     0
    .vgpr_spill_count: 0
    .wavefront_size: 32
    .workgroup_processor_mode: 1
  - .args:
      - .offset:         0
        .size:           64
        .value_kind:     by_value
    .group_segment_fixed_size: 0
    .kernarg_segment_align: 8
    .kernarg_segment_size: 64
    .language:       OpenCL C
    .language_version:
      - 2
      - 0
    .max_flat_workgroup_size: 256
    .name:           _ZN7rocprim17ROCPRIM_400000_NS6detail17trampoline_kernelINS0_14default_configENS1_22reduce_config_selectorIbEEZNS1_11reduce_implILb1ES3_N6hipcub16HIPCUB_304000_NS22TransformInputIteratorIbN2at6native12_GLOBAL__N_19NonZeroOpIN3c108BFloat16EEEPKSF_lEEPiiNS8_6detail34convert_binary_result_type_wrapperINS8_3SumESJ_iEEEE10hipError_tPvRmT1_T2_T3_mT4_P12ihipStream_tbEUlT_E0_NS1_11comp_targetILNS1_3genE10ELNS1_11target_archE1200ELNS1_3gpuE4ELNS1_3repE0EEENS1_30default_config_static_selectorELNS0_4arch9wavefront6targetE0EEEvSS_
    .private_segment_fixed_size: 0
    .sgpr_count:     0
    .sgpr_spill_count: 0
    .symbol:         _ZN7rocprim17ROCPRIM_400000_NS6detail17trampoline_kernelINS0_14default_configENS1_22reduce_config_selectorIbEEZNS1_11reduce_implILb1ES3_N6hipcub16HIPCUB_304000_NS22TransformInputIteratorIbN2at6native12_GLOBAL__N_19NonZeroOpIN3c108BFloat16EEEPKSF_lEEPiiNS8_6detail34convert_binary_result_type_wrapperINS8_3SumESJ_iEEEE10hipError_tPvRmT1_T2_T3_mT4_P12ihipStream_tbEUlT_E0_NS1_11comp_targetILNS1_3genE10ELNS1_11target_archE1200ELNS1_3gpuE4ELNS1_3repE0EEENS1_30default_config_static_selectorELNS0_4arch9wavefront6targetE0EEEvSS_.kd
    .uniform_work_group_size: 1
    .uses_dynamic_stack: false
    .vgpr_count:     0
    .vgpr_spill_count: 0
    .wavefront_size: 32
    .workgroup_processor_mode: 1
  - .args:
      - .offset:         0
        .size:           64
        .value_kind:     by_value
    .group_segment_fixed_size: 32
    .kernarg_segment_align: 8
    .kernarg_segment_size: 64
    .language:       OpenCL C
    .language_version:
      - 2
      - 0
    .max_flat_workgroup_size: 128
    .name:           _ZN7rocprim17ROCPRIM_400000_NS6detail17trampoline_kernelINS0_14default_configENS1_22reduce_config_selectorIbEEZNS1_11reduce_implILb1ES3_N6hipcub16HIPCUB_304000_NS22TransformInputIteratorIbN2at6native12_GLOBAL__N_19NonZeroOpIN3c108BFloat16EEEPKSF_lEEPiiNS8_6detail34convert_binary_result_type_wrapperINS8_3SumESJ_iEEEE10hipError_tPvRmT1_T2_T3_mT4_P12ihipStream_tbEUlT_E0_NS1_11comp_targetILNS1_3genE9ELNS1_11target_archE1100ELNS1_3gpuE3ELNS1_3repE0EEENS1_30default_config_static_selectorELNS0_4arch9wavefront6targetE0EEEvSS_
    .private_segment_fixed_size: 0
    .sgpr_count:     32
    .sgpr_spill_count: 0
    .symbol:         _ZN7rocprim17ROCPRIM_400000_NS6detail17trampoline_kernelINS0_14default_configENS1_22reduce_config_selectorIbEEZNS1_11reduce_implILb1ES3_N6hipcub16HIPCUB_304000_NS22TransformInputIteratorIbN2at6native12_GLOBAL__N_19NonZeroOpIN3c108BFloat16EEEPKSF_lEEPiiNS8_6detail34convert_binary_result_type_wrapperINS8_3SumESJ_iEEEE10hipError_tPvRmT1_T2_T3_mT4_P12ihipStream_tbEUlT_E0_NS1_11comp_targetILNS1_3genE9ELNS1_11target_archE1100ELNS1_3gpuE3ELNS1_3repE0EEENS1_30default_config_static_selectorELNS0_4arch9wavefront6targetE0EEEvSS_.kd
    .uniform_work_group_size: 1
    .uses_dynamic_stack: false
    .vgpr_count:     20
    .vgpr_spill_count: 0
    .wavefront_size: 32
    .workgroup_processor_mode: 1
  - .args:
      - .offset:         0
        .size:           64
        .value_kind:     by_value
    .group_segment_fixed_size: 0
    .kernarg_segment_align: 8
    .kernarg_segment_size: 64
    .language:       OpenCL C
    .language_version:
      - 2
      - 0
    .max_flat_workgroup_size: 256
    .name:           _ZN7rocprim17ROCPRIM_400000_NS6detail17trampoline_kernelINS0_14default_configENS1_22reduce_config_selectorIbEEZNS1_11reduce_implILb1ES3_N6hipcub16HIPCUB_304000_NS22TransformInputIteratorIbN2at6native12_GLOBAL__N_19NonZeroOpIN3c108BFloat16EEEPKSF_lEEPiiNS8_6detail34convert_binary_result_type_wrapperINS8_3SumESJ_iEEEE10hipError_tPvRmT1_T2_T3_mT4_P12ihipStream_tbEUlT_E0_NS1_11comp_targetILNS1_3genE8ELNS1_11target_archE1030ELNS1_3gpuE2ELNS1_3repE0EEENS1_30default_config_static_selectorELNS0_4arch9wavefront6targetE0EEEvSS_
    .private_segment_fixed_size: 0
    .sgpr_count:     0
    .sgpr_spill_count: 0
    .symbol:         _ZN7rocprim17ROCPRIM_400000_NS6detail17trampoline_kernelINS0_14default_configENS1_22reduce_config_selectorIbEEZNS1_11reduce_implILb1ES3_N6hipcub16HIPCUB_304000_NS22TransformInputIteratorIbN2at6native12_GLOBAL__N_19NonZeroOpIN3c108BFloat16EEEPKSF_lEEPiiNS8_6detail34convert_binary_result_type_wrapperINS8_3SumESJ_iEEEE10hipError_tPvRmT1_T2_T3_mT4_P12ihipStream_tbEUlT_E0_NS1_11comp_targetILNS1_3genE8ELNS1_11target_archE1030ELNS1_3gpuE2ELNS1_3repE0EEENS1_30default_config_static_selectorELNS0_4arch9wavefront6targetE0EEEvSS_.kd
    .uniform_work_group_size: 1
    .uses_dynamic_stack: false
    .vgpr_count:     0
    .vgpr_spill_count: 0
    .wavefront_size: 32
    .workgroup_processor_mode: 1
  - .args:
      - .offset:         0
        .size:           48
        .value_kind:     by_value
    .group_segment_fixed_size: 0
    .kernarg_segment_align: 8
    .kernarg_segment_size: 48
    .language:       OpenCL C
    .language_version:
      - 2
      - 0
    .max_flat_workgroup_size: 256
    .name:           _ZN7rocprim17ROCPRIM_400000_NS6detail17trampoline_kernelINS0_14default_configENS1_22reduce_config_selectorIbEEZNS1_11reduce_implILb1ES3_N6hipcub16HIPCUB_304000_NS22TransformInputIteratorIbN2at6native12_GLOBAL__N_19NonZeroOpIN3c108BFloat16EEEPKSF_lEEPiiNS8_6detail34convert_binary_result_type_wrapperINS8_3SumESJ_iEEEE10hipError_tPvRmT1_T2_T3_mT4_P12ihipStream_tbEUlT_E1_NS1_11comp_targetILNS1_3genE0ELNS1_11target_archE4294967295ELNS1_3gpuE0ELNS1_3repE0EEENS1_30default_config_static_selectorELNS0_4arch9wavefront6targetE0EEEvSS_
    .private_segment_fixed_size: 0
    .sgpr_count:     0
    .sgpr_spill_count: 0
    .symbol:         _ZN7rocprim17ROCPRIM_400000_NS6detail17trampoline_kernelINS0_14default_configENS1_22reduce_config_selectorIbEEZNS1_11reduce_implILb1ES3_N6hipcub16HIPCUB_304000_NS22TransformInputIteratorIbN2at6native12_GLOBAL__N_19NonZeroOpIN3c108BFloat16EEEPKSF_lEEPiiNS8_6detail34convert_binary_result_type_wrapperINS8_3SumESJ_iEEEE10hipError_tPvRmT1_T2_T3_mT4_P12ihipStream_tbEUlT_E1_NS1_11comp_targetILNS1_3genE0ELNS1_11target_archE4294967295ELNS1_3gpuE0ELNS1_3repE0EEENS1_30default_config_static_selectorELNS0_4arch9wavefront6targetE0EEEvSS_.kd
    .uniform_work_group_size: 1
    .uses_dynamic_stack: false
    .vgpr_count:     0
    .vgpr_spill_count: 0
    .wavefront_size: 32
    .workgroup_processor_mode: 1
  - .args:
      - .offset:         0
        .size:           48
        .value_kind:     by_value
    .group_segment_fixed_size: 0
    .kernarg_segment_align: 8
    .kernarg_segment_size: 48
    .language:       OpenCL C
    .language_version:
      - 2
      - 0
    .max_flat_workgroup_size: 256
    .name:           _ZN7rocprim17ROCPRIM_400000_NS6detail17trampoline_kernelINS0_14default_configENS1_22reduce_config_selectorIbEEZNS1_11reduce_implILb1ES3_N6hipcub16HIPCUB_304000_NS22TransformInputIteratorIbN2at6native12_GLOBAL__N_19NonZeroOpIN3c108BFloat16EEEPKSF_lEEPiiNS8_6detail34convert_binary_result_type_wrapperINS8_3SumESJ_iEEEE10hipError_tPvRmT1_T2_T3_mT4_P12ihipStream_tbEUlT_E1_NS1_11comp_targetILNS1_3genE5ELNS1_11target_archE942ELNS1_3gpuE9ELNS1_3repE0EEENS1_30default_config_static_selectorELNS0_4arch9wavefront6targetE0EEEvSS_
    .private_segment_fixed_size: 0
    .sgpr_count:     0
    .sgpr_spill_count: 0
    .symbol:         _ZN7rocprim17ROCPRIM_400000_NS6detail17trampoline_kernelINS0_14default_configENS1_22reduce_config_selectorIbEEZNS1_11reduce_implILb1ES3_N6hipcub16HIPCUB_304000_NS22TransformInputIteratorIbN2at6native12_GLOBAL__N_19NonZeroOpIN3c108BFloat16EEEPKSF_lEEPiiNS8_6detail34convert_binary_result_type_wrapperINS8_3SumESJ_iEEEE10hipError_tPvRmT1_T2_T3_mT4_P12ihipStream_tbEUlT_E1_NS1_11comp_targetILNS1_3genE5ELNS1_11target_archE942ELNS1_3gpuE9ELNS1_3repE0EEENS1_30default_config_static_selectorELNS0_4arch9wavefront6targetE0EEEvSS_.kd
    .uniform_work_group_size: 1
    .uses_dynamic_stack: false
    .vgpr_count:     0
    .vgpr_spill_count: 0
    .wavefront_size: 32
    .workgroup_processor_mode: 1
  - .args:
      - .offset:         0
        .size:           48
        .value_kind:     by_value
    .group_segment_fixed_size: 0
    .kernarg_segment_align: 8
    .kernarg_segment_size: 48
    .language:       OpenCL C
    .language_version:
      - 2
      - 0
    .max_flat_workgroup_size: 128
    .name:           _ZN7rocprim17ROCPRIM_400000_NS6detail17trampoline_kernelINS0_14default_configENS1_22reduce_config_selectorIbEEZNS1_11reduce_implILb1ES3_N6hipcub16HIPCUB_304000_NS22TransformInputIteratorIbN2at6native12_GLOBAL__N_19NonZeroOpIN3c108BFloat16EEEPKSF_lEEPiiNS8_6detail34convert_binary_result_type_wrapperINS8_3SumESJ_iEEEE10hipError_tPvRmT1_T2_T3_mT4_P12ihipStream_tbEUlT_E1_NS1_11comp_targetILNS1_3genE4ELNS1_11target_archE910ELNS1_3gpuE8ELNS1_3repE0EEENS1_30default_config_static_selectorELNS0_4arch9wavefront6targetE0EEEvSS_
    .private_segment_fixed_size: 0
    .sgpr_count:     0
    .sgpr_spill_count: 0
    .symbol:         _ZN7rocprim17ROCPRIM_400000_NS6detail17trampoline_kernelINS0_14default_configENS1_22reduce_config_selectorIbEEZNS1_11reduce_implILb1ES3_N6hipcub16HIPCUB_304000_NS22TransformInputIteratorIbN2at6native12_GLOBAL__N_19NonZeroOpIN3c108BFloat16EEEPKSF_lEEPiiNS8_6detail34convert_binary_result_type_wrapperINS8_3SumESJ_iEEEE10hipError_tPvRmT1_T2_T3_mT4_P12ihipStream_tbEUlT_E1_NS1_11comp_targetILNS1_3genE4ELNS1_11target_archE910ELNS1_3gpuE8ELNS1_3repE0EEENS1_30default_config_static_selectorELNS0_4arch9wavefront6targetE0EEEvSS_.kd
    .uniform_work_group_size: 1
    .uses_dynamic_stack: false
    .vgpr_count:     0
    .vgpr_spill_count: 0
    .wavefront_size: 32
    .workgroup_processor_mode: 1
  - .args:
      - .offset:         0
        .size:           48
        .value_kind:     by_value
    .group_segment_fixed_size: 0
    .kernarg_segment_align: 8
    .kernarg_segment_size: 48
    .language:       OpenCL C
    .language_version:
      - 2
      - 0
    .max_flat_workgroup_size: 256
    .name:           _ZN7rocprim17ROCPRIM_400000_NS6detail17trampoline_kernelINS0_14default_configENS1_22reduce_config_selectorIbEEZNS1_11reduce_implILb1ES3_N6hipcub16HIPCUB_304000_NS22TransformInputIteratorIbN2at6native12_GLOBAL__N_19NonZeroOpIN3c108BFloat16EEEPKSF_lEEPiiNS8_6detail34convert_binary_result_type_wrapperINS8_3SumESJ_iEEEE10hipError_tPvRmT1_T2_T3_mT4_P12ihipStream_tbEUlT_E1_NS1_11comp_targetILNS1_3genE3ELNS1_11target_archE908ELNS1_3gpuE7ELNS1_3repE0EEENS1_30default_config_static_selectorELNS0_4arch9wavefront6targetE0EEEvSS_
    .private_segment_fixed_size: 0
    .sgpr_count:     0
    .sgpr_spill_count: 0
    .symbol:         _ZN7rocprim17ROCPRIM_400000_NS6detail17trampoline_kernelINS0_14default_configENS1_22reduce_config_selectorIbEEZNS1_11reduce_implILb1ES3_N6hipcub16HIPCUB_304000_NS22TransformInputIteratorIbN2at6native12_GLOBAL__N_19NonZeroOpIN3c108BFloat16EEEPKSF_lEEPiiNS8_6detail34convert_binary_result_type_wrapperINS8_3SumESJ_iEEEE10hipError_tPvRmT1_T2_T3_mT4_P12ihipStream_tbEUlT_E1_NS1_11comp_targetILNS1_3genE3ELNS1_11target_archE908ELNS1_3gpuE7ELNS1_3repE0EEENS1_30default_config_static_selectorELNS0_4arch9wavefront6targetE0EEEvSS_.kd
    .uniform_work_group_size: 1
    .uses_dynamic_stack: false
    .vgpr_count:     0
    .vgpr_spill_count: 0
    .wavefront_size: 32
    .workgroup_processor_mode: 1
  - .args:
      - .offset:         0
        .size:           48
        .value_kind:     by_value
    .group_segment_fixed_size: 0
    .kernarg_segment_align: 8
    .kernarg_segment_size: 48
    .language:       OpenCL C
    .language_version:
      - 2
      - 0
    .max_flat_workgroup_size: 128
    .name:           _ZN7rocprim17ROCPRIM_400000_NS6detail17trampoline_kernelINS0_14default_configENS1_22reduce_config_selectorIbEEZNS1_11reduce_implILb1ES3_N6hipcub16HIPCUB_304000_NS22TransformInputIteratorIbN2at6native12_GLOBAL__N_19NonZeroOpIN3c108BFloat16EEEPKSF_lEEPiiNS8_6detail34convert_binary_result_type_wrapperINS8_3SumESJ_iEEEE10hipError_tPvRmT1_T2_T3_mT4_P12ihipStream_tbEUlT_E1_NS1_11comp_targetILNS1_3genE2ELNS1_11target_archE906ELNS1_3gpuE6ELNS1_3repE0EEENS1_30default_config_static_selectorELNS0_4arch9wavefront6targetE0EEEvSS_
    .private_segment_fixed_size: 0
    .sgpr_count:     0
    .sgpr_spill_count: 0
    .symbol:         _ZN7rocprim17ROCPRIM_400000_NS6detail17trampoline_kernelINS0_14default_configENS1_22reduce_config_selectorIbEEZNS1_11reduce_implILb1ES3_N6hipcub16HIPCUB_304000_NS22TransformInputIteratorIbN2at6native12_GLOBAL__N_19NonZeroOpIN3c108BFloat16EEEPKSF_lEEPiiNS8_6detail34convert_binary_result_type_wrapperINS8_3SumESJ_iEEEE10hipError_tPvRmT1_T2_T3_mT4_P12ihipStream_tbEUlT_E1_NS1_11comp_targetILNS1_3genE2ELNS1_11target_archE906ELNS1_3gpuE6ELNS1_3repE0EEENS1_30default_config_static_selectorELNS0_4arch9wavefront6targetE0EEEvSS_.kd
    .uniform_work_group_size: 1
    .uses_dynamic_stack: false
    .vgpr_count:     0
    .vgpr_spill_count: 0
    .wavefront_size: 32
    .workgroup_processor_mode: 1
  - .args:
      - .offset:         0
        .size:           48
        .value_kind:     by_value
    .group_segment_fixed_size: 0
    .kernarg_segment_align: 8
    .kernarg_segment_size: 48
    .language:       OpenCL C
    .language_version:
      - 2
      - 0
    .max_flat_workgroup_size: 256
    .name:           _ZN7rocprim17ROCPRIM_400000_NS6detail17trampoline_kernelINS0_14default_configENS1_22reduce_config_selectorIbEEZNS1_11reduce_implILb1ES3_N6hipcub16HIPCUB_304000_NS22TransformInputIteratorIbN2at6native12_GLOBAL__N_19NonZeroOpIN3c108BFloat16EEEPKSF_lEEPiiNS8_6detail34convert_binary_result_type_wrapperINS8_3SumESJ_iEEEE10hipError_tPvRmT1_T2_T3_mT4_P12ihipStream_tbEUlT_E1_NS1_11comp_targetILNS1_3genE10ELNS1_11target_archE1201ELNS1_3gpuE5ELNS1_3repE0EEENS1_30default_config_static_selectorELNS0_4arch9wavefront6targetE0EEEvSS_
    .private_segment_fixed_size: 0
    .sgpr_count:     0
    .sgpr_spill_count: 0
    .symbol:         _ZN7rocprim17ROCPRIM_400000_NS6detail17trampoline_kernelINS0_14default_configENS1_22reduce_config_selectorIbEEZNS1_11reduce_implILb1ES3_N6hipcub16HIPCUB_304000_NS22TransformInputIteratorIbN2at6native12_GLOBAL__N_19NonZeroOpIN3c108BFloat16EEEPKSF_lEEPiiNS8_6detail34convert_binary_result_type_wrapperINS8_3SumESJ_iEEEE10hipError_tPvRmT1_T2_T3_mT4_P12ihipStream_tbEUlT_E1_NS1_11comp_targetILNS1_3genE10ELNS1_11target_archE1201ELNS1_3gpuE5ELNS1_3repE0EEENS1_30default_config_static_selectorELNS0_4arch9wavefront6targetE0EEEvSS_.kd
    .uniform_work_group_size: 1
    .uses_dynamic_stack: false
    .vgpr_count:     0
    .vgpr_spill_count: 0
    .wavefront_size: 32
    .workgroup_processor_mode: 1
  - .args:
      - .offset:         0
        .size:           48
        .value_kind:     by_value
    .group_segment_fixed_size: 0
    .kernarg_segment_align: 8
    .kernarg_segment_size: 48
    .language:       OpenCL C
    .language_version:
      - 2
      - 0
    .max_flat_workgroup_size: 256
    .name:           _ZN7rocprim17ROCPRIM_400000_NS6detail17trampoline_kernelINS0_14default_configENS1_22reduce_config_selectorIbEEZNS1_11reduce_implILb1ES3_N6hipcub16HIPCUB_304000_NS22TransformInputIteratorIbN2at6native12_GLOBAL__N_19NonZeroOpIN3c108BFloat16EEEPKSF_lEEPiiNS8_6detail34convert_binary_result_type_wrapperINS8_3SumESJ_iEEEE10hipError_tPvRmT1_T2_T3_mT4_P12ihipStream_tbEUlT_E1_NS1_11comp_targetILNS1_3genE10ELNS1_11target_archE1200ELNS1_3gpuE4ELNS1_3repE0EEENS1_30default_config_static_selectorELNS0_4arch9wavefront6targetE0EEEvSS_
    .private_segment_fixed_size: 0
    .sgpr_count:     0
    .sgpr_spill_count: 0
    .symbol:         _ZN7rocprim17ROCPRIM_400000_NS6detail17trampoline_kernelINS0_14default_configENS1_22reduce_config_selectorIbEEZNS1_11reduce_implILb1ES3_N6hipcub16HIPCUB_304000_NS22TransformInputIteratorIbN2at6native12_GLOBAL__N_19NonZeroOpIN3c108BFloat16EEEPKSF_lEEPiiNS8_6detail34convert_binary_result_type_wrapperINS8_3SumESJ_iEEEE10hipError_tPvRmT1_T2_T3_mT4_P12ihipStream_tbEUlT_E1_NS1_11comp_targetILNS1_3genE10ELNS1_11target_archE1200ELNS1_3gpuE4ELNS1_3repE0EEENS1_30default_config_static_selectorELNS0_4arch9wavefront6targetE0EEEvSS_.kd
    .uniform_work_group_size: 1
    .uses_dynamic_stack: false
    .vgpr_count:     0
    .vgpr_spill_count: 0
    .wavefront_size: 32
    .workgroup_processor_mode: 1
  - .args:
      - .offset:         0
        .size:           48
        .value_kind:     by_value
    .group_segment_fixed_size: 144
    .kernarg_segment_align: 8
    .kernarg_segment_size: 48
    .language:       OpenCL C
    .language_version:
      - 2
      - 0
    .max_flat_workgroup_size: 128
    .name:           _ZN7rocprim17ROCPRIM_400000_NS6detail17trampoline_kernelINS0_14default_configENS1_22reduce_config_selectorIbEEZNS1_11reduce_implILb1ES3_N6hipcub16HIPCUB_304000_NS22TransformInputIteratorIbN2at6native12_GLOBAL__N_19NonZeroOpIN3c108BFloat16EEEPKSF_lEEPiiNS8_6detail34convert_binary_result_type_wrapperINS8_3SumESJ_iEEEE10hipError_tPvRmT1_T2_T3_mT4_P12ihipStream_tbEUlT_E1_NS1_11comp_targetILNS1_3genE9ELNS1_11target_archE1100ELNS1_3gpuE3ELNS1_3repE0EEENS1_30default_config_static_selectorELNS0_4arch9wavefront6targetE0EEEvSS_
    .private_segment_fixed_size: 0
    .sgpr_count:     31
    .sgpr_spill_count: 0
    .symbol:         _ZN7rocprim17ROCPRIM_400000_NS6detail17trampoline_kernelINS0_14default_configENS1_22reduce_config_selectorIbEEZNS1_11reduce_implILb1ES3_N6hipcub16HIPCUB_304000_NS22TransformInputIteratorIbN2at6native12_GLOBAL__N_19NonZeroOpIN3c108BFloat16EEEPKSF_lEEPiiNS8_6detail34convert_binary_result_type_wrapperINS8_3SumESJ_iEEEE10hipError_tPvRmT1_T2_T3_mT4_P12ihipStream_tbEUlT_E1_NS1_11comp_targetILNS1_3genE9ELNS1_11target_archE1100ELNS1_3gpuE3ELNS1_3repE0EEENS1_30default_config_static_selectorELNS0_4arch9wavefront6targetE0EEEvSS_.kd
    .uniform_work_group_size: 1
    .uses_dynamic_stack: false
    .vgpr_count:     130
    .vgpr_spill_count: 0
    .wavefront_size: 32
    .workgroup_processor_mode: 1
  - .args:
      - .offset:         0
        .size:           48
        .value_kind:     by_value
    .group_segment_fixed_size: 0
    .kernarg_segment_align: 8
    .kernarg_segment_size: 48
    .language:       OpenCL C
    .language_version:
      - 2
      - 0
    .max_flat_workgroup_size: 256
    .name:           _ZN7rocprim17ROCPRIM_400000_NS6detail17trampoline_kernelINS0_14default_configENS1_22reduce_config_selectorIbEEZNS1_11reduce_implILb1ES3_N6hipcub16HIPCUB_304000_NS22TransformInputIteratorIbN2at6native12_GLOBAL__N_19NonZeroOpIN3c108BFloat16EEEPKSF_lEEPiiNS8_6detail34convert_binary_result_type_wrapperINS8_3SumESJ_iEEEE10hipError_tPvRmT1_T2_T3_mT4_P12ihipStream_tbEUlT_E1_NS1_11comp_targetILNS1_3genE8ELNS1_11target_archE1030ELNS1_3gpuE2ELNS1_3repE0EEENS1_30default_config_static_selectorELNS0_4arch9wavefront6targetE0EEEvSS_
    .private_segment_fixed_size: 0
    .sgpr_count:     0
    .sgpr_spill_count: 0
    .symbol:         _ZN7rocprim17ROCPRIM_400000_NS6detail17trampoline_kernelINS0_14default_configENS1_22reduce_config_selectorIbEEZNS1_11reduce_implILb1ES3_N6hipcub16HIPCUB_304000_NS22TransformInputIteratorIbN2at6native12_GLOBAL__N_19NonZeroOpIN3c108BFloat16EEEPKSF_lEEPiiNS8_6detail34convert_binary_result_type_wrapperINS8_3SumESJ_iEEEE10hipError_tPvRmT1_T2_T3_mT4_P12ihipStream_tbEUlT_E1_NS1_11comp_targetILNS1_3genE8ELNS1_11target_archE1030ELNS1_3gpuE2ELNS1_3repE0EEENS1_30default_config_static_selectorELNS0_4arch9wavefront6targetE0EEEvSS_.kd
    .uniform_work_group_size: 1
    .uses_dynamic_stack: false
    .vgpr_count:     0
    .vgpr_spill_count: 0
    .wavefront_size: 32
    .workgroup_processor_mode: 1
  - .args:
      - .offset:         0
        .size:           120
        .value_kind:     by_value
    .group_segment_fixed_size: 0
    .kernarg_segment_align: 8
    .kernarg_segment_size: 120
    .language:       OpenCL C
    .language_version:
      - 2
      - 0
    .max_flat_workgroup_size: 128
    .name:           _ZN7rocprim17ROCPRIM_400000_NS6detail17trampoline_kernelINS0_14default_configENS1_25partition_config_selectorILNS1_17partition_subalgoE5ElNS0_10empty_typeEbEEZZNS1_14partition_implILS5_5ELb0ES3_mN6hipcub16HIPCUB_304000_NS21CountingInputIteratorIllEEPS6_NSA_22TransformInputIteratorIbN2at6native12_GLOBAL__N_19NonZeroOpIN3c108BFloat16EEEPKSK_lEENS0_5tupleIJPlS6_EEENSP_IJSD_SD_EEES6_PiJS6_EEE10hipError_tPvRmT3_T4_T5_T6_T7_T9_mT8_P12ihipStream_tbDpT10_ENKUlT_T0_E_clISt17integral_constantIbLb0EES1D_EEDaS18_S19_EUlS18_E_NS1_11comp_targetILNS1_3genE0ELNS1_11target_archE4294967295ELNS1_3gpuE0ELNS1_3repE0EEENS1_30default_config_static_selectorELNS0_4arch9wavefront6targetE0EEEvT1_
    .private_segment_fixed_size: 0
    .sgpr_count:     0
    .sgpr_spill_count: 0
    .symbol:         _ZN7rocprim17ROCPRIM_400000_NS6detail17trampoline_kernelINS0_14default_configENS1_25partition_config_selectorILNS1_17partition_subalgoE5ElNS0_10empty_typeEbEEZZNS1_14partition_implILS5_5ELb0ES3_mN6hipcub16HIPCUB_304000_NS21CountingInputIteratorIllEEPS6_NSA_22TransformInputIteratorIbN2at6native12_GLOBAL__N_19NonZeroOpIN3c108BFloat16EEEPKSK_lEENS0_5tupleIJPlS6_EEENSP_IJSD_SD_EEES6_PiJS6_EEE10hipError_tPvRmT3_T4_T5_T6_T7_T9_mT8_P12ihipStream_tbDpT10_ENKUlT_T0_E_clISt17integral_constantIbLb0EES1D_EEDaS18_S19_EUlS18_E_NS1_11comp_targetILNS1_3genE0ELNS1_11target_archE4294967295ELNS1_3gpuE0ELNS1_3repE0EEENS1_30default_config_static_selectorELNS0_4arch9wavefront6targetE0EEEvT1_.kd
    .uniform_work_group_size: 1
    .uses_dynamic_stack: false
    .vgpr_count:     0
    .vgpr_spill_count: 0
    .wavefront_size: 32
    .workgroup_processor_mode: 1
  - .args:
      - .offset:         0
        .size:           120
        .value_kind:     by_value
    .group_segment_fixed_size: 0
    .kernarg_segment_align: 8
    .kernarg_segment_size: 120
    .language:       OpenCL C
    .language_version:
      - 2
      - 0
    .max_flat_workgroup_size: 512
    .name:           _ZN7rocprim17ROCPRIM_400000_NS6detail17trampoline_kernelINS0_14default_configENS1_25partition_config_selectorILNS1_17partition_subalgoE5ElNS0_10empty_typeEbEEZZNS1_14partition_implILS5_5ELb0ES3_mN6hipcub16HIPCUB_304000_NS21CountingInputIteratorIllEEPS6_NSA_22TransformInputIteratorIbN2at6native12_GLOBAL__N_19NonZeroOpIN3c108BFloat16EEEPKSK_lEENS0_5tupleIJPlS6_EEENSP_IJSD_SD_EEES6_PiJS6_EEE10hipError_tPvRmT3_T4_T5_T6_T7_T9_mT8_P12ihipStream_tbDpT10_ENKUlT_T0_E_clISt17integral_constantIbLb0EES1D_EEDaS18_S19_EUlS18_E_NS1_11comp_targetILNS1_3genE5ELNS1_11target_archE942ELNS1_3gpuE9ELNS1_3repE0EEENS1_30default_config_static_selectorELNS0_4arch9wavefront6targetE0EEEvT1_
    .private_segment_fixed_size: 0
    .sgpr_count:     0
    .sgpr_spill_count: 0
    .symbol:         _ZN7rocprim17ROCPRIM_400000_NS6detail17trampoline_kernelINS0_14default_configENS1_25partition_config_selectorILNS1_17partition_subalgoE5ElNS0_10empty_typeEbEEZZNS1_14partition_implILS5_5ELb0ES3_mN6hipcub16HIPCUB_304000_NS21CountingInputIteratorIllEEPS6_NSA_22TransformInputIteratorIbN2at6native12_GLOBAL__N_19NonZeroOpIN3c108BFloat16EEEPKSK_lEENS0_5tupleIJPlS6_EEENSP_IJSD_SD_EEES6_PiJS6_EEE10hipError_tPvRmT3_T4_T5_T6_T7_T9_mT8_P12ihipStream_tbDpT10_ENKUlT_T0_E_clISt17integral_constantIbLb0EES1D_EEDaS18_S19_EUlS18_E_NS1_11comp_targetILNS1_3genE5ELNS1_11target_archE942ELNS1_3gpuE9ELNS1_3repE0EEENS1_30default_config_static_selectorELNS0_4arch9wavefront6targetE0EEEvT1_.kd
    .uniform_work_group_size: 1
    .uses_dynamic_stack: false
    .vgpr_count:     0
    .vgpr_spill_count: 0
    .wavefront_size: 32
    .workgroup_processor_mode: 1
  - .args:
      - .offset:         0
        .size:           120
        .value_kind:     by_value
    .group_segment_fixed_size: 0
    .kernarg_segment_align: 8
    .kernarg_segment_size: 120
    .language:       OpenCL C
    .language_version:
      - 2
      - 0
    .max_flat_workgroup_size: 192
    .name:           _ZN7rocprim17ROCPRIM_400000_NS6detail17trampoline_kernelINS0_14default_configENS1_25partition_config_selectorILNS1_17partition_subalgoE5ElNS0_10empty_typeEbEEZZNS1_14partition_implILS5_5ELb0ES3_mN6hipcub16HIPCUB_304000_NS21CountingInputIteratorIllEEPS6_NSA_22TransformInputIteratorIbN2at6native12_GLOBAL__N_19NonZeroOpIN3c108BFloat16EEEPKSK_lEENS0_5tupleIJPlS6_EEENSP_IJSD_SD_EEES6_PiJS6_EEE10hipError_tPvRmT3_T4_T5_T6_T7_T9_mT8_P12ihipStream_tbDpT10_ENKUlT_T0_E_clISt17integral_constantIbLb0EES1D_EEDaS18_S19_EUlS18_E_NS1_11comp_targetILNS1_3genE4ELNS1_11target_archE910ELNS1_3gpuE8ELNS1_3repE0EEENS1_30default_config_static_selectorELNS0_4arch9wavefront6targetE0EEEvT1_
    .private_segment_fixed_size: 0
    .sgpr_count:     0
    .sgpr_spill_count: 0
    .symbol:         _ZN7rocprim17ROCPRIM_400000_NS6detail17trampoline_kernelINS0_14default_configENS1_25partition_config_selectorILNS1_17partition_subalgoE5ElNS0_10empty_typeEbEEZZNS1_14partition_implILS5_5ELb0ES3_mN6hipcub16HIPCUB_304000_NS21CountingInputIteratorIllEEPS6_NSA_22TransformInputIteratorIbN2at6native12_GLOBAL__N_19NonZeroOpIN3c108BFloat16EEEPKSK_lEENS0_5tupleIJPlS6_EEENSP_IJSD_SD_EEES6_PiJS6_EEE10hipError_tPvRmT3_T4_T5_T6_T7_T9_mT8_P12ihipStream_tbDpT10_ENKUlT_T0_E_clISt17integral_constantIbLb0EES1D_EEDaS18_S19_EUlS18_E_NS1_11comp_targetILNS1_3genE4ELNS1_11target_archE910ELNS1_3gpuE8ELNS1_3repE0EEENS1_30default_config_static_selectorELNS0_4arch9wavefront6targetE0EEEvT1_.kd
    .uniform_work_group_size: 1
    .uses_dynamic_stack: false
    .vgpr_count:     0
    .vgpr_spill_count: 0
    .wavefront_size: 32
    .workgroup_processor_mode: 1
  - .args:
      - .offset:         0
        .size:           120
        .value_kind:     by_value
    .group_segment_fixed_size: 0
    .kernarg_segment_align: 8
    .kernarg_segment_size: 120
    .language:       OpenCL C
    .language_version:
      - 2
      - 0
    .max_flat_workgroup_size: 128
    .name:           _ZN7rocprim17ROCPRIM_400000_NS6detail17trampoline_kernelINS0_14default_configENS1_25partition_config_selectorILNS1_17partition_subalgoE5ElNS0_10empty_typeEbEEZZNS1_14partition_implILS5_5ELb0ES3_mN6hipcub16HIPCUB_304000_NS21CountingInputIteratorIllEEPS6_NSA_22TransformInputIteratorIbN2at6native12_GLOBAL__N_19NonZeroOpIN3c108BFloat16EEEPKSK_lEENS0_5tupleIJPlS6_EEENSP_IJSD_SD_EEES6_PiJS6_EEE10hipError_tPvRmT3_T4_T5_T6_T7_T9_mT8_P12ihipStream_tbDpT10_ENKUlT_T0_E_clISt17integral_constantIbLb0EES1D_EEDaS18_S19_EUlS18_E_NS1_11comp_targetILNS1_3genE3ELNS1_11target_archE908ELNS1_3gpuE7ELNS1_3repE0EEENS1_30default_config_static_selectorELNS0_4arch9wavefront6targetE0EEEvT1_
    .private_segment_fixed_size: 0
    .sgpr_count:     0
    .sgpr_spill_count: 0
    .symbol:         _ZN7rocprim17ROCPRIM_400000_NS6detail17trampoline_kernelINS0_14default_configENS1_25partition_config_selectorILNS1_17partition_subalgoE5ElNS0_10empty_typeEbEEZZNS1_14partition_implILS5_5ELb0ES3_mN6hipcub16HIPCUB_304000_NS21CountingInputIteratorIllEEPS6_NSA_22TransformInputIteratorIbN2at6native12_GLOBAL__N_19NonZeroOpIN3c108BFloat16EEEPKSK_lEENS0_5tupleIJPlS6_EEENSP_IJSD_SD_EEES6_PiJS6_EEE10hipError_tPvRmT3_T4_T5_T6_T7_T9_mT8_P12ihipStream_tbDpT10_ENKUlT_T0_E_clISt17integral_constantIbLb0EES1D_EEDaS18_S19_EUlS18_E_NS1_11comp_targetILNS1_3genE3ELNS1_11target_archE908ELNS1_3gpuE7ELNS1_3repE0EEENS1_30default_config_static_selectorELNS0_4arch9wavefront6targetE0EEEvT1_.kd
    .uniform_work_group_size: 1
    .uses_dynamic_stack: false
    .vgpr_count:     0
    .vgpr_spill_count: 0
    .wavefront_size: 32
    .workgroup_processor_mode: 1
  - .args:
      - .offset:         0
        .size:           120
        .value_kind:     by_value
    .group_segment_fixed_size: 0
    .kernarg_segment_align: 8
    .kernarg_segment_size: 120
    .language:       OpenCL C
    .language_version:
      - 2
      - 0
    .max_flat_workgroup_size: 256
    .name:           _ZN7rocprim17ROCPRIM_400000_NS6detail17trampoline_kernelINS0_14default_configENS1_25partition_config_selectorILNS1_17partition_subalgoE5ElNS0_10empty_typeEbEEZZNS1_14partition_implILS5_5ELb0ES3_mN6hipcub16HIPCUB_304000_NS21CountingInputIteratorIllEEPS6_NSA_22TransformInputIteratorIbN2at6native12_GLOBAL__N_19NonZeroOpIN3c108BFloat16EEEPKSK_lEENS0_5tupleIJPlS6_EEENSP_IJSD_SD_EEES6_PiJS6_EEE10hipError_tPvRmT3_T4_T5_T6_T7_T9_mT8_P12ihipStream_tbDpT10_ENKUlT_T0_E_clISt17integral_constantIbLb0EES1D_EEDaS18_S19_EUlS18_E_NS1_11comp_targetILNS1_3genE2ELNS1_11target_archE906ELNS1_3gpuE6ELNS1_3repE0EEENS1_30default_config_static_selectorELNS0_4arch9wavefront6targetE0EEEvT1_
    .private_segment_fixed_size: 0
    .sgpr_count:     0
    .sgpr_spill_count: 0
    .symbol:         _ZN7rocprim17ROCPRIM_400000_NS6detail17trampoline_kernelINS0_14default_configENS1_25partition_config_selectorILNS1_17partition_subalgoE5ElNS0_10empty_typeEbEEZZNS1_14partition_implILS5_5ELb0ES3_mN6hipcub16HIPCUB_304000_NS21CountingInputIteratorIllEEPS6_NSA_22TransformInputIteratorIbN2at6native12_GLOBAL__N_19NonZeroOpIN3c108BFloat16EEEPKSK_lEENS0_5tupleIJPlS6_EEENSP_IJSD_SD_EEES6_PiJS6_EEE10hipError_tPvRmT3_T4_T5_T6_T7_T9_mT8_P12ihipStream_tbDpT10_ENKUlT_T0_E_clISt17integral_constantIbLb0EES1D_EEDaS18_S19_EUlS18_E_NS1_11comp_targetILNS1_3genE2ELNS1_11target_archE906ELNS1_3gpuE6ELNS1_3repE0EEENS1_30default_config_static_selectorELNS0_4arch9wavefront6targetE0EEEvT1_.kd
    .uniform_work_group_size: 1
    .uses_dynamic_stack: false
    .vgpr_count:     0
    .vgpr_spill_count: 0
    .wavefront_size: 32
    .workgroup_processor_mode: 1
  - .args:
      - .offset:         0
        .size:           120
        .value_kind:     by_value
    .group_segment_fixed_size: 0
    .kernarg_segment_align: 8
    .kernarg_segment_size: 120
    .language:       OpenCL C
    .language_version:
      - 2
      - 0
    .max_flat_workgroup_size: 256
    .name:           _ZN7rocprim17ROCPRIM_400000_NS6detail17trampoline_kernelINS0_14default_configENS1_25partition_config_selectorILNS1_17partition_subalgoE5ElNS0_10empty_typeEbEEZZNS1_14partition_implILS5_5ELb0ES3_mN6hipcub16HIPCUB_304000_NS21CountingInputIteratorIllEEPS6_NSA_22TransformInputIteratorIbN2at6native12_GLOBAL__N_19NonZeroOpIN3c108BFloat16EEEPKSK_lEENS0_5tupleIJPlS6_EEENSP_IJSD_SD_EEES6_PiJS6_EEE10hipError_tPvRmT3_T4_T5_T6_T7_T9_mT8_P12ihipStream_tbDpT10_ENKUlT_T0_E_clISt17integral_constantIbLb0EES1D_EEDaS18_S19_EUlS18_E_NS1_11comp_targetILNS1_3genE10ELNS1_11target_archE1200ELNS1_3gpuE4ELNS1_3repE0EEENS1_30default_config_static_selectorELNS0_4arch9wavefront6targetE0EEEvT1_
    .private_segment_fixed_size: 0
    .sgpr_count:     0
    .sgpr_spill_count: 0
    .symbol:         _ZN7rocprim17ROCPRIM_400000_NS6detail17trampoline_kernelINS0_14default_configENS1_25partition_config_selectorILNS1_17partition_subalgoE5ElNS0_10empty_typeEbEEZZNS1_14partition_implILS5_5ELb0ES3_mN6hipcub16HIPCUB_304000_NS21CountingInputIteratorIllEEPS6_NSA_22TransformInputIteratorIbN2at6native12_GLOBAL__N_19NonZeroOpIN3c108BFloat16EEEPKSK_lEENS0_5tupleIJPlS6_EEENSP_IJSD_SD_EEES6_PiJS6_EEE10hipError_tPvRmT3_T4_T5_T6_T7_T9_mT8_P12ihipStream_tbDpT10_ENKUlT_T0_E_clISt17integral_constantIbLb0EES1D_EEDaS18_S19_EUlS18_E_NS1_11comp_targetILNS1_3genE10ELNS1_11target_archE1200ELNS1_3gpuE4ELNS1_3repE0EEENS1_30default_config_static_selectorELNS0_4arch9wavefront6targetE0EEEvT1_.kd
    .uniform_work_group_size: 1
    .uses_dynamic_stack: false
    .vgpr_count:     0
    .vgpr_spill_count: 0
    .wavefront_size: 32
    .workgroup_processor_mode: 1
  - .args:
      - .offset:         0
        .size:           120
        .value_kind:     by_value
    .group_segment_fixed_size: 6160
    .kernarg_segment_align: 8
    .kernarg_segment_size: 120
    .language:       OpenCL C
    .language_version:
      - 2
      - 0
    .max_flat_workgroup_size: 128
    .name:           _ZN7rocprim17ROCPRIM_400000_NS6detail17trampoline_kernelINS0_14default_configENS1_25partition_config_selectorILNS1_17partition_subalgoE5ElNS0_10empty_typeEbEEZZNS1_14partition_implILS5_5ELb0ES3_mN6hipcub16HIPCUB_304000_NS21CountingInputIteratorIllEEPS6_NSA_22TransformInputIteratorIbN2at6native12_GLOBAL__N_19NonZeroOpIN3c108BFloat16EEEPKSK_lEENS0_5tupleIJPlS6_EEENSP_IJSD_SD_EEES6_PiJS6_EEE10hipError_tPvRmT3_T4_T5_T6_T7_T9_mT8_P12ihipStream_tbDpT10_ENKUlT_T0_E_clISt17integral_constantIbLb0EES1D_EEDaS18_S19_EUlS18_E_NS1_11comp_targetILNS1_3genE9ELNS1_11target_archE1100ELNS1_3gpuE3ELNS1_3repE0EEENS1_30default_config_static_selectorELNS0_4arch9wavefront6targetE0EEEvT1_
    .private_segment_fixed_size: 0
    .sgpr_count:     23
    .sgpr_spill_count: 0
    .symbol:         _ZN7rocprim17ROCPRIM_400000_NS6detail17trampoline_kernelINS0_14default_configENS1_25partition_config_selectorILNS1_17partition_subalgoE5ElNS0_10empty_typeEbEEZZNS1_14partition_implILS5_5ELb0ES3_mN6hipcub16HIPCUB_304000_NS21CountingInputIteratorIllEEPS6_NSA_22TransformInputIteratorIbN2at6native12_GLOBAL__N_19NonZeroOpIN3c108BFloat16EEEPKSK_lEENS0_5tupleIJPlS6_EEENSP_IJSD_SD_EEES6_PiJS6_EEE10hipError_tPvRmT3_T4_T5_T6_T7_T9_mT8_P12ihipStream_tbDpT10_ENKUlT_T0_E_clISt17integral_constantIbLb0EES1D_EEDaS18_S19_EUlS18_E_NS1_11comp_targetILNS1_3genE9ELNS1_11target_archE1100ELNS1_3gpuE3ELNS1_3repE0EEENS1_30default_config_static_selectorELNS0_4arch9wavefront6targetE0EEEvT1_.kd
    .uniform_work_group_size: 1
    .uses_dynamic_stack: false
    .vgpr_count:     57
    .vgpr_spill_count: 0
    .wavefront_size: 32
    .workgroup_processor_mode: 1
  - .args:
      - .offset:         0
        .size:           120
        .value_kind:     by_value
    .group_segment_fixed_size: 0
    .kernarg_segment_align: 8
    .kernarg_segment_size: 120
    .language:       OpenCL C
    .language_version:
      - 2
      - 0
    .max_flat_workgroup_size: 512
    .name:           _ZN7rocprim17ROCPRIM_400000_NS6detail17trampoline_kernelINS0_14default_configENS1_25partition_config_selectorILNS1_17partition_subalgoE5ElNS0_10empty_typeEbEEZZNS1_14partition_implILS5_5ELb0ES3_mN6hipcub16HIPCUB_304000_NS21CountingInputIteratorIllEEPS6_NSA_22TransformInputIteratorIbN2at6native12_GLOBAL__N_19NonZeroOpIN3c108BFloat16EEEPKSK_lEENS0_5tupleIJPlS6_EEENSP_IJSD_SD_EEES6_PiJS6_EEE10hipError_tPvRmT3_T4_T5_T6_T7_T9_mT8_P12ihipStream_tbDpT10_ENKUlT_T0_E_clISt17integral_constantIbLb0EES1D_EEDaS18_S19_EUlS18_E_NS1_11comp_targetILNS1_3genE8ELNS1_11target_archE1030ELNS1_3gpuE2ELNS1_3repE0EEENS1_30default_config_static_selectorELNS0_4arch9wavefront6targetE0EEEvT1_
    .private_segment_fixed_size: 0
    .sgpr_count:     0
    .sgpr_spill_count: 0
    .symbol:         _ZN7rocprim17ROCPRIM_400000_NS6detail17trampoline_kernelINS0_14default_configENS1_25partition_config_selectorILNS1_17partition_subalgoE5ElNS0_10empty_typeEbEEZZNS1_14partition_implILS5_5ELb0ES3_mN6hipcub16HIPCUB_304000_NS21CountingInputIteratorIllEEPS6_NSA_22TransformInputIteratorIbN2at6native12_GLOBAL__N_19NonZeroOpIN3c108BFloat16EEEPKSK_lEENS0_5tupleIJPlS6_EEENSP_IJSD_SD_EEES6_PiJS6_EEE10hipError_tPvRmT3_T4_T5_T6_T7_T9_mT8_P12ihipStream_tbDpT10_ENKUlT_T0_E_clISt17integral_constantIbLb0EES1D_EEDaS18_S19_EUlS18_E_NS1_11comp_targetILNS1_3genE8ELNS1_11target_archE1030ELNS1_3gpuE2ELNS1_3repE0EEENS1_30default_config_static_selectorELNS0_4arch9wavefront6targetE0EEEvT1_.kd
    .uniform_work_group_size: 1
    .uses_dynamic_stack: false
    .vgpr_count:     0
    .vgpr_spill_count: 0
    .wavefront_size: 32
    .workgroup_processor_mode: 1
  - .args:
      - .offset:         0
        .size:           136
        .value_kind:     by_value
    .group_segment_fixed_size: 0
    .kernarg_segment_align: 8
    .kernarg_segment_size: 136
    .language:       OpenCL C
    .language_version:
      - 2
      - 0
    .max_flat_workgroup_size: 128
    .name:           _ZN7rocprim17ROCPRIM_400000_NS6detail17trampoline_kernelINS0_14default_configENS1_25partition_config_selectorILNS1_17partition_subalgoE5ElNS0_10empty_typeEbEEZZNS1_14partition_implILS5_5ELb0ES3_mN6hipcub16HIPCUB_304000_NS21CountingInputIteratorIllEEPS6_NSA_22TransformInputIteratorIbN2at6native12_GLOBAL__N_19NonZeroOpIN3c108BFloat16EEEPKSK_lEENS0_5tupleIJPlS6_EEENSP_IJSD_SD_EEES6_PiJS6_EEE10hipError_tPvRmT3_T4_T5_T6_T7_T9_mT8_P12ihipStream_tbDpT10_ENKUlT_T0_E_clISt17integral_constantIbLb1EES1D_EEDaS18_S19_EUlS18_E_NS1_11comp_targetILNS1_3genE0ELNS1_11target_archE4294967295ELNS1_3gpuE0ELNS1_3repE0EEENS1_30default_config_static_selectorELNS0_4arch9wavefront6targetE0EEEvT1_
    .private_segment_fixed_size: 0
    .sgpr_count:     0
    .sgpr_spill_count: 0
    .symbol:         _ZN7rocprim17ROCPRIM_400000_NS6detail17trampoline_kernelINS0_14default_configENS1_25partition_config_selectorILNS1_17partition_subalgoE5ElNS0_10empty_typeEbEEZZNS1_14partition_implILS5_5ELb0ES3_mN6hipcub16HIPCUB_304000_NS21CountingInputIteratorIllEEPS6_NSA_22TransformInputIteratorIbN2at6native12_GLOBAL__N_19NonZeroOpIN3c108BFloat16EEEPKSK_lEENS0_5tupleIJPlS6_EEENSP_IJSD_SD_EEES6_PiJS6_EEE10hipError_tPvRmT3_T4_T5_T6_T7_T9_mT8_P12ihipStream_tbDpT10_ENKUlT_T0_E_clISt17integral_constantIbLb1EES1D_EEDaS18_S19_EUlS18_E_NS1_11comp_targetILNS1_3genE0ELNS1_11target_archE4294967295ELNS1_3gpuE0ELNS1_3repE0EEENS1_30default_config_static_selectorELNS0_4arch9wavefront6targetE0EEEvT1_.kd
    .uniform_work_group_size: 1
    .uses_dynamic_stack: false
    .vgpr_count:     0
    .vgpr_spill_count: 0
    .wavefront_size: 32
    .workgroup_processor_mode: 1
  - .args:
      - .offset:         0
        .size:           136
        .value_kind:     by_value
    .group_segment_fixed_size: 0
    .kernarg_segment_align: 8
    .kernarg_segment_size: 136
    .language:       OpenCL C
    .language_version:
      - 2
      - 0
    .max_flat_workgroup_size: 512
    .name:           _ZN7rocprim17ROCPRIM_400000_NS6detail17trampoline_kernelINS0_14default_configENS1_25partition_config_selectorILNS1_17partition_subalgoE5ElNS0_10empty_typeEbEEZZNS1_14partition_implILS5_5ELb0ES3_mN6hipcub16HIPCUB_304000_NS21CountingInputIteratorIllEEPS6_NSA_22TransformInputIteratorIbN2at6native12_GLOBAL__N_19NonZeroOpIN3c108BFloat16EEEPKSK_lEENS0_5tupleIJPlS6_EEENSP_IJSD_SD_EEES6_PiJS6_EEE10hipError_tPvRmT3_T4_T5_T6_T7_T9_mT8_P12ihipStream_tbDpT10_ENKUlT_T0_E_clISt17integral_constantIbLb1EES1D_EEDaS18_S19_EUlS18_E_NS1_11comp_targetILNS1_3genE5ELNS1_11target_archE942ELNS1_3gpuE9ELNS1_3repE0EEENS1_30default_config_static_selectorELNS0_4arch9wavefront6targetE0EEEvT1_
    .private_segment_fixed_size: 0
    .sgpr_count:     0
    .sgpr_spill_count: 0
    .symbol:         _ZN7rocprim17ROCPRIM_400000_NS6detail17trampoline_kernelINS0_14default_configENS1_25partition_config_selectorILNS1_17partition_subalgoE5ElNS0_10empty_typeEbEEZZNS1_14partition_implILS5_5ELb0ES3_mN6hipcub16HIPCUB_304000_NS21CountingInputIteratorIllEEPS6_NSA_22TransformInputIteratorIbN2at6native12_GLOBAL__N_19NonZeroOpIN3c108BFloat16EEEPKSK_lEENS0_5tupleIJPlS6_EEENSP_IJSD_SD_EEES6_PiJS6_EEE10hipError_tPvRmT3_T4_T5_T6_T7_T9_mT8_P12ihipStream_tbDpT10_ENKUlT_T0_E_clISt17integral_constantIbLb1EES1D_EEDaS18_S19_EUlS18_E_NS1_11comp_targetILNS1_3genE5ELNS1_11target_archE942ELNS1_3gpuE9ELNS1_3repE0EEENS1_30default_config_static_selectorELNS0_4arch9wavefront6targetE0EEEvT1_.kd
    .uniform_work_group_size: 1
    .uses_dynamic_stack: false
    .vgpr_count:     0
    .vgpr_spill_count: 0
    .wavefront_size: 32
    .workgroup_processor_mode: 1
  - .args:
      - .offset:         0
        .size:           136
        .value_kind:     by_value
    .group_segment_fixed_size: 0
    .kernarg_segment_align: 8
    .kernarg_segment_size: 136
    .language:       OpenCL C
    .language_version:
      - 2
      - 0
    .max_flat_workgroup_size: 192
    .name:           _ZN7rocprim17ROCPRIM_400000_NS6detail17trampoline_kernelINS0_14default_configENS1_25partition_config_selectorILNS1_17partition_subalgoE5ElNS0_10empty_typeEbEEZZNS1_14partition_implILS5_5ELb0ES3_mN6hipcub16HIPCUB_304000_NS21CountingInputIteratorIllEEPS6_NSA_22TransformInputIteratorIbN2at6native12_GLOBAL__N_19NonZeroOpIN3c108BFloat16EEEPKSK_lEENS0_5tupleIJPlS6_EEENSP_IJSD_SD_EEES6_PiJS6_EEE10hipError_tPvRmT3_T4_T5_T6_T7_T9_mT8_P12ihipStream_tbDpT10_ENKUlT_T0_E_clISt17integral_constantIbLb1EES1D_EEDaS18_S19_EUlS18_E_NS1_11comp_targetILNS1_3genE4ELNS1_11target_archE910ELNS1_3gpuE8ELNS1_3repE0EEENS1_30default_config_static_selectorELNS0_4arch9wavefront6targetE0EEEvT1_
    .private_segment_fixed_size: 0
    .sgpr_count:     0
    .sgpr_spill_count: 0
    .symbol:         _ZN7rocprim17ROCPRIM_400000_NS6detail17trampoline_kernelINS0_14default_configENS1_25partition_config_selectorILNS1_17partition_subalgoE5ElNS0_10empty_typeEbEEZZNS1_14partition_implILS5_5ELb0ES3_mN6hipcub16HIPCUB_304000_NS21CountingInputIteratorIllEEPS6_NSA_22TransformInputIteratorIbN2at6native12_GLOBAL__N_19NonZeroOpIN3c108BFloat16EEEPKSK_lEENS0_5tupleIJPlS6_EEENSP_IJSD_SD_EEES6_PiJS6_EEE10hipError_tPvRmT3_T4_T5_T6_T7_T9_mT8_P12ihipStream_tbDpT10_ENKUlT_T0_E_clISt17integral_constantIbLb1EES1D_EEDaS18_S19_EUlS18_E_NS1_11comp_targetILNS1_3genE4ELNS1_11target_archE910ELNS1_3gpuE8ELNS1_3repE0EEENS1_30default_config_static_selectorELNS0_4arch9wavefront6targetE0EEEvT1_.kd
    .uniform_work_group_size: 1
    .uses_dynamic_stack: false
    .vgpr_count:     0
    .vgpr_spill_count: 0
    .wavefront_size: 32
    .workgroup_processor_mode: 1
  - .args:
      - .offset:         0
        .size:           136
        .value_kind:     by_value
    .group_segment_fixed_size: 0
    .kernarg_segment_align: 8
    .kernarg_segment_size: 136
    .language:       OpenCL C
    .language_version:
      - 2
      - 0
    .max_flat_workgroup_size: 128
    .name:           _ZN7rocprim17ROCPRIM_400000_NS6detail17trampoline_kernelINS0_14default_configENS1_25partition_config_selectorILNS1_17partition_subalgoE5ElNS0_10empty_typeEbEEZZNS1_14partition_implILS5_5ELb0ES3_mN6hipcub16HIPCUB_304000_NS21CountingInputIteratorIllEEPS6_NSA_22TransformInputIteratorIbN2at6native12_GLOBAL__N_19NonZeroOpIN3c108BFloat16EEEPKSK_lEENS0_5tupleIJPlS6_EEENSP_IJSD_SD_EEES6_PiJS6_EEE10hipError_tPvRmT3_T4_T5_T6_T7_T9_mT8_P12ihipStream_tbDpT10_ENKUlT_T0_E_clISt17integral_constantIbLb1EES1D_EEDaS18_S19_EUlS18_E_NS1_11comp_targetILNS1_3genE3ELNS1_11target_archE908ELNS1_3gpuE7ELNS1_3repE0EEENS1_30default_config_static_selectorELNS0_4arch9wavefront6targetE0EEEvT1_
    .private_segment_fixed_size: 0
    .sgpr_count:     0
    .sgpr_spill_count: 0
    .symbol:         _ZN7rocprim17ROCPRIM_400000_NS6detail17trampoline_kernelINS0_14default_configENS1_25partition_config_selectorILNS1_17partition_subalgoE5ElNS0_10empty_typeEbEEZZNS1_14partition_implILS5_5ELb0ES3_mN6hipcub16HIPCUB_304000_NS21CountingInputIteratorIllEEPS6_NSA_22TransformInputIteratorIbN2at6native12_GLOBAL__N_19NonZeroOpIN3c108BFloat16EEEPKSK_lEENS0_5tupleIJPlS6_EEENSP_IJSD_SD_EEES6_PiJS6_EEE10hipError_tPvRmT3_T4_T5_T6_T7_T9_mT8_P12ihipStream_tbDpT10_ENKUlT_T0_E_clISt17integral_constantIbLb1EES1D_EEDaS18_S19_EUlS18_E_NS1_11comp_targetILNS1_3genE3ELNS1_11target_archE908ELNS1_3gpuE7ELNS1_3repE0EEENS1_30default_config_static_selectorELNS0_4arch9wavefront6targetE0EEEvT1_.kd
    .uniform_work_group_size: 1
    .uses_dynamic_stack: false
    .vgpr_count:     0
    .vgpr_spill_count: 0
    .wavefront_size: 32
    .workgroup_processor_mode: 1
  - .args:
      - .offset:         0
        .size:           136
        .value_kind:     by_value
    .group_segment_fixed_size: 0
    .kernarg_segment_align: 8
    .kernarg_segment_size: 136
    .language:       OpenCL C
    .language_version:
      - 2
      - 0
    .max_flat_workgroup_size: 256
    .name:           _ZN7rocprim17ROCPRIM_400000_NS6detail17trampoline_kernelINS0_14default_configENS1_25partition_config_selectorILNS1_17partition_subalgoE5ElNS0_10empty_typeEbEEZZNS1_14partition_implILS5_5ELb0ES3_mN6hipcub16HIPCUB_304000_NS21CountingInputIteratorIllEEPS6_NSA_22TransformInputIteratorIbN2at6native12_GLOBAL__N_19NonZeroOpIN3c108BFloat16EEEPKSK_lEENS0_5tupleIJPlS6_EEENSP_IJSD_SD_EEES6_PiJS6_EEE10hipError_tPvRmT3_T4_T5_T6_T7_T9_mT8_P12ihipStream_tbDpT10_ENKUlT_T0_E_clISt17integral_constantIbLb1EES1D_EEDaS18_S19_EUlS18_E_NS1_11comp_targetILNS1_3genE2ELNS1_11target_archE906ELNS1_3gpuE6ELNS1_3repE0EEENS1_30default_config_static_selectorELNS0_4arch9wavefront6targetE0EEEvT1_
    .private_segment_fixed_size: 0
    .sgpr_count:     0
    .sgpr_spill_count: 0
    .symbol:         _ZN7rocprim17ROCPRIM_400000_NS6detail17trampoline_kernelINS0_14default_configENS1_25partition_config_selectorILNS1_17partition_subalgoE5ElNS0_10empty_typeEbEEZZNS1_14partition_implILS5_5ELb0ES3_mN6hipcub16HIPCUB_304000_NS21CountingInputIteratorIllEEPS6_NSA_22TransformInputIteratorIbN2at6native12_GLOBAL__N_19NonZeroOpIN3c108BFloat16EEEPKSK_lEENS0_5tupleIJPlS6_EEENSP_IJSD_SD_EEES6_PiJS6_EEE10hipError_tPvRmT3_T4_T5_T6_T7_T9_mT8_P12ihipStream_tbDpT10_ENKUlT_T0_E_clISt17integral_constantIbLb1EES1D_EEDaS18_S19_EUlS18_E_NS1_11comp_targetILNS1_3genE2ELNS1_11target_archE906ELNS1_3gpuE6ELNS1_3repE0EEENS1_30default_config_static_selectorELNS0_4arch9wavefront6targetE0EEEvT1_.kd
    .uniform_work_group_size: 1
    .uses_dynamic_stack: false
    .vgpr_count:     0
    .vgpr_spill_count: 0
    .wavefront_size: 32
    .workgroup_processor_mode: 1
  - .args:
      - .offset:         0
        .size:           136
        .value_kind:     by_value
    .group_segment_fixed_size: 0
    .kernarg_segment_align: 8
    .kernarg_segment_size: 136
    .language:       OpenCL C
    .language_version:
      - 2
      - 0
    .max_flat_workgroup_size: 256
    .name:           _ZN7rocprim17ROCPRIM_400000_NS6detail17trampoline_kernelINS0_14default_configENS1_25partition_config_selectorILNS1_17partition_subalgoE5ElNS0_10empty_typeEbEEZZNS1_14partition_implILS5_5ELb0ES3_mN6hipcub16HIPCUB_304000_NS21CountingInputIteratorIllEEPS6_NSA_22TransformInputIteratorIbN2at6native12_GLOBAL__N_19NonZeroOpIN3c108BFloat16EEEPKSK_lEENS0_5tupleIJPlS6_EEENSP_IJSD_SD_EEES6_PiJS6_EEE10hipError_tPvRmT3_T4_T5_T6_T7_T9_mT8_P12ihipStream_tbDpT10_ENKUlT_T0_E_clISt17integral_constantIbLb1EES1D_EEDaS18_S19_EUlS18_E_NS1_11comp_targetILNS1_3genE10ELNS1_11target_archE1200ELNS1_3gpuE4ELNS1_3repE0EEENS1_30default_config_static_selectorELNS0_4arch9wavefront6targetE0EEEvT1_
    .private_segment_fixed_size: 0
    .sgpr_count:     0
    .sgpr_spill_count: 0
    .symbol:         _ZN7rocprim17ROCPRIM_400000_NS6detail17trampoline_kernelINS0_14default_configENS1_25partition_config_selectorILNS1_17partition_subalgoE5ElNS0_10empty_typeEbEEZZNS1_14partition_implILS5_5ELb0ES3_mN6hipcub16HIPCUB_304000_NS21CountingInputIteratorIllEEPS6_NSA_22TransformInputIteratorIbN2at6native12_GLOBAL__N_19NonZeroOpIN3c108BFloat16EEEPKSK_lEENS0_5tupleIJPlS6_EEENSP_IJSD_SD_EEES6_PiJS6_EEE10hipError_tPvRmT3_T4_T5_T6_T7_T9_mT8_P12ihipStream_tbDpT10_ENKUlT_T0_E_clISt17integral_constantIbLb1EES1D_EEDaS18_S19_EUlS18_E_NS1_11comp_targetILNS1_3genE10ELNS1_11target_archE1200ELNS1_3gpuE4ELNS1_3repE0EEENS1_30default_config_static_selectorELNS0_4arch9wavefront6targetE0EEEvT1_.kd
    .uniform_work_group_size: 1
    .uses_dynamic_stack: false
    .vgpr_count:     0
    .vgpr_spill_count: 0
    .wavefront_size: 32
    .workgroup_processor_mode: 1
  - .args:
      - .offset:         0
        .size:           136
        .value_kind:     by_value
    .group_segment_fixed_size: 6160
    .kernarg_segment_align: 8
    .kernarg_segment_size: 136
    .language:       OpenCL C
    .language_version:
      - 2
      - 0
    .max_flat_workgroup_size: 128
    .name:           _ZN7rocprim17ROCPRIM_400000_NS6detail17trampoline_kernelINS0_14default_configENS1_25partition_config_selectorILNS1_17partition_subalgoE5ElNS0_10empty_typeEbEEZZNS1_14partition_implILS5_5ELb0ES3_mN6hipcub16HIPCUB_304000_NS21CountingInputIteratorIllEEPS6_NSA_22TransformInputIteratorIbN2at6native12_GLOBAL__N_19NonZeroOpIN3c108BFloat16EEEPKSK_lEENS0_5tupleIJPlS6_EEENSP_IJSD_SD_EEES6_PiJS6_EEE10hipError_tPvRmT3_T4_T5_T6_T7_T9_mT8_P12ihipStream_tbDpT10_ENKUlT_T0_E_clISt17integral_constantIbLb1EES1D_EEDaS18_S19_EUlS18_E_NS1_11comp_targetILNS1_3genE9ELNS1_11target_archE1100ELNS1_3gpuE3ELNS1_3repE0EEENS1_30default_config_static_selectorELNS0_4arch9wavefront6targetE0EEEvT1_
    .private_segment_fixed_size: 0
    .sgpr_count:     26
    .sgpr_spill_count: 0
    .symbol:         _ZN7rocprim17ROCPRIM_400000_NS6detail17trampoline_kernelINS0_14default_configENS1_25partition_config_selectorILNS1_17partition_subalgoE5ElNS0_10empty_typeEbEEZZNS1_14partition_implILS5_5ELb0ES3_mN6hipcub16HIPCUB_304000_NS21CountingInputIteratorIllEEPS6_NSA_22TransformInputIteratorIbN2at6native12_GLOBAL__N_19NonZeroOpIN3c108BFloat16EEEPKSK_lEENS0_5tupleIJPlS6_EEENSP_IJSD_SD_EEES6_PiJS6_EEE10hipError_tPvRmT3_T4_T5_T6_T7_T9_mT8_P12ihipStream_tbDpT10_ENKUlT_T0_E_clISt17integral_constantIbLb1EES1D_EEDaS18_S19_EUlS18_E_NS1_11comp_targetILNS1_3genE9ELNS1_11target_archE1100ELNS1_3gpuE3ELNS1_3repE0EEENS1_30default_config_static_selectorELNS0_4arch9wavefront6targetE0EEEvT1_.kd
    .uniform_work_group_size: 1
    .uses_dynamic_stack: false
    .vgpr_count:     57
    .vgpr_spill_count: 0
    .wavefront_size: 32
    .workgroup_processor_mode: 1
  - .args:
      - .offset:         0
        .size:           136
        .value_kind:     by_value
    .group_segment_fixed_size: 0
    .kernarg_segment_align: 8
    .kernarg_segment_size: 136
    .language:       OpenCL C
    .language_version:
      - 2
      - 0
    .max_flat_workgroup_size: 512
    .name:           _ZN7rocprim17ROCPRIM_400000_NS6detail17trampoline_kernelINS0_14default_configENS1_25partition_config_selectorILNS1_17partition_subalgoE5ElNS0_10empty_typeEbEEZZNS1_14partition_implILS5_5ELb0ES3_mN6hipcub16HIPCUB_304000_NS21CountingInputIteratorIllEEPS6_NSA_22TransformInputIteratorIbN2at6native12_GLOBAL__N_19NonZeroOpIN3c108BFloat16EEEPKSK_lEENS0_5tupleIJPlS6_EEENSP_IJSD_SD_EEES6_PiJS6_EEE10hipError_tPvRmT3_T4_T5_T6_T7_T9_mT8_P12ihipStream_tbDpT10_ENKUlT_T0_E_clISt17integral_constantIbLb1EES1D_EEDaS18_S19_EUlS18_E_NS1_11comp_targetILNS1_3genE8ELNS1_11target_archE1030ELNS1_3gpuE2ELNS1_3repE0EEENS1_30default_config_static_selectorELNS0_4arch9wavefront6targetE0EEEvT1_
    .private_segment_fixed_size: 0
    .sgpr_count:     0
    .sgpr_spill_count: 0
    .symbol:         _ZN7rocprim17ROCPRIM_400000_NS6detail17trampoline_kernelINS0_14default_configENS1_25partition_config_selectorILNS1_17partition_subalgoE5ElNS0_10empty_typeEbEEZZNS1_14partition_implILS5_5ELb0ES3_mN6hipcub16HIPCUB_304000_NS21CountingInputIteratorIllEEPS6_NSA_22TransformInputIteratorIbN2at6native12_GLOBAL__N_19NonZeroOpIN3c108BFloat16EEEPKSK_lEENS0_5tupleIJPlS6_EEENSP_IJSD_SD_EEES6_PiJS6_EEE10hipError_tPvRmT3_T4_T5_T6_T7_T9_mT8_P12ihipStream_tbDpT10_ENKUlT_T0_E_clISt17integral_constantIbLb1EES1D_EEDaS18_S19_EUlS18_E_NS1_11comp_targetILNS1_3genE8ELNS1_11target_archE1030ELNS1_3gpuE2ELNS1_3repE0EEENS1_30default_config_static_selectorELNS0_4arch9wavefront6targetE0EEEvT1_.kd
    .uniform_work_group_size: 1
    .uses_dynamic_stack: false
    .vgpr_count:     0
    .vgpr_spill_count: 0
    .wavefront_size: 32
    .workgroup_processor_mode: 1
  - .args:
      - .offset:         0
        .size:           120
        .value_kind:     by_value
    .group_segment_fixed_size: 0
    .kernarg_segment_align: 8
    .kernarg_segment_size: 120
    .language:       OpenCL C
    .language_version:
      - 2
      - 0
    .max_flat_workgroup_size: 128
    .name:           _ZN7rocprim17ROCPRIM_400000_NS6detail17trampoline_kernelINS0_14default_configENS1_25partition_config_selectorILNS1_17partition_subalgoE5ElNS0_10empty_typeEbEEZZNS1_14partition_implILS5_5ELb0ES3_mN6hipcub16HIPCUB_304000_NS21CountingInputIteratorIllEEPS6_NSA_22TransformInputIteratorIbN2at6native12_GLOBAL__N_19NonZeroOpIN3c108BFloat16EEEPKSK_lEENS0_5tupleIJPlS6_EEENSP_IJSD_SD_EEES6_PiJS6_EEE10hipError_tPvRmT3_T4_T5_T6_T7_T9_mT8_P12ihipStream_tbDpT10_ENKUlT_T0_E_clISt17integral_constantIbLb1EES1C_IbLb0EEEEDaS18_S19_EUlS18_E_NS1_11comp_targetILNS1_3genE0ELNS1_11target_archE4294967295ELNS1_3gpuE0ELNS1_3repE0EEENS1_30default_config_static_selectorELNS0_4arch9wavefront6targetE0EEEvT1_
    .private_segment_fixed_size: 0
    .sgpr_count:     0
    .sgpr_spill_count: 0
    .symbol:         _ZN7rocprim17ROCPRIM_400000_NS6detail17trampoline_kernelINS0_14default_configENS1_25partition_config_selectorILNS1_17partition_subalgoE5ElNS0_10empty_typeEbEEZZNS1_14partition_implILS5_5ELb0ES3_mN6hipcub16HIPCUB_304000_NS21CountingInputIteratorIllEEPS6_NSA_22TransformInputIteratorIbN2at6native12_GLOBAL__N_19NonZeroOpIN3c108BFloat16EEEPKSK_lEENS0_5tupleIJPlS6_EEENSP_IJSD_SD_EEES6_PiJS6_EEE10hipError_tPvRmT3_T4_T5_T6_T7_T9_mT8_P12ihipStream_tbDpT10_ENKUlT_T0_E_clISt17integral_constantIbLb1EES1C_IbLb0EEEEDaS18_S19_EUlS18_E_NS1_11comp_targetILNS1_3genE0ELNS1_11target_archE4294967295ELNS1_3gpuE0ELNS1_3repE0EEENS1_30default_config_static_selectorELNS0_4arch9wavefront6targetE0EEEvT1_.kd
    .uniform_work_group_size: 1
    .uses_dynamic_stack: false
    .vgpr_count:     0
    .vgpr_spill_count: 0
    .wavefront_size: 32
    .workgroup_processor_mode: 1
  - .args:
      - .offset:         0
        .size:           120
        .value_kind:     by_value
    .group_segment_fixed_size: 0
    .kernarg_segment_align: 8
    .kernarg_segment_size: 120
    .language:       OpenCL C
    .language_version:
      - 2
      - 0
    .max_flat_workgroup_size: 512
    .name:           _ZN7rocprim17ROCPRIM_400000_NS6detail17trampoline_kernelINS0_14default_configENS1_25partition_config_selectorILNS1_17partition_subalgoE5ElNS0_10empty_typeEbEEZZNS1_14partition_implILS5_5ELb0ES3_mN6hipcub16HIPCUB_304000_NS21CountingInputIteratorIllEEPS6_NSA_22TransformInputIteratorIbN2at6native12_GLOBAL__N_19NonZeroOpIN3c108BFloat16EEEPKSK_lEENS0_5tupleIJPlS6_EEENSP_IJSD_SD_EEES6_PiJS6_EEE10hipError_tPvRmT3_T4_T5_T6_T7_T9_mT8_P12ihipStream_tbDpT10_ENKUlT_T0_E_clISt17integral_constantIbLb1EES1C_IbLb0EEEEDaS18_S19_EUlS18_E_NS1_11comp_targetILNS1_3genE5ELNS1_11target_archE942ELNS1_3gpuE9ELNS1_3repE0EEENS1_30default_config_static_selectorELNS0_4arch9wavefront6targetE0EEEvT1_
    .private_segment_fixed_size: 0
    .sgpr_count:     0
    .sgpr_spill_count: 0
    .symbol:         _ZN7rocprim17ROCPRIM_400000_NS6detail17trampoline_kernelINS0_14default_configENS1_25partition_config_selectorILNS1_17partition_subalgoE5ElNS0_10empty_typeEbEEZZNS1_14partition_implILS5_5ELb0ES3_mN6hipcub16HIPCUB_304000_NS21CountingInputIteratorIllEEPS6_NSA_22TransformInputIteratorIbN2at6native12_GLOBAL__N_19NonZeroOpIN3c108BFloat16EEEPKSK_lEENS0_5tupleIJPlS6_EEENSP_IJSD_SD_EEES6_PiJS6_EEE10hipError_tPvRmT3_T4_T5_T6_T7_T9_mT8_P12ihipStream_tbDpT10_ENKUlT_T0_E_clISt17integral_constantIbLb1EES1C_IbLb0EEEEDaS18_S19_EUlS18_E_NS1_11comp_targetILNS1_3genE5ELNS1_11target_archE942ELNS1_3gpuE9ELNS1_3repE0EEENS1_30default_config_static_selectorELNS0_4arch9wavefront6targetE0EEEvT1_.kd
    .uniform_work_group_size: 1
    .uses_dynamic_stack: false
    .vgpr_count:     0
    .vgpr_spill_count: 0
    .wavefront_size: 32
    .workgroup_processor_mode: 1
  - .args:
      - .offset:         0
        .size:           120
        .value_kind:     by_value
    .group_segment_fixed_size: 0
    .kernarg_segment_align: 8
    .kernarg_segment_size: 120
    .language:       OpenCL C
    .language_version:
      - 2
      - 0
    .max_flat_workgroup_size: 192
    .name:           _ZN7rocprim17ROCPRIM_400000_NS6detail17trampoline_kernelINS0_14default_configENS1_25partition_config_selectorILNS1_17partition_subalgoE5ElNS0_10empty_typeEbEEZZNS1_14partition_implILS5_5ELb0ES3_mN6hipcub16HIPCUB_304000_NS21CountingInputIteratorIllEEPS6_NSA_22TransformInputIteratorIbN2at6native12_GLOBAL__N_19NonZeroOpIN3c108BFloat16EEEPKSK_lEENS0_5tupleIJPlS6_EEENSP_IJSD_SD_EEES6_PiJS6_EEE10hipError_tPvRmT3_T4_T5_T6_T7_T9_mT8_P12ihipStream_tbDpT10_ENKUlT_T0_E_clISt17integral_constantIbLb1EES1C_IbLb0EEEEDaS18_S19_EUlS18_E_NS1_11comp_targetILNS1_3genE4ELNS1_11target_archE910ELNS1_3gpuE8ELNS1_3repE0EEENS1_30default_config_static_selectorELNS0_4arch9wavefront6targetE0EEEvT1_
    .private_segment_fixed_size: 0
    .sgpr_count:     0
    .sgpr_spill_count: 0
    .symbol:         _ZN7rocprim17ROCPRIM_400000_NS6detail17trampoline_kernelINS0_14default_configENS1_25partition_config_selectorILNS1_17partition_subalgoE5ElNS0_10empty_typeEbEEZZNS1_14partition_implILS5_5ELb0ES3_mN6hipcub16HIPCUB_304000_NS21CountingInputIteratorIllEEPS6_NSA_22TransformInputIteratorIbN2at6native12_GLOBAL__N_19NonZeroOpIN3c108BFloat16EEEPKSK_lEENS0_5tupleIJPlS6_EEENSP_IJSD_SD_EEES6_PiJS6_EEE10hipError_tPvRmT3_T4_T5_T6_T7_T9_mT8_P12ihipStream_tbDpT10_ENKUlT_T0_E_clISt17integral_constantIbLb1EES1C_IbLb0EEEEDaS18_S19_EUlS18_E_NS1_11comp_targetILNS1_3genE4ELNS1_11target_archE910ELNS1_3gpuE8ELNS1_3repE0EEENS1_30default_config_static_selectorELNS0_4arch9wavefront6targetE0EEEvT1_.kd
    .uniform_work_group_size: 1
    .uses_dynamic_stack: false
    .vgpr_count:     0
    .vgpr_spill_count: 0
    .wavefront_size: 32
    .workgroup_processor_mode: 1
  - .args:
      - .offset:         0
        .size:           120
        .value_kind:     by_value
    .group_segment_fixed_size: 0
    .kernarg_segment_align: 8
    .kernarg_segment_size: 120
    .language:       OpenCL C
    .language_version:
      - 2
      - 0
    .max_flat_workgroup_size: 128
    .name:           _ZN7rocprim17ROCPRIM_400000_NS6detail17trampoline_kernelINS0_14default_configENS1_25partition_config_selectorILNS1_17partition_subalgoE5ElNS0_10empty_typeEbEEZZNS1_14partition_implILS5_5ELb0ES3_mN6hipcub16HIPCUB_304000_NS21CountingInputIteratorIllEEPS6_NSA_22TransformInputIteratorIbN2at6native12_GLOBAL__N_19NonZeroOpIN3c108BFloat16EEEPKSK_lEENS0_5tupleIJPlS6_EEENSP_IJSD_SD_EEES6_PiJS6_EEE10hipError_tPvRmT3_T4_T5_T6_T7_T9_mT8_P12ihipStream_tbDpT10_ENKUlT_T0_E_clISt17integral_constantIbLb1EES1C_IbLb0EEEEDaS18_S19_EUlS18_E_NS1_11comp_targetILNS1_3genE3ELNS1_11target_archE908ELNS1_3gpuE7ELNS1_3repE0EEENS1_30default_config_static_selectorELNS0_4arch9wavefront6targetE0EEEvT1_
    .private_segment_fixed_size: 0
    .sgpr_count:     0
    .sgpr_spill_count: 0
    .symbol:         _ZN7rocprim17ROCPRIM_400000_NS6detail17trampoline_kernelINS0_14default_configENS1_25partition_config_selectorILNS1_17partition_subalgoE5ElNS0_10empty_typeEbEEZZNS1_14partition_implILS5_5ELb0ES3_mN6hipcub16HIPCUB_304000_NS21CountingInputIteratorIllEEPS6_NSA_22TransformInputIteratorIbN2at6native12_GLOBAL__N_19NonZeroOpIN3c108BFloat16EEEPKSK_lEENS0_5tupleIJPlS6_EEENSP_IJSD_SD_EEES6_PiJS6_EEE10hipError_tPvRmT3_T4_T5_T6_T7_T9_mT8_P12ihipStream_tbDpT10_ENKUlT_T0_E_clISt17integral_constantIbLb1EES1C_IbLb0EEEEDaS18_S19_EUlS18_E_NS1_11comp_targetILNS1_3genE3ELNS1_11target_archE908ELNS1_3gpuE7ELNS1_3repE0EEENS1_30default_config_static_selectorELNS0_4arch9wavefront6targetE0EEEvT1_.kd
    .uniform_work_group_size: 1
    .uses_dynamic_stack: false
    .vgpr_count:     0
    .vgpr_spill_count: 0
    .wavefront_size: 32
    .workgroup_processor_mode: 1
  - .args:
      - .offset:         0
        .size:           120
        .value_kind:     by_value
    .group_segment_fixed_size: 0
    .kernarg_segment_align: 8
    .kernarg_segment_size: 120
    .language:       OpenCL C
    .language_version:
      - 2
      - 0
    .max_flat_workgroup_size: 256
    .name:           _ZN7rocprim17ROCPRIM_400000_NS6detail17trampoline_kernelINS0_14default_configENS1_25partition_config_selectorILNS1_17partition_subalgoE5ElNS0_10empty_typeEbEEZZNS1_14partition_implILS5_5ELb0ES3_mN6hipcub16HIPCUB_304000_NS21CountingInputIteratorIllEEPS6_NSA_22TransformInputIteratorIbN2at6native12_GLOBAL__N_19NonZeroOpIN3c108BFloat16EEEPKSK_lEENS0_5tupleIJPlS6_EEENSP_IJSD_SD_EEES6_PiJS6_EEE10hipError_tPvRmT3_T4_T5_T6_T7_T9_mT8_P12ihipStream_tbDpT10_ENKUlT_T0_E_clISt17integral_constantIbLb1EES1C_IbLb0EEEEDaS18_S19_EUlS18_E_NS1_11comp_targetILNS1_3genE2ELNS1_11target_archE906ELNS1_3gpuE6ELNS1_3repE0EEENS1_30default_config_static_selectorELNS0_4arch9wavefront6targetE0EEEvT1_
    .private_segment_fixed_size: 0
    .sgpr_count:     0
    .sgpr_spill_count: 0
    .symbol:         _ZN7rocprim17ROCPRIM_400000_NS6detail17trampoline_kernelINS0_14default_configENS1_25partition_config_selectorILNS1_17partition_subalgoE5ElNS0_10empty_typeEbEEZZNS1_14partition_implILS5_5ELb0ES3_mN6hipcub16HIPCUB_304000_NS21CountingInputIteratorIllEEPS6_NSA_22TransformInputIteratorIbN2at6native12_GLOBAL__N_19NonZeroOpIN3c108BFloat16EEEPKSK_lEENS0_5tupleIJPlS6_EEENSP_IJSD_SD_EEES6_PiJS6_EEE10hipError_tPvRmT3_T4_T5_T6_T7_T9_mT8_P12ihipStream_tbDpT10_ENKUlT_T0_E_clISt17integral_constantIbLb1EES1C_IbLb0EEEEDaS18_S19_EUlS18_E_NS1_11comp_targetILNS1_3genE2ELNS1_11target_archE906ELNS1_3gpuE6ELNS1_3repE0EEENS1_30default_config_static_selectorELNS0_4arch9wavefront6targetE0EEEvT1_.kd
    .uniform_work_group_size: 1
    .uses_dynamic_stack: false
    .vgpr_count:     0
    .vgpr_spill_count: 0
    .wavefront_size: 32
    .workgroup_processor_mode: 1
  - .args:
      - .offset:         0
        .size:           120
        .value_kind:     by_value
    .group_segment_fixed_size: 0
    .kernarg_segment_align: 8
    .kernarg_segment_size: 120
    .language:       OpenCL C
    .language_version:
      - 2
      - 0
    .max_flat_workgroup_size: 256
    .name:           _ZN7rocprim17ROCPRIM_400000_NS6detail17trampoline_kernelINS0_14default_configENS1_25partition_config_selectorILNS1_17partition_subalgoE5ElNS0_10empty_typeEbEEZZNS1_14partition_implILS5_5ELb0ES3_mN6hipcub16HIPCUB_304000_NS21CountingInputIteratorIllEEPS6_NSA_22TransformInputIteratorIbN2at6native12_GLOBAL__N_19NonZeroOpIN3c108BFloat16EEEPKSK_lEENS0_5tupleIJPlS6_EEENSP_IJSD_SD_EEES6_PiJS6_EEE10hipError_tPvRmT3_T4_T5_T6_T7_T9_mT8_P12ihipStream_tbDpT10_ENKUlT_T0_E_clISt17integral_constantIbLb1EES1C_IbLb0EEEEDaS18_S19_EUlS18_E_NS1_11comp_targetILNS1_3genE10ELNS1_11target_archE1200ELNS1_3gpuE4ELNS1_3repE0EEENS1_30default_config_static_selectorELNS0_4arch9wavefront6targetE0EEEvT1_
    .private_segment_fixed_size: 0
    .sgpr_count:     0
    .sgpr_spill_count: 0
    .symbol:         _ZN7rocprim17ROCPRIM_400000_NS6detail17trampoline_kernelINS0_14default_configENS1_25partition_config_selectorILNS1_17partition_subalgoE5ElNS0_10empty_typeEbEEZZNS1_14partition_implILS5_5ELb0ES3_mN6hipcub16HIPCUB_304000_NS21CountingInputIteratorIllEEPS6_NSA_22TransformInputIteratorIbN2at6native12_GLOBAL__N_19NonZeroOpIN3c108BFloat16EEEPKSK_lEENS0_5tupleIJPlS6_EEENSP_IJSD_SD_EEES6_PiJS6_EEE10hipError_tPvRmT3_T4_T5_T6_T7_T9_mT8_P12ihipStream_tbDpT10_ENKUlT_T0_E_clISt17integral_constantIbLb1EES1C_IbLb0EEEEDaS18_S19_EUlS18_E_NS1_11comp_targetILNS1_3genE10ELNS1_11target_archE1200ELNS1_3gpuE4ELNS1_3repE0EEENS1_30default_config_static_selectorELNS0_4arch9wavefront6targetE0EEEvT1_.kd
    .uniform_work_group_size: 1
    .uses_dynamic_stack: false
    .vgpr_count:     0
    .vgpr_spill_count: 0
    .wavefront_size: 32
    .workgroup_processor_mode: 1
  - .args:
      - .offset:         0
        .size:           120
        .value_kind:     by_value
    .group_segment_fixed_size: 6160
    .kernarg_segment_align: 8
    .kernarg_segment_size: 120
    .language:       OpenCL C
    .language_version:
      - 2
      - 0
    .max_flat_workgroup_size: 128
    .name:           _ZN7rocprim17ROCPRIM_400000_NS6detail17trampoline_kernelINS0_14default_configENS1_25partition_config_selectorILNS1_17partition_subalgoE5ElNS0_10empty_typeEbEEZZNS1_14partition_implILS5_5ELb0ES3_mN6hipcub16HIPCUB_304000_NS21CountingInputIteratorIllEEPS6_NSA_22TransformInputIteratorIbN2at6native12_GLOBAL__N_19NonZeroOpIN3c108BFloat16EEEPKSK_lEENS0_5tupleIJPlS6_EEENSP_IJSD_SD_EEES6_PiJS6_EEE10hipError_tPvRmT3_T4_T5_T6_T7_T9_mT8_P12ihipStream_tbDpT10_ENKUlT_T0_E_clISt17integral_constantIbLb1EES1C_IbLb0EEEEDaS18_S19_EUlS18_E_NS1_11comp_targetILNS1_3genE9ELNS1_11target_archE1100ELNS1_3gpuE3ELNS1_3repE0EEENS1_30default_config_static_selectorELNS0_4arch9wavefront6targetE0EEEvT1_
    .private_segment_fixed_size: 0
    .sgpr_count:     23
    .sgpr_spill_count: 0
    .symbol:         _ZN7rocprim17ROCPRIM_400000_NS6detail17trampoline_kernelINS0_14default_configENS1_25partition_config_selectorILNS1_17partition_subalgoE5ElNS0_10empty_typeEbEEZZNS1_14partition_implILS5_5ELb0ES3_mN6hipcub16HIPCUB_304000_NS21CountingInputIteratorIllEEPS6_NSA_22TransformInputIteratorIbN2at6native12_GLOBAL__N_19NonZeroOpIN3c108BFloat16EEEPKSK_lEENS0_5tupleIJPlS6_EEENSP_IJSD_SD_EEES6_PiJS6_EEE10hipError_tPvRmT3_T4_T5_T6_T7_T9_mT8_P12ihipStream_tbDpT10_ENKUlT_T0_E_clISt17integral_constantIbLb1EES1C_IbLb0EEEEDaS18_S19_EUlS18_E_NS1_11comp_targetILNS1_3genE9ELNS1_11target_archE1100ELNS1_3gpuE3ELNS1_3repE0EEENS1_30default_config_static_selectorELNS0_4arch9wavefront6targetE0EEEvT1_.kd
    .uniform_work_group_size: 1
    .uses_dynamic_stack: false
    .vgpr_count:     57
    .vgpr_spill_count: 0
    .wavefront_size: 32
    .workgroup_processor_mode: 1
  - .args:
      - .offset:         0
        .size:           120
        .value_kind:     by_value
    .group_segment_fixed_size: 0
    .kernarg_segment_align: 8
    .kernarg_segment_size: 120
    .language:       OpenCL C
    .language_version:
      - 2
      - 0
    .max_flat_workgroup_size: 512
    .name:           _ZN7rocprim17ROCPRIM_400000_NS6detail17trampoline_kernelINS0_14default_configENS1_25partition_config_selectorILNS1_17partition_subalgoE5ElNS0_10empty_typeEbEEZZNS1_14partition_implILS5_5ELb0ES3_mN6hipcub16HIPCUB_304000_NS21CountingInputIteratorIllEEPS6_NSA_22TransformInputIteratorIbN2at6native12_GLOBAL__N_19NonZeroOpIN3c108BFloat16EEEPKSK_lEENS0_5tupleIJPlS6_EEENSP_IJSD_SD_EEES6_PiJS6_EEE10hipError_tPvRmT3_T4_T5_T6_T7_T9_mT8_P12ihipStream_tbDpT10_ENKUlT_T0_E_clISt17integral_constantIbLb1EES1C_IbLb0EEEEDaS18_S19_EUlS18_E_NS1_11comp_targetILNS1_3genE8ELNS1_11target_archE1030ELNS1_3gpuE2ELNS1_3repE0EEENS1_30default_config_static_selectorELNS0_4arch9wavefront6targetE0EEEvT1_
    .private_segment_fixed_size: 0
    .sgpr_count:     0
    .sgpr_spill_count: 0
    .symbol:         _ZN7rocprim17ROCPRIM_400000_NS6detail17trampoline_kernelINS0_14default_configENS1_25partition_config_selectorILNS1_17partition_subalgoE5ElNS0_10empty_typeEbEEZZNS1_14partition_implILS5_5ELb0ES3_mN6hipcub16HIPCUB_304000_NS21CountingInputIteratorIllEEPS6_NSA_22TransformInputIteratorIbN2at6native12_GLOBAL__N_19NonZeroOpIN3c108BFloat16EEEPKSK_lEENS0_5tupleIJPlS6_EEENSP_IJSD_SD_EEES6_PiJS6_EEE10hipError_tPvRmT3_T4_T5_T6_T7_T9_mT8_P12ihipStream_tbDpT10_ENKUlT_T0_E_clISt17integral_constantIbLb1EES1C_IbLb0EEEEDaS18_S19_EUlS18_E_NS1_11comp_targetILNS1_3genE8ELNS1_11target_archE1030ELNS1_3gpuE2ELNS1_3repE0EEENS1_30default_config_static_selectorELNS0_4arch9wavefront6targetE0EEEvT1_.kd
    .uniform_work_group_size: 1
    .uses_dynamic_stack: false
    .vgpr_count:     0
    .vgpr_spill_count: 0
    .wavefront_size: 32
    .workgroup_processor_mode: 1
  - .args:
      - .offset:         0
        .size:           136
        .value_kind:     by_value
    .group_segment_fixed_size: 0
    .kernarg_segment_align: 8
    .kernarg_segment_size: 136
    .language:       OpenCL C
    .language_version:
      - 2
      - 0
    .max_flat_workgroup_size: 128
    .name:           _ZN7rocprim17ROCPRIM_400000_NS6detail17trampoline_kernelINS0_14default_configENS1_25partition_config_selectorILNS1_17partition_subalgoE5ElNS0_10empty_typeEbEEZZNS1_14partition_implILS5_5ELb0ES3_mN6hipcub16HIPCUB_304000_NS21CountingInputIteratorIllEEPS6_NSA_22TransformInputIteratorIbN2at6native12_GLOBAL__N_19NonZeroOpIN3c108BFloat16EEEPKSK_lEENS0_5tupleIJPlS6_EEENSP_IJSD_SD_EEES6_PiJS6_EEE10hipError_tPvRmT3_T4_T5_T6_T7_T9_mT8_P12ihipStream_tbDpT10_ENKUlT_T0_E_clISt17integral_constantIbLb0EES1C_IbLb1EEEEDaS18_S19_EUlS18_E_NS1_11comp_targetILNS1_3genE0ELNS1_11target_archE4294967295ELNS1_3gpuE0ELNS1_3repE0EEENS1_30default_config_static_selectorELNS0_4arch9wavefront6targetE0EEEvT1_
    .private_segment_fixed_size: 0
    .sgpr_count:     0
    .sgpr_spill_count: 0
    .symbol:         _ZN7rocprim17ROCPRIM_400000_NS6detail17trampoline_kernelINS0_14default_configENS1_25partition_config_selectorILNS1_17partition_subalgoE5ElNS0_10empty_typeEbEEZZNS1_14partition_implILS5_5ELb0ES3_mN6hipcub16HIPCUB_304000_NS21CountingInputIteratorIllEEPS6_NSA_22TransformInputIteratorIbN2at6native12_GLOBAL__N_19NonZeroOpIN3c108BFloat16EEEPKSK_lEENS0_5tupleIJPlS6_EEENSP_IJSD_SD_EEES6_PiJS6_EEE10hipError_tPvRmT3_T4_T5_T6_T7_T9_mT8_P12ihipStream_tbDpT10_ENKUlT_T0_E_clISt17integral_constantIbLb0EES1C_IbLb1EEEEDaS18_S19_EUlS18_E_NS1_11comp_targetILNS1_3genE0ELNS1_11target_archE4294967295ELNS1_3gpuE0ELNS1_3repE0EEENS1_30default_config_static_selectorELNS0_4arch9wavefront6targetE0EEEvT1_.kd
    .uniform_work_group_size: 1
    .uses_dynamic_stack: false
    .vgpr_count:     0
    .vgpr_spill_count: 0
    .wavefront_size: 32
    .workgroup_processor_mode: 1
  - .args:
      - .offset:         0
        .size:           136
        .value_kind:     by_value
    .group_segment_fixed_size: 0
    .kernarg_segment_align: 8
    .kernarg_segment_size: 136
    .language:       OpenCL C
    .language_version:
      - 2
      - 0
    .max_flat_workgroup_size: 512
    .name:           _ZN7rocprim17ROCPRIM_400000_NS6detail17trampoline_kernelINS0_14default_configENS1_25partition_config_selectorILNS1_17partition_subalgoE5ElNS0_10empty_typeEbEEZZNS1_14partition_implILS5_5ELb0ES3_mN6hipcub16HIPCUB_304000_NS21CountingInputIteratorIllEEPS6_NSA_22TransformInputIteratorIbN2at6native12_GLOBAL__N_19NonZeroOpIN3c108BFloat16EEEPKSK_lEENS0_5tupleIJPlS6_EEENSP_IJSD_SD_EEES6_PiJS6_EEE10hipError_tPvRmT3_T4_T5_T6_T7_T9_mT8_P12ihipStream_tbDpT10_ENKUlT_T0_E_clISt17integral_constantIbLb0EES1C_IbLb1EEEEDaS18_S19_EUlS18_E_NS1_11comp_targetILNS1_3genE5ELNS1_11target_archE942ELNS1_3gpuE9ELNS1_3repE0EEENS1_30default_config_static_selectorELNS0_4arch9wavefront6targetE0EEEvT1_
    .private_segment_fixed_size: 0
    .sgpr_count:     0
    .sgpr_spill_count: 0
    .symbol:         _ZN7rocprim17ROCPRIM_400000_NS6detail17trampoline_kernelINS0_14default_configENS1_25partition_config_selectorILNS1_17partition_subalgoE5ElNS0_10empty_typeEbEEZZNS1_14partition_implILS5_5ELb0ES3_mN6hipcub16HIPCUB_304000_NS21CountingInputIteratorIllEEPS6_NSA_22TransformInputIteratorIbN2at6native12_GLOBAL__N_19NonZeroOpIN3c108BFloat16EEEPKSK_lEENS0_5tupleIJPlS6_EEENSP_IJSD_SD_EEES6_PiJS6_EEE10hipError_tPvRmT3_T4_T5_T6_T7_T9_mT8_P12ihipStream_tbDpT10_ENKUlT_T0_E_clISt17integral_constantIbLb0EES1C_IbLb1EEEEDaS18_S19_EUlS18_E_NS1_11comp_targetILNS1_3genE5ELNS1_11target_archE942ELNS1_3gpuE9ELNS1_3repE0EEENS1_30default_config_static_selectorELNS0_4arch9wavefront6targetE0EEEvT1_.kd
    .uniform_work_group_size: 1
    .uses_dynamic_stack: false
    .vgpr_count:     0
    .vgpr_spill_count: 0
    .wavefront_size: 32
    .workgroup_processor_mode: 1
  - .args:
      - .offset:         0
        .size:           136
        .value_kind:     by_value
    .group_segment_fixed_size: 0
    .kernarg_segment_align: 8
    .kernarg_segment_size: 136
    .language:       OpenCL C
    .language_version:
      - 2
      - 0
    .max_flat_workgroup_size: 192
    .name:           _ZN7rocprim17ROCPRIM_400000_NS6detail17trampoline_kernelINS0_14default_configENS1_25partition_config_selectorILNS1_17partition_subalgoE5ElNS0_10empty_typeEbEEZZNS1_14partition_implILS5_5ELb0ES3_mN6hipcub16HIPCUB_304000_NS21CountingInputIteratorIllEEPS6_NSA_22TransformInputIteratorIbN2at6native12_GLOBAL__N_19NonZeroOpIN3c108BFloat16EEEPKSK_lEENS0_5tupleIJPlS6_EEENSP_IJSD_SD_EEES6_PiJS6_EEE10hipError_tPvRmT3_T4_T5_T6_T7_T9_mT8_P12ihipStream_tbDpT10_ENKUlT_T0_E_clISt17integral_constantIbLb0EES1C_IbLb1EEEEDaS18_S19_EUlS18_E_NS1_11comp_targetILNS1_3genE4ELNS1_11target_archE910ELNS1_3gpuE8ELNS1_3repE0EEENS1_30default_config_static_selectorELNS0_4arch9wavefront6targetE0EEEvT1_
    .private_segment_fixed_size: 0
    .sgpr_count:     0
    .sgpr_spill_count: 0
    .symbol:         _ZN7rocprim17ROCPRIM_400000_NS6detail17trampoline_kernelINS0_14default_configENS1_25partition_config_selectorILNS1_17partition_subalgoE5ElNS0_10empty_typeEbEEZZNS1_14partition_implILS5_5ELb0ES3_mN6hipcub16HIPCUB_304000_NS21CountingInputIteratorIllEEPS6_NSA_22TransformInputIteratorIbN2at6native12_GLOBAL__N_19NonZeroOpIN3c108BFloat16EEEPKSK_lEENS0_5tupleIJPlS6_EEENSP_IJSD_SD_EEES6_PiJS6_EEE10hipError_tPvRmT3_T4_T5_T6_T7_T9_mT8_P12ihipStream_tbDpT10_ENKUlT_T0_E_clISt17integral_constantIbLb0EES1C_IbLb1EEEEDaS18_S19_EUlS18_E_NS1_11comp_targetILNS1_3genE4ELNS1_11target_archE910ELNS1_3gpuE8ELNS1_3repE0EEENS1_30default_config_static_selectorELNS0_4arch9wavefront6targetE0EEEvT1_.kd
    .uniform_work_group_size: 1
    .uses_dynamic_stack: false
    .vgpr_count:     0
    .vgpr_spill_count: 0
    .wavefront_size: 32
    .workgroup_processor_mode: 1
  - .args:
      - .offset:         0
        .size:           136
        .value_kind:     by_value
    .group_segment_fixed_size: 0
    .kernarg_segment_align: 8
    .kernarg_segment_size: 136
    .language:       OpenCL C
    .language_version:
      - 2
      - 0
    .max_flat_workgroup_size: 128
    .name:           _ZN7rocprim17ROCPRIM_400000_NS6detail17trampoline_kernelINS0_14default_configENS1_25partition_config_selectorILNS1_17partition_subalgoE5ElNS0_10empty_typeEbEEZZNS1_14partition_implILS5_5ELb0ES3_mN6hipcub16HIPCUB_304000_NS21CountingInputIteratorIllEEPS6_NSA_22TransformInputIteratorIbN2at6native12_GLOBAL__N_19NonZeroOpIN3c108BFloat16EEEPKSK_lEENS0_5tupleIJPlS6_EEENSP_IJSD_SD_EEES6_PiJS6_EEE10hipError_tPvRmT3_T4_T5_T6_T7_T9_mT8_P12ihipStream_tbDpT10_ENKUlT_T0_E_clISt17integral_constantIbLb0EES1C_IbLb1EEEEDaS18_S19_EUlS18_E_NS1_11comp_targetILNS1_3genE3ELNS1_11target_archE908ELNS1_3gpuE7ELNS1_3repE0EEENS1_30default_config_static_selectorELNS0_4arch9wavefront6targetE0EEEvT1_
    .private_segment_fixed_size: 0
    .sgpr_count:     0
    .sgpr_spill_count: 0
    .symbol:         _ZN7rocprim17ROCPRIM_400000_NS6detail17trampoline_kernelINS0_14default_configENS1_25partition_config_selectorILNS1_17partition_subalgoE5ElNS0_10empty_typeEbEEZZNS1_14partition_implILS5_5ELb0ES3_mN6hipcub16HIPCUB_304000_NS21CountingInputIteratorIllEEPS6_NSA_22TransformInputIteratorIbN2at6native12_GLOBAL__N_19NonZeroOpIN3c108BFloat16EEEPKSK_lEENS0_5tupleIJPlS6_EEENSP_IJSD_SD_EEES6_PiJS6_EEE10hipError_tPvRmT3_T4_T5_T6_T7_T9_mT8_P12ihipStream_tbDpT10_ENKUlT_T0_E_clISt17integral_constantIbLb0EES1C_IbLb1EEEEDaS18_S19_EUlS18_E_NS1_11comp_targetILNS1_3genE3ELNS1_11target_archE908ELNS1_3gpuE7ELNS1_3repE0EEENS1_30default_config_static_selectorELNS0_4arch9wavefront6targetE0EEEvT1_.kd
    .uniform_work_group_size: 1
    .uses_dynamic_stack: false
    .vgpr_count:     0
    .vgpr_spill_count: 0
    .wavefront_size: 32
    .workgroup_processor_mode: 1
  - .args:
      - .offset:         0
        .size:           136
        .value_kind:     by_value
    .group_segment_fixed_size: 0
    .kernarg_segment_align: 8
    .kernarg_segment_size: 136
    .language:       OpenCL C
    .language_version:
      - 2
      - 0
    .max_flat_workgroup_size: 256
    .name:           _ZN7rocprim17ROCPRIM_400000_NS6detail17trampoline_kernelINS0_14default_configENS1_25partition_config_selectorILNS1_17partition_subalgoE5ElNS0_10empty_typeEbEEZZNS1_14partition_implILS5_5ELb0ES3_mN6hipcub16HIPCUB_304000_NS21CountingInputIteratorIllEEPS6_NSA_22TransformInputIteratorIbN2at6native12_GLOBAL__N_19NonZeroOpIN3c108BFloat16EEEPKSK_lEENS0_5tupleIJPlS6_EEENSP_IJSD_SD_EEES6_PiJS6_EEE10hipError_tPvRmT3_T4_T5_T6_T7_T9_mT8_P12ihipStream_tbDpT10_ENKUlT_T0_E_clISt17integral_constantIbLb0EES1C_IbLb1EEEEDaS18_S19_EUlS18_E_NS1_11comp_targetILNS1_3genE2ELNS1_11target_archE906ELNS1_3gpuE6ELNS1_3repE0EEENS1_30default_config_static_selectorELNS0_4arch9wavefront6targetE0EEEvT1_
    .private_segment_fixed_size: 0
    .sgpr_count:     0
    .sgpr_spill_count: 0
    .symbol:         _ZN7rocprim17ROCPRIM_400000_NS6detail17trampoline_kernelINS0_14default_configENS1_25partition_config_selectorILNS1_17partition_subalgoE5ElNS0_10empty_typeEbEEZZNS1_14partition_implILS5_5ELb0ES3_mN6hipcub16HIPCUB_304000_NS21CountingInputIteratorIllEEPS6_NSA_22TransformInputIteratorIbN2at6native12_GLOBAL__N_19NonZeroOpIN3c108BFloat16EEEPKSK_lEENS0_5tupleIJPlS6_EEENSP_IJSD_SD_EEES6_PiJS6_EEE10hipError_tPvRmT3_T4_T5_T6_T7_T9_mT8_P12ihipStream_tbDpT10_ENKUlT_T0_E_clISt17integral_constantIbLb0EES1C_IbLb1EEEEDaS18_S19_EUlS18_E_NS1_11comp_targetILNS1_3genE2ELNS1_11target_archE906ELNS1_3gpuE6ELNS1_3repE0EEENS1_30default_config_static_selectorELNS0_4arch9wavefront6targetE0EEEvT1_.kd
    .uniform_work_group_size: 1
    .uses_dynamic_stack: false
    .vgpr_count:     0
    .vgpr_spill_count: 0
    .wavefront_size: 32
    .workgroup_processor_mode: 1
  - .args:
      - .offset:         0
        .size:           136
        .value_kind:     by_value
    .group_segment_fixed_size: 0
    .kernarg_segment_align: 8
    .kernarg_segment_size: 136
    .language:       OpenCL C
    .language_version:
      - 2
      - 0
    .max_flat_workgroup_size: 256
    .name:           _ZN7rocprim17ROCPRIM_400000_NS6detail17trampoline_kernelINS0_14default_configENS1_25partition_config_selectorILNS1_17partition_subalgoE5ElNS0_10empty_typeEbEEZZNS1_14partition_implILS5_5ELb0ES3_mN6hipcub16HIPCUB_304000_NS21CountingInputIteratorIllEEPS6_NSA_22TransformInputIteratorIbN2at6native12_GLOBAL__N_19NonZeroOpIN3c108BFloat16EEEPKSK_lEENS0_5tupleIJPlS6_EEENSP_IJSD_SD_EEES6_PiJS6_EEE10hipError_tPvRmT3_T4_T5_T6_T7_T9_mT8_P12ihipStream_tbDpT10_ENKUlT_T0_E_clISt17integral_constantIbLb0EES1C_IbLb1EEEEDaS18_S19_EUlS18_E_NS1_11comp_targetILNS1_3genE10ELNS1_11target_archE1200ELNS1_3gpuE4ELNS1_3repE0EEENS1_30default_config_static_selectorELNS0_4arch9wavefront6targetE0EEEvT1_
    .private_segment_fixed_size: 0
    .sgpr_count:     0
    .sgpr_spill_count: 0
    .symbol:         _ZN7rocprim17ROCPRIM_400000_NS6detail17trampoline_kernelINS0_14default_configENS1_25partition_config_selectorILNS1_17partition_subalgoE5ElNS0_10empty_typeEbEEZZNS1_14partition_implILS5_5ELb0ES3_mN6hipcub16HIPCUB_304000_NS21CountingInputIteratorIllEEPS6_NSA_22TransformInputIteratorIbN2at6native12_GLOBAL__N_19NonZeroOpIN3c108BFloat16EEEPKSK_lEENS0_5tupleIJPlS6_EEENSP_IJSD_SD_EEES6_PiJS6_EEE10hipError_tPvRmT3_T4_T5_T6_T7_T9_mT8_P12ihipStream_tbDpT10_ENKUlT_T0_E_clISt17integral_constantIbLb0EES1C_IbLb1EEEEDaS18_S19_EUlS18_E_NS1_11comp_targetILNS1_3genE10ELNS1_11target_archE1200ELNS1_3gpuE4ELNS1_3repE0EEENS1_30default_config_static_selectorELNS0_4arch9wavefront6targetE0EEEvT1_.kd
    .uniform_work_group_size: 1
    .uses_dynamic_stack: false
    .vgpr_count:     0
    .vgpr_spill_count: 0
    .wavefront_size: 32
    .workgroup_processor_mode: 1
  - .args:
      - .offset:         0
        .size:           136
        .value_kind:     by_value
    .group_segment_fixed_size: 6160
    .kernarg_segment_align: 8
    .kernarg_segment_size: 136
    .language:       OpenCL C
    .language_version:
      - 2
      - 0
    .max_flat_workgroup_size: 128
    .name:           _ZN7rocprim17ROCPRIM_400000_NS6detail17trampoline_kernelINS0_14default_configENS1_25partition_config_selectorILNS1_17partition_subalgoE5ElNS0_10empty_typeEbEEZZNS1_14partition_implILS5_5ELb0ES3_mN6hipcub16HIPCUB_304000_NS21CountingInputIteratorIllEEPS6_NSA_22TransformInputIteratorIbN2at6native12_GLOBAL__N_19NonZeroOpIN3c108BFloat16EEEPKSK_lEENS0_5tupleIJPlS6_EEENSP_IJSD_SD_EEES6_PiJS6_EEE10hipError_tPvRmT3_T4_T5_T6_T7_T9_mT8_P12ihipStream_tbDpT10_ENKUlT_T0_E_clISt17integral_constantIbLb0EES1C_IbLb1EEEEDaS18_S19_EUlS18_E_NS1_11comp_targetILNS1_3genE9ELNS1_11target_archE1100ELNS1_3gpuE3ELNS1_3repE0EEENS1_30default_config_static_selectorELNS0_4arch9wavefront6targetE0EEEvT1_
    .private_segment_fixed_size: 0
    .sgpr_count:     26
    .sgpr_spill_count: 0
    .symbol:         _ZN7rocprim17ROCPRIM_400000_NS6detail17trampoline_kernelINS0_14default_configENS1_25partition_config_selectorILNS1_17partition_subalgoE5ElNS0_10empty_typeEbEEZZNS1_14partition_implILS5_5ELb0ES3_mN6hipcub16HIPCUB_304000_NS21CountingInputIteratorIllEEPS6_NSA_22TransformInputIteratorIbN2at6native12_GLOBAL__N_19NonZeroOpIN3c108BFloat16EEEPKSK_lEENS0_5tupleIJPlS6_EEENSP_IJSD_SD_EEES6_PiJS6_EEE10hipError_tPvRmT3_T4_T5_T6_T7_T9_mT8_P12ihipStream_tbDpT10_ENKUlT_T0_E_clISt17integral_constantIbLb0EES1C_IbLb1EEEEDaS18_S19_EUlS18_E_NS1_11comp_targetILNS1_3genE9ELNS1_11target_archE1100ELNS1_3gpuE3ELNS1_3repE0EEENS1_30default_config_static_selectorELNS0_4arch9wavefront6targetE0EEEvT1_.kd
    .uniform_work_group_size: 1
    .uses_dynamic_stack: false
    .vgpr_count:     57
    .vgpr_spill_count: 0
    .wavefront_size: 32
    .workgroup_processor_mode: 1
  - .args:
      - .offset:         0
        .size:           136
        .value_kind:     by_value
    .group_segment_fixed_size: 0
    .kernarg_segment_align: 8
    .kernarg_segment_size: 136
    .language:       OpenCL C
    .language_version:
      - 2
      - 0
    .max_flat_workgroup_size: 512
    .name:           _ZN7rocprim17ROCPRIM_400000_NS6detail17trampoline_kernelINS0_14default_configENS1_25partition_config_selectorILNS1_17partition_subalgoE5ElNS0_10empty_typeEbEEZZNS1_14partition_implILS5_5ELb0ES3_mN6hipcub16HIPCUB_304000_NS21CountingInputIteratorIllEEPS6_NSA_22TransformInputIteratorIbN2at6native12_GLOBAL__N_19NonZeroOpIN3c108BFloat16EEEPKSK_lEENS0_5tupleIJPlS6_EEENSP_IJSD_SD_EEES6_PiJS6_EEE10hipError_tPvRmT3_T4_T5_T6_T7_T9_mT8_P12ihipStream_tbDpT10_ENKUlT_T0_E_clISt17integral_constantIbLb0EES1C_IbLb1EEEEDaS18_S19_EUlS18_E_NS1_11comp_targetILNS1_3genE8ELNS1_11target_archE1030ELNS1_3gpuE2ELNS1_3repE0EEENS1_30default_config_static_selectorELNS0_4arch9wavefront6targetE0EEEvT1_
    .private_segment_fixed_size: 0
    .sgpr_count:     0
    .sgpr_spill_count: 0
    .symbol:         _ZN7rocprim17ROCPRIM_400000_NS6detail17trampoline_kernelINS0_14default_configENS1_25partition_config_selectorILNS1_17partition_subalgoE5ElNS0_10empty_typeEbEEZZNS1_14partition_implILS5_5ELb0ES3_mN6hipcub16HIPCUB_304000_NS21CountingInputIteratorIllEEPS6_NSA_22TransformInputIteratorIbN2at6native12_GLOBAL__N_19NonZeroOpIN3c108BFloat16EEEPKSK_lEENS0_5tupleIJPlS6_EEENSP_IJSD_SD_EEES6_PiJS6_EEE10hipError_tPvRmT3_T4_T5_T6_T7_T9_mT8_P12ihipStream_tbDpT10_ENKUlT_T0_E_clISt17integral_constantIbLb0EES1C_IbLb1EEEEDaS18_S19_EUlS18_E_NS1_11comp_targetILNS1_3genE8ELNS1_11target_archE1030ELNS1_3gpuE2ELNS1_3repE0EEENS1_30default_config_static_selectorELNS0_4arch9wavefront6targetE0EEEvT1_.kd
    .uniform_work_group_size: 1
    .uses_dynamic_stack: false
    .vgpr_count:     0
    .vgpr_spill_count: 0
    .wavefront_size: 32
    .workgroup_processor_mode: 1
  - .args:
      - .offset:         0
        .size:           56
        .value_kind:     by_value
    .group_segment_fixed_size: 0
    .kernarg_segment_align: 8
    .kernarg_segment_size: 56
    .language:       OpenCL C
    .language_version:
      - 2
      - 0
    .max_flat_workgroup_size: 256
    .name:           _ZN7rocprim17ROCPRIM_400000_NS6detail17trampoline_kernelINS0_14default_configENS1_22reduce_config_selectorIiEEZNS1_11reduce_implILb1ES3_PiS7_iN6hipcub16HIPCUB_304000_NS6detail34convert_binary_result_type_wrapperINS9_3SumENS9_22TransformInputIteratorIbN2at6native12_GLOBAL__N_19NonZeroOpIN3c104HalfEEEPKSJ_lEEiEEEE10hipError_tPvRmT1_T2_T3_mT4_P12ihipStream_tbEUlT_E0_NS1_11comp_targetILNS1_3genE0ELNS1_11target_archE4294967295ELNS1_3gpuE0ELNS1_3repE0EEENS1_30default_config_static_selectorELNS0_4arch9wavefront6targetE0EEEvSS_
    .private_segment_fixed_size: 0
    .sgpr_count:     0
    .sgpr_spill_count: 0
    .symbol:         _ZN7rocprim17ROCPRIM_400000_NS6detail17trampoline_kernelINS0_14default_configENS1_22reduce_config_selectorIiEEZNS1_11reduce_implILb1ES3_PiS7_iN6hipcub16HIPCUB_304000_NS6detail34convert_binary_result_type_wrapperINS9_3SumENS9_22TransformInputIteratorIbN2at6native12_GLOBAL__N_19NonZeroOpIN3c104HalfEEEPKSJ_lEEiEEEE10hipError_tPvRmT1_T2_T3_mT4_P12ihipStream_tbEUlT_E0_NS1_11comp_targetILNS1_3genE0ELNS1_11target_archE4294967295ELNS1_3gpuE0ELNS1_3repE0EEENS1_30default_config_static_selectorELNS0_4arch9wavefront6targetE0EEEvSS_.kd
    .uniform_work_group_size: 1
    .uses_dynamic_stack: false
    .vgpr_count:     0
    .vgpr_spill_count: 0
    .wavefront_size: 32
    .workgroup_processor_mode: 1
  - .args:
      - .offset:         0
        .size:           56
        .value_kind:     by_value
    .group_segment_fixed_size: 0
    .kernarg_segment_align: 8
    .kernarg_segment_size: 56
    .language:       OpenCL C
    .language_version:
      - 2
      - 0
    .max_flat_workgroup_size: 256
    .name:           _ZN7rocprim17ROCPRIM_400000_NS6detail17trampoline_kernelINS0_14default_configENS1_22reduce_config_selectorIiEEZNS1_11reduce_implILb1ES3_PiS7_iN6hipcub16HIPCUB_304000_NS6detail34convert_binary_result_type_wrapperINS9_3SumENS9_22TransformInputIteratorIbN2at6native12_GLOBAL__N_19NonZeroOpIN3c104HalfEEEPKSJ_lEEiEEEE10hipError_tPvRmT1_T2_T3_mT4_P12ihipStream_tbEUlT_E0_NS1_11comp_targetILNS1_3genE5ELNS1_11target_archE942ELNS1_3gpuE9ELNS1_3repE0EEENS1_30default_config_static_selectorELNS0_4arch9wavefront6targetE0EEEvSS_
    .private_segment_fixed_size: 0
    .sgpr_count:     0
    .sgpr_spill_count: 0
    .symbol:         _ZN7rocprim17ROCPRIM_400000_NS6detail17trampoline_kernelINS0_14default_configENS1_22reduce_config_selectorIiEEZNS1_11reduce_implILb1ES3_PiS7_iN6hipcub16HIPCUB_304000_NS6detail34convert_binary_result_type_wrapperINS9_3SumENS9_22TransformInputIteratorIbN2at6native12_GLOBAL__N_19NonZeroOpIN3c104HalfEEEPKSJ_lEEiEEEE10hipError_tPvRmT1_T2_T3_mT4_P12ihipStream_tbEUlT_E0_NS1_11comp_targetILNS1_3genE5ELNS1_11target_archE942ELNS1_3gpuE9ELNS1_3repE0EEENS1_30default_config_static_selectorELNS0_4arch9wavefront6targetE0EEEvSS_.kd
    .uniform_work_group_size: 1
    .uses_dynamic_stack: false
    .vgpr_count:     0
    .vgpr_spill_count: 0
    .wavefront_size: 32
    .workgroup_processor_mode: 1
  - .args:
      - .offset:         0
        .size:           56
        .value_kind:     by_value
    .group_segment_fixed_size: 0
    .kernarg_segment_align: 8
    .kernarg_segment_size: 56
    .language:       OpenCL C
    .language_version:
      - 2
      - 0
    .max_flat_workgroup_size: 128
    .name:           _ZN7rocprim17ROCPRIM_400000_NS6detail17trampoline_kernelINS0_14default_configENS1_22reduce_config_selectorIiEEZNS1_11reduce_implILb1ES3_PiS7_iN6hipcub16HIPCUB_304000_NS6detail34convert_binary_result_type_wrapperINS9_3SumENS9_22TransformInputIteratorIbN2at6native12_GLOBAL__N_19NonZeroOpIN3c104HalfEEEPKSJ_lEEiEEEE10hipError_tPvRmT1_T2_T3_mT4_P12ihipStream_tbEUlT_E0_NS1_11comp_targetILNS1_3genE4ELNS1_11target_archE910ELNS1_3gpuE8ELNS1_3repE0EEENS1_30default_config_static_selectorELNS0_4arch9wavefront6targetE0EEEvSS_
    .private_segment_fixed_size: 0
    .sgpr_count:     0
    .sgpr_spill_count: 0
    .symbol:         _ZN7rocprim17ROCPRIM_400000_NS6detail17trampoline_kernelINS0_14default_configENS1_22reduce_config_selectorIiEEZNS1_11reduce_implILb1ES3_PiS7_iN6hipcub16HIPCUB_304000_NS6detail34convert_binary_result_type_wrapperINS9_3SumENS9_22TransformInputIteratorIbN2at6native12_GLOBAL__N_19NonZeroOpIN3c104HalfEEEPKSJ_lEEiEEEE10hipError_tPvRmT1_T2_T3_mT4_P12ihipStream_tbEUlT_E0_NS1_11comp_targetILNS1_3genE4ELNS1_11target_archE910ELNS1_3gpuE8ELNS1_3repE0EEENS1_30default_config_static_selectorELNS0_4arch9wavefront6targetE0EEEvSS_.kd
    .uniform_work_group_size: 1
    .uses_dynamic_stack: false
    .vgpr_count:     0
    .vgpr_spill_count: 0
    .wavefront_size: 32
    .workgroup_processor_mode: 1
  - .args:
      - .offset:         0
        .size:           56
        .value_kind:     by_value
    .group_segment_fixed_size: 0
    .kernarg_segment_align: 8
    .kernarg_segment_size: 56
    .language:       OpenCL C
    .language_version:
      - 2
      - 0
    .max_flat_workgroup_size: 256
    .name:           _ZN7rocprim17ROCPRIM_400000_NS6detail17trampoline_kernelINS0_14default_configENS1_22reduce_config_selectorIiEEZNS1_11reduce_implILb1ES3_PiS7_iN6hipcub16HIPCUB_304000_NS6detail34convert_binary_result_type_wrapperINS9_3SumENS9_22TransformInputIteratorIbN2at6native12_GLOBAL__N_19NonZeroOpIN3c104HalfEEEPKSJ_lEEiEEEE10hipError_tPvRmT1_T2_T3_mT4_P12ihipStream_tbEUlT_E0_NS1_11comp_targetILNS1_3genE3ELNS1_11target_archE908ELNS1_3gpuE7ELNS1_3repE0EEENS1_30default_config_static_selectorELNS0_4arch9wavefront6targetE0EEEvSS_
    .private_segment_fixed_size: 0
    .sgpr_count:     0
    .sgpr_spill_count: 0
    .symbol:         _ZN7rocprim17ROCPRIM_400000_NS6detail17trampoline_kernelINS0_14default_configENS1_22reduce_config_selectorIiEEZNS1_11reduce_implILb1ES3_PiS7_iN6hipcub16HIPCUB_304000_NS6detail34convert_binary_result_type_wrapperINS9_3SumENS9_22TransformInputIteratorIbN2at6native12_GLOBAL__N_19NonZeroOpIN3c104HalfEEEPKSJ_lEEiEEEE10hipError_tPvRmT1_T2_T3_mT4_P12ihipStream_tbEUlT_E0_NS1_11comp_targetILNS1_3genE3ELNS1_11target_archE908ELNS1_3gpuE7ELNS1_3repE0EEENS1_30default_config_static_selectorELNS0_4arch9wavefront6targetE0EEEvSS_.kd
    .uniform_work_group_size: 1
    .uses_dynamic_stack: false
    .vgpr_count:     0
    .vgpr_spill_count: 0
    .wavefront_size: 32
    .workgroup_processor_mode: 1
  - .args:
      - .offset:         0
        .size:           56
        .value_kind:     by_value
    .group_segment_fixed_size: 0
    .kernarg_segment_align: 8
    .kernarg_segment_size: 56
    .language:       OpenCL C
    .language_version:
      - 2
      - 0
    .max_flat_workgroup_size: 256
    .name:           _ZN7rocprim17ROCPRIM_400000_NS6detail17trampoline_kernelINS0_14default_configENS1_22reduce_config_selectorIiEEZNS1_11reduce_implILb1ES3_PiS7_iN6hipcub16HIPCUB_304000_NS6detail34convert_binary_result_type_wrapperINS9_3SumENS9_22TransformInputIteratorIbN2at6native12_GLOBAL__N_19NonZeroOpIN3c104HalfEEEPKSJ_lEEiEEEE10hipError_tPvRmT1_T2_T3_mT4_P12ihipStream_tbEUlT_E0_NS1_11comp_targetILNS1_3genE2ELNS1_11target_archE906ELNS1_3gpuE6ELNS1_3repE0EEENS1_30default_config_static_selectorELNS0_4arch9wavefront6targetE0EEEvSS_
    .private_segment_fixed_size: 0
    .sgpr_count:     0
    .sgpr_spill_count: 0
    .symbol:         _ZN7rocprim17ROCPRIM_400000_NS6detail17trampoline_kernelINS0_14default_configENS1_22reduce_config_selectorIiEEZNS1_11reduce_implILb1ES3_PiS7_iN6hipcub16HIPCUB_304000_NS6detail34convert_binary_result_type_wrapperINS9_3SumENS9_22TransformInputIteratorIbN2at6native12_GLOBAL__N_19NonZeroOpIN3c104HalfEEEPKSJ_lEEiEEEE10hipError_tPvRmT1_T2_T3_mT4_P12ihipStream_tbEUlT_E0_NS1_11comp_targetILNS1_3genE2ELNS1_11target_archE906ELNS1_3gpuE6ELNS1_3repE0EEENS1_30default_config_static_selectorELNS0_4arch9wavefront6targetE0EEEvSS_.kd
    .uniform_work_group_size: 1
    .uses_dynamic_stack: false
    .vgpr_count:     0
    .vgpr_spill_count: 0
    .wavefront_size: 32
    .workgroup_processor_mode: 1
  - .args:
      - .offset:         0
        .size:           56
        .value_kind:     by_value
    .group_segment_fixed_size: 0
    .kernarg_segment_align: 8
    .kernarg_segment_size: 56
    .language:       OpenCL C
    .language_version:
      - 2
      - 0
    .max_flat_workgroup_size: 256
    .name:           _ZN7rocprim17ROCPRIM_400000_NS6detail17trampoline_kernelINS0_14default_configENS1_22reduce_config_selectorIiEEZNS1_11reduce_implILb1ES3_PiS7_iN6hipcub16HIPCUB_304000_NS6detail34convert_binary_result_type_wrapperINS9_3SumENS9_22TransformInputIteratorIbN2at6native12_GLOBAL__N_19NonZeroOpIN3c104HalfEEEPKSJ_lEEiEEEE10hipError_tPvRmT1_T2_T3_mT4_P12ihipStream_tbEUlT_E0_NS1_11comp_targetILNS1_3genE10ELNS1_11target_archE1201ELNS1_3gpuE5ELNS1_3repE0EEENS1_30default_config_static_selectorELNS0_4arch9wavefront6targetE0EEEvSS_
    .private_segment_fixed_size: 0
    .sgpr_count:     0
    .sgpr_spill_count: 0
    .symbol:         _ZN7rocprim17ROCPRIM_400000_NS6detail17trampoline_kernelINS0_14default_configENS1_22reduce_config_selectorIiEEZNS1_11reduce_implILb1ES3_PiS7_iN6hipcub16HIPCUB_304000_NS6detail34convert_binary_result_type_wrapperINS9_3SumENS9_22TransformInputIteratorIbN2at6native12_GLOBAL__N_19NonZeroOpIN3c104HalfEEEPKSJ_lEEiEEEE10hipError_tPvRmT1_T2_T3_mT4_P12ihipStream_tbEUlT_E0_NS1_11comp_targetILNS1_3genE10ELNS1_11target_archE1201ELNS1_3gpuE5ELNS1_3repE0EEENS1_30default_config_static_selectorELNS0_4arch9wavefront6targetE0EEEvSS_.kd
    .uniform_work_group_size: 1
    .uses_dynamic_stack: false
    .vgpr_count:     0
    .vgpr_spill_count: 0
    .wavefront_size: 32
    .workgroup_processor_mode: 1
  - .args:
      - .offset:         0
        .size:           56
        .value_kind:     by_value
    .group_segment_fixed_size: 0
    .kernarg_segment_align: 8
    .kernarg_segment_size: 56
    .language:       OpenCL C
    .language_version:
      - 2
      - 0
    .max_flat_workgroup_size: 256
    .name:           _ZN7rocprim17ROCPRIM_400000_NS6detail17trampoline_kernelINS0_14default_configENS1_22reduce_config_selectorIiEEZNS1_11reduce_implILb1ES3_PiS7_iN6hipcub16HIPCUB_304000_NS6detail34convert_binary_result_type_wrapperINS9_3SumENS9_22TransformInputIteratorIbN2at6native12_GLOBAL__N_19NonZeroOpIN3c104HalfEEEPKSJ_lEEiEEEE10hipError_tPvRmT1_T2_T3_mT4_P12ihipStream_tbEUlT_E0_NS1_11comp_targetILNS1_3genE10ELNS1_11target_archE1200ELNS1_3gpuE4ELNS1_3repE0EEENS1_30default_config_static_selectorELNS0_4arch9wavefront6targetE0EEEvSS_
    .private_segment_fixed_size: 0
    .sgpr_count:     0
    .sgpr_spill_count: 0
    .symbol:         _ZN7rocprim17ROCPRIM_400000_NS6detail17trampoline_kernelINS0_14default_configENS1_22reduce_config_selectorIiEEZNS1_11reduce_implILb1ES3_PiS7_iN6hipcub16HIPCUB_304000_NS6detail34convert_binary_result_type_wrapperINS9_3SumENS9_22TransformInputIteratorIbN2at6native12_GLOBAL__N_19NonZeroOpIN3c104HalfEEEPKSJ_lEEiEEEE10hipError_tPvRmT1_T2_T3_mT4_P12ihipStream_tbEUlT_E0_NS1_11comp_targetILNS1_3genE10ELNS1_11target_archE1200ELNS1_3gpuE4ELNS1_3repE0EEENS1_30default_config_static_selectorELNS0_4arch9wavefront6targetE0EEEvSS_.kd
    .uniform_work_group_size: 1
    .uses_dynamic_stack: false
    .vgpr_count:     0
    .vgpr_spill_count: 0
    .wavefront_size: 32
    .workgroup_processor_mode: 1
  - .args:
      - .offset:         0
        .size:           56
        .value_kind:     by_value
    .group_segment_fixed_size: 64
    .kernarg_segment_align: 8
    .kernarg_segment_size: 56
    .language:       OpenCL C
    .language_version:
      - 2
      - 0
    .max_flat_workgroup_size: 256
    .name:           _ZN7rocprim17ROCPRIM_400000_NS6detail17trampoline_kernelINS0_14default_configENS1_22reduce_config_selectorIiEEZNS1_11reduce_implILb1ES3_PiS7_iN6hipcub16HIPCUB_304000_NS6detail34convert_binary_result_type_wrapperINS9_3SumENS9_22TransformInputIteratorIbN2at6native12_GLOBAL__N_19NonZeroOpIN3c104HalfEEEPKSJ_lEEiEEEE10hipError_tPvRmT1_T2_T3_mT4_P12ihipStream_tbEUlT_E0_NS1_11comp_targetILNS1_3genE9ELNS1_11target_archE1100ELNS1_3gpuE3ELNS1_3repE0EEENS1_30default_config_static_selectorELNS0_4arch9wavefront6targetE0EEEvSS_
    .private_segment_fixed_size: 0
    .sgpr_count:     24
    .sgpr_spill_count: 0
    .symbol:         _ZN7rocprim17ROCPRIM_400000_NS6detail17trampoline_kernelINS0_14default_configENS1_22reduce_config_selectorIiEEZNS1_11reduce_implILb1ES3_PiS7_iN6hipcub16HIPCUB_304000_NS6detail34convert_binary_result_type_wrapperINS9_3SumENS9_22TransformInputIteratorIbN2at6native12_GLOBAL__N_19NonZeroOpIN3c104HalfEEEPKSJ_lEEiEEEE10hipError_tPvRmT1_T2_T3_mT4_P12ihipStream_tbEUlT_E0_NS1_11comp_targetILNS1_3genE9ELNS1_11target_archE1100ELNS1_3gpuE3ELNS1_3repE0EEENS1_30default_config_static_selectorELNS0_4arch9wavefront6targetE0EEEvSS_.kd
    .uniform_work_group_size: 1
    .uses_dynamic_stack: false
    .vgpr_count:     12
    .vgpr_spill_count: 0
    .wavefront_size: 32
    .workgroup_processor_mode: 1
  - .args:
      - .offset:         0
        .size:           56
        .value_kind:     by_value
    .group_segment_fixed_size: 0
    .kernarg_segment_align: 8
    .kernarg_segment_size: 56
    .language:       OpenCL C
    .language_version:
      - 2
      - 0
    .max_flat_workgroup_size: 256
    .name:           _ZN7rocprim17ROCPRIM_400000_NS6detail17trampoline_kernelINS0_14default_configENS1_22reduce_config_selectorIiEEZNS1_11reduce_implILb1ES3_PiS7_iN6hipcub16HIPCUB_304000_NS6detail34convert_binary_result_type_wrapperINS9_3SumENS9_22TransformInputIteratorIbN2at6native12_GLOBAL__N_19NonZeroOpIN3c104HalfEEEPKSJ_lEEiEEEE10hipError_tPvRmT1_T2_T3_mT4_P12ihipStream_tbEUlT_E0_NS1_11comp_targetILNS1_3genE8ELNS1_11target_archE1030ELNS1_3gpuE2ELNS1_3repE0EEENS1_30default_config_static_selectorELNS0_4arch9wavefront6targetE0EEEvSS_
    .private_segment_fixed_size: 0
    .sgpr_count:     0
    .sgpr_spill_count: 0
    .symbol:         _ZN7rocprim17ROCPRIM_400000_NS6detail17trampoline_kernelINS0_14default_configENS1_22reduce_config_selectorIiEEZNS1_11reduce_implILb1ES3_PiS7_iN6hipcub16HIPCUB_304000_NS6detail34convert_binary_result_type_wrapperINS9_3SumENS9_22TransformInputIteratorIbN2at6native12_GLOBAL__N_19NonZeroOpIN3c104HalfEEEPKSJ_lEEiEEEE10hipError_tPvRmT1_T2_T3_mT4_P12ihipStream_tbEUlT_E0_NS1_11comp_targetILNS1_3genE8ELNS1_11target_archE1030ELNS1_3gpuE2ELNS1_3repE0EEENS1_30default_config_static_selectorELNS0_4arch9wavefront6targetE0EEEvSS_.kd
    .uniform_work_group_size: 1
    .uses_dynamic_stack: false
    .vgpr_count:     0
    .vgpr_spill_count: 0
    .wavefront_size: 32
    .workgroup_processor_mode: 1
  - .args:
      - .offset:         0
        .size:           40
        .value_kind:     by_value
    .group_segment_fixed_size: 0
    .kernarg_segment_align: 8
    .kernarg_segment_size: 40
    .language:       OpenCL C
    .language_version:
      - 2
      - 0
    .max_flat_workgroup_size: 256
    .name:           _ZN7rocprim17ROCPRIM_400000_NS6detail17trampoline_kernelINS0_14default_configENS1_22reduce_config_selectorIiEEZNS1_11reduce_implILb1ES3_PiS7_iN6hipcub16HIPCUB_304000_NS6detail34convert_binary_result_type_wrapperINS9_3SumENS9_22TransformInputIteratorIbN2at6native12_GLOBAL__N_19NonZeroOpIN3c104HalfEEEPKSJ_lEEiEEEE10hipError_tPvRmT1_T2_T3_mT4_P12ihipStream_tbEUlT_E1_NS1_11comp_targetILNS1_3genE0ELNS1_11target_archE4294967295ELNS1_3gpuE0ELNS1_3repE0EEENS1_30default_config_static_selectorELNS0_4arch9wavefront6targetE0EEEvSS_
    .private_segment_fixed_size: 0
    .sgpr_count:     0
    .sgpr_spill_count: 0
    .symbol:         _ZN7rocprim17ROCPRIM_400000_NS6detail17trampoline_kernelINS0_14default_configENS1_22reduce_config_selectorIiEEZNS1_11reduce_implILb1ES3_PiS7_iN6hipcub16HIPCUB_304000_NS6detail34convert_binary_result_type_wrapperINS9_3SumENS9_22TransformInputIteratorIbN2at6native12_GLOBAL__N_19NonZeroOpIN3c104HalfEEEPKSJ_lEEiEEEE10hipError_tPvRmT1_T2_T3_mT4_P12ihipStream_tbEUlT_E1_NS1_11comp_targetILNS1_3genE0ELNS1_11target_archE4294967295ELNS1_3gpuE0ELNS1_3repE0EEENS1_30default_config_static_selectorELNS0_4arch9wavefront6targetE0EEEvSS_.kd
    .uniform_work_group_size: 1
    .uses_dynamic_stack: false
    .vgpr_count:     0
    .vgpr_spill_count: 0
    .wavefront_size: 32
    .workgroup_processor_mode: 1
  - .args:
      - .offset:         0
        .size:           40
        .value_kind:     by_value
    .group_segment_fixed_size: 0
    .kernarg_segment_align: 8
    .kernarg_segment_size: 40
    .language:       OpenCL C
    .language_version:
      - 2
      - 0
    .max_flat_workgroup_size: 256
    .name:           _ZN7rocprim17ROCPRIM_400000_NS6detail17trampoline_kernelINS0_14default_configENS1_22reduce_config_selectorIiEEZNS1_11reduce_implILb1ES3_PiS7_iN6hipcub16HIPCUB_304000_NS6detail34convert_binary_result_type_wrapperINS9_3SumENS9_22TransformInputIteratorIbN2at6native12_GLOBAL__N_19NonZeroOpIN3c104HalfEEEPKSJ_lEEiEEEE10hipError_tPvRmT1_T2_T3_mT4_P12ihipStream_tbEUlT_E1_NS1_11comp_targetILNS1_3genE5ELNS1_11target_archE942ELNS1_3gpuE9ELNS1_3repE0EEENS1_30default_config_static_selectorELNS0_4arch9wavefront6targetE0EEEvSS_
    .private_segment_fixed_size: 0
    .sgpr_count:     0
    .sgpr_spill_count: 0
    .symbol:         _ZN7rocprim17ROCPRIM_400000_NS6detail17trampoline_kernelINS0_14default_configENS1_22reduce_config_selectorIiEEZNS1_11reduce_implILb1ES3_PiS7_iN6hipcub16HIPCUB_304000_NS6detail34convert_binary_result_type_wrapperINS9_3SumENS9_22TransformInputIteratorIbN2at6native12_GLOBAL__N_19NonZeroOpIN3c104HalfEEEPKSJ_lEEiEEEE10hipError_tPvRmT1_T2_T3_mT4_P12ihipStream_tbEUlT_E1_NS1_11comp_targetILNS1_3genE5ELNS1_11target_archE942ELNS1_3gpuE9ELNS1_3repE0EEENS1_30default_config_static_selectorELNS0_4arch9wavefront6targetE0EEEvSS_.kd
    .uniform_work_group_size: 1
    .uses_dynamic_stack: false
    .vgpr_count:     0
    .vgpr_spill_count: 0
    .wavefront_size: 32
    .workgroup_processor_mode: 1
  - .args:
      - .offset:         0
        .size:           40
        .value_kind:     by_value
    .group_segment_fixed_size: 0
    .kernarg_segment_align: 8
    .kernarg_segment_size: 40
    .language:       OpenCL C
    .language_version:
      - 2
      - 0
    .max_flat_workgroup_size: 128
    .name:           _ZN7rocprim17ROCPRIM_400000_NS6detail17trampoline_kernelINS0_14default_configENS1_22reduce_config_selectorIiEEZNS1_11reduce_implILb1ES3_PiS7_iN6hipcub16HIPCUB_304000_NS6detail34convert_binary_result_type_wrapperINS9_3SumENS9_22TransformInputIteratorIbN2at6native12_GLOBAL__N_19NonZeroOpIN3c104HalfEEEPKSJ_lEEiEEEE10hipError_tPvRmT1_T2_T3_mT4_P12ihipStream_tbEUlT_E1_NS1_11comp_targetILNS1_3genE4ELNS1_11target_archE910ELNS1_3gpuE8ELNS1_3repE0EEENS1_30default_config_static_selectorELNS0_4arch9wavefront6targetE0EEEvSS_
    .private_segment_fixed_size: 0
    .sgpr_count:     0
    .sgpr_spill_count: 0
    .symbol:         _ZN7rocprim17ROCPRIM_400000_NS6detail17trampoline_kernelINS0_14default_configENS1_22reduce_config_selectorIiEEZNS1_11reduce_implILb1ES3_PiS7_iN6hipcub16HIPCUB_304000_NS6detail34convert_binary_result_type_wrapperINS9_3SumENS9_22TransformInputIteratorIbN2at6native12_GLOBAL__N_19NonZeroOpIN3c104HalfEEEPKSJ_lEEiEEEE10hipError_tPvRmT1_T2_T3_mT4_P12ihipStream_tbEUlT_E1_NS1_11comp_targetILNS1_3genE4ELNS1_11target_archE910ELNS1_3gpuE8ELNS1_3repE0EEENS1_30default_config_static_selectorELNS0_4arch9wavefront6targetE0EEEvSS_.kd
    .uniform_work_group_size: 1
    .uses_dynamic_stack: false
    .vgpr_count:     0
    .vgpr_spill_count: 0
    .wavefront_size: 32
    .workgroup_processor_mode: 1
  - .args:
      - .offset:         0
        .size:           40
        .value_kind:     by_value
    .group_segment_fixed_size: 0
    .kernarg_segment_align: 8
    .kernarg_segment_size: 40
    .language:       OpenCL C
    .language_version:
      - 2
      - 0
    .max_flat_workgroup_size: 256
    .name:           _ZN7rocprim17ROCPRIM_400000_NS6detail17trampoline_kernelINS0_14default_configENS1_22reduce_config_selectorIiEEZNS1_11reduce_implILb1ES3_PiS7_iN6hipcub16HIPCUB_304000_NS6detail34convert_binary_result_type_wrapperINS9_3SumENS9_22TransformInputIteratorIbN2at6native12_GLOBAL__N_19NonZeroOpIN3c104HalfEEEPKSJ_lEEiEEEE10hipError_tPvRmT1_T2_T3_mT4_P12ihipStream_tbEUlT_E1_NS1_11comp_targetILNS1_3genE3ELNS1_11target_archE908ELNS1_3gpuE7ELNS1_3repE0EEENS1_30default_config_static_selectorELNS0_4arch9wavefront6targetE0EEEvSS_
    .private_segment_fixed_size: 0
    .sgpr_count:     0
    .sgpr_spill_count: 0
    .symbol:         _ZN7rocprim17ROCPRIM_400000_NS6detail17trampoline_kernelINS0_14default_configENS1_22reduce_config_selectorIiEEZNS1_11reduce_implILb1ES3_PiS7_iN6hipcub16HIPCUB_304000_NS6detail34convert_binary_result_type_wrapperINS9_3SumENS9_22TransformInputIteratorIbN2at6native12_GLOBAL__N_19NonZeroOpIN3c104HalfEEEPKSJ_lEEiEEEE10hipError_tPvRmT1_T2_T3_mT4_P12ihipStream_tbEUlT_E1_NS1_11comp_targetILNS1_3genE3ELNS1_11target_archE908ELNS1_3gpuE7ELNS1_3repE0EEENS1_30default_config_static_selectorELNS0_4arch9wavefront6targetE0EEEvSS_.kd
    .uniform_work_group_size: 1
    .uses_dynamic_stack: false
    .vgpr_count:     0
    .vgpr_spill_count: 0
    .wavefront_size: 32
    .workgroup_processor_mode: 1
  - .args:
      - .offset:         0
        .size:           40
        .value_kind:     by_value
    .group_segment_fixed_size: 0
    .kernarg_segment_align: 8
    .kernarg_segment_size: 40
    .language:       OpenCL C
    .language_version:
      - 2
      - 0
    .max_flat_workgroup_size: 256
    .name:           _ZN7rocprim17ROCPRIM_400000_NS6detail17trampoline_kernelINS0_14default_configENS1_22reduce_config_selectorIiEEZNS1_11reduce_implILb1ES3_PiS7_iN6hipcub16HIPCUB_304000_NS6detail34convert_binary_result_type_wrapperINS9_3SumENS9_22TransformInputIteratorIbN2at6native12_GLOBAL__N_19NonZeroOpIN3c104HalfEEEPKSJ_lEEiEEEE10hipError_tPvRmT1_T2_T3_mT4_P12ihipStream_tbEUlT_E1_NS1_11comp_targetILNS1_3genE2ELNS1_11target_archE906ELNS1_3gpuE6ELNS1_3repE0EEENS1_30default_config_static_selectorELNS0_4arch9wavefront6targetE0EEEvSS_
    .private_segment_fixed_size: 0
    .sgpr_count:     0
    .sgpr_spill_count: 0
    .symbol:         _ZN7rocprim17ROCPRIM_400000_NS6detail17trampoline_kernelINS0_14default_configENS1_22reduce_config_selectorIiEEZNS1_11reduce_implILb1ES3_PiS7_iN6hipcub16HIPCUB_304000_NS6detail34convert_binary_result_type_wrapperINS9_3SumENS9_22TransformInputIteratorIbN2at6native12_GLOBAL__N_19NonZeroOpIN3c104HalfEEEPKSJ_lEEiEEEE10hipError_tPvRmT1_T2_T3_mT4_P12ihipStream_tbEUlT_E1_NS1_11comp_targetILNS1_3genE2ELNS1_11target_archE906ELNS1_3gpuE6ELNS1_3repE0EEENS1_30default_config_static_selectorELNS0_4arch9wavefront6targetE0EEEvSS_.kd
    .uniform_work_group_size: 1
    .uses_dynamic_stack: false
    .vgpr_count:     0
    .vgpr_spill_count: 0
    .wavefront_size: 32
    .workgroup_processor_mode: 1
  - .args:
      - .offset:         0
        .size:           40
        .value_kind:     by_value
    .group_segment_fixed_size: 0
    .kernarg_segment_align: 8
    .kernarg_segment_size: 40
    .language:       OpenCL C
    .language_version:
      - 2
      - 0
    .max_flat_workgroup_size: 256
    .name:           _ZN7rocprim17ROCPRIM_400000_NS6detail17trampoline_kernelINS0_14default_configENS1_22reduce_config_selectorIiEEZNS1_11reduce_implILb1ES3_PiS7_iN6hipcub16HIPCUB_304000_NS6detail34convert_binary_result_type_wrapperINS9_3SumENS9_22TransformInputIteratorIbN2at6native12_GLOBAL__N_19NonZeroOpIN3c104HalfEEEPKSJ_lEEiEEEE10hipError_tPvRmT1_T2_T3_mT4_P12ihipStream_tbEUlT_E1_NS1_11comp_targetILNS1_3genE10ELNS1_11target_archE1201ELNS1_3gpuE5ELNS1_3repE0EEENS1_30default_config_static_selectorELNS0_4arch9wavefront6targetE0EEEvSS_
    .private_segment_fixed_size: 0
    .sgpr_count:     0
    .sgpr_spill_count: 0
    .symbol:         _ZN7rocprim17ROCPRIM_400000_NS6detail17trampoline_kernelINS0_14default_configENS1_22reduce_config_selectorIiEEZNS1_11reduce_implILb1ES3_PiS7_iN6hipcub16HIPCUB_304000_NS6detail34convert_binary_result_type_wrapperINS9_3SumENS9_22TransformInputIteratorIbN2at6native12_GLOBAL__N_19NonZeroOpIN3c104HalfEEEPKSJ_lEEiEEEE10hipError_tPvRmT1_T2_T3_mT4_P12ihipStream_tbEUlT_E1_NS1_11comp_targetILNS1_3genE10ELNS1_11target_archE1201ELNS1_3gpuE5ELNS1_3repE0EEENS1_30default_config_static_selectorELNS0_4arch9wavefront6targetE0EEEvSS_.kd
    .uniform_work_group_size: 1
    .uses_dynamic_stack: false
    .vgpr_count:     0
    .vgpr_spill_count: 0
    .wavefront_size: 32
    .workgroup_processor_mode: 1
  - .args:
      - .offset:         0
        .size:           40
        .value_kind:     by_value
    .group_segment_fixed_size: 0
    .kernarg_segment_align: 8
    .kernarg_segment_size: 40
    .language:       OpenCL C
    .language_version:
      - 2
      - 0
    .max_flat_workgroup_size: 256
    .name:           _ZN7rocprim17ROCPRIM_400000_NS6detail17trampoline_kernelINS0_14default_configENS1_22reduce_config_selectorIiEEZNS1_11reduce_implILb1ES3_PiS7_iN6hipcub16HIPCUB_304000_NS6detail34convert_binary_result_type_wrapperINS9_3SumENS9_22TransformInputIteratorIbN2at6native12_GLOBAL__N_19NonZeroOpIN3c104HalfEEEPKSJ_lEEiEEEE10hipError_tPvRmT1_T2_T3_mT4_P12ihipStream_tbEUlT_E1_NS1_11comp_targetILNS1_3genE10ELNS1_11target_archE1200ELNS1_3gpuE4ELNS1_3repE0EEENS1_30default_config_static_selectorELNS0_4arch9wavefront6targetE0EEEvSS_
    .private_segment_fixed_size: 0
    .sgpr_count:     0
    .sgpr_spill_count: 0
    .symbol:         _ZN7rocprim17ROCPRIM_400000_NS6detail17trampoline_kernelINS0_14default_configENS1_22reduce_config_selectorIiEEZNS1_11reduce_implILb1ES3_PiS7_iN6hipcub16HIPCUB_304000_NS6detail34convert_binary_result_type_wrapperINS9_3SumENS9_22TransformInputIteratorIbN2at6native12_GLOBAL__N_19NonZeroOpIN3c104HalfEEEPKSJ_lEEiEEEE10hipError_tPvRmT1_T2_T3_mT4_P12ihipStream_tbEUlT_E1_NS1_11comp_targetILNS1_3genE10ELNS1_11target_archE1200ELNS1_3gpuE4ELNS1_3repE0EEENS1_30default_config_static_selectorELNS0_4arch9wavefront6targetE0EEEvSS_.kd
    .uniform_work_group_size: 1
    .uses_dynamic_stack: false
    .vgpr_count:     0
    .vgpr_spill_count: 0
    .wavefront_size: 32
    .workgroup_processor_mode: 1
  - .args:
      - .offset:         0
        .size:           40
        .value_kind:     by_value
    .group_segment_fixed_size: 224
    .kernarg_segment_align: 8
    .kernarg_segment_size: 40
    .language:       OpenCL C
    .language_version:
      - 2
      - 0
    .max_flat_workgroup_size: 256
    .name:           _ZN7rocprim17ROCPRIM_400000_NS6detail17trampoline_kernelINS0_14default_configENS1_22reduce_config_selectorIiEEZNS1_11reduce_implILb1ES3_PiS7_iN6hipcub16HIPCUB_304000_NS6detail34convert_binary_result_type_wrapperINS9_3SumENS9_22TransformInputIteratorIbN2at6native12_GLOBAL__N_19NonZeroOpIN3c104HalfEEEPKSJ_lEEiEEEE10hipError_tPvRmT1_T2_T3_mT4_P12ihipStream_tbEUlT_E1_NS1_11comp_targetILNS1_3genE9ELNS1_11target_archE1100ELNS1_3gpuE3ELNS1_3repE0EEENS1_30default_config_static_selectorELNS0_4arch9wavefront6targetE0EEEvSS_
    .private_segment_fixed_size: 0
    .sgpr_count:     29
    .sgpr_spill_count: 0
    .symbol:         _ZN7rocprim17ROCPRIM_400000_NS6detail17trampoline_kernelINS0_14default_configENS1_22reduce_config_selectorIiEEZNS1_11reduce_implILb1ES3_PiS7_iN6hipcub16HIPCUB_304000_NS6detail34convert_binary_result_type_wrapperINS9_3SumENS9_22TransformInputIteratorIbN2at6native12_GLOBAL__N_19NonZeroOpIN3c104HalfEEEPKSJ_lEEiEEEE10hipError_tPvRmT1_T2_T3_mT4_P12ihipStream_tbEUlT_E1_NS1_11comp_targetILNS1_3genE9ELNS1_11target_archE1100ELNS1_3gpuE3ELNS1_3repE0EEENS1_30default_config_static_selectorELNS0_4arch9wavefront6targetE0EEEvSS_.kd
    .uniform_work_group_size: 1
    .uses_dynamic_stack: false
    .vgpr_count:     34
    .vgpr_spill_count: 0
    .wavefront_size: 32
    .workgroup_processor_mode: 1
  - .args:
      - .offset:         0
        .size:           40
        .value_kind:     by_value
    .group_segment_fixed_size: 0
    .kernarg_segment_align: 8
    .kernarg_segment_size: 40
    .language:       OpenCL C
    .language_version:
      - 2
      - 0
    .max_flat_workgroup_size: 256
    .name:           _ZN7rocprim17ROCPRIM_400000_NS6detail17trampoline_kernelINS0_14default_configENS1_22reduce_config_selectorIiEEZNS1_11reduce_implILb1ES3_PiS7_iN6hipcub16HIPCUB_304000_NS6detail34convert_binary_result_type_wrapperINS9_3SumENS9_22TransformInputIteratorIbN2at6native12_GLOBAL__N_19NonZeroOpIN3c104HalfEEEPKSJ_lEEiEEEE10hipError_tPvRmT1_T2_T3_mT4_P12ihipStream_tbEUlT_E1_NS1_11comp_targetILNS1_3genE8ELNS1_11target_archE1030ELNS1_3gpuE2ELNS1_3repE0EEENS1_30default_config_static_selectorELNS0_4arch9wavefront6targetE0EEEvSS_
    .private_segment_fixed_size: 0
    .sgpr_count:     0
    .sgpr_spill_count: 0
    .symbol:         _ZN7rocprim17ROCPRIM_400000_NS6detail17trampoline_kernelINS0_14default_configENS1_22reduce_config_selectorIiEEZNS1_11reduce_implILb1ES3_PiS7_iN6hipcub16HIPCUB_304000_NS6detail34convert_binary_result_type_wrapperINS9_3SumENS9_22TransformInputIteratorIbN2at6native12_GLOBAL__N_19NonZeroOpIN3c104HalfEEEPKSJ_lEEiEEEE10hipError_tPvRmT1_T2_T3_mT4_P12ihipStream_tbEUlT_E1_NS1_11comp_targetILNS1_3genE8ELNS1_11target_archE1030ELNS1_3gpuE2ELNS1_3repE0EEENS1_30default_config_static_selectorELNS0_4arch9wavefront6targetE0EEEvSS_.kd
    .uniform_work_group_size: 1
    .uses_dynamic_stack: false
    .vgpr_count:     0
    .vgpr_spill_count: 0
    .wavefront_size: 32
    .workgroup_processor_mode: 1
  - .args:
      - .offset:         0
        .size:           64
        .value_kind:     by_value
    .group_segment_fixed_size: 0
    .kernarg_segment_align: 8
    .kernarg_segment_size: 64
    .language:       OpenCL C
    .language_version:
      - 2
      - 0
    .max_flat_workgroup_size: 256
    .name:           _ZN7rocprim17ROCPRIM_400000_NS6detail17trampoline_kernelINS0_14default_configENS1_22reduce_config_selectorIbEEZNS1_11reduce_implILb1ES3_N6hipcub16HIPCUB_304000_NS22TransformInputIteratorIbN2at6native12_GLOBAL__N_19NonZeroOpIN3c104HalfEEEPKSF_lEEPiiNS8_6detail34convert_binary_result_type_wrapperINS8_3SumESJ_iEEEE10hipError_tPvRmT1_T2_T3_mT4_P12ihipStream_tbEUlT_E0_NS1_11comp_targetILNS1_3genE0ELNS1_11target_archE4294967295ELNS1_3gpuE0ELNS1_3repE0EEENS1_30default_config_static_selectorELNS0_4arch9wavefront6targetE0EEEvSS_
    .private_segment_fixed_size: 0
    .sgpr_count:     0
    .sgpr_spill_count: 0
    .symbol:         _ZN7rocprim17ROCPRIM_400000_NS6detail17trampoline_kernelINS0_14default_configENS1_22reduce_config_selectorIbEEZNS1_11reduce_implILb1ES3_N6hipcub16HIPCUB_304000_NS22TransformInputIteratorIbN2at6native12_GLOBAL__N_19NonZeroOpIN3c104HalfEEEPKSF_lEEPiiNS8_6detail34convert_binary_result_type_wrapperINS8_3SumESJ_iEEEE10hipError_tPvRmT1_T2_T3_mT4_P12ihipStream_tbEUlT_E0_NS1_11comp_targetILNS1_3genE0ELNS1_11target_archE4294967295ELNS1_3gpuE0ELNS1_3repE0EEENS1_30default_config_static_selectorELNS0_4arch9wavefront6targetE0EEEvSS_.kd
    .uniform_work_group_size: 1
    .uses_dynamic_stack: false
    .vgpr_count:     0
    .vgpr_spill_count: 0
    .wavefront_size: 32
    .workgroup_processor_mode: 1
  - .args:
      - .offset:         0
        .size:           64
        .value_kind:     by_value
    .group_segment_fixed_size: 0
    .kernarg_segment_align: 8
    .kernarg_segment_size: 64
    .language:       OpenCL C
    .language_version:
      - 2
      - 0
    .max_flat_workgroup_size: 256
    .name:           _ZN7rocprim17ROCPRIM_400000_NS6detail17trampoline_kernelINS0_14default_configENS1_22reduce_config_selectorIbEEZNS1_11reduce_implILb1ES3_N6hipcub16HIPCUB_304000_NS22TransformInputIteratorIbN2at6native12_GLOBAL__N_19NonZeroOpIN3c104HalfEEEPKSF_lEEPiiNS8_6detail34convert_binary_result_type_wrapperINS8_3SumESJ_iEEEE10hipError_tPvRmT1_T2_T3_mT4_P12ihipStream_tbEUlT_E0_NS1_11comp_targetILNS1_3genE5ELNS1_11target_archE942ELNS1_3gpuE9ELNS1_3repE0EEENS1_30default_config_static_selectorELNS0_4arch9wavefront6targetE0EEEvSS_
    .private_segment_fixed_size: 0
    .sgpr_count:     0
    .sgpr_spill_count: 0
    .symbol:         _ZN7rocprim17ROCPRIM_400000_NS6detail17trampoline_kernelINS0_14default_configENS1_22reduce_config_selectorIbEEZNS1_11reduce_implILb1ES3_N6hipcub16HIPCUB_304000_NS22TransformInputIteratorIbN2at6native12_GLOBAL__N_19NonZeroOpIN3c104HalfEEEPKSF_lEEPiiNS8_6detail34convert_binary_result_type_wrapperINS8_3SumESJ_iEEEE10hipError_tPvRmT1_T2_T3_mT4_P12ihipStream_tbEUlT_E0_NS1_11comp_targetILNS1_3genE5ELNS1_11target_archE942ELNS1_3gpuE9ELNS1_3repE0EEENS1_30default_config_static_selectorELNS0_4arch9wavefront6targetE0EEEvSS_.kd
    .uniform_work_group_size: 1
    .uses_dynamic_stack: false
    .vgpr_count:     0
    .vgpr_spill_count: 0
    .wavefront_size: 32
    .workgroup_processor_mode: 1
  - .args:
      - .offset:         0
        .size:           64
        .value_kind:     by_value
    .group_segment_fixed_size: 0
    .kernarg_segment_align: 8
    .kernarg_segment_size: 64
    .language:       OpenCL C
    .language_version:
      - 2
      - 0
    .max_flat_workgroup_size: 128
    .name:           _ZN7rocprim17ROCPRIM_400000_NS6detail17trampoline_kernelINS0_14default_configENS1_22reduce_config_selectorIbEEZNS1_11reduce_implILb1ES3_N6hipcub16HIPCUB_304000_NS22TransformInputIteratorIbN2at6native12_GLOBAL__N_19NonZeroOpIN3c104HalfEEEPKSF_lEEPiiNS8_6detail34convert_binary_result_type_wrapperINS8_3SumESJ_iEEEE10hipError_tPvRmT1_T2_T3_mT4_P12ihipStream_tbEUlT_E0_NS1_11comp_targetILNS1_3genE4ELNS1_11target_archE910ELNS1_3gpuE8ELNS1_3repE0EEENS1_30default_config_static_selectorELNS0_4arch9wavefront6targetE0EEEvSS_
    .private_segment_fixed_size: 0
    .sgpr_count:     0
    .sgpr_spill_count: 0
    .symbol:         _ZN7rocprim17ROCPRIM_400000_NS6detail17trampoline_kernelINS0_14default_configENS1_22reduce_config_selectorIbEEZNS1_11reduce_implILb1ES3_N6hipcub16HIPCUB_304000_NS22TransformInputIteratorIbN2at6native12_GLOBAL__N_19NonZeroOpIN3c104HalfEEEPKSF_lEEPiiNS8_6detail34convert_binary_result_type_wrapperINS8_3SumESJ_iEEEE10hipError_tPvRmT1_T2_T3_mT4_P12ihipStream_tbEUlT_E0_NS1_11comp_targetILNS1_3genE4ELNS1_11target_archE910ELNS1_3gpuE8ELNS1_3repE0EEENS1_30default_config_static_selectorELNS0_4arch9wavefront6targetE0EEEvSS_.kd
    .uniform_work_group_size: 1
    .uses_dynamic_stack: false
    .vgpr_count:     0
    .vgpr_spill_count: 0
    .wavefront_size: 32
    .workgroup_processor_mode: 1
  - .args:
      - .offset:         0
        .size:           64
        .value_kind:     by_value
    .group_segment_fixed_size: 0
    .kernarg_segment_align: 8
    .kernarg_segment_size: 64
    .language:       OpenCL C
    .language_version:
      - 2
      - 0
    .max_flat_workgroup_size: 256
    .name:           _ZN7rocprim17ROCPRIM_400000_NS6detail17trampoline_kernelINS0_14default_configENS1_22reduce_config_selectorIbEEZNS1_11reduce_implILb1ES3_N6hipcub16HIPCUB_304000_NS22TransformInputIteratorIbN2at6native12_GLOBAL__N_19NonZeroOpIN3c104HalfEEEPKSF_lEEPiiNS8_6detail34convert_binary_result_type_wrapperINS8_3SumESJ_iEEEE10hipError_tPvRmT1_T2_T3_mT4_P12ihipStream_tbEUlT_E0_NS1_11comp_targetILNS1_3genE3ELNS1_11target_archE908ELNS1_3gpuE7ELNS1_3repE0EEENS1_30default_config_static_selectorELNS0_4arch9wavefront6targetE0EEEvSS_
    .private_segment_fixed_size: 0
    .sgpr_count:     0
    .sgpr_spill_count: 0
    .symbol:         _ZN7rocprim17ROCPRIM_400000_NS6detail17trampoline_kernelINS0_14default_configENS1_22reduce_config_selectorIbEEZNS1_11reduce_implILb1ES3_N6hipcub16HIPCUB_304000_NS22TransformInputIteratorIbN2at6native12_GLOBAL__N_19NonZeroOpIN3c104HalfEEEPKSF_lEEPiiNS8_6detail34convert_binary_result_type_wrapperINS8_3SumESJ_iEEEE10hipError_tPvRmT1_T2_T3_mT4_P12ihipStream_tbEUlT_E0_NS1_11comp_targetILNS1_3genE3ELNS1_11target_archE908ELNS1_3gpuE7ELNS1_3repE0EEENS1_30default_config_static_selectorELNS0_4arch9wavefront6targetE0EEEvSS_.kd
    .uniform_work_group_size: 1
    .uses_dynamic_stack: false
    .vgpr_count:     0
    .vgpr_spill_count: 0
    .wavefront_size: 32
    .workgroup_processor_mode: 1
  - .args:
      - .offset:         0
        .size:           64
        .value_kind:     by_value
    .group_segment_fixed_size: 0
    .kernarg_segment_align: 8
    .kernarg_segment_size: 64
    .language:       OpenCL C
    .language_version:
      - 2
      - 0
    .max_flat_workgroup_size: 128
    .name:           _ZN7rocprim17ROCPRIM_400000_NS6detail17trampoline_kernelINS0_14default_configENS1_22reduce_config_selectorIbEEZNS1_11reduce_implILb1ES3_N6hipcub16HIPCUB_304000_NS22TransformInputIteratorIbN2at6native12_GLOBAL__N_19NonZeroOpIN3c104HalfEEEPKSF_lEEPiiNS8_6detail34convert_binary_result_type_wrapperINS8_3SumESJ_iEEEE10hipError_tPvRmT1_T2_T3_mT4_P12ihipStream_tbEUlT_E0_NS1_11comp_targetILNS1_3genE2ELNS1_11target_archE906ELNS1_3gpuE6ELNS1_3repE0EEENS1_30default_config_static_selectorELNS0_4arch9wavefront6targetE0EEEvSS_
    .private_segment_fixed_size: 0
    .sgpr_count:     0
    .sgpr_spill_count: 0
    .symbol:         _ZN7rocprim17ROCPRIM_400000_NS6detail17trampoline_kernelINS0_14default_configENS1_22reduce_config_selectorIbEEZNS1_11reduce_implILb1ES3_N6hipcub16HIPCUB_304000_NS22TransformInputIteratorIbN2at6native12_GLOBAL__N_19NonZeroOpIN3c104HalfEEEPKSF_lEEPiiNS8_6detail34convert_binary_result_type_wrapperINS8_3SumESJ_iEEEE10hipError_tPvRmT1_T2_T3_mT4_P12ihipStream_tbEUlT_E0_NS1_11comp_targetILNS1_3genE2ELNS1_11target_archE906ELNS1_3gpuE6ELNS1_3repE0EEENS1_30default_config_static_selectorELNS0_4arch9wavefront6targetE0EEEvSS_.kd
    .uniform_work_group_size: 1
    .uses_dynamic_stack: false
    .vgpr_count:     0
    .vgpr_spill_count: 0
    .wavefront_size: 32
    .workgroup_processor_mode: 1
  - .args:
      - .offset:         0
        .size:           64
        .value_kind:     by_value
    .group_segment_fixed_size: 0
    .kernarg_segment_align: 8
    .kernarg_segment_size: 64
    .language:       OpenCL C
    .language_version:
      - 2
      - 0
    .max_flat_workgroup_size: 256
    .name:           _ZN7rocprim17ROCPRIM_400000_NS6detail17trampoline_kernelINS0_14default_configENS1_22reduce_config_selectorIbEEZNS1_11reduce_implILb1ES3_N6hipcub16HIPCUB_304000_NS22TransformInputIteratorIbN2at6native12_GLOBAL__N_19NonZeroOpIN3c104HalfEEEPKSF_lEEPiiNS8_6detail34convert_binary_result_type_wrapperINS8_3SumESJ_iEEEE10hipError_tPvRmT1_T2_T3_mT4_P12ihipStream_tbEUlT_E0_NS1_11comp_targetILNS1_3genE10ELNS1_11target_archE1201ELNS1_3gpuE5ELNS1_3repE0EEENS1_30default_config_static_selectorELNS0_4arch9wavefront6targetE0EEEvSS_
    .private_segment_fixed_size: 0
    .sgpr_count:     0
    .sgpr_spill_count: 0
    .symbol:         _ZN7rocprim17ROCPRIM_400000_NS6detail17trampoline_kernelINS0_14default_configENS1_22reduce_config_selectorIbEEZNS1_11reduce_implILb1ES3_N6hipcub16HIPCUB_304000_NS22TransformInputIteratorIbN2at6native12_GLOBAL__N_19NonZeroOpIN3c104HalfEEEPKSF_lEEPiiNS8_6detail34convert_binary_result_type_wrapperINS8_3SumESJ_iEEEE10hipError_tPvRmT1_T2_T3_mT4_P12ihipStream_tbEUlT_E0_NS1_11comp_targetILNS1_3genE10ELNS1_11target_archE1201ELNS1_3gpuE5ELNS1_3repE0EEENS1_30default_config_static_selectorELNS0_4arch9wavefront6targetE0EEEvSS_.kd
    .uniform_work_group_size: 1
    .uses_dynamic_stack: false
    .vgpr_count:     0
    .vgpr_spill_count: 0
    .wavefront_size: 32
    .workgroup_processor_mode: 1
  - .args:
      - .offset:         0
        .size:           64
        .value_kind:     by_value
    .group_segment_fixed_size: 0
    .kernarg_segment_align: 8
    .kernarg_segment_size: 64
    .language:       OpenCL C
    .language_version:
      - 2
      - 0
    .max_flat_workgroup_size: 256
    .name:           _ZN7rocprim17ROCPRIM_400000_NS6detail17trampoline_kernelINS0_14default_configENS1_22reduce_config_selectorIbEEZNS1_11reduce_implILb1ES3_N6hipcub16HIPCUB_304000_NS22TransformInputIteratorIbN2at6native12_GLOBAL__N_19NonZeroOpIN3c104HalfEEEPKSF_lEEPiiNS8_6detail34convert_binary_result_type_wrapperINS8_3SumESJ_iEEEE10hipError_tPvRmT1_T2_T3_mT4_P12ihipStream_tbEUlT_E0_NS1_11comp_targetILNS1_3genE10ELNS1_11target_archE1200ELNS1_3gpuE4ELNS1_3repE0EEENS1_30default_config_static_selectorELNS0_4arch9wavefront6targetE0EEEvSS_
    .private_segment_fixed_size: 0
    .sgpr_count:     0
    .sgpr_spill_count: 0
    .symbol:         _ZN7rocprim17ROCPRIM_400000_NS6detail17trampoline_kernelINS0_14default_configENS1_22reduce_config_selectorIbEEZNS1_11reduce_implILb1ES3_N6hipcub16HIPCUB_304000_NS22TransformInputIteratorIbN2at6native12_GLOBAL__N_19NonZeroOpIN3c104HalfEEEPKSF_lEEPiiNS8_6detail34convert_binary_result_type_wrapperINS8_3SumESJ_iEEEE10hipError_tPvRmT1_T2_T3_mT4_P12ihipStream_tbEUlT_E0_NS1_11comp_targetILNS1_3genE10ELNS1_11target_archE1200ELNS1_3gpuE4ELNS1_3repE0EEENS1_30default_config_static_selectorELNS0_4arch9wavefront6targetE0EEEvSS_.kd
    .uniform_work_group_size: 1
    .uses_dynamic_stack: false
    .vgpr_count:     0
    .vgpr_spill_count: 0
    .wavefront_size: 32
    .workgroup_processor_mode: 1
  - .args:
      - .offset:         0
        .size:           64
        .value_kind:     by_value
    .group_segment_fixed_size: 32
    .kernarg_segment_align: 8
    .kernarg_segment_size: 64
    .language:       OpenCL C
    .language_version:
      - 2
      - 0
    .max_flat_workgroup_size: 128
    .name:           _ZN7rocprim17ROCPRIM_400000_NS6detail17trampoline_kernelINS0_14default_configENS1_22reduce_config_selectorIbEEZNS1_11reduce_implILb1ES3_N6hipcub16HIPCUB_304000_NS22TransformInputIteratorIbN2at6native12_GLOBAL__N_19NonZeroOpIN3c104HalfEEEPKSF_lEEPiiNS8_6detail34convert_binary_result_type_wrapperINS8_3SumESJ_iEEEE10hipError_tPvRmT1_T2_T3_mT4_P12ihipStream_tbEUlT_E0_NS1_11comp_targetILNS1_3genE9ELNS1_11target_archE1100ELNS1_3gpuE3ELNS1_3repE0EEENS1_30default_config_static_selectorELNS0_4arch9wavefront6targetE0EEEvSS_
    .private_segment_fixed_size: 0
    .sgpr_count:     32
    .sgpr_spill_count: 0
    .symbol:         _ZN7rocprim17ROCPRIM_400000_NS6detail17trampoline_kernelINS0_14default_configENS1_22reduce_config_selectorIbEEZNS1_11reduce_implILb1ES3_N6hipcub16HIPCUB_304000_NS22TransformInputIteratorIbN2at6native12_GLOBAL__N_19NonZeroOpIN3c104HalfEEEPKSF_lEEPiiNS8_6detail34convert_binary_result_type_wrapperINS8_3SumESJ_iEEEE10hipError_tPvRmT1_T2_T3_mT4_P12ihipStream_tbEUlT_E0_NS1_11comp_targetILNS1_3genE9ELNS1_11target_archE1100ELNS1_3gpuE3ELNS1_3repE0EEENS1_30default_config_static_selectorELNS0_4arch9wavefront6targetE0EEEvSS_.kd
    .uniform_work_group_size: 1
    .uses_dynamic_stack: false
    .vgpr_count:     20
    .vgpr_spill_count: 0
    .wavefront_size: 32
    .workgroup_processor_mode: 1
  - .args:
      - .offset:         0
        .size:           64
        .value_kind:     by_value
    .group_segment_fixed_size: 0
    .kernarg_segment_align: 8
    .kernarg_segment_size: 64
    .language:       OpenCL C
    .language_version:
      - 2
      - 0
    .max_flat_workgroup_size: 256
    .name:           _ZN7rocprim17ROCPRIM_400000_NS6detail17trampoline_kernelINS0_14default_configENS1_22reduce_config_selectorIbEEZNS1_11reduce_implILb1ES3_N6hipcub16HIPCUB_304000_NS22TransformInputIteratorIbN2at6native12_GLOBAL__N_19NonZeroOpIN3c104HalfEEEPKSF_lEEPiiNS8_6detail34convert_binary_result_type_wrapperINS8_3SumESJ_iEEEE10hipError_tPvRmT1_T2_T3_mT4_P12ihipStream_tbEUlT_E0_NS1_11comp_targetILNS1_3genE8ELNS1_11target_archE1030ELNS1_3gpuE2ELNS1_3repE0EEENS1_30default_config_static_selectorELNS0_4arch9wavefront6targetE0EEEvSS_
    .private_segment_fixed_size: 0
    .sgpr_count:     0
    .sgpr_spill_count: 0
    .symbol:         _ZN7rocprim17ROCPRIM_400000_NS6detail17trampoline_kernelINS0_14default_configENS1_22reduce_config_selectorIbEEZNS1_11reduce_implILb1ES3_N6hipcub16HIPCUB_304000_NS22TransformInputIteratorIbN2at6native12_GLOBAL__N_19NonZeroOpIN3c104HalfEEEPKSF_lEEPiiNS8_6detail34convert_binary_result_type_wrapperINS8_3SumESJ_iEEEE10hipError_tPvRmT1_T2_T3_mT4_P12ihipStream_tbEUlT_E0_NS1_11comp_targetILNS1_3genE8ELNS1_11target_archE1030ELNS1_3gpuE2ELNS1_3repE0EEENS1_30default_config_static_selectorELNS0_4arch9wavefront6targetE0EEEvSS_.kd
    .uniform_work_group_size: 1
    .uses_dynamic_stack: false
    .vgpr_count:     0
    .vgpr_spill_count: 0
    .wavefront_size: 32
    .workgroup_processor_mode: 1
  - .args:
      - .offset:         0
        .size:           48
        .value_kind:     by_value
    .group_segment_fixed_size: 0
    .kernarg_segment_align: 8
    .kernarg_segment_size: 48
    .language:       OpenCL C
    .language_version:
      - 2
      - 0
    .max_flat_workgroup_size: 256
    .name:           _ZN7rocprim17ROCPRIM_400000_NS6detail17trampoline_kernelINS0_14default_configENS1_22reduce_config_selectorIbEEZNS1_11reduce_implILb1ES3_N6hipcub16HIPCUB_304000_NS22TransformInputIteratorIbN2at6native12_GLOBAL__N_19NonZeroOpIN3c104HalfEEEPKSF_lEEPiiNS8_6detail34convert_binary_result_type_wrapperINS8_3SumESJ_iEEEE10hipError_tPvRmT1_T2_T3_mT4_P12ihipStream_tbEUlT_E1_NS1_11comp_targetILNS1_3genE0ELNS1_11target_archE4294967295ELNS1_3gpuE0ELNS1_3repE0EEENS1_30default_config_static_selectorELNS0_4arch9wavefront6targetE0EEEvSS_
    .private_segment_fixed_size: 0
    .sgpr_count:     0
    .sgpr_spill_count: 0
    .symbol:         _ZN7rocprim17ROCPRIM_400000_NS6detail17trampoline_kernelINS0_14default_configENS1_22reduce_config_selectorIbEEZNS1_11reduce_implILb1ES3_N6hipcub16HIPCUB_304000_NS22TransformInputIteratorIbN2at6native12_GLOBAL__N_19NonZeroOpIN3c104HalfEEEPKSF_lEEPiiNS8_6detail34convert_binary_result_type_wrapperINS8_3SumESJ_iEEEE10hipError_tPvRmT1_T2_T3_mT4_P12ihipStream_tbEUlT_E1_NS1_11comp_targetILNS1_3genE0ELNS1_11target_archE4294967295ELNS1_3gpuE0ELNS1_3repE0EEENS1_30default_config_static_selectorELNS0_4arch9wavefront6targetE0EEEvSS_.kd
    .uniform_work_group_size: 1
    .uses_dynamic_stack: false
    .vgpr_count:     0
    .vgpr_spill_count: 0
    .wavefront_size: 32
    .workgroup_processor_mode: 1
  - .args:
      - .offset:         0
        .size:           48
        .value_kind:     by_value
    .group_segment_fixed_size: 0
    .kernarg_segment_align: 8
    .kernarg_segment_size: 48
    .language:       OpenCL C
    .language_version:
      - 2
      - 0
    .max_flat_workgroup_size: 256
    .name:           _ZN7rocprim17ROCPRIM_400000_NS6detail17trampoline_kernelINS0_14default_configENS1_22reduce_config_selectorIbEEZNS1_11reduce_implILb1ES3_N6hipcub16HIPCUB_304000_NS22TransformInputIteratorIbN2at6native12_GLOBAL__N_19NonZeroOpIN3c104HalfEEEPKSF_lEEPiiNS8_6detail34convert_binary_result_type_wrapperINS8_3SumESJ_iEEEE10hipError_tPvRmT1_T2_T3_mT4_P12ihipStream_tbEUlT_E1_NS1_11comp_targetILNS1_3genE5ELNS1_11target_archE942ELNS1_3gpuE9ELNS1_3repE0EEENS1_30default_config_static_selectorELNS0_4arch9wavefront6targetE0EEEvSS_
    .private_segment_fixed_size: 0
    .sgpr_count:     0
    .sgpr_spill_count: 0
    .symbol:         _ZN7rocprim17ROCPRIM_400000_NS6detail17trampoline_kernelINS0_14default_configENS1_22reduce_config_selectorIbEEZNS1_11reduce_implILb1ES3_N6hipcub16HIPCUB_304000_NS22TransformInputIteratorIbN2at6native12_GLOBAL__N_19NonZeroOpIN3c104HalfEEEPKSF_lEEPiiNS8_6detail34convert_binary_result_type_wrapperINS8_3SumESJ_iEEEE10hipError_tPvRmT1_T2_T3_mT4_P12ihipStream_tbEUlT_E1_NS1_11comp_targetILNS1_3genE5ELNS1_11target_archE942ELNS1_3gpuE9ELNS1_3repE0EEENS1_30default_config_static_selectorELNS0_4arch9wavefront6targetE0EEEvSS_.kd
    .uniform_work_group_size: 1
    .uses_dynamic_stack: false
    .vgpr_count:     0
    .vgpr_spill_count: 0
    .wavefront_size: 32
    .workgroup_processor_mode: 1
  - .args:
      - .offset:         0
        .size:           48
        .value_kind:     by_value
    .group_segment_fixed_size: 0
    .kernarg_segment_align: 8
    .kernarg_segment_size: 48
    .language:       OpenCL C
    .language_version:
      - 2
      - 0
    .max_flat_workgroup_size: 128
    .name:           _ZN7rocprim17ROCPRIM_400000_NS6detail17trampoline_kernelINS0_14default_configENS1_22reduce_config_selectorIbEEZNS1_11reduce_implILb1ES3_N6hipcub16HIPCUB_304000_NS22TransformInputIteratorIbN2at6native12_GLOBAL__N_19NonZeroOpIN3c104HalfEEEPKSF_lEEPiiNS8_6detail34convert_binary_result_type_wrapperINS8_3SumESJ_iEEEE10hipError_tPvRmT1_T2_T3_mT4_P12ihipStream_tbEUlT_E1_NS1_11comp_targetILNS1_3genE4ELNS1_11target_archE910ELNS1_3gpuE8ELNS1_3repE0EEENS1_30default_config_static_selectorELNS0_4arch9wavefront6targetE0EEEvSS_
    .private_segment_fixed_size: 0
    .sgpr_count:     0
    .sgpr_spill_count: 0
    .symbol:         _ZN7rocprim17ROCPRIM_400000_NS6detail17trampoline_kernelINS0_14default_configENS1_22reduce_config_selectorIbEEZNS1_11reduce_implILb1ES3_N6hipcub16HIPCUB_304000_NS22TransformInputIteratorIbN2at6native12_GLOBAL__N_19NonZeroOpIN3c104HalfEEEPKSF_lEEPiiNS8_6detail34convert_binary_result_type_wrapperINS8_3SumESJ_iEEEE10hipError_tPvRmT1_T2_T3_mT4_P12ihipStream_tbEUlT_E1_NS1_11comp_targetILNS1_3genE4ELNS1_11target_archE910ELNS1_3gpuE8ELNS1_3repE0EEENS1_30default_config_static_selectorELNS0_4arch9wavefront6targetE0EEEvSS_.kd
    .uniform_work_group_size: 1
    .uses_dynamic_stack: false
    .vgpr_count:     0
    .vgpr_spill_count: 0
    .wavefront_size: 32
    .workgroup_processor_mode: 1
  - .args:
      - .offset:         0
        .size:           48
        .value_kind:     by_value
    .group_segment_fixed_size: 0
    .kernarg_segment_align: 8
    .kernarg_segment_size: 48
    .language:       OpenCL C
    .language_version:
      - 2
      - 0
    .max_flat_workgroup_size: 256
    .name:           _ZN7rocprim17ROCPRIM_400000_NS6detail17trampoline_kernelINS0_14default_configENS1_22reduce_config_selectorIbEEZNS1_11reduce_implILb1ES3_N6hipcub16HIPCUB_304000_NS22TransformInputIteratorIbN2at6native12_GLOBAL__N_19NonZeroOpIN3c104HalfEEEPKSF_lEEPiiNS8_6detail34convert_binary_result_type_wrapperINS8_3SumESJ_iEEEE10hipError_tPvRmT1_T2_T3_mT4_P12ihipStream_tbEUlT_E1_NS1_11comp_targetILNS1_3genE3ELNS1_11target_archE908ELNS1_3gpuE7ELNS1_3repE0EEENS1_30default_config_static_selectorELNS0_4arch9wavefront6targetE0EEEvSS_
    .private_segment_fixed_size: 0
    .sgpr_count:     0
    .sgpr_spill_count: 0
    .symbol:         _ZN7rocprim17ROCPRIM_400000_NS6detail17trampoline_kernelINS0_14default_configENS1_22reduce_config_selectorIbEEZNS1_11reduce_implILb1ES3_N6hipcub16HIPCUB_304000_NS22TransformInputIteratorIbN2at6native12_GLOBAL__N_19NonZeroOpIN3c104HalfEEEPKSF_lEEPiiNS8_6detail34convert_binary_result_type_wrapperINS8_3SumESJ_iEEEE10hipError_tPvRmT1_T2_T3_mT4_P12ihipStream_tbEUlT_E1_NS1_11comp_targetILNS1_3genE3ELNS1_11target_archE908ELNS1_3gpuE7ELNS1_3repE0EEENS1_30default_config_static_selectorELNS0_4arch9wavefront6targetE0EEEvSS_.kd
    .uniform_work_group_size: 1
    .uses_dynamic_stack: false
    .vgpr_count:     0
    .vgpr_spill_count: 0
    .wavefront_size: 32
    .workgroup_processor_mode: 1
  - .args:
      - .offset:         0
        .size:           48
        .value_kind:     by_value
    .group_segment_fixed_size: 0
    .kernarg_segment_align: 8
    .kernarg_segment_size: 48
    .language:       OpenCL C
    .language_version:
      - 2
      - 0
    .max_flat_workgroup_size: 128
    .name:           _ZN7rocprim17ROCPRIM_400000_NS6detail17trampoline_kernelINS0_14default_configENS1_22reduce_config_selectorIbEEZNS1_11reduce_implILb1ES3_N6hipcub16HIPCUB_304000_NS22TransformInputIteratorIbN2at6native12_GLOBAL__N_19NonZeroOpIN3c104HalfEEEPKSF_lEEPiiNS8_6detail34convert_binary_result_type_wrapperINS8_3SumESJ_iEEEE10hipError_tPvRmT1_T2_T3_mT4_P12ihipStream_tbEUlT_E1_NS1_11comp_targetILNS1_3genE2ELNS1_11target_archE906ELNS1_3gpuE6ELNS1_3repE0EEENS1_30default_config_static_selectorELNS0_4arch9wavefront6targetE0EEEvSS_
    .private_segment_fixed_size: 0
    .sgpr_count:     0
    .sgpr_spill_count: 0
    .symbol:         _ZN7rocprim17ROCPRIM_400000_NS6detail17trampoline_kernelINS0_14default_configENS1_22reduce_config_selectorIbEEZNS1_11reduce_implILb1ES3_N6hipcub16HIPCUB_304000_NS22TransformInputIteratorIbN2at6native12_GLOBAL__N_19NonZeroOpIN3c104HalfEEEPKSF_lEEPiiNS8_6detail34convert_binary_result_type_wrapperINS8_3SumESJ_iEEEE10hipError_tPvRmT1_T2_T3_mT4_P12ihipStream_tbEUlT_E1_NS1_11comp_targetILNS1_3genE2ELNS1_11target_archE906ELNS1_3gpuE6ELNS1_3repE0EEENS1_30default_config_static_selectorELNS0_4arch9wavefront6targetE0EEEvSS_.kd
    .uniform_work_group_size: 1
    .uses_dynamic_stack: false
    .vgpr_count:     0
    .vgpr_spill_count: 0
    .wavefront_size: 32
    .workgroup_processor_mode: 1
  - .args:
      - .offset:         0
        .size:           48
        .value_kind:     by_value
    .group_segment_fixed_size: 0
    .kernarg_segment_align: 8
    .kernarg_segment_size: 48
    .language:       OpenCL C
    .language_version:
      - 2
      - 0
    .max_flat_workgroup_size: 256
    .name:           _ZN7rocprim17ROCPRIM_400000_NS6detail17trampoline_kernelINS0_14default_configENS1_22reduce_config_selectorIbEEZNS1_11reduce_implILb1ES3_N6hipcub16HIPCUB_304000_NS22TransformInputIteratorIbN2at6native12_GLOBAL__N_19NonZeroOpIN3c104HalfEEEPKSF_lEEPiiNS8_6detail34convert_binary_result_type_wrapperINS8_3SumESJ_iEEEE10hipError_tPvRmT1_T2_T3_mT4_P12ihipStream_tbEUlT_E1_NS1_11comp_targetILNS1_3genE10ELNS1_11target_archE1201ELNS1_3gpuE5ELNS1_3repE0EEENS1_30default_config_static_selectorELNS0_4arch9wavefront6targetE0EEEvSS_
    .private_segment_fixed_size: 0
    .sgpr_count:     0
    .sgpr_spill_count: 0
    .symbol:         _ZN7rocprim17ROCPRIM_400000_NS6detail17trampoline_kernelINS0_14default_configENS1_22reduce_config_selectorIbEEZNS1_11reduce_implILb1ES3_N6hipcub16HIPCUB_304000_NS22TransformInputIteratorIbN2at6native12_GLOBAL__N_19NonZeroOpIN3c104HalfEEEPKSF_lEEPiiNS8_6detail34convert_binary_result_type_wrapperINS8_3SumESJ_iEEEE10hipError_tPvRmT1_T2_T3_mT4_P12ihipStream_tbEUlT_E1_NS1_11comp_targetILNS1_3genE10ELNS1_11target_archE1201ELNS1_3gpuE5ELNS1_3repE0EEENS1_30default_config_static_selectorELNS0_4arch9wavefront6targetE0EEEvSS_.kd
    .uniform_work_group_size: 1
    .uses_dynamic_stack: false
    .vgpr_count:     0
    .vgpr_spill_count: 0
    .wavefront_size: 32
    .workgroup_processor_mode: 1
  - .args:
      - .offset:         0
        .size:           48
        .value_kind:     by_value
    .group_segment_fixed_size: 0
    .kernarg_segment_align: 8
    .kernarg_segment_size: 48
    .language:       OpenCL C
    .language_version:
      - 2
      - 0
    .max_flat_workgroup_size: 256
    .name:           _ZN7rocprim17ROCPRIM_400000_NS6detail17trampoline_kernelINS0_14default_configENS1_22reduce_config_selectorIbEEZNS1_11reduce_implILb1ES3_N6hipcub16HIPCUB_304000_NS22TransformInputIteratorIbN2at6native12_GLOBAL__N_19NonZeroOpIN3c104HalfEEEPKSF_lEEPiiNS8_6detail34convert_binary_result_type_wrapperINS8_3SumESJ_iEEEE10hipError_tPvRmT1_T2_T3_mT4_P12ihipStream_tbEUlT_E1_NS1_11comp_targetILNS1_3genE10ELNS1_11target_archE1200ELNS1_3gpuE4ELNS1_3repE0EEENS1_30default_config_static_selectorELNS0_4arch9wavefront6targetE0EEEvSS_
    .private_segment_fixed_size: 0
    .sgpr_count:     0
    .sgpr_spill_count: 0
    .symbol:         _ZN7rocprim17ROCPRIM_400000_NS6detail17trampoline_kernelINS0_14default_configENS1_22reduce_config_selectorIbEEZNS1_11reduce_implILb1ES3_N6hipcub16HIPCUB_304000_NS22TransformInputIteratorIbN2at6native12_GLOBAL__N_19NonZeroOpIN3c104HalfEEEPKSF_lEEPiiNS8_6detail34convert_binary_result_type_wrapperINS8_3SumESJ_iEEEE10hipError_tPvRmT1_T2_T3_mT4_P12ihipStream_tbEUlT_E1_NS1_11comp_targetILNS1_3genE10ELNS1_11target_archE1200ELNS1_3gpuE4ELNS1_3repE0EEENS1_30default_config_static_selectorELNS0_4arch9wavefront6targetE0EEEvSS_.kd
    .uniform_work_group_size: 1
    .uses_dynamic_stack: false
    .vgpr_count:     0
    .vgpr_spill_count: 0
    .wavefront_size: 32
    .workgroup_processor_mode: 1
  - .args:
      - .offset:         0
        .size:           48
        .value_kind:     by_value
    .group_segment_fixed_size: 144
    .kernarg_segment_align: 8
    .kernarg_segment_size: 48
    .language:       OpenCL C
    .language_version:
      - 2
      - 0
    .max_flat_workgroup_size: 128
    .name:           _ZN7rocprim17ROCPRIM_400000_NS6detail17trampoline_kernelINS0_14default_configENS1_22reduce_config_selectorIbEEZNS1_11reduce_implILb1ES3_N6hipcub16HIPCUB_304000_NS22TransformInputIteratorIbN2at6native12_GLOBAL__N_19NonZeroOpIN3c104HalfEEEPKSF_lEEPiiNS8_6detail34convert_binary_result_type_wrapperINS8_3SumESJ_iEEEE10hipError_tPvRmT1_T2_T3_mT4_P12ihipStream_tbEUlT_E1_NS1_11comp_targetILNS1_3genE9ELNS1_11target_archE1100ELNS1_3gpuE3ELNS1_3repE0EEENS1_30default_config_static_selectorELNS0_4arch9wavefront6targetE0EEEvSS_
    .private_segment_fixed_size: 0
    .sgpr_count:     31
    .sgpr_spill_count: 0
    .symbol:         _ZN7rocprim17ROCPRIM_400000_NS6detail17trampoline_kernelINS0_14default_configENS1_22reduce_config_selectorIbEEZNS1_11reduce_implILb1ES3_N6hipcub16HIPCUB_304000_NS22TransformInputIteratorIbN2at6native12_GLOBAL__N_19NonZeroOpIN3c104HalfEEEPKSF_lEEPiiNS8_6detail34convert_binary_result_type_wrapperINS8_3SumESJ_iEEEE10hipError_tPvRmT1_T2_T3_mT4_P12ihipStream_tbEUlT_E1_NS1_11comp_targetILNS1_3genE9ELNS1_11target_archE1100ELNS1_3gpuE3ELNS1_3repE0EEENS1_30default_config_static_selectorELNS0_4arch9wavefront6targetE0EEEvSS_.kd
    .uniform_work_group_size: 1
    .uses_dynamic_stack: false
    .vgpr_count:     130
    .vgpr_spill_count: 0
    .wavefront_size: 32
    .workgroup_processor_mode: 1
  - .args:
      - .offset:         0
        .size:           48
        .value_kind:     by_value
    .group_segment_fixed_size: 0
    .kernarg_segment_align: 8
    .kernarg_segment_size: 48
    .language:       OpenCL C
    .language_version:
      - 2
      - 0
    .max_flat_workgroup_size: 256
    .name:           _ZN7rocprim17ROCPRIM_400000_NS6detail17trampoline_kernelINS0_14default_configENS1_22reduce_config_selectorIbEEZNS1_11reduce_implILb1ES3_N6hipcub16HIPCUB_304000_NS22TransformInputIteratorIbN2at6native12_GLOBAL__N_19NonZeroOpIN3c104HalfEEEPKSF_lEEPiiNS8_6detail34convert_binary_result_type_wrapperINS8_3SumESJ_iEEEE10hipError_tPvRmT1_T2_T3_mT4_P12ihipStream_tbEUlT_E1_NS1_11comp_targetILNS1_3genE8ELNS1_11target_archE1030ELNS1_3gpuE2ELNS1_3repE0EEENS1_30default_config_static_selectorELNS0_4arch9wavefront6targetE0EEEvSS_
    .private_segment_fixed_size: 0
    .sgpr_count:     0
    .sgpr_spill_count: 0
    .symbol:         _ZN7rocprim17ROCPRIM_400000_NS6detail17trampoline_kernelINS0_14default_configENS1_22reduce_config_selectorIbEEZNS1_11reduce_implILb1ES3_N6hipcub16HIPCUB_304000_NS22TransformInputIteratorIbN2at6native12_GLOBAL__N_19NonZeroOpIN3c104HalfEEEPKSF_lEEPiiNS8_6detail34convert_binary_result_type_wrapperINS8_3SumESJ_iEEEE10hipError_tPvRmT1_T2_T3_mT4_P12ihipStream_tbEUlT_E1_NS1_11comp_targetILNS1_3genE8ELNS1_11target_archE1030ELNS1_3gpuE2ELNS1_3repE0EEENS1_30default_config_static_selectorELNS0_4arch9wavefront6targetE0EEEvSS_.kd
    .uniform_work_group_size: 1
    .uses_dynamic_stack: false
    .vgpr_count:     0
    .vgpr_spill_count: 0
    .wavefront_size: 32
    .workgroup_processor_mode: 1
  - .args:
      - .offset:         0
        .size:           120
        .value_kind:     by_value
    .group_segment_fixed_size: 0
    .kernarg_segment_align: 8
    .kernarg_segment_size: 120
    .language:       OpenCL C
    .language_version:
      - 2
      - 0
    .max_flat_workgroup_size: 128
    .name:           _ZN7rocprim17ROCPRIM_400000_NS6detail17trampoline_kernelINS0_14default_configENS1_25partition_config_selectorILNS1_17partition_subalgoE5ElNS0_10empty_typeEbEEZZNS1_14partition_implILS5_5ELb0ES3_mN6hipcub16HIPCUB_304000_NS21CountingInputIteratorIllEEPS6_NSA_22TransformInputIteratorIbN2at6native12_GLOBAL__N_19NonZeroOpIN3c104HalfEEEPKSK_lEENS0_5tupleIJPlS6_EEENSP_IJSD_SD_EEES6_PiJS6_EEE10hipError_tPvRmT3_T4_T5_T6_T7_T9_mT8_P12ihipStream_tbDpT10_ENKUlT_T0_E_clISt17integral_constantIbLb0EES1D_EEDaS18_S19_EUlS18_E_NS1_11comp_targetILNS1_3genE0ELNS1_11target_archE4294967295ELNS1_3gpuE0ELNS1_3repE0EEENS1_30default_config_static_selectorELNS0_4arch9wavefront6targetE0EEEvT1_
    .private_segment_fixed_size: 0
    .sgpr_count:     0
    .sgpr_spill_count: 0
    .symbol:         _ZN7rocprim17ROCPRIM_400000_NS6detail17trampoline_kernelINS0_14default_configENS1_25partition_config_selectorILNS1_17partition_subalgoE5ElNS0_10empty_typeEbEEZZNS1_14partition_implILS5_5ELb0ES3_mN6hipcub16HIPCUB_304000_NS21CountingInputIteratorIllEEPS6_NSA_22TransformInputIteratorIbN2at6native12_GLOBAL__N_19NonZeroOpIN3c104HalfEEEPKSK_lEENS0_5tupleIJPlS6_EEENSP_IJSD_SD_EEES6_PiJS6_EEE10hipError_tPvRmT3_T4_T5_T6_T7_T9_mT8_P12ihipStream_tbDpT10_ENKUlT_T0_E_clISt17integral_constantIbLb0EES1D_EEDaS18_S19_EUlS18_E_NS1_11comp_targetILNS1_3genE0ELNS1_11target_archE4294967295ELNS1_3gpuE0ELNS1_3repE0EEENS1_30default_config_static_selectorELNS0_4arch9wavefront6targetE0EEEvT1_.kd
    .uniform_work_group_size: 1
    .uses_dynamic_stack: false
    .vgpr_count:     0
    .vgpr_spill_count: 0
    .wavefront_size: 32
    .workgroup_processor_mode: 1
  - .args:
      - .offset:         0
        .size:           120
        .value_kind:     by_value
    .group_segment_fixed_size: 0
    .kernarg_segment_align: 8
    .kernarg_segment_size: 120
    .language:       OpenCL C
    .language_version:
      - 2
      - 0
    .max_flat_workgroup_size: 512
    .name:           _ZN7rocprim17ROCPRIM_400000_NS6detail17trampoline_kernelINS0_14default_configENS1_25partition_config_selectorILNS1_17partition_subalgoE5ElNS0_10empty_typeEbEEZZNS1_14partition_implILS5_5ELb0ES3_mN6hipcub16HIPCUB_304000_NS21CountingInputIteratorIllEEPS6_NSA_22TransformInputIteratorIbN2at6native12_GLOBAL__N_19NonZeroOpIN3c104HalfEEEPKSK_lEENS0_5tupleIJPlS6_EEENSP_IJSD_SD_EEES6_PiJS6_EEE10hipError_tPvRmT3_T4_T5_T6_T7_T9_mT8_P12ihipStream_tbDpT10_ENKUlT_T0_E_clISt17integral_constantIbLb0EES1D_EEDaS18_S19_EUlS18_E_NS1_11comp_targetILNS1_3genE5ELNS1_11target_archE942ELNS1_3gpuE9ELNS1_3repE0EEENS1_30default_config_static_selectorELNS0_4arch9wavefront6targetE0EEEvT1_
    .private_segment_fixed_size: 0
    .sgpr_count:     0
    .sgpr_spill_count: 0
    .symbol:         _ZN7rocprim17ROCPRIM_400000_NS6detail17trampoline_kernelINS0_14default_configENS1_25partition_config_selectorILNS1_17partition_subalgoE5ElNS0_10empty_typeEbEEZZNS1_14partition_implILS5_5ELb0ES3_mN6hipcub16HIPCUB_304000_NS21CountingInputIteratorIllEEPS6_NSA_22TransformInputIteratorIbN2at6native12_GLOBAL__N_19NonZeroOpIN3c104HalfEEEPKSK_lEENS0_5tupleIJPlS6_EEENSP_IJSD_SD_EEES6_PiJS6_EEE10hipError_tPvRmT3_T4_T5_T6_T7_T9_mT8_P12ihipStream_tbDpT10_ENKUlT_T0_E_clISt17integral_constantIbLb0EES1D_EEDaS18_S19_EUlS18_E_NS1_11comp_targetILNS1_3genE5ELNS1_11target_archE942ELNS1_3gpuE9ELNS1_3repE0EEENS1_30default_config_static_selectorELNS0_4arch9wavefront6targetE0EEEvT1_.kd
    .uniform_work_group_size: 1
    .uses_dynamic_stack: false
    .vgpr_count:     0
    .vgpr_spill_count: 0
    .wavefront_size: 32
    .workgroup_processor_mode: 1
  - .args:
      - .offset:         0
        .size:           120
        .value_kind:     by_value
    .group_segment_fixed_size: 0
    .kernarg_segment_align: 8
    .kernarg_segment_size: 120
    .language:       OpenCL C
    .language_version:
      - 2
      - 0
    .max_flat_workgroup_size: 192
    .name:           _ZN7rocprim17ROCPRIM_400000_NS6detail17trampoline_kernelINS0_14default_configENS1_25partition_config_selectorILNS1_17partition_subalgoE5ElNS0_10empty_typeEbEEZZNS1_14partition_implILS5_5ELb0ES3_mN6hipcub16HIPCUB_304000_NS21CountingInputIteratorIllEEPS6_NSA_22TransformInputIteratorIbN2at6native12_GLOBAL__N_19NonZeroOpIN3c104HalfEEEPKSK_lEENS0_5tupleIJPlS6_EEENSP_IJSD_SD_EEES6_PiJS6_EEE10hipError_tPvRmT3_T4_T5_T6_T7_T9_mT8_P12ihipStream_tbDpT10_ENKUlT_T0_E_clISt17integral_constantIbLb0EES1D_EEDaS18_S19_EUlS18_E_NS1_11comp_targetILNS1_3genE4ELNS1_11target_archE910ELNS1_3gpuE8ELNS1_3repE0EEENS1_30default_config_static_selectorELNS0_4arch9wavefront6targetE0EEEvT1_
    .private_segment_fixed_size: 0
    .sgpr_count:     0
    .sgpr_spill_count: 0
    .symbol:         _ZN7rocprim17ROCPRIM_400000_NS6detail17trampoline_kernelINS0_14default_configENS1_25partition_config_selectorILNS1_17partition_subalgoE5ElNS0_10empty_typeEbEEZZNS1_14partition_implILS5_5ELb0ES3_mN6hipcub16HIPCUB_304000_NS21CountingInputIteratorIllEEPS6_NSA_22TransformInputIteratorIbN2at6native12_GLOBAL__N_19NonZeroOpIN3c104HalfEEEPKSK_lEENS0_5tupleIJPlS6_EEENSP_IJSD_SD_EEES6_PiJS6_EEE10hipError_tPvRmT3_T4_T5_T6_T7_T9_mT8_P12ihipStream_tbDpT10_ENKUlT_T0_E_clISt17integral_constantIbLb0EES1D_EEDaS18_S19_EUlS18_E_NS1_11comp_targetILNS1_3genE4ELNS1_11target_archE910ELNS1_3gpuE8ELNS1_3repE0EEENS1_30default_config_static_selectorELNS0_4arch9wavefront6targetE0EEEvT1_.kd
    .uniform_work_group_size: 1
    .uses_dynamic_stack: false
    .vgpr_count:     0
    .vgpr_spill_count: 0
    .wavefront_size: 32
    .workgroup_processor_mode: 1
  - .args:
      - .offset:         0
        .size:           120
        .value_kind:     by_value
    .group_segment_fixed_size: 0
    .kernarg_segment_align: 8
    .kernarg_segment_size: 120
    .language:       OpenCL C
    .language_version:
      - 2
      - 0
    .max_flat_workgroup_size: 128
    .name:           _ZN7rocprim17ROCPRIM_400000_NS6detail17trampoline_kernelINS0_14default_configENS1_25partition_config_selectorILNS1_17partition_subalgoE5ElNS0_10empty_typeEbEEZZNS1_14partition_implILS5_5ELb0ES3_mN6hipcub16HIPCUB_304000_NS21CountingInputIteratorIllEEPS6_NSA_22TransformInputIteratorIbN2at6native12_GLOBAL__N_19NonZeroOpIN3c104HalfEEEPKSK_lEENS0_5tupleIJPlS6_EEENSP_IJSD_SD_EEES6_PiJS6_EEE10hipError_tPvRmT3_T4_T5_T6_T7_T9_mT8_P12ihipStream_tbDpT10_ENKUlT_T0_E_clISt17integral_constantIbLb0EES1D_EEDaS18_S19_EUlS18_E_NS1_11comp_targetILNS1_3genE3ELNS1_11target_archE908ELNS1_3gpuE7ELNS1_3repE0EEENS1_30default_config_static_selectorELNS0_4arch9wavefront6targetE0EEEvT1_
    .private_segment_fixed_size: 0
    .sgpr_count:     0
    .sgpr_spill_count: 0
    .symbol:         _ZN7rocprim17ROCPRIM_400000_NS6detail17trampoline_kernelINS0_14default_configENS1_25partition_config_selectorILNS1_17partition_subalgoE5ElNS0_10empty_typeEbEEZZNS1_14partition_implILS5_5ELb0ES3_mN6hipcub16HIPCUB_304000_NS21CountingInputIteratorIllEEPS6_NSA_22TransformInputIteratorIbN2at6native12_GLOBAL__N_19NonZeroOpIN3c104HalfEEEPKSK_lEENS0_5tupleIJPlS6_EEENSP_IJSD_SD_EEES6_PiJS6_EEE10hipError_tPvRmT3_T4_T5_T6_T7_T9_mT8_P12ihipStream_tbDpT10_ENKUlT_T0_E_clISt17integral_constantIbLb0EES1D_EEDaS18_S19_EUlS18_E_NS1_11comp_targetILNS1_3genE3ELNS1_11target_archE908ELNS1_3gpuE7ELNS1_3repE0EEENS1_30default_config_static_selectorELNS0_4arch9wavefront6targetE0EEEvT1_.kd
    .uniform_work_group_size: 1
    .uses_dynamic_stack: false
    .vgpr_count:     0
    .vgpr_spill_count: 0
    .wavefront_size: 32
    .workgroup_processor_mode: 1
  - .args:
      - .offset:         0
        .size:           120
        .value_kind:     by_value
    .group_segment_fixed_size: 0
    .kernarg_segment_align: 8
    .kernarg_segment_size: 120
    .language:       OpenCL C
    .language_version:
      - 2
      - 0
    .max_flat_workgroup_size: 256
    .name:           _ZN7rocprim17ROCPRIM_400000_NS6detail17trampoline_kernelINS0_14default_configENS1_25partition_config_selectorILNS1_17partition_subalgoE5ElNS0_10empty_typeEbEEZZNS1_14partition_implILS5_5ELb0ES3_mN6hipcub16HIPCUB_304000_NS21CountingInputIteratorIllEEPS6_NSA_22TransformInputIteratorIbN2at6native12_GLOBAL__N_19NonZeroOpIN3c104HalfEEEPKSK_lEENS0_5tupleIJPlS6_EEENSP_IJSD_SD_EEES6_PiJS6_EEE10hipError_tPvRmT3_T4_T5_T6_T7_T9_mT8_P12ihipStream_tbDpT10_ENKUlT_T0_E_clISt17integral_constantIbLb0EES1D_EEDaS18_S19_EUlS18_E_NS1_11comp_targetILNS1_3genE2ELNS1_11target_archE906ELNS1_3gpuE6ELNS1_3repE0EEENS1_30default_config_static_selectorELNS0_4arch9wavefront6targetE0EEEvT1_
    .private_segment_fixed_size: 0
    .sgpr_count:     0
    .sgpr_spill_count: 0
    .symbol:         _ZN7rocprim17ROCPRIM_400000_NS6detail17trampoline_kernelINS0_14default_configENS1_25partition_config_selectorILNS1_17partition_subalgoE5ElNS0_10empty_typeEbEEZZNS1_14partition_implILS5_5ELb0ES3_mN6hipcub16HIPCUB_304000_NS21CountingInputIteratorIllEEPS6_NSA_22TransformInputIteratorIbN2at6native12_GLOBAL__N_19NonZeroOpIN3c104HalfEEEPKSK_lEENS0_5tupleIJPlS6_EEENSP_IJSD_SD_EEES6_PiJS6_EEE10hipError_tPvRmT3_T4_T5_T6_T7_T9_mT8_P12ihipStream_tbDpT10_ENKUlT_T0_E_clISt17integral_constantIbLb0EES1D_EEDaS18_S19_EUlS18_E_NS1_11comp_targetILNS1_3genE2ELNS1_11target_archE906ELNS1_3gpuE6ELNS1_3repE0EEENS1_30default_config_static_selectorELNS0_4arch9wavefront6targetE0EEEvT1_.kd
    .uniform_work_group_size: 1
    .uses_dynamic_stack: false
    .vgpr_count:     0
    .vgpr_spill_count: 0
    .wavefront_size: 32
    .workgroup_processor_mode: 1
  - .args:
      - .offset:         0
        .size:           120
        .value_kind:     by_value
    .group_segment_fixed_size: 0
    .kernarg_segment_align: 8
    .kernarg_segment_size: 120
    .language:       OpenCL C
    .language_version:
      - 2
      - 0
    .max_flat_workgroup_size: 256
    .name:           _ZN7rocprim17ROCPRIM_400000_NS6detail17trampoline_kernelINS0_14default_configENS1_25partition_config_selectorILNS1_17partition_subalgoE5ElNS0_10empty_typeEbEEZZNS1_14partition_implILS5_5ELb0ES3_mN6hipcub16HIPCUB_304000_NS21CountingInputIteratorIllEEPS6_NSA_22TransformInputIteratorIbN2at6native12_GLOBAL__N_19NonZeroOpIN3c104HalfEEEPKSK_lEENS0_5tupleIJPlS6_EEENSP_IJSD_SD_EEES6_PiJS6_EEE10hipError_tPvRmT3_T4_T5_T6_T7_T9_mT8_P12ihipStream_tbDpT10_ENKUlT_T0_E_clISt17integral_constantIbLb0EES1D_EEDaS18_S19_EUlS18_E_NS1_11comp_targetILNS1_3genE10ELNS1_11target_archE1200ELNS1_3gpuE4ELNS1_3repE0EEENS1_30default_config_static_selectorELNS0_4arch9wavefront6targetE0EEEvT1_
    .private_segment_fixed_size: 0
    .sgpr_count:     0
    .sgpr_spill_count: 0
    .symbol:         _ZN7rocprim17ROCPRIM_400000_NS6detail17trampoline_kernelINS0_14default_configENS1_25partition_config_selectorILNS1_17partition_subalgoE5ElNS0_10empty_typeEbEEZZNS1_14partition_implILS5_5ELb0ES3_mN6hipcub16HIPCUB_304000_NS21CountingInputIteratorIllEEPS6_NSA_22TransformInputIteratorIbN2at6native12_GLOBAL__N_19NonZeroOpIN3c104HalfEEEPKSK_lEENS0_5tupleIJPlS6_EEENSP_IJSD_SD_EEES6_PiJS6_EEE10hipError_tPvRmT3_T4_T5_T6_T7_T9_mT8_P12ihipStream_tbDpT10_ENKUlT_T0_E_clISt17integral_constantIbLb0EES1D_EEDaS18_S19_EUlS18_E_NS1_11comp_targetILNS1_3genE10ELNS1_11target_archE1200ELNS1_3gpuE4ELNS1_3repE0EEENS1_30default_config_static_selectorELNS0_4arch9wavefront6targetE0EEEvT1_.kd
    .uniform_work_group_size: 1
    .uses_dynamic_stack: false
    .vgpr_count:     0
    .vgpr_spill_count: 0
    .wavefront_size: 32
    .workgroup_processor_mode: 1
  - .args:
      - .offset:         0
        .size:           120
        .value_kind:     by_value
    .group_segment_fixed_size: 6160
    .kernarg_segment_align: 8
    .kernarg_segment_size: 120
    .language:       OpenCL C
    .language_version:
      - 2
      - 0
    .max_flat_workgroup_size: 128
    .name:           _ZN7rocprim17ROCPRIM_400000_NS6detail17trampoline_kernelINS0_14default_configENS1_25partition_config_selectorILNS1_17partition_subalgoE5ElNS0_10empty_typeEbEEZZNS1_14partition_implILS5_5ELb0ES3_mN6hipcub16HIPCUB_304000_NS21CountingInputIteratorIllEEPS6_NSA_22TransformInputIteratorIbN2at6native12_GLOBAL__N_19NonZeroOpIN3c104HalfEEEPKSK_lEENS0_5tupleIJPlS6_EEENSP_IJSD_SD_EEES6_PiJS6_EEE10hipError_tPvRmT3_T4_T5_T6_T7_T9_mT8_P12ihipStream_tbDpT10_ENKUlT_T0_E_clISt17integral_constantIbLb0EES1D_EEDaS18_S19_EUlS18_E_NS1_11comp_targetILNS1_3genE9ELNS1_11target_archE1100ELNS1_3gpuE3ELNS1_3repE0EEENS1_30default_config_static_selectorELNS0_4arch9wavefront6targetE0EEEvT1_
    .private_segment_fixed_size: 0
    .sgpr_count:     23
    .sgpr_spill_count: 0
    .symbol:         _ZN7rocprim17ROCPRIM_400000_NS6detail17trampoline_kernelINS0_14default_configENS1_25partition_config_selectorILNS1_17partition_subalgoE5ElNS0_10empty_typeEbEEZZNS1_14partition_implILS5_5ELb0ES3_mN6hipcub16HIPCUB_304000_NS21CountingInputIteratorIllEEPS6_NSA_22TransformInputIteratorIbN2at6native12_GLOBAL__N_19NonZeroOpIN3c104HalfEEEPKSK_lEENS0_5tupleIJPlS6_EEENSP_IJSD_SD_EEES6_PiJS6_EEE10hipError_tPvRmT3_T4_T5_T6_T7_T9_mT8_P12ihipStream_tbDpT10_ENKUlT_T0_E_clISt17integral_constantIbLb0EES1D_EEDaS18_S19_EUlS18_E_NS1_11comp_targetILNS1_3genE9ELNS1_11target_archE1100ELNS1_3gpuE3ELNS1_3repE0EEENS1_30default_config_static_selectorELNS0_4arch9wavefront6targetE0EEEvT1_.kd
    .uniform_work_group_size: 1
    .uses_dynamic_stack: false
    .vgpr_count:     57
    .vgpr_spill_count: 0
    .wavefront_size: 32
    .workgroup_processor_mode: 1
  - .args:
      - .offset:         0
        .size:           120
        .value_kind:     by_value
    .group_segment_fixed_size: 0
    .kernarg_segment_align: 8
    .kernarg_segment_size: 120
    .language:       OpenCL C
    .language_version:
      - 2
      - 0
    .max_flat_workgroup_size: 512
    .name:           _ZN7rocprim17ROCPRIM_400000_NS6detail17trampoline_kernelINS0_14default_configENS1_25partition_config_selectorILNS1_17partition_subalgoE5ElNS0_10empty_typeEbEEZZNS1_14partition_implILS5_5ELb0ES3_mN6hipcub16HIPCUB_304000_NS21CountingInputIteratorIllEEPS6_NSA_22TransformInputIteratorIbN2at6native12_GLOBAL__N_19NonZeroOpIN3c104HalfEEEPKSK_lEENS0_5tupleIJPlS6_EEENSP_IJSD_SD_EEES6_PiJS6_EEE10hipError_tPvRmT3_T4_T5_T6_T7_T9_mT8_P12ihipStream_tbDpT10_ENKUlT_T0_E_clISt17integral_constantIbLb0EES1D_EEDaS18_S19_EUlS18_E_NS1_11comp_targetILNS1_3genE8ELNS1_11target_archE1030ELNS1_3gpuE2ELNS1_3repE0EEENS1_30default_config_static_selectorELNS0_4arch9wavefront6targetE0EEEvT1_
    .private_segment_fixed_size: 0
    .sgpr_count:     0
    .sgpr_spill_count: 0
    .symbol:         _ZN7rocprim17ROCPRIM_400000_NS6detail17trampoline_kernelINS0_14default_configENS1_25partition_config_selectorILNS1_17partition_subalgoE5ElNS0_10empty_typeEbEEZZNS1_14partition_implILS5_5ELb0ES3_mN6hipcub16HIPCUB_304000_NS21CountingInputIteratorIllEEPS6_NSA_22TransformInputIteratorIbN2at6native12_GLOBAL__N_19NonZeroOpIN3c104HalfEEEPKSK_lEENS0_5tupleIJPlS6_EEENSP_IJSD_SD_EEES6_PiJS6_EEE10hipError_tPvRmT3_T4_T5_T6_T7_T9_mT8_P12ihipStream_tbDpT10_ENKUlT_T0_E_clISt17integral_constantIbLb0EES1D_EEDaS18_S19_EUlS18_E_NS1_11comp_targetILNS1_3genE8ELNS1_11target_archE1030ELNS1_3gpuE2ELNS1_3repE0EEENS1_30default_config_static_selectorELNS0_4arch9wavefront6targetE0EEEvT1_.kd
    .uniform_work_group_size: 1
    .uses_dynamic_stack: false
    .vgpr_count:     0
    .vgpr_spill_count: 0
    .wavefront_size: 32
    .workgroup_processor_mode: 1
  - .args:
      - .offset:         0
        .size:           136
        .value_kind:     by_value
    .group_segment_fixed_size: 0
    .kernarg_segment_align: 8
    .kernarg_segment_size: 136
    .language:       OpenCL C
    .language_version:
      - 2
      - 0
    .max_flat_workgroup_size: 128
    .name:           _ZN7rocprim17ROCPRIM_400000_NS6detail17trampoline_kernelINS0_14default_configENS1_25partition_config_selectorILNS1_17partition_subalgoE5ElNS0_10empty_typeEbEEZZNS1_14partition_implILS5_5ELb0ES3_mN6hipcub16HIPCUB_304000_NS21CountingInputIteratorIllEEPS6_NSA_22TransformInputIteratorIbN2at6native12_GLOBAL__N_19NonZeroOpIN3c104HalfEEEPKSK_lEENS0_5tupleIJPlS6_EEENSP_IJSD_SD_EEES6_PiJS6_EEE10hipError_tPvRmT3_T4_T5_T6_T7_T9_mT8_P12ihipStream_tbDpT10_ENKUlT_T0_E_clISt17integral_constantIbLb1EES1D_EEDaS18_S19_EUlS18_E_NS1_11comp_targetILNS1_3genE0ELNS1_11target_archE4294967295ELNS1_3gpuE0ELNS1_3repE0EEENS1_30default_config_static_selectorELNS0_4arch9wavefront6targetE0EEEvT1_
    .private_segment_fixed_size: 0
    .sgpr_count:     0
    .sgpr_spill_count: 0
    .symbol:         _ZN7rocprim17ROCPRIM_400000_NS6detail17trampoline_kernelINS0_14default_configENS1_25partition_config_selectorILNS1_17partition_subalgoE5ElNS0_10empty_typeEbEEZZNS1_14partition_implILS5_5ELb0ES3_mN6hipcub16HIPCUB_304000_NS21CountingInputIteratorIllEEPS6_NSA_22TransformInputIteratorIbN2at6native12_GLOBAL__N_19NonZeroOpIN3c104HalfEEEPKSK_lEENS0_5tupleIJPlS6_EEENSP_IJSD_SD_EEES6_PiJS6_EEE10hipError_tPvRmT3_T4_T5_T6_T7_T9_mT8_P12ihipStream_tbDpT10_ENKUlT_T0_E_clISt17integral_constantIbLb1EES1D_EEDaS18_S19_EUlS18_E_NS1_11comp_targetILNS1_3genE0ELNS1_11target_archE4294967295ELNS1_3gpuE0ELNS1_3repE0EEENS1_30default_config_static_selectorELNS0_4arch9wavefront6targetE0EEEvT1_.kd
    .uniform_work_group_size: 1
    .uses_dynamic_stack: false
    .vgpr_count:     0
    .vgpr_spill_count: 0
    .wavefront_size: 32
    .workgroup_processor_mode: 1
  - .args:
      - .offset:         0
        .size:           136
        .value_kind:     by_value
    .group_segment_fixed_size: 0
    .kernarg_segment_align: 8
    .kernarg_segment_size: 136
    .language:       OpenCL C
    .language_version:
      - 2
      - 0
    .max_flat_workgroup_size: 512
    .name:           _ZN7rocprim17ROCPRIM_400000_NS6detail17trampoline_kernelINS0_14default_configENS1_25partition_config_selectorILNS1_17partition_subalgoE5ElNS0_10empty_typeEbEEZZNS1_14partition_implILS5_5ELb0ES3_mN6hipcub16HIPCUB_304000_NS21CountingInputIteratorIllEEPS6_NSA_22TransformInputIteratorIbN2at6native12_GLOBAL__N_19NonZeroOpIN3c104HalfEEEPKSK_lEENS0_5tupleIJPlS6_EEENSP_IJSD_SD_EEES6_PiJS6_EEE10hipError_tPvRmT3_T4_T5_T6_T7_T9_mT8_P12ihipStream_tbDpT10_ENKUlT_T0_E_clISt17integral_constantIbLb1EES1D_EEDaS18_S19_EUlS18_E_NS1_11comp_targetILNS1_3genE5ELNS1_11target_archE942ELNS1_3gpuE9ELNS1_3repE0EEENS1_30default_config_static_selectorELNS0_4arch9wavefront6targetE0EEEvT1_
    .private_segment_fixed_size: 0
    .sgpr_count:     0
    .sgpr_spill_count: 0
    .symbol:         _ZN7rocprim17ROCPRIM_400000_NS6detail17trampoline_kernelINS0_14default_configENS1_25partition_config_selectorILNS1_17partition_subalgoE5ElNS0_10empty_typeEbEEZZNS1_14partition_implILS5_5ELb0ES3_mN6hipcub16HIPCUB_304000_NS21CountingInputIteratorIllEEPS6_NSA_22TransformInputIteratorIbN2at6native12_GLOBAL__N_19NonZeroOpIN3c104HalfEEEPKSK_lEENS0_5tupleIJPlS6_EEENSP_IJSD_SD_EEES6_PiJS6_EEE10hipError_tPvRmT3_T4_T5_T6_T7_T9_mT8_P12ihipStream_tbDpT10_ENKUlT_T0_E_clISt17integral_constantIbLb1EES1D_EEDaS18_S19_EUlS18_E_NS1_11comp_targetILNS1_3genE5ELNS1_11target_archE942ELNS1_3gpuE9ELNS1_3repE0EEENS1_30default_config_static_selectorELNS0_4arch9wavefront6targetE0EEEvT1_.kd
    .uniform_work_group_size: 1
    .uses_dynamic_stack: false
    .vgpr_count:     0
    .vgpr_spill_count: 0
    .wavefront_size: 32
    .workgroup_processor_mode: 1
  - .args:
      - .offset:         0
        .size:           136
        .value_kind:     by_value
    .group_segment_fixed_size: 0
    .kernarg_segment_align: 8
    .kernarg_segment_size: 136
    .language:       OpenCL C
    .language_version:
      - 2
      - 0
    .max_flat_workgroup_size: 192
    .name:           _ZN7rocprim17ROCPRIM_400000_NS6detail17trampoline_kernelINS0_14default_configENS1_25partition_config_selectorILNS1_17partition_subalgoE5ElNS0_10empty_typeEbEEZZNS1_14partition_implILS5_5ELb0ES3_mN6hipcub16HIPCUB_304000_NS21CountingInputIteratorIllEEPS6_NSA_22TransformInputIteratorIbN2at6native12_GLOBAL__N_19NonZeroOpIN3c104HalfEEEPKSK_lEENS0_5tupleIJPlS6_EEENSP_IJSD_SD_EEES6_PiJS6_EEE10hipError_tPvRmT3_T4_T5_T6_T7_T9_mT8_P12ihipStream_tbDpT10_ENKUlT_T0_E_clISt17integral_constantIbLb1EES1D_EEDaS18_S19_EUlS18_E_NS1_11comp_targetILNS1_3genE4ELNS1_11target_archE910ELNS1_3gpuE8ELNS1_3repE0EEENS1_30default_config_static_selectorELNS0_4arch9wavefront6targetE0EEEvT1_
    .private_segment_fixed_size: 0
    .sgpr_count:     0
    .sgpr_spill_count: 0
    .symbol:         _ZN7rocprim17ROCPRIM_400000_NS6detail17trampoline_kernelINS0_14default_configENS1_25partition_config_selectorILNS1_17partition_subalgoE5ElNS0_10empty_typeEbEEZZNS1_14partition_implILS5_5ELb0ES3_mN6hipcub16HIPCUB_304000_NS21CountingInputIteratorIllEEPS6_NSA_22TransformInputIteratorIbN2at6native12_GLOBAL__N_19NonZeroOpIN3c104HalfEEEPKSK_lEENS0_5tupleIJPlS6_EEENSP_IJSD_SD_EEES6_PiJS6_EEE10hipError_tPvRmT3_T4_T5_T6_T7_T9_mT8_P12ihipStream_tbDpT10_ENKUlT_T0_E_clISt17integral_constantIbLb1EES1D_EEDaS18_S19_EUlS18_E_NS1_11comp_targetILNS1_3genE4ELNS1_11target_archE910ELNS1_3gpuE8ELNS1_3repE0EEENS1_30default_config_static_selectorELNS0_4arch9wavefront6targetE0EEEvT1_.kd
    .uniform_work_group_size: 1
    .uses_dynamic_stack: false
    .vgpr_count:     0
    .vgpr_spill_count: 0
    .wavefront_size: 32
    .workgroup_processor_mode: 1
  - .args:
      - .offset:         0
        .size:           136
        .value_kind:     by_value
    .group_segment_fixed_size: 0
    .kernarg_segment_align: 8
    .kernarg_segment_size: 136
    .language:       OpenCL C
    .language_version:
      - 2
      - 0
    .max_flat_workgroup_size: 128
    .name:           _ZN7rocprim17ROCPRIM_400000_NS6detail17trampoline_kernelINS0_14default_configENS1_25partition_config_selectorILNS1_17partition_subalgoE5ElNS0_10empty_typeEbEEZZNS1_14partition_implILS5_5ELb0ES3_mN6hipcub16HIPCUB_304000_NS21CountingInputIteratorIllEEPS6_NSA_22TransformInputIteratorIbN2at6native12_GLOBAL__N_19NonZeroOpIN3c104HalfEEEPKSK_lEENS0_5tupleIJPlS6_EEENSP_IJSD_SD_EEES6_PiJS6_EEE10hipError_tPvRmT3_T4_T5_T6_T7_T9_mT8_P12ihipStream_tbDpT10_ENKUlT_T0_E_clISt17integral_constantIbLb1EES1D_EEDaS18_S19_EUlS18_E_NS1_11comp_targetILNS1_3genE3ELNS1_11target_archE908ELNS1_3gpuE7ELNS1_3repE0EEENS1_30default_config_static_selectorELNS0_4arch9wavefront6targetE0EEEvT1_
    .private_segment_fixed_size: 0
    .sgpr_count:     0
    .sgpr_spill_count: 0
    .symbol:         _ZN7rocprim17ROCPRIM_400000_NS6detail17trampoline_kernelINS0_14default_configENS1_25partition_config_selectorILNS1_17partition_subalgoE5ElNS0_10empty_typeEbEEZZNS1_14partition_implILS5_5ELb0ES3_mN6hipcub16HIPCUB_304000_NS21CountingInputIteratorIllEEPS6_NSA_22TransformInputIteratorIbN2at6native12_GLOBAL__N_19NonZeroOpIN3c104HalfEEEPKSK_lEENS0_5tupleIJPlS6_EEENSP_IJSD_SD_EEES6_PiJS6_EEE10hipError_tPvRmT3_T4_T5_T6_T7_T9_mT8_P12ihipStream_tbDpT10_ENKUlT_T0_E_clISt17integral_constantIbLb1EES1D_EEDaS18_S19_EUlS18_E_NS1_11comp_targetILNS1_3genE3ELNS1_11target_archE908ELNS1_3gpuE7ELNS1_3repE0EEENS1_30default_config_static_selectorELNS0_4arch9wavefront6targetE0EEEvT1_.kd
    .uniform_work_group_size: 1
    .uses_dynamic_stack: false
    .vgpr_count:     0
    .vgpr_spill_count: 0
    .wavefront_size: 32
    .workgroup_processor_mode: 1
  - .args:
      - .offset:         0
        .size:           136
        .value_kind:     by_value
    .group_segment_fixed_size: 0
    .kernarg_segment_align: 8
    .kernarg_segment_size: 136
    .language:       OpenCL C
    .language_version:
      - 2
      - 0
    .max_flat_workgroup_size: 256
    .name:           _ZN7rocprim17ROCPRIM_400000_NS6detail17trampoline_kernelINS0_14default_configENS1_25partition_config_selectorILNS1_17partition_subalgoE5ElNS0_10empty_typeEbEEZZNS1_14partition_implILS5_5ELb0ES3_mN6hipcub16HIPCUB_304000_NS21CountingInputIteratorIllEEPS6_NSA_22TransformInputIteratorIbN2at6native12_GLOBAL__N_19NonZeroOpIN3c104HalfEEEPKSK_lEENS0_5tupleIJPlS6_EEENSP_IJSD_SD_EEES6_PiJS6_EEE10hipError_tPvRmT3_T4_T5_T6_T7_T9_mT8_P12ihipStream_tbDpT10_ENKUlT_T0_E_clISt17integral_constantIbLb1EES1D_EEDaS18_S19_EUlS18_E_NS1_11comp_targetILNS1_3genE2ELNS1_11target_archE906ELNS1_3gpuE6ELNS1_3repE0EEENS1_30default_config_static_selectorELNS0_4arch9wavefront6targetE0EEEvT1_
    .private_segment_fixed_size: 0
    .sgpr_count:     0
    .sgpr_spill_count: 0
    .symbol:         _ZN7rocprim17ROCPRIM_400000_NS6detail17trampoline_kernelINS0_14default_configENS1_25partition_config_selectorILNS1_17partition_subalgoE5ElNS0_10empty_typeEbEEZZNS1_14partition_implILS5_5ELb0ES3_mN6hipcub16HIPCUB_304000_NS21CountingInputIteratorIllEEPS6_NSA_22TransformInputIteratorIbN2at6native12_GLOBAL__N_19NonZeroOpIN3c104HalfEEEPKSK_lEENS0_5tupleIJPlS6_EEENSP_IJSD_SD_EEES6_PiJS6_EEE10hipError_tPvRmT3_T4_T5_T6_T7_T9_mT8_P12ihipStream_tbDpT10_ENKUlT_T0_E_clISt17integral_constantIbLb1EES1D_EEDaS18_S19_EUlS18_E_NS1_11comp_targetILNS1_3genE2ELNS1_11target_archE906ELNS1_3gpuE6ELNS1_3repE0EEENS1_30default_config_static_selectorELNS0_4arch9wavefront6targetE0EEEvT1_.kd
    .uniform_work_group_size: 1
    .uses_dynamic_stack: false
    .vgpr_count:     0
    .vgpr_spill_count: 0
    .wavefront_size: 32
    .workgroup_processor_mode: 1
  - .args:
      - .offset:         0
        .size:           136
        .value_kind:     by_value
    .group_segment_fixed_size: 0
    .kernarg_segment_align: 8
    .kernarg_segment_size: 136
    .language:       OpenCL C
    .language_version:
      - 2
      - 0
    .max_flat_workgroup_size: 256
    .name:           _ZN7rocprim17ROCPRIM_400000_NS6detail17trampoline_kernelINS0_14default_configENS1_25partition_config_selectorILNS1_17partition_subalgoE5ElNS0_10empty_typeEbEEZZNS1_14partition_implILS5_5ELb0ES3_mN6hipcub16HIPCUB_304000_NS21CountingInputIteratorIllEEPS6_NSA_22TransformInputIteratorIbN2at6native12_GLOBAL__N_19NonZeroOpIN3c104HalfEEEPKSK_lEENS0_5tupleIJPlS6_EEENSP_IJSD_SD_EEES6_PiJS6_EEE10hipError_tPvRmT3_T4_T5_T6_T7_T9_mT8_P12ihipStream_tbDpT10_ENKUlT_T0_E_clISt17integral_constantIbLb1EES1D_EEDaS18_S19_EUlS18_E_NS1_11comp_targetILNS1_3genE10ELNS1_11target_archE1200ELNS1_3gpuE4ELNS1_3repE0EEENS1_30default_config_static_selectorELNS0_4arch9wavefront6targetE0EEEvT1_
    .private_segment_fixed_size: 0
    .sgpr_count:     0
    .sgpr_spill_count: 0
    .symbol:         _ZN7rocprim17ROCPRIM_400000_NS6detail17trampoline_kernelINS0_14default_configENS1_25partition_config_selectorILNS1_17partition_subalgoE5ElNS0_10empty_typeEbEEZZNS1_14partition_implILS5_5ELb0ES3_mN6hipcub16HIPCUB_304000_NS21CountingInputIteratorIllEEPS6_NSA_22TransformInputIteratorIbN2at6native12_GLOBAL__N_19NonZeroOpIN3c104HalfEEEPKSK_lEENS0_5tupleIJPlS6_EEENSP_IJSD_SD_EEES6_PiJS6_EEE10hipError_tPvRmT3_T4_T5_T6_T7_T9_mT8_P12ihipStream_tbDpT10_ENKUlT_T0_E_clISt17integral_constantIbLb1EES1D_EEDaS18_S19_EUlS18_E_NS1_11comp_targetILNS1_3genE10ELNS1_11target_archE1200ELNS1_3gpuE4ELNS1_3repE0EEENS1_30default_config_static_selectorELNS0_4arch9wavefront6targetE0EEEvT1_.kd
    .uniform_work_group_size: 1
    .uses_dynamic_stack: false
    .vgpr_count:     0
    .vgpr_spill_count: 0
    .wavefront_size: 32
    .workgroup_processor_mode: 1
  - .args:
      - .offset:         0
        .size:           136
        .value_kind:     by_value
    .group_segment_fixed_size: 6160
    .kernarg_segment_align: 8
    .kernarg_segment_size: 136
    .language:       OpenCL C
    .language_version:
      - 2
      - 0
    .max_flat_workgroup_size: 128
    .name:           _ZN7rocprim17ROCPRIM_400000_NS6detail17trampoline_kernelINS0_14default_configENS1_25partition_config_selectorILNS1_17partition_subalgoE5ElNS0_10empty_typeEbEEZZNS1_14partition_implILS5_5ELb0ES3_mN6hipcub16HIPCUB_304000_NS21CountingInputIteratorIllEEPS6_NSA_22TransformInputIteratorIbN2at6native12_GLOBAL__N_19NonZeroOpIN3c104HalfEEEPKSK_lEENS0_5tupleIJPlS6_EEENSP_IJSD_SD_EEES6_PiJS6_EEE10hipError_tPvRmT3_T4_T5_T6_T7_T9_mT8_P12ihipStream_tbDpT10_ENKUlT_T0_E_clISt17integral_constantIbLb1EES1D_EEDaS18_S19_EUlS18_E_NS1_11comp_targetILNS1_3genE9ELNS1_11target_archE1100ELNS1_3gpuE3ELNS1_3repE0EEENS1_30default_config_static_selectorELNS0_4arch9wavefront6targetE0EEEvT1_
    .private_segment_fixed_size: 0
    .sgpr_count:     26
    .sgpr_spill_count: 0
    .symbol:         _ZN7rocprim17ROCPRIM_400000_NS6detail17trampoline_kernelINS0_14default_configENS1_25partition_config_selectorILNS1_17partition_subalgoE5ElNS0_10empty_typeEbEEZZNS1_14partition_implILS5_5ELb0ES3_mN6hipcub16HIPCUB_304000_NS21CountingInputIteratorIllEEPS6_NSA_22TransformInputIteratorIbN2at6native12_GLOBAL__N_19NonZeroOpIN3c104HalfEEEPKSK_lEENS0_5tupleIJPlS6_EEENSP_IJSD_SD_EEES6_PiJS6_EEE10hipError_tPvRmT3_T4_T5_T6_T7_T9_mT8_P12ihipStream_tbDpT10_ENKUlT_T0_E_clISt17integral_constantIbLb1EES1D_EEDaS18_S19_EUlS18_E_NS1_11comp_targetILNS1_3genE9ELNS1_11target_archE1100ELNS1_3gpuE3ELNS1_3repE0EEENS1_30default_config_static_selectorELNS0_4arch9wavefront6targetE0EEEvT1_.kd
    .uniform_work_group_size: 1
    .uses_dynamic_stack: false
    .vgpr_count:     57
    .vgpr_spill_count: 0
    .wavefront_size: 32
    .workgroup_processor_mode: 1
  - .args:
      - .offset:         0
        .size:           136
        .value_kind:     by_value
    .group_segment_fixed_size: 0
    .kernarg_segment_align: 8
    .kernarg_segment_size: 136
    .language:       OpenCL C
    .language_version:
      - 2
      - 0
    .max_flat_workgroup_size: 512
    .name:           _ZN7rocprim17ROCPRIM_400000_NS6detail17trampoline_kernelINS0_14default_configENS1_25partition_config_selectorILNS1_17partition_subalgoE5ElNS0_10empty_typeEbEEZZNS1_14partition_implILS5_5ELb0ES3_mN6hipcub16HIPCUB_304000_NS21CountingInputIteratorIllEEPS6_NSA_22TransformInputIteratorIbN2at6native12_GLOBAL__N_19NonZeroOpIN3c104HalfEEEPKSK_lEENS0_5tupleIJPlS6_EEENSP_IJSD_SD_EEES6_PiJS6_EEE10hipError_tPvRmT3_T4_T5_T6_T7_T9_mT8_P12ihipStream_tbDpT10_ENKUlT_T0_E_clISt17integral_constantIbLb1EES1D_EEDaS18_S19_EUlS18_E_NS1_11comp_targetILNS1_3genE8ELNS1_11target_archE1030ELNS1_3gpuE2ELNS1_3repE0EEENS1_30default_config_static_selectorELNS0_4arch9wavefront6targetE0EEEvT1_
    .private_segment_fixed_size: 0
    .sgpr_count:     0
    .sgpr_spill_count: 0
    .symbol:         _ZN7rocprim17ROCPRIM_400000_NS6detail17trampoline_kernelINS0_14default_configENS1_25partition_config_selectorILNS1_17partition_subalgoE5ElNS0_10empty_typeEbEEZZNS1_14partition_implILS5_5ELb0ES3_mN6hipcub16HIPCUB_304000_NS21CountingInputIteratorIllEEPS6_NSA_22TransformInputIteratorIbN2at6native12_GLOBAL__N_19NonZeroOpIN3c104HalfEEEPKSK_lEENS0_5tupleIJPlS6_EEENSP_IJSD_SD_EEES6_PiJS6_EEE10hipError_tPvRmT3_T4_T5_T6_T7_T9_mT8_P12ihipStream_tbDpT10_ENKUlT_T0_E_clISt17integral_constantIbLb1EES1D_EEDaS18_S19_EUlS18_E_NS1_11comp_targetILNS1_3genE8ELNS1_11target_archE1030ELNS1_3gpuE2ELNS1_3repE0EEENS1_30default_config_static_selectorELNS0_4arch9wavefront6targetE0EEEvT1_.kd
    .uniform_work_group_size: 1
    .uses_dynamic_stack: false
    .vgpr_count:     0
    .vgpr_spill_count: 0
    .wavefront_size: 32
    .workgroup_processor_mode: 1
  - .args:
      - .offset:         0
        .size:           120
        .value_kind:     by_value
    .group_segment_fixed_size: 0
    .kernarg_segment_align: 8
    .kernarg_segment_size: 120
    .language:       OpenCL C
    .language_version:
      - 2
      - 0
    .max_flat_workgroup_size: 128
    .name:           _ZN7rocprim17ROCPRIM_400000_NS6detail17trampoline_kernelINS0_14default_configENS1_25partition_config_selectorILNS1_17partition_subalgoE5ElNS0_10empty_typeEbEEZZNS1_14partition_implILS5_5ELb0ES3_mN6hipcub16HIPCUB_304000_NS21CountingInputIteratorIllEEPS6_NSA_22TransformInputIteratorIbN2at6native12_GLOBAL__N_19NonZeroOpIN3c104HalfEEEPKSK_lEENS0_5tupleIJPlS6_EEENSP_IJSD_SD_EEES6_PiJS6_EEE10hipError_tPvRmT3_T4_T5_T6_T7_T9_mT8_P12ihipStream_tbDpT10_ENKUlT_T0_E_clISt17integral_constantIbLb1EES1C_IbLb0EEEEDaS18_S19_EUlS18_E_NS1_11comp_targetILNS1_3genE0ELNS1_11target_archE4294967295ELNS1_3gpuE0ELNS1_3repE0EEENS1_30default_config_static_selectorELNS0_4arch9wavefront6targetE0EEEvT1_
    .private_segment_fixed_size: 0
    .sgpr_count:     0
    .sgpr_spill_count: 0
    .symbol:         _ZN7rocprim17ROCPRIM_400000_NS6detail17trampoline_kernelINS0_14default_configENS1_25partition_config_selectorILNS1_17partition_subalgoE5ElNS0_10empty_typeEbEEZZNS1_14partition_implILS5_5ELb0ES3_mN6hipcub16HIPCUB_304000_NS21CountingInputIteratorIllEEPS6_NSA_22TransformInputIteratorIbN2at6native12_GLOBAL__N_19NonZeroOpIN3c104HalfEEEPKSK_lEENS0_5tupleIJPlS6_EEENSP_IJSD_SD_EEES6_PiJS6_EEE10hipError_tPvRmT3_T4_T5_T6_T7_T9_mT8_P12ihipStream_tbDpT10_ENKUlT_T0_E_clISt17integral_constantIbLb1EES1C_IbLb0EEEEDaS18_S19_EUlS18_E_NS1_11comp_targetILNS1_3genE0ELNS1_11target_archE4294967295ELNS1_3gpuE0ELNS1_3repE0EEENS1_30default_config_static_selectorELNS0_4arch9wavefront6targetE0EEEvT1_.kd
    .uniform_work_group_size: 1
    .uses_dynamic_stack: false
    .vgpr_count:     0
    .vgpr_spill_count: 0
    .wavefront_size: 32
    .workgroup_processor_mode: 1
  - .args:
      - .offset:         0
        .size:           120
        .value_kind:     by_value
    .group_segment_fixed_size: 0
    .kernarg_segment_align: 8
    .kernarg_segment_size: 120
    .language:       OpenCL C
    .language_version:
      - 2
      - 0
    .max_flat_workgroup_size: 512
    .name:           _ZN7rocprim17ROCPRIM_400000_NS6detail17trampoline_kernelINS0_14default_configENS1_25partition_config_selectorILNS1_17partition_subalgoE5ElNS0_10empty_typeEbEEZZNS1_14partition_implILS5_5ELb0ES3_mN6hipcub16HIPCUB_304000_NS21CountingInputIteratorIllEEPS6_NSA_22TransformInputIteratorIbN2at6native12_GLOBAL__N_19NonZeroOpIN3c104HalfEEEPKSK_lEENS0_5tupleIJPlS6_EEENSP_IJSD_SD_EEES6_PiJS6_EEE10hipError_tPvRmT3_T4_T5_T6_T7_T9_mT8_P12ihipStream_tbDpT10_ENKUlT_T0_E_clISt17integral_constantIbLb1EES1C_IbLb0EEEEDaS18_S19_EUlS18_E_NS1_11comp_targetILNS1_3genE5ELNS1_11target_archE942ELNS1_3gpuE9ELNS1_3repE0EEENS1_30default_config_static_selectorELNS0_4arch9wavefront6targetE0EEEvT1_
    .private_segment_fixed_size: 0
    .sgpr_count:     0
    .sgpr_spill_count: 0
    .symbol:         _ZN7rocprim17ROCPRIM_400000_NS6detail17trampoline_kernelINS0_14default_configENS1_25partition_config_selectorILNS1_17partition_subalgoE5ElNS0_10empty_typeEbEEZZNS1_14partition_implILS5_5ELb0ES3_mN6hipcub16HIPCUB_304000_NS21CountingInputIteratorIllEEPS6_NSA_22TransformInputIteratorIbN2at6native12_GLOBAL__N_19NonZeroOpIN3c104HalfEEEPKSK_lEENS0_5tupleIJPlS6_EEENSP_IJSD_SD_EEES6_PiJS6_EEE10hipError_tPvRmT3_T4_T5_T6_T7_T9_mT8_P12ihipStream_tbDpT10_ENKUlT_T0_E_clISt17integral_constantIbLb1EES1C_IbLb0EEEEDaS18_S19_EUlS18_E_NS1_11comp_targetILNS1_3genE5ELNS1_11target_archE942ELNS1_3gpuE9ELNS1_3repE0EEENS1_30default_config_static_selectorELNS0_4arch9wavefront6targetE0EEEvT1_.kd
    .uniform_work_group_size: 1
    .uses_dynamic_stack: false
    .vgpr_count:     0
    .vgpr_spill_count: 0
    .wavefront_size: 32
    .workgroup_processor_mode: 1
  - .args:
      - .offset:         0
        .size:           120
        .value_kind:     by_value
    .group_segment_fixed_size: 0
    .kernarg_segment_align: 8
    .kernarg_segment_size: 120
    .language:       OpenCL C
    .language_version:
      - 2
      - 0
    .max_flat_workgroup_size: 192
    .name:           _ZN7rocprim17ROCPRIM_400000_NS6detail17trampoline_kernelINS0_14default_configENS1_25partition_config_selectorILNS1_17partition_subalgoE5ElNS0_10empty_typeEbEEZZNS1_14partition_implILS5_5ELb0ES3_mN6hipcub16HIPCUB_304000_NS21CountingInputIteratorIllEEPS6_NSA_22TransformInputIteratorIbN2at6native12_GLOBAL__N_19NonZeroOpIN3c104HalfEEEPKSK_lEENS0_5tupleIJPlS6_EEENSP_IJSD_SD_EEES6_PiJS6_EEE10hipError_tPvRmT3_T4_T5_T6_T7_T9_mT8_P12ihipStream_tbDpT10_ENKUlT_T0_E_clISt17integral_constantIbLb1EES1C_IbLb0EEEEDaS18_S19_EUlS18_E_NS1_11comp_targetILNS1_3genE4ELNS1_11target_archE910ELNS1_3gpuE8ELNS1_3repE0EEENS1_30default_config_static_selectorELNS0_4arch9wavefront6targetE0EEEvT1_
    .private_segment_fixed_size: 0
    .sgpr_count:     0
    .sgpr_spill_count: 0
    .symbol:         _ZN7rocprim17ROCPRIM_400000_NS6detail17trampoline_kernelINS0_14default_configENS1_25partition_config_selectorILNS1_17partition_subalgoE5ElNS0_10empty_typeEbEEZZNS1_14partition_implILS5_5ELb0ES3_mN6hipcub16HIPCUB_304000_NS21CountingInputIteratorIllEEPS6_NSA_22TransformInputIteratorIbN2at6native12_GLOBAL__N_19NonZeroOpIN3c104HalfEEEPKSK_lEENS0_5tupleIJPlS6_EEENSP_IJSD_SD_EEES6_PiJS6_EEE10hipError_tPvRmT3_T4_T5_T6_T7_T9_mT8_P12ihipStream_tbDpT10_ENKUlT_T0_E_clISt17integral_constantIbLb1EES1C_IbLb0EEEEDaS18_S19_EUlS18_E_NS1_11comp_targetILNS1_3genE4ELNS1_11target_archE910ELNS1_3gpuE8ELNS1_3repE0EEENS1_30default_config_static_selectorELNS0_4arch9wavefront6targetE0EEEvT1_.kd
    .uniform_work_group_size: 1
    .uses_dynamic_stack: false
    .vgpr_count:     0
    .vgpr_spill_count: 0
    .wavefront_size: 32
    .workgroup_processor_mode: 1
  - .args:
      - .offset:         0
        .size:           120
        .value_kind:     by_value
    .group_segment_fixed_size: 0
    .kernarg_segment_align: 8
    .kernarg_segment_size: 120
    .language:       OpenCL C
    .language_version:
      - 2
      - 0
    .max_flat_workgroup_size: 128
    .name:           _ZN7rocprim17ROCPRIM_400000_NS6detail17trampoline_kernelINS0_14default_configENS1_25partition_config_selectorILNS1_17partition_subalgoE5ElNS0_10empty_typeEbEEZZNS1_14partition_implILS5_5ELb0ES3_mN6hipcub16HIPCUB_304000_NS21CountingInputIteratorIllEEPS6_NSA_22TransformInputIteratorIbN2at6native12_GLOBAL__N_19NonZeroOpIN3c104HalfEEEPKSK_lEENS0_5tupleIJPlS6_EEENSP_IJSD_SD_EEES6_PiJS6_EEE10hipError_tPvRmT3_T4_T5_T6_T7_T9_mT8_P12ihipStream_tbDpT10_ENKUlT_T0_E_clISt17integral_constantIbLb1EES1C_IbLb0EEEEDaS18_S19_EUlS18_E_NS1_11comp_targetILNS1_3genE3ELNS1_11target_archE908ELNS1_3gpuE7ELNS1_3repE0EEENS1_30default_config_static_selectorELNS0_4arch9wavefront6targetE0EEEvT1_
    .private_segment_fixed_size: 0
    .sgpr_count:     0
    .sgpr_spill_count: 0
    .symbol:         _ZN7rocprim17ROCPRIM_400000_NS6detail17trampoline_kernelINS0_14default_configENS1_25partition_config_selectorILNS1_17partition_subalgoE5ElNS0_10empty_typeEbEEZZNS1_14partition_implILS5_5ELb0ES3_mN6hipcub16HIPCUB_304000_NS21CountingInputIteratorIllEEPS6_NSA_22TransformInputIteratorIbN2at6native12_GLOBAL__N_19NonZeroOpIN3c104HalfEEEPKSK_lEENS0_5tupleIJPlS6_EEENSP_IJSD_SD_EEES6_PiJS6_EEE10hipError_tPvRmT3_T4_T5_T6_T7_T9_mT8_P12ihipStream_tbDpT10_ENKUlT_T0_E_clISt17integral_constantIbLb1EES1C_IbLb0EEEEDaS18_S19_EUlS18_E_NS1_11comp_targetILNS1_3genE3ELNS1_11target_archE908ELNS1_3gpuE7ELNS1_3repE0EEENS1_30default_config_static_selectorELNS0_4arch9wavefront6targetE0EEEvT1_.kd
    .uniform_work_group_size: 1
    .uses_dynamic_stack: false
    .vgpr_count:     0
    .vgpr_spill_count: 0
    .wavefront_size: 32
    .workgroup_processor_mode: 1
  - .args:
      - .offset:         0
        .size:           120
        .value_kind:     by_value
    .group_segment_fixed_size: 0
    .kernarg_segment_align: 8
    .kernarg_segment_size: 120
    .language:       OpenCL C
    .language_version:
      - 2
      - 0
    .max_flat_workgroup_size: 256
    .name:           _ZN7rocprim17ROCPRIM_400000_NS6detail17trampoline_kernelINS0_14default_configENS1_25partition_config_selectorILNS1_17partition_subalgoE5ElNS0_10empty_typeEbEEZZNS1_14partition_implILS5_5ELb0ES3_mN6hipcub16HIPCUB_304000_NS21CountingInputIteratorIllEEPS6_NSA_22TransformInputIteratorIbN2at6native12_GLOBAL__N_19NonZeroOpIN3c104HalfEEEPKSK_lEENS0_5tupleIJPlS6_EEENSP_IJSD_SD_EEES6_PiJS6_EEE10hipError_tPvRmT3_T4_T5_T6_T7_T9_mT8_P12ihipStream_tbDpT10_ENKUlT_T0_E_clISt17integral_constantIbLb1EES1C_IbLb0EEEEDaS18_S19_EUlS18_E_NS1_11comp_targetILNS1_3genE2ELNS1_11target_archE906ELNS1_3gpuE6ELNS1_3repE0EEENS1_30default_config_static_selectorELNS0_4arch9wavefront6targetE0EEEvT1_
    .private_segment_fixed_size: 0
    .sgpr_count:     0
    .sgpr_spill_count: 0
    .symbol:         _ZN7rocprim17ROCPRIM_400000_NS6detail17trampoline_kernelINS0_14default_configENS1_25partition_config_selectorILNS1_17partition_subalgoE5ElNS0_10empty_typeEbEEZZNS1_14partition_implILS5_5ELb0ES3_mN6hipcub16HIPCUB_304000_NS21CountingInputIteratorIllEEPS6_NSA_22TransformInputIteratorIbN2at6native12_GLOBAL__N_19NonZeroOpIN3c104HalfEEEPKSK_lEENS0_5tupleIJPlS6_EEENSP_IJSD_SD_EEES6_PiJS6_EEE10hipError_tPvRmT3_T4_T5_T6_T7_T9_mT8_P12ihipStream_tbDpT10_ENKUlT_T0_E_clISt17integral_constantIbLb1EES1C_IbLb0EEEEDaS18_S19_EUlS18_E_NS1_11comp_targetILNS1_3genE2ELNS1_11target_archE906ELNS1_3gpuE6ELNS1_3repE0EEENS1_30default_config_static_selectorELNS0_4arch9wavefront6targetE0EEEvT1_.kd
    .uniform_work_group_size: 1
    .uses_dynamic_stack: false
    .vgpr_count:     0
    .vgpr_spill_count: 0
    .wavefront_size: 32
    .workgroup_processor_mode: 1
  - .args:
      - .offset:         0
        .size:           120
        .value_kind:     by_value
    .group_segment_fixed_size: 0
    .kernarg_segment_align: 8
    .kernarg_segment_size: 120
    .language:       OpenCL C
    .language_version:
      - 2
      - 0
    .max_flat_workgroup_size: 256
    .name:           _ZN7rocprim17ROCPRIM_400000_NS6detail17trampoline_kernelINS0_14default_configENS1_25partition_config_selectorILNS1_17partition_subalgoE5ElNS0_10empty_typeEbEEZZNS1_14partition_implILS5_5ELb0ES3_mN6hipcub16HIPCUB_304000_NS21CountingInputIteratorIllEEPS6_NSA_22TransformInputIteratorIbN2at6native12_GLOBAL__N_19NonZeroOpIN3c104HalfEEEPKSK_lEENS0_5tupleIJPlS6_EEENSP_IJSD_SD_EEES6_PiJS6_EEE10hipError_tPvRmT3_T4_T5_T6_T7_T9_mT8_P12ihipStream_tbDpT10_ENKUlT_T0_E_clISt17integral_constantIbLb1EES1C_IbLb0EEEEDaS18_S19_EUlS18_E_NS1_11comp_targetILNS1_3genE10ELNS1_11target_archE1200ELNS1_3gpuE4ELNS1_3repE0EEENS1_30default_config_static_selectorELNS0_4arch9wavefront6targetE0EEEvT1_
    .private_segment_fixed_size: 0
    .sgpr_count:     0
    .sgpr_spill_count: 0
    .symbol:         _ZN7rocprim17ROCPRIM_400000_NS6detail17trampoline_kernelINS0_14default_configENS1_25partition_config_selectorILNS1_17partition_subalgoE5ElNS0_10empty_typeEbEEZZNS1_14partition_implILS5_5ELb0ES3_mN6hipcub16HIPCUB_304000_NS21CountingInputIteratorIllEEPS6_NSA_22TransformInputIteratorIbN2at6native12_GLOBAL__N_19NonZeroOpIN3c104HalfEEEPKSK_lEENS0_5tupleIJPlS6_EEENSP_IJSD_SD_EEES6_PiJS6_EEE10hipError_tPvRmT3_T4_T5_T6_T7_T9_mT8_P12ihipStream_tbDpT10_ENKUlT_T0_E_clISt17integral_constantIbLb1EES1C_IbLb0EEEEDaS18_S19_EUlS18_E_NS1_11comp_targetILNS1_3genE10ELNS1_11target_archE1200ELNS1_3gpuE4ELNS1_3repE0EEENS1_30default_config_static_selectorELNS0_4arch9wavefront6targetE0EEEvT1_.kd
    .uniform_work_group_size: 1
    .uses_dynamic_stack: false
    .vgpr_count:     0
    .vgpr_spill_count: 0
    .wavefront_size: 32
    .workgroup_processor_mode: 1
  - .args:
      - .offset:         0
        .size:           120
        .value_kind:     by_value
    .group_segment_fixed_size: 6160
    .kernarg_segment_align: 8
    .kernarg_segment_size: 120
    .language:       OpenCL C
    .language_version:
      - 2
      - 0
    .max_flat_workgroup_size: 128
    .name:           _ZN7rocprim17ROCPRIM_400000_NS6detail17trampoline_kernelINS0_14default_configENS1_25partition_config_selectorILNS1_17partition_subalgoE5ElNS0_10empty_typeEbEEZZNS1_14partition_implILS5_5ELb0ES3_mN6hipcub16HIPCUB_304000_NS21CountingInputIteratorIllEEPS6_NSA_22TransformInputIteratorIbN2at6native12_GLOBAL__N_19NonZeroOpIN3c104HalfEEEPKSK_lEENS0_5tupleIJPlS6_EEENSP_IJSD_SD_EEES6_PiJS6_EEE10hipError_tPvRmT3_T4_T5_T6_T7_T9_mT8_P12ihipStream_tbDpT10_ENKUlT_T0_E_clISt17integral_constantIbLb1EES1C_IbLb0EEEEDaS18_S19_EUlS18_E_NS1_11comp_targetILNS1_3genE9ELNS1_11target_archE1100ELNS1_3gpuE3ELNS1_3repE0EEENS1_30default_config_static_selectorELNS0_4arch9wavefront6targetE0EEEvT1_
    .private_segment_fixed_size: 0
    .sgpr_count:     23
    .sgpr_spill_count: 0
    .symbol:         _ZN7rocprim17ROCPRIM_400000_NS6detail17trampoline_kernelINS0_14default_configENS1_25partition_config_selectorILNS1_17partition_subalgoE5ElNS0_10empty_typeEbEEZZNS1_14partition_implILS5_5ELb0ES3_mN6hipcub16HIPCUB_304000_NS21CountingInputIteratorIllEEPS6_NSA_22TransformInputIteratorIbN2at6native12_GLOBAL__N_19NonZeroOpIN3c104HalfEEEPKSK_lEENS0_5tupleIJPlS6_EEENSP_IJSD_SD_EEES6_PiJS6_EEE10hipError_tPvRmT3_T4_T5_T6_T7_T9_mT8_P12ihipStream_tbDpT10_ENKUlT_T0_E_clISt17integral_constantIbLb1EES1C_IbLb0EEEEDaS18_S19_EUlS18_E_NS1_11comp_targetILNS1_3genE9ELNS1_11target_archE1100ELNS1_3gpuE3ELNS1_3repE0EEENS1_30default_config_static_selectorELNS0_4arch9wavefront6targetE0EEEvT1_.kd
    .uniform_work_group_size: 1
    .uses_dynamic_stack: false
    .vgpr_count:     57
    .vgpr_spill_count: 0
    .wavefront_size: 32
    .workgroup_processor_mode: 1
  - .args:
      - .offset:         0
        .size:           120
        .value_kind:     by_value
    .group_segment_fixed_size: 0
    .kernarg_segment_align: 8
    .kernarg_segment_size: 120
    .language:       OpenCL C
    .language_version:
      - 2
      - 0
    .max_flat_workgroup_size: 512
    .name:           _ZN7rocprim17ROCPRIM_400000_NS6detail17trampoline_kernelINS0_14default_configENS1_25partition_config_selectorILNS1_17partition_subalgoE5ElNS0_10empty_typeEbEEZZNS1_14partition_implILS5_5ELb0ES3_mN6hipcub16HIPCUB_304000_NS21CountingInputIteratorIllEEPS6_NSA_22TransformInputIteratorIbN2at6native12_GLOBAL__N_19NonZeroOpIN3c104HalfEEEPKSK_lEENS0_5tupleIJPlS6_EEENSP_IJSD_SD_EEES6_PiJS6_EEE10hipError_tPvRmT3_T4_T5_T6_T7_T9_mT8_P12ihipStream_tbDpT10_ENKUlT_T0_E_clISt17integral_constantIbLb1EES1C_IbLb0EEEEDaS18_S19_EUlS18_E_NS1_11comp_targetILNS1_3genE8ELNS1_11target_archE1030ELNS1_3gpuE2ELNS1_3repE0EEENS1_30default_config_static_selectorELNS0_4arch9wavefront6targetE0EEEvT1_
    .private_segment_fixed_size: 0
    .sgpr_count:     0
    .sgpr_spill_count: 0
    .symbol:         _ZN7rocprim17ROCPRIM_400000_NS6detail17trampoline_kernelINS0_14default_configENS1_25partition_config_selectorILNS1_17partition_subalgoE5ElNS0_10empty_typeEbEEZZNS1_14partition_implILS5_5ELb0ES3_mN6hipcub16HIPCUB_304000_NS21CountingInputIteratorIllEEPS6_NSA_22TransformInputIteratorIbN2at6native12_GLOBAL__N_19NonZeroOpIN3c104HalfEEEPKSK_lEENS0_5tupleIJPlS6_EEENSP_IJSD_SD_EEES6_PiJS6_EEE10hipError_tPvRmT3_T4_T5_T6_T7_T9_mT8_P12ihipStream_tbDpT10_ENKUlT_T0_E_clISt17integral_constantIbLb1EES1C_IbLb0EEEEDaS18_S19_EUlS18_E_NS1_11comp_targetILNS1_3genE8ELNS1_11target_archE1030ELNS1_3gpuE2ELNS1_3repE0EEENS1_30default_config_static_selectorELNS0_4arch9wavefront6targetE0EEEvT1_.kd
    .uniform_work_group_size: 1
    .uses_dynamic_stack: false
    .vgpr_count:     0
    .vgpr_spill_count: 0
    .wavefront_size: 32
    .workgroup_processor_mode: 1
  - .args:
      - .offset:         0
        .size:           136
        .value_kind:     by_value
    .group_segment_fixed_size: 0
    .kernarg_segment_align: 8
    .kernarg_segment_size: 136
    .language:       OpenCL C
    .language_version:
      - 2
      - 0
    .max_flat_workgroup_size: 128
    .name:           _ZN7rocprim17ROCPRIM_400000_NS6detail17trampoline_kernelINS0_14default_configENS1_25partition_config_selectorILNS1_17partition_subalgoE5ElNS0_10empty_typeEbEEZZNS1_14partition_implILS5_5ELb0ES3_mN6hipcub16HIPCUB_304000_NS21CountingInputIteratorIllEEPS6_NSA_22TransformInputIteratorIbN2at6native12_GLOBAL__N_19NonZeroOpIN3c104HalfEEEPKSK_lEENS0_5tupleIJPlS6_EEENSP_IJSD_SD_EEES6_PiJS6_EEE10hipError_tPvRmT3_T4_T5_T6_T7_T9_mT8_P12ihipStream_tbDpT10_ENKUlT_T0_E_clISt17integral_constantIbLb0EES1C_IbLb1EEEEDaS18_S19_EUlS18_E_NS1_11comp_targetILNS1_3genE0ELNS1_11target_archE4294967295ELNS1_3gpuE0ELNS1_3repE0EEENS1_30default_config_static_selectorELNS0_4arch9wavefront6targetE0EEEvT1_
    .private_segment_fixed_size: 0
    .sgpr_count:     0
    .sgpr_spill_count: 0
    .symbol:         _ZN7rocprim17ROCPRIM_400000_NS6detail17trampoline_kernelINS0_14default_configENS1_25partition_config_selectorILNS1_17partition_subalgoE5ElNS0_10empty_typeEbEEZZNS1_14partition_implILS5_5ELb0ES3_mN6hipcub16HIPCUB_304000_NS21CountingInputIteratorIllEEPS6_NSA_22TransformInputIteratorIbN2at6native12_GLOBAL__N_19NonZeroOpIN3c104HalfEEEPKSK_lEENS0_5tupleIJPlS6_EEENSP_IJSD_SD_EEES6_PiJS6_EEE10hipError_tPvRmT3_T4_T5_T6_T7_T9_mT8_P12ihipStream_tbDpT10_ENKUlT_T0_E_clISt17integral_constantIbLb0EES1C_IbLb1EEEEDaS18_S19_EUlS18_E_NS1_11comp_targetILNS1_3genE0ELNS1_11target_archE4294967295ELNS1_3gpuE0ELNS1_3repE0EEENS1_30default_config_static_selectorELNS0_4arch9wavefront6targetE0EEEvT1_.kd
    .uniform_work_group_size: 1
    .uses_dynamic_stack: false
    .vgpr_count:     0
    .vgpr_spill_count: 0
    .wavefront_size: 32
    .workgroup_processor_mode: 1
  - .args:
      - .offset:         0
        .size:           136
        .value_kind:     by_value
    .group_segment_fixed_size: 0
    .kernarg_segment_align: 8
    .kernarg_segment_size: 136
    .language:       OpenCL C
    .language_version:
      - 2
      - 0
    .max_flat_workgroup_size: 512
    .name:           _ZN7rocprim17ROCPRIM_400000_NS6detail17trampoline_kernelINS0_14default_configENS1_25partition_config_selectorILNS1_17partition_subalgoE5ElNS0_10empty_typeEbEEZZNS1_14partition_implILS5_5ELb0ES3_mN6hipcub16HIPCUB_304000_NS21CountingInputIteratorIllEEPS6_NSA_22TransformInputIteratorIbN2at6native12_GLOBAL__N_19NonZeroOpIN3c104HalfEEEPKSK_lEENS0_5tupleIJPlS6_EEENSP_IJSD_SD_EEES6_PiJS6_EEE10hipError_tPvRmT3_T4_T5_T6_T7_T9_mT8_P12ihipStream_tbDpT10_ENKUlT_T0_E_clISt17integral_constantIbLb0EES1C_IbLb1EEEEDaS18_S19_EUlS18_E_NS1_11comp_targetILNS1_3genE5ELNS1_11target_archE942ELNS1_3gpuE9ELNS1_3repE0EEENS1_30default_config_static_selectorELNS0_4arch9wavefront6targetE0EEEvT1_
    .private_segment_fixed_size: 0
    .sgpr_count:     0
    .sgpr_spill_count: 0
    .symbol:         _ZN7rocprim17ROCPRIM_400000_NS6detail17trampoline_kernelINS0_14default_configENS1_25partition_config_selectorILNS1_17partition_subalgoE5ElNS0_10empty_typeEbEEZZNS1_14partition_implILS5_5ELb0ES3_mN6hipcub16HIPCUB_304000_NS21CountingInputIteratorIllEEPS6_NSA_22TransformInputIteratorIbN2at6native12_GLOBAL__N_19NonZeroOpIN3c104HalfEEEPKSK_lEENS0_5tupleIJPlS6_EEENSP_IJSD_SD_EEES6_PiJS6_EEE10hipError_tPvRmT3_T4_T5_T6_T7_T9_mT8_P12ihipStream_tbDpT10_ENKUlT_T0_E_clISt17integral_constantIbLb0EES1C_IbLb1EEEEDaS18_S19_EUlS18_E_NS1_11comp_targetILNS1_3genE5ELNS1_11target_archE942ELNS1_3gpuE9ELNS1_3repE0EEENS1_30default_config_static_selectorELNS0_4arch9wavefront6targetE0EEEvT1_.kd
    .uniform_work_group_size: 1
    .uses_dynamic_stack: false
    .vgpr_count:     0
    .vgpr_spill_count: 0
    .wavefront_size: 32
    .workgroup_processor_mode: 1
  - .args:
      - .offset:         0
        .size:           136
        .value_kind:     by_value
    .group_segment_fixed_size: 0
    .kernarg_segment_align: 8
    .kernarg_segment_size: 136
    .language:       OpenCL C
    .language_version:
      - 2
      - 0
    .max_flat_workgroup_size: 192
    .name:           _ZN7rocprim17ROCPRIM_400000_NS6detail17trampoline_kernelINS0_14default_configENS1_25partition_config_selectorILNS1_17partition_subalgoE5ElNS0_10empty_typeEbEEZZNS1_14partition_implILS5_5ELb0ES3_mN6hipcub16HIPCUB_304000_NS21CountingInputIteratorIllEEPS6_NSA_22TransformInputIteratorIbN2at6native12_GLOBAL__N_19NonZeroOpIN3c104HalfEEEPKSK_lEENS0_5tupleIJPlS6_EEENSP_IJSD_SD_EEES6_PiJS6_EEE10hipError_tPvRmT3_T4_T5_T6_T7_T9_mT8_P12ihipStream_tbDpT10_ENKUlT_T0_E_clISt17integral_constantIbLb0EES1C_IbLb1EEEEDaS18_S19_EUlS18_E_NS1_11comp_targetILNS1_3genE4ELNS1_11target_archE910ELNS1_3gpuE8ELNS1_3repE0EEENS1_30default_config_static_selectorELNS0_4arch9wavefront6targetE0EEEvT1_
    .private_segment_fixed_size: 0
    .sgpr_count:     0
    .sgpr_spill_count: 0
    .symbol:         _ZN7rocprim17ROCPRIM_400000_NS6detail17trampoline_kernelINS0_14default_configENS1_25partition_config_selectorILNS1_17partition_subalgoE5ElNS0_10empty_typeEbEEZZNS1_14partition_implILS5_5ELb0ES3_mN6hipcub16HIPCUB_304000_NS21CountingInputIteratorIllEEPS6_NSA_22TransformInputIteratorIbN2at6native12_GLOBAL__N_19NonZeroOpIN3c104HalfEEEPKSK_lEENS0_5tupleIJPlS6_EEENSP_IJSD_SD_EEES6_PiJS6_EEE10hipError_tPvRmT3_T4_T5_T6_T7_T9_mT8_P12ihipStream_tbDpT10_ENKUlT_T0_E_clISt17integral_constantIbLb0EES1C_IbLb1EEEEDaS18_S19_EUlS18_E_NS1_11comp_targetILNS1_3genE4ELNS1_11target_archE910ELNS1_3gpuE8ELNS1_3repE0EEENS1_30default_config_static_selectorELNS0_4arch9wavefront6targetE0EEEvT1_.kd
    .uniform_work_group_size: 1
    .uses_dynamic_stack: false
    .vgpr_count:     0
    .vgpr_spill_count: 0
    .wavefront_size: 32
    .workgroup_processor_mode: 1
  - .args:
      - .offset:         0
        .size:           136
        .value_kind:     by_value
    .group_segment_fixed_size: 0
    .kernarg_segment_align: 8
    .kernarg_segment_size: 136
    .language:       OpenCL C
    .language_version:
      - 2
      - 0
    .max_flat_workgroup_size: 128
    .name:           _ZN7rocprim17ROCPRIM_400000_NS6detail17trampoline_kernelINS0_14default_configENS1_25partition_config_selectorILNS1_17partition_subalgoE5ElNS0_10empty_typeEbEEZZNS1_14partition_implILS5_5ELb0ES3_mN6hipcub16HIPCUB_304000_NS21CountingInputIteratorIllEEPS6_NSA_22TransformInputIteratorIbN2at6native12_GLOBAL__N_19NonZeroOpIN3c104HalfEEEPKSK_lEENS0_5tupleIJPlS6_EEENSP_IJSD_SD_EEES6_PiJS6_EEE10hipError_tPvRmT3_T4_T5_T6_T7_T9_mT8_P12ihipStream_tbDpT10_ENKUlT_T0_E_clISt17integral_constantIbLb0EES1C_IbLb1EEEEDaS18_S19_EUlS18_E_NS1_11comp_targetILNS1_3genE3ELNS1_11target_archE908ELNS1_3gpuE7ELNS1_3repE0EEENS1_30default_config_static_selectorELNS0_4arch9wavefront6targetE0EEEvT1_
    .private_segment_fixed_size: 0
    .sgpr_count:     0
    .sgpr_spill_count: 0
    .symbol:         _ZN7rocprim17ROCPRIM_400000_NS6detail17trampoline_kernelINS0_14default_configENS1_25partition_config_selectorILNS1_17partition_subalgoE5ElNS0_10empty_typeEbEEZZNS1_14partition_implILS5_5ELb0ES3_mN6hipcub16HIPCUB_304000_NS21CountingInputIteratorIllEEPS6_NSA_22TransformInputIteratorIbN2at6native12_GLOBAL__N_19NonZeroOpIN3c104HalfEEEPKSK_lEENS0_5tupleIJPlS6_EEENSP_IJSD_SD_EEES6_PiJS6_EEE10hipError_tPvRmT3_T4_T5_T6_T7_T9_mT8_P12ihipStream_tbDpT10_ENKUlT_T0_E_clISt17integral_constantIbLb0EES1C_IbLb1EEEEDaS18_S19_EUlS18_E_NS1_11comp_targetILNS1_3genE3ELNS1_11target_archE908ELNS1_3gpuE7ELNS1_3repE0EEENS1_30default_config_static_selectorELNS0_4arch9wavefront6targetE0EEEvT1_.kd
    .uniform_work_group_size: 1
    .uses_dynamic_stack: false
    .vgpr_count:     0
    .vgpr_spill_count: 0
    .wavefront_size: 32
    .workgroup_processor_mode: 1
  - .args:
      - .offset:         0
        .size:           136
        .value_kind:     by_value
    .group_segment_fixed_size: 0
    .kernarg_segment_align: 8
    .kernarg_segment_size: 136
    .language:       OpenCL C
    .language_version:
      - 2
      - 0
    .max_flat_workgroup_size: 256
    .name:           _ZN7rocprim17ROCPRIM_400000_NS6detail17trampoline_kernelINS0_14default_configENS1_25partition_config_selectorILNS1_17partition_subalgoE5ElNS0_10empty_typeEbEEZZNS1_14partition_implILS5_5ELb0ES3_mN6hipcub16HIPCUB_304000_NS21CountingInputIteratorIllEEPS6_NSA_22TransformInputIteratorIbN2at6native12_GLOBAL__N_19NonZeroOpIN3c104HalfEEEPKSK_lEENS0_5tupleIJPlS6_EEENSP_IJSD_SD_EEES6_PiJS6_EEE10hipError_tPvRmT3_T4_T5_T6_T7_T9_mT8_P12ihipStream_tbDpT10_ENKUlT_T0_E_clISt17integral_constantIbLb0EES1C_IbLb1EEEEDaS18_S19_EUlS18_E_NS1_11comp_targetILNS1_3genE2ELNS1_11target_archE906ELNS1_3gpuE6ELNS1_3repE0EEENS1_30default_config_static_selectorELNS0_4arch9wavefront6targetE0EEEvT1_
    .private_segment_fixed_size: 0
    .sgpr_count:     0
    .sgpr_spill_count: 0
    .symbol:         _ZN7rocprim17ROCPRIM_400000_NS6detail17trampoline_kernelINS0_14default_configENS1_25partition_config_selectorILNS1_17partition_subalgoE5ElNS0_10empty_typeEbEEZZNS1_14partition_implILS5_5ELb0ES3_mN6hipcub16HIPCUB_304000_NS21CountingInputIteratorIllEEPS6_NSA_22TransformInputIteratorIbN2at6native12_GLOBAL__N_19NonZeroOpIN3c104HalfEEEPKSK_lEENS0_5tupleIJPlS6_EEENSP_IJSD_SD_EEES6_PiJS6_EEE10hipError_tPvRmT3_T4_T5_T6_T7_T9_mT8_P12ihipStream_tbDpT10_ENKUlT_T0_E_clISt17integral_constantIbLb0EES1C_IbLb1EEEEDaS18_S19_EUlS18_E_NS1_11comp_targetILNS1_3genE2ELNS1_11target_archE906ELNS1_3gpuE6ELNS1_3repE0EEENS1_30default_config_static_selectorELNS0_4arch9wavefront6targetE0EEEvT1_.kd
    .uniform_work_group_size: 1
    .uses_dynamic_stack: false
    .vgpr_count:     0
    .vgpr_spill_count: 0
    .wavefront_size: 32
    .workgroup_processor_mode: 1
  - .args:
      - .offset:         0
        .size:           136
        .value_kind:     by_value
    .group_segment_fixed_size: 0
    .kernarg_segment_align: 8
    .kernarg_segment_size: 136
    .language:       OpenCL C
    .language_version:
      - 2
      - 0
    .max_flat_workgroup_size: 256
    .name:           _ZN7rocprim17ROCPRIM_400000_NS6detail17trampoline_kernelINS0_14default_configENS1_25partition_config_selectorILNS1_17partition_subalgoE5ElNS0_10empty_typeEbEEZZNS1_14partition_implILS5_5ELb0ES3_mN6hipcub16HIPCUB_304000_NS21CountingInputIteratorIllEEPS6_NSA_22TransformInputIteratorIbN2at6native12_GLOBAL__N_19NonZeroOpIN3c104HalfEEEPKSK_lEENS0_5tupleIJPlS6_EEENSP_IJSD_SD_EEES6_PiJS6_EEE10hipError_tPvRmT3_T4_T5_T6_T7_T9_mT8_P12ihipStream_tbDpT10_ENKUlT_T0_E_clISt17integral_constantIbLb0EES1C_IbLb1EEEEDaS18_S19_EUlS18_E_NS1_11comp_targetILNS1_3genE10ELNS1_11target_archE1200ELNS1_3gpuE4ELNS1_3repE0EEENS1_30default_config_static_selectorELNS0_4arch9wavefront6targetE0EEEvT1_
    .private_segment_fixed_size: 0
    .sgpr_count:     0
    .sgpr_spill_count: 0
    .symbol:         _ZN7rocprim17ROCPRIM_400000_NS6detail17trampoline_kernelINS0_14default_configENS1_25partition_config_selectorILNS1_17partition_subalgoE5ElNS0_10empty_typeEbEEZZNS1_14partition_implILS5_5ELb0ES3_mN6hipcub16HIPCUB_304000_NS21CountingInputIteratorIllEEPS6_NSA_22TransformInputIteratorIbN2at6native12_GLOBAL__N_19NonZeroOpIN3c104HalfEEEPKSK_lEENS0_5tupleIJPlS6_EEENSP_IJSD_SD_EEES6_PiJS6_EEE10hipError_tPvRmT3_T4_T5_T6_T7_T9_mT8_P12ihipStream_tbDpT10_ENKUlT_T0_E_clISt17integral_constantIbLb0EES1C_IbLb1EEEEDaS18_S19_EUlS18_E_NS1_11comp_targetILNS1_3genE10ELNS1_11target_archE1200ELNS1_3gpuE4ELNS1_3repE0EEENS1_30default_config_static_selectorELNS0_4arch9wavefront6targetE0EEEvT1_.kd
    .uniform_work_group_size: 1
    .uses_dynamic_stack: false
    .vgpr_count:     0
    .vgpr_spill_count: 0
    .wavefront_size: 32
    .workgroup_processor_mode: 1
  - .args:
      - .offset:         0
        .size:           136
        .value_kind:     by_value
    .group_segment_fixed_size: 6160
    .kernarg_segment_align: 8
    .kernarg_segment_size: 136
    .language:       OpenCL C
    .language_version:
      - 2
      - 0
    .max_flat_workgroup_size: 128
    .name:           _ZN7rocprim17ROCPRIM_400000_NS6detail17trampoline_kernelINS0_14default_configENS1_25partition_config_selectorILNS1_17partition_subalgoE5ElNS0_10empty_typeEbEEZZNS1_14partition_implILS5_5ELb0ES3_mN6hipcub16HIPCUB_304000_NS21CountingInputIteratorIllEEPS6_NSA_22TransformInputIteratorIbN2at6native12_GLOBAL__N_19NonZeroOpIN3c104HalfEEEPKSK_lEENS0_5tupleIJPlS6_EEENSP_IJSD_SD_EEES6_PiJS6_EEE10hipError_tPvRmT3_T4_T5_T6_T7_T9_mT8_P12ihipStream_tbDpT10_ENKUlT_T0_E_clISt17integral_constantIbLb0EES1C_IbLb1EEEEDaS18_S19_EUlS18_E_NS1_11comp_targetILNS1_3genE9ELNS1_11target_archE1100ELNS1_3gpuE3ELNS1_3repE0EEENS1_30default_config_static_selectorELNS0_4arch9wavefront6targetE0EEEvT1_
    .private_segment_fixed_size: 0
    .sgpr_count:     26
    .sgpr_spill_count: 0
    .symbol:         _ZN7rocprim17ROCPRIM_400000_NS6detail17trampoline_kernelINS0_14default_configENS1_25partition_config_selectorILNS1_17partition_subalgoE5ElNS0_10empty_typeEbEEZZNS1_14partition_implILS5_5ELb0ES3_mN6hipcub16HIPCUB_304000_NS21CountingInputIteratorIllEEPS6_NSA_22TransformInputIteratorIbN2at6native12_GLOBAL__N_19NonZeroOpIN3c104HalfEEEPKSK_lEENS0_5tupleIJPlS6_EEENSP_IJSD_SD_EEES6_PiJS6_EEE10hipError_tPvRmT3_T4_T5_T6_T7_T9_mT8_P12ihipStream_tbDpT10_ENKUlT_T0_E_clISt17integral_constantIbLb0EES1C_IbLb1EEEEDaS18_S19_EUlS18_E_NS1_11comp_targetILNS1_3genE9ELNS1_11target_archE1100ELNS1_3gpuE3ELNS1_3repE0EEENS1_30default_config_static_selectorELNS0_4arch9wavefront6targetE0EEEvT1_.kd
    .uniform_work_group_size: 1
    .uses_dynamic_stack: false
    .vgpr_count:     57
    .vgpr_spill_count: 0
    .wavefront_size: 32
    .workgroup_processor_mode: 1
  - .args:
      - .offset:         0
        .size:           136
        .value_kind:     by_value
    .group_segment_fixed_size: 0
    .kernarg_segment_align: 8
    .kernarg_segment_size: 136
    .language:       OpenCL C
    .language_version:
      - 2
      - 0
    .max_flat_workgroup_size: 512
    .name:           _ZN7rocprim17ROCPRIM_400000_NS6detail17trampoline_kernelINS0_14default_configENS1_25partition_config_selectorILNS1_17partition_subalgoE5ElNS0_10empty_typeEbEEZZNS1_14partition_implILS5_5ELb0ES3_mN6hipcub16HIPCUB_304000_NS21CountingInputIteratorIllEEPS6_NSA_22TransformInputIteratorIbN2at6native12_GLOBAL__N_19NonZeroOpIN3c104HalfEEEPKSK_lEENS0_5tupleIJPlS6_EEENSP_IJSD_SD_EEES6_PiJS6_EEE10hipError_tPvRmT3_T4_T5_T6_T7_T9_mT8_P12ihipStream_tbDpT10_ENKUlT_T0_E_clISt17integral_constantIbLb0EES1C_IbLb1EEEEDaS18_S19_EUlS18_E_NS1_11comp_targetILNS1_3genE8ELNS1_11target_archE1030ELNS1_3gpuE2ELNS1_3repE0EEENS1_30default_config_static_selectorELNS0_4arch9wavefront6targetE0EEEvT1_
    .private_segment_fixed_size: 0
    .sgpr_count:     0
    .sgpr_spill_count: 0
    .symbol:         _ZN7rocprim17ROCPRIM_400000_NS6detail17trampoline_kernelINS0_14default_configENS1_25partition_config_selectorILNS1_17partition_subalgoE5ElNS0_10empty_typeEbEEZZNS1_14partition_implILS5_5ELb0ES3_mN6hipcub16HIPCUB_304000_NS21CountingInputIteratorIllEEPS6_NSA_22TransformInputIteratorIbN2at6native12_GLOBAL__N_19NonZeroOpIN3c104HalfEEEPKSK_lEENS0_5tupleIJPlS6_EEENSP_IJSD_SD_EEES6_PiJS6_EEE10hipError_tPvRmT3_T4_T5_T6_T7_T9_mT8_P12ihipStream_tbDpT10_ENKUlT_T0_E_clISt17integral_constantIbLb0EES1C_IbLb1EEEEDaS18_S19_EUlS18_E_NS1_11comp_targetILNS1_3genE8ELNS1_11target_archE1030ELNS1_3gpuE2ELNS1_3repE0EEENS1_30default_config_static_selectorELNS0_4arch9wavefront6targetE0EEEvT1_.kd
    .uniform_work_group_size: 1
    .uses_dynamic_stack: false
    .vgpr_count:     0
    .vgpr_spill_count: 0
    .wavefront_size: 32
    .workgroup_processor_mode: 1
  - .args:
      - .address_space:  global
        .offset:         0
        .size:           8
        .value_kind:     global_buffer
      - .address_space:  global
        .offset:         8
        .size:           8
        .value_kind:     global_buffer
      - .offset:         16
        .size:           8
        .value_kind:     by_value
      - .offset:         24
        .size:           4
        .value_kind:     by_value
    .group_segment_fixed_size: 64
    .kernarg_segment_align: 8
    .kernarg_segment_size: 28
    .language:       OpenCL C
    .language_version:
      - 2
      - 0
    .max_flat_workgroup_size: 1024
    .name:           _ZN2at4cuda3cub15calc_block_sumsILi512ELi16ELb1EhiEEvPKT2_PT3_li
    .private_segment_fixed_size: 0
    .sgpr_count:     31
    .sgpr_spill_count: 0
    .symbol:         _ZN2at4cuda3cub15calc_block_sumsILi512ELi16ELb1EhiEEvPKT2_PT3_li.kd
    .uniform_work_group_size: 1
    .uses_dynamic_stack: false
    .vgpr_count:     39
    .vgpr_spill_count: 0
    .wavefront_size: 32
    .workgroup_processor_mode: 1
  - .args:
      - .address_space:  global
        .offset:         0
        .size:           8
        .value_kind:     global_buffer
      - .address_space:  global
        .offset:         8
        .size:           8
        .value_kind:     global_buffer
      - .offset:         16
        .size:           4
        .value_kind:     by_value
    .group_segment_fixed_size: 128
    .kernarg_segment_align: 8
    .kernarg_segment_size: 20
    .language:       OpenCL C
    .language_version:
      - 2
      - 0
    .max_flat_workgroup_size: 1024
    .name:           _ZN2at6native12_GLOBAL__N_111compute_aggILi512EEEvPiPlj
    .private_segment_fixed_size: 0
    .sgpr_count:     10
    .sgpr_spill_count: 0
    .symbol:         _ZN2at6native12_GLOBAL__N_111compute_aggILi512EEEvPiPlj.kd
    .uniform_work_group_size: 1
    .uses_dynamic_stack: false
    .vgpr_count:     10
    .vgpr_spill_count: 0
    .wavefront_size: 32
    .workgroup_processor_mode: 1
  - .args:
      - .address_space:  global
        .offset:         0
        .size:           8
        .value_kind:     global_buffer
      - .address_space:  global
        .offset:         8
        .size:           8
        .value_kind:     global_buffer
      - .address_space:  global
        .offset:         16
        .size:           8
        .value_kind:     global_buffer
      - .offset:         24
        .size:           8
        .value_kind:     by_value
      - .offset:         32
        .size:           8
        .value_kind:     by_value
      - .offset:         40
        .size:           4
        .value_kind:     by_value
      - .offset:         48
        .size:           4
        .value_kind:     hidden_block_count_x
      - .offset:         52
        .size:           4
        .value_kind:     hidden_block_count_y
      - .offset:         56
        .size:           4
        .value_kind:     hidden_block_count_z
      - .offset:         60
        .size:           2
        .value_kind:     hidden_group_size_x
      - .offset:         62
        .size:           2
        .value_kind:     hidden_group_size_y
      - .offset:         64
        .size:           2
        .value_kind:     hidden_group_size_z
      - .offset:         66
        .size:           2
        .value_kind:     hidden_remainder_x
      - .offset:         68
        .size:           2
        .value_kind:     hidden_remainder_y
      - .offset:         70
        .size:           2
        .value_kind:     hidden_remainder_z
      - .offset:         88
        .size:           8
        .value_kind:     hidden_global_offset_x
      - .offset:         96
        .size:           8
        .value_kind:     hidden_global_offset_y
      - .offset:         104
        .size:           8
        .value_kind:     hidden_global_offset_z
      - .offset:         112
        .size:           2
        .value_kind:     hidden_grid_dims
    .group_segment_fixed_size: 33796
    .kernarg_segment_align: 8
    .kernarg_segment_size: 304
    .language:       OpenCL C
    .language_version:
      - 2
      - 0
    .max_flat_workgroup_size: 1024
    .name:           _ZN2at6native12_GLOBAL__N_111flag_kernelILi512ELi16EhEEvPKT1_PlPKllli
    .private_segment_fixed_size: 0
    .sgpr_count:     42
    .sgpr_spill_count: 0
    .symbol:         _ZN2at6native12_GLOBAL__N_111flag_kernelILi512ELi16EhEEvPKT1_PlPKllli.kd
    .uniform_work_group_size: 1
    .uses_dynamic_stack: false
    .vgpr_count:     109
    .vgpr_spill_count: 0
    .wavefront_size: 32
    .workgroup_processor_mode: 1
  - .args:
      - .address_space:  global
        .offset:         0
        .size:           8
        .value_kind:     global_buffer
      - .address_space:  global
        .offset:         8
        .size:           8
        .value_kind:     global_buffer
      - .offset:         16
        .size:           8
        .value_kind:     by_value
      - .offset:         24
        .size:           4
        .value_kind:     by_value
    .group_segment_fixed_size: 64
    .kernarg_segment_align: 8
    .kernarg_segment_size: 28
    .language:       OpenCL C
    .language_version:
      - 2
      - 0
    .max_flat_workgroup_size: 1024
    .name:           _ZN2at4cuda3cub15calc_block_sumsILi512ELi16ELb1EaiEEvPKT2_PT3_li
    .private_segment_fixed_size: 0
    .sgpr_count:     31
    .sgpr_spill_count: 0
    .symbol:         _ZN2at4cuda3cub15calc_block_sumsILi512ELi16ELb1EaiEEvPKT2_PT3_li.kd
    .uniform_work_group_size: 1
    .uses_dynamic_stack: false
    .vgpr_count:     39
    .vgpr_spill_count: 0
    .wavefront_size: 32
    .workgroup_processor_mode: 1
  - .args:
      - .address_space:  global
        .offset:         0
        .size:           8
        .value_kind:     global_buffer
      - .address_space:  global
        .offset:         8
        .size:           8
        .value_kind:     global_buffer
      - .address_space:  global
        .offset:         16
        .size:           8
        .value_kind:     global_buffer
      - .offset:         24
        .size:           8
        .value_kind:     by_value
      - .offset:         32
        .size:           8
        .value_kind:     by_value
      - .offset:         40
        .size:           4
        .value_kind:     by_value
      - .offset:         48
        .size:           4
        .value_kind:     hidden_block_count_x
      - .offset:         52
        .size:           4
        .value_kind:     hidden_block_count_y
      - .offset:         56
        .size:           4
        .value_kind:     hidden_block_count_z
      - .offset:         60
        .size:           2
        .value_kind:     hidden_group_size_x
      - .offset:         62
        .size:           2
        .value_kind:     hidden_group_size_y
      - .offset:         64
        .size:           2
        .value_kind:     hidden_group_size_z
      - .offset:         66
        .size:           2
        .value_kind:     hidden_remainder_x
      - .offset:         68
        .size:           2
        .value_kind:     hidden_remainder_y
      - .offset:         70
        .size:           2
        .value_kind:     hidden_remainder_z
      - .offset:         88
        .size:           8
        .value_kind:     hidden_global_offset_x
      - .offset:         96
        .size:           8
        .value_kind:     hidden_global_offset_y
      - .offset:         104
        .size:           8
        .value_kind:     hidden_global_offset_z
      - .offset:         112
        .size:           2
        .value_kind:     hidden_grid_dims
    .group_segment_fixed_size: 33796
    .kernarg_segment_align: 8
    .kernarg_segment_size: 304
    .language:       OpenCL C
    .language_version:
      - 2
      - 0
    .max_flat_workgroup_size: 1024
    .name:           _ZN2at6native12_GLOBAL__N_111flag_kernelILi512ELi16EaEEvPKT1_PlPKllli
    .private_segment_fixed_size: 0
    .sgpr_count:     42
    .sgpr_spill_count: 0
    .symbol:         _ZN2at6native12_GLOBAL__N_111flag_kernelILi512ELi16EaEEvPKT1_PlPKllli.kd
    .uniform_work_group_size: 1
    .uses_dynamic_stack: false
    .vgpr_count:     109
    .vgpr_spill_count: 0
    .wavefront_size: 32
    .workgroup_processor_mode: 1
  - .args:
      - .address_space:  global
        .offset:         0
        .size:           8
        .value_kind:     global_buffer
      - .address_space:  global
        .offset:         8
        .size:           8
        .value_kind:     global_buffer
      - .offset:         16
        .size:           8
        .value_kind:     by_value
      - .offset:         24
        .size:           4
        .value_kind:     by_value
    .group_segment_fixed_size: 64
    .kernarg_segment_align: 8
    .kernarg_segment_size: 28
    .language:       OpenCL C
    .language_version:
      - 2
      - 0
    .max_flat_workgroup_size: 1024
    .name:           _ZN2at4cuda3cub15calc_block_sumsILi512ELi16ELb1EiiEEvPKT2_PT3_li
    .private_segment_fixed_size: 0
    .sgpr_count:     30
    .sgpr_spill_count: 0
    .symbol:         _ZN2at4cuda3cub15calc_block_sumsILi512ELi16ELb1EiiEEvPKT2_PT3_li.kd
    .uniform_work_group_size: 1
    .uses_dynamic_stack: false
    .vgpr_count:     42
    .vgpr_spill_count: 0
    .wavefront_size: 32
    .workgroup_processor_mode: 1
  - .args:
      - .address_space:  global
        .offset:         0
        .size:           8
        .value_kind:     global_buffer
      - .address_space:  global
        .offset:         8
        .size:           8
        .value_kind:     global_buffer
      - .address_space:  global
        .offset:         16
        .size:           8
        .value_kind:     global_buffer
      - .offset:         24
        .size:           8
        .value_kind:     by_value
      - .offset:         32
        .size:           8
        .value_kind:     by_value
      - .offset:         40
        .size:           4
        .value_kind:     by_value
      - .offset:         48
        .size:           4
        .value_kind:     hidden_block_count_x
      - .offset:         52
        .size:           4
        .value_kind:     hidden_block_count_y
      - .offset:         56
        .size:           4
        .value_kind:     hidden_block_count_z
      - .offset:         60
        .size:           2
        .value_kind:     hidden_group_size_x
      - .offset:         62
        .size:           2
        .value_kind:     hidden_group_size_y
      - .offset:         64
        .size:           2
        .value_kind:     hidden_group_size_z
      - .offset:         66
        .size:           2
        .value_kind:     hidden_remainder_x
      - .offset:         68
        .size:           2
        .value_kind:     hidden_remainder_y
      - .offset:         70
        .size:           2
        .value_kind:     hidden_remainder_z
      - .offset:         88
        .size:           8
        .value_kind:     hidden_global_offset_x
      - .offset:         96
        .size:           8
        .value_kind:     hidden_global_offset_y
      - .offset:         104
        .size:           8
        .value_kind:     hidden_global_offset_z
      - .offset:         112
        .size:           2
        .value_kind:     hidden_grid_dims
    .group_segment_fixed_size: 33796
    .kernarg_segment_align: 8
    .kernarg_segment_size: 304
    .language:       OpenCL C
    .language_version:
      - 2
      - 0
    .max_flat_workgroup_size: 1024
    .name:           _ZN2at6native12_GLOBAL__N_111flag_kernelILi512ELi16EiEEvPKT1_PlPKllli
    .private_segment_fixed_size: 0
    .sgpr_count:     42
    .sgpr_spill_count: 0
    .symbol:         _ZN2at6native12_GLOBAL__N_111flag_kernelILi512ELi16EiEEvPKT1_PlPKllli.kd
    .uniform_work_group_size: 1
    .uses_dynamic_stack: false
    .vgpr_count:     109
    .vgpr_spill_count: 0
    .wavefront_size: 32
    .workgroup_processor_mode: 1
  - .args:
      - .address_space:  global
        .offset:         0
        .size:           8
        .value_kind:     global_buffer
      - .address_space:  global
        .offset:         8
        .size:           8
        .value_kind:     global_buffer
      - .offset:         16
        .size:           8
        .value_kind:     by_value
      - .offset:         24
        .size:           4
        .value_kind:     by_value
    .group_segment_fixed_size: 64
    .kernarg_segment_align: 8
    .kernarg_segment_size: 28
    .language:       OpenCL C
    .language_version:
      - 2
      - 0
    .max_flat_workgroup_size: 1024
    .name:           _ZN2at4cuda3cub15calc_block_sumsILi512ELi16ELb1EliEEvPKT2_PT3_li
    .private_segment_fixed_size: 0
    .sgpr_count:     30
    .sgpr_spill_count: 0
    .symbol:         _ZN2at4cuda3cub15calc_block_sumsILi512ELi16ELb1EliEEvPKT2_PT3_li.kd
    .uniform_work_group_size: 1
    .uses_dynamic_stack: false
    .vgpr_count:     55
    .vgpr_spill_count: 0
    .wavefront_size: 32
    .workgroup_processor_mode: 1
  - .args:
      - .address_space:  global
        .offset:         0
        .size:           8
        .value_kind:     global_buffer
      - .address_space:  global
        .offset:         8
        .size:           8
        .value_kind:     global_buffer
      - .address_space:  global
        .offset:         16
        .size:           8
        .value_kind:     global_buffer
      - .offset:         24
        .size:           8
        .value_kind:     by_value
      - .offset:         32
        .size:           8
        .value_kind:     by_value
      - .offset:         40
        .size:           4
        .value_kind:     by_value
      - .offset:         48
        .size:           4
        .value_kind:     hidden_block_count_x
      - .offset:         52
        .size:           4
        .value_kind:     hidden_block_count_y
      - .offset:         56
        .size:           4
        .value_kind:     hidden_block_count_z
      - .offset:         60
        .size:           2
        .value_kind:     hidden_group_size_x
      - .offset:         62
        .size:           2
        .value_kind:     hidden_group_size_y
      - .offset:         64
        .size:           2
        .value_kind:     hidden_group_size_z
      - .offset:         66
        .size:           2
        .value_kind:     hidden_remainder_x
      - .offset:         68
        .size:           2
        .value_kind:     hidden_remainder_y
      - .offset:         70
        .size:           2
        .value_kind:     hidden_remainder_z
      - .offset:         88
        .size:           8
        .value_kind:     hidden_global_offset_x
      - .offset:         96
        .size:           8
        .value_kind:     hidden_global_offset_y
      - .offset:         104
        .size:           8
        .value_kind:     hidden_global_offset_z
      - .offset:         112
        .size:           2
        .value_kind:     hidden_grid_dims
    .group_segment_fixed_size: 33796
    .kernarg_segment_align: 8
    .kernarg_segment_size: 304
    .language:       OpenCL C
    .language_version:
      - 2
      - 0
    .max_flat_workgroup_size: 1024
    .name:           _ZN2at6native12_GLOBAL__N_111flag_kernelILi512ELi16ElEEvPKT1_PlPKllli
    .private_segment_fixed_size: 0
    .sgpr_count:     42
    .sgpr_spill_count: 0
    .symbol:         _ZN2at6native12_GLOBAL__N_111flag_kernelILi512ELi16ElEEvPKT1_PlPKllli.kd
    .uniform_work_group_size: 1
    .uses_dynamic_stack: false
    .vgpr_count:     109
    .vgpr_spill_count: 0
    .wavefront_size: 32
    .workgroup_processor_mode: 1
  - .args:
      - .address_space:  global
        .offset:         0
        .size:           8
        .value_kind:     global_buffer
      - .address_space:  global
        .offset:         8
        .size:           8
        .value_kind:     global_buffer
      - .offset:         16
        .size:           8
        .value_kind:     by_value
      - .offset:         24
        .size:           4
        .value_kind:     by_value
    .group_segment_fixed_size: 64
    .kernarg_segment_align: 8
    .kernarg_segment_size: 28
    .language:       OpenCL C
    .language_version:
      - 2
      - 0
    .max_flat_workgroup_size: 1024
    .name:           _ZN2at4cuda3cub15calc_block_sumsILi512ELi16ELb1EsiEEvPKT2_PT3_li
    .private_segment_fixed_size: 0
    .sgpr_count:     30
    .sgpr_spill_count: 0
    .symbol:         _ZN2at4cuda3cub15calc_block_sumsILi512ELi16ELb1EsiEEvPKT2_PT3_li.kd
    .uniform_work_group_size: 1
    .uses_dynamic_stack: false
    .vgpr_count:     41
    .vgpr_spill_count: 0
    .wavefront_size: 32
    .workgroup_processor_mode: 1
  - .args:
      - .address_space:  global
        .offset:         0
        .size:           8
        .value_kind:     global_buffer
      - .address_space:  global
        .offset:         8
        .size:           8
        .value_kind:     global_buffer
      - .address_space:  global
        .offset:         16
        .size:           8
        .value_kind:     global_buffer
      - .offset:         24
        .size:           8
        .value_kind:     by_value
      - .offset:         32
        .size:           8
        .value_kind:     by_value
      - .offset:         40
        .size:           4
        .value_kind:     by_value
      - .offset:         48
        .size:           4
        .value_kind:     hidden_block_count_x
      - .offset:         52
        .size:           4
        .value_kind:     hidden_block_count_y
      - .offset:         56
        .size:           4
        .value_kind:     hidden_block_count_z
      - .offset:         60
        .size:           2
        .value_kind:     hidden_group_size_x
      - .offset:         62
        .size:           2
        .value_kind:     hidden_group_size_y
      - .offset:         64
        .size:           2
        .value_kind:     hidden_group_size_z
      - .offset:         66
        .size:           2
        .value_kind:     hidden_remainder_x
      - .offset:         68
        .size:           2
        .value_kind:     hidden_remainder_y
      - .offset:         70
        .size:           2
        .value_kind:     hidden_remainder_z
      - .offset:         88
        .size:           8
        .value_kind:     hidden_global_offset_x
      - .offset:         96
        .size:           8
        .value_kind:     hidden_global_offset_y
      - .offset:         104
        .size:           8
        .value_kind:     hidden_global_offset_z
      - .offset:         112
        .size:           2
        .value_kind:     hidden_grid_dims
    .group_segment_fixed_size: 33796
    .kernarg_segment_align: 8
    .kernarg_segment_size: 304
    .language:       OpenCL C
    .language_version:
      - 2
      - 0
    .max_flat_workgroup_size: 1024
    .name:           _ZN2at6native12_GLOBAL__N_111flag_kernelILi512ELi16EsEEvPKT1_PlPKllli
    .private_segment_fixed_size: 0
    .sgpr_count:     42
    .sgpr_spill_count: 0
    .symbol:         _ZN2at6native12_GLOBAL__N_111flag_kernelILi512ELi16EsEEvPKT1_PlPKllli.kd
    .uniform_work_group_size: 1
    .uses_dynamic_stack: false
    .vgpr_count:     109
    .vgpr_spill_count: 0
    .wavefront_size: 32
    .workgroup_processor_mode: 1
  - .args:
      - .address_space:  global
        .offset:         0
        .size:           8
        .value_kind:     global_buffer
      - .address_space:  global
        .offset:         8
        .size:           8
        .value_kind:     global_buffer
      - .offset:         16
        .size:           8
        .value_kind:     by_value
      - .offset:         24
        .size:           4
        .value_kind:     by_value
    .group_segment_fixed_size: 64
    .kernarg_segment_align: 8
    .kernarg_segment_size: 28
    .language:       OpenCL C
    .language_version:
      - 2
      - 0
    .max_flat_workgroup_size: 1024
    .name:           _ZN2at4cuda3cub15calc_block_sumsILi512ELi16ELb1EdiEEvPKT2_PT3_li
    .private_segment_fixed_size: 0
    .sgpr_count:     30
    .sgpr_spill_count: 0
    .symbol:         _ZN2at4cuda3cub15calc_block_sumsILi512ELi16ELb1EdiEEvPKT2_PT3_li.kd
    .uniform_work_group_size: 1
    .uses_dynamic_stack: false
    .vgpr_count:     55
    .vgpr_spill_count: 0
    .wavefront_size: 32
    .workgroup_processor_mode: 1
  - .args:
      - .address_space:  global
        .offset:         0
        .size:           8
        .value_kind:     global_buffer
      - .address_space:  global
        .offset:         8
        .size:           8
        .value_kind:     global_buffer
      - .address_space:  global
        .offset:         16
        .size:           8
        .value_kind:     global_buffer
      - .offset:         24
        .size:           8
        .value_kind:     by_value
      - .offset:         32
        .size:           8
        .value_kind:     by_value
      - .offset:         40
        .size:           4
        .value_kind:     by_value
      - .offset:         48
        .size:           4
        .value_kind:     hidden_block_count_x
      - .offset:         52
        .size:           4
        .value_kind:     hidden_block_count_y
      - .offset:         56
        .size:           4
        .value_kind:     hidden_block_count_z
      - .offset:         60
        .size:           2
        .value_kind:     hidden_group_size_x
      - .offset:         62
        .size:           2
        .value_kind:     hidden_group_size_y
      - .offset:         64
        .size:           2
        .value_kind:     hidden_group_size_z
      - .offset:         66
        .size:           2
        .value_kind:     hidden_remainder_x
      - .offset:         68
        .size:           2
        .value_kind:     hidden_remainder_y
      - .offset:         70
        .size:           2
        .value_kind:     hidden_remainder_z
      - .offset:         88
        .size:           8
        .value_kind:     hidden_global_offset_x
      - .offset:         96
        .size:           8
        .value_kind:     hidden_global_offset_y
      - .offset:         104
        .size:           8
        .value_kind:     hidden_global_offset_z
      - .offset:         112
        .size:           2
        .value_kind:     hidden_grid_dims
    .group_segment_fixed_size: 33796
    .kernarg_segment_align: 8
    .kernarg_segment_size: 304
    .language:       OpenCL C
    .language_version:
      - 2
      - 0
    .max_flat_workgroup_size: 1024
    .name:           _ZN2at6native12_GLOBAL__N_111flag_kernelILi512ELi16EdEEvPKT1_PlPKllli
    .private_segment_fixed_size: 0
    .sgpr_count:     42
    .sgpr_spill_count: 0
    .symbol:         _ZN2at6native12_GLOBAL__N_111flag_kernelILi512ELi16EdEEvPKT1_PlPKllli.kd
    .uniform_work_group_size: 1
    .uses_dynamic_stack: false
    .vgpr_count:     109
    .vgpr_spill_count: 0
    .wavefront_size: 32
    .workgroup_processor_mode: 1
  - .args:
      - .address_space:  global
        .offset:         0
        .size:           8
        .value_kind:     global_buffer
      - .address_space:  global
        .offset:         8
        .size:           8
        .value_kind:     global_buffer
      - .offset:         16
        .size:           8
        .value_kind:     by_value
      - .offset:         24
        .size:           4
        .value_kind:     by_value
    .group_segment_fixed_size: 64
    .kernarg_segment_align: 8
    .kernarg_segment_size: 28
    .language:       OpenCL C
    .language_version:
      - 2
      - 0
    .max_flat_workgroup_size: 1024
    .name:           _ZN2at4cuda3cub15calc_block_sumsILi512ELi16ELb1EfiEEvPKT2_PT3_li
    .private_segment_fixed_size: 0
    .sgpr_count:     30
    .sgpr_spill_count: 0
    .symbol:         _ZN2at4cuda3cub15calc_block_sumsILi512ELi16ELb1EfiEEvPKT2_PT3_li.kd
    .uniform_work_group_size: 1
    .uses_dynamic_stack: false
    .vgpr_count:     42
    .vgpr_spill_count: 0
    .wavefront_size: 32
    .workgroup_processor_mode: 1
  - .args:
      - .address_space:  global
        .offset:         0
        .size:           8
        .value_kind:     global_buffer
      - .address_space:  global
        .offset:         8
        .size:           8
        .value_kind:     global_buffer
      - .address_space:  global
        .offset:         16
        .size:           8
        .value_kind:     global_buffer
      - .offset:         24
        .size:           8
        .value_kind:     by_value
      - .offset:         32
        .size:           8
        .value_kind:     by_value
      - .offset:         40
        .size:           4
        .value_kind:     by_value
      - .offset:         48
        .size:           4
        .value_kind:     hidden_block_count_x
      - .offset:         52
        .size:           4
        .value_kind:     hidden_block_count_y
      - .offset:         56
        .size:           4
        .value_kind:     hidden_block_count_z
      - .offset:         60
        .size:           2
        .value_kind:     hidden_group_size_x
      - .offset:         62
        .size:           2
        .value_kind:     hidden_group_size_y
      - .offset:         64
        .size:           2
        .value_kind:     hidden_group_size_z
      - .offset:         66
        .size:           2
        .value_kind:     hidden_remainder_x
      - .offset:         68
        .size:           2
        .value_kind:     hidden_remainder_y
      - .offset:         70
        .size:           2
        .value_kind:     hidden_remainder_z
      - .offset:         88
        .size:           8
        .value_kind:     hidden_global_offset_x
      - .offset:         96
        .size:           8
        .value_kind:     hidden_global_offset_y
      - .offset:         104
        .size:           8
        .value_kind:     hidden_global_offset_z
      - .offset:         112
        .size:           2
        .value_kind:     hidden_grid_dims
    .group_segment_fixed_size: 33796
    .kernarg_segment_align: 8
    .kernarg_segment_size: 304
    .language:       OpenCL C
    .language_version:
      - 2
      - 0
    .max_flat_workgroup_size: 1024
    .name:           _ZN2at6native12_GLOBAL__N_111flag_kernelILi512ELi16EfEEvPKT1_PlPKllli
    .private_segment_fixed_size: 0
    .sgpr_count:     42
    .sgpr_spill_count: 0
    .symbol:         _ZN2at6native12_GLOBAL__N_111flag_kernelILi512ELi16EfEEvPKT1_PlPKllli.kd
    .uniform_work_group_size: 1
    .uses_dynamic_stack: false
    .vgpr_count:     109
    .vgpr_spill_count: 0
    .wavefront_size: 32
    .workgroup_processor_mode: 1
  - .args:
      - .address_space:  global
        .offset:         0
        .size:           8
        .value_kind:     global_buffer
      - .address_space:  global
        .offset:         8
        .size:           8
        .value_kind:     global_buffer
      - .offset:         16
        .size:           8
        .value_kind:     by_value
      - .offset:         24
        .size:           4
        .value_kind:     by_value
    .group_segment_fixed_size: 64
    .kernarg_segment_align: 8
    .kernarg_segment_size: 28
    .language:       OpenCL C
    .language_version:
      - 2
      - 0
    .max_flat_workgroup_size: 1024
    .name:           _ZN2at4cuda3cub15calc_block_sumsILi512ELi16ELb1EN3c107complexIdEEiEEvPKT2_PT3_li
    .private_segment_fixed_size: 0
    .sgpr_count:     61
    .sgpr_spill_count: 0
    .symbol:         _ZN2at4cuda3cub15calc_block_sumsILi512ELi16ELb1EN3c107complexIdEEiEEvPKT2_PT3_li.kd
    .uniform_work_group_size: 1
    .uses_dynamic_stack: false
    .vgpr_count:     87
    .vgpr_spill_count: 0
    .wavefront_size: 32
    .workgroup_processor_mode: 1
  - .args:
      - .address_space:  global
        .offset:         0
        .size:           8
        .value_kind:     global_buffer
      - .address_space:  global
        .offset:         8
        .size:           8
        .value_kind:     global_buffer
      - .address_space:  global
        .offset:         16
        .size:           8
        .value_kind:     global_buffer
      - .offset:         24
        .size:           8
        .value_kind:     by_value
      - .offset:         32
        .size:           8
        .value_kind:     by_value
      - .offset:         40
        .size:           4
        .value_kind:     by_value
      - .offset:         48
        .size:           4
        .value_kind:     hidden_block_count_x
      - .offset:         52
        .size:           4
        .value_kind:     hidden_block_count_y
      - .offset:         56
        .size:           4
        .value_kind:     hidden_block_count_z
      - .offset:         60
        .size:           2
        .value_kind:     hidden_group_size_x
      - .offset:         62
        .size:           2
        .value_kind:     hidden_group_size_y
      - .offset:         64
        .size:           2
        .value_kind:     hidden_group_size_z
      - .offset:         66
        .size:           2
        .value_kind:     hidden_remainder_x
      - .offset:         68
        .size:           2
        .value_kind:     hidden_remainder_y
      - .offset:         70
        .size:           2
        .value_kind:     hidden_remainder_z
      - .offset:         88
        .size:           8
        .value_kind:     hidden_global_offset_x
      - .offset:         96
        .size:           8
        .value_kind:     hidden_global_offset_y
      - .offset:         104
        .size:           8
        .value_kind:     hidden_global_offset_z
      - .offset:         112
        .size:           2
        .value_kind:     hidden_grid_dims
    .group_segment_fixed_size: 33796
    .kernarg_segment_align: 8
    .kernarg_segment_size: 304
    .language:       OpenCL C
    .language_version:
      - 2
      - 0
    .max_flat_workgroup_size: 1024
    .name:           _ZN2at6native12_GLOBAL__N_111flag_kernelILi512ELi16EN3c107complexIdEEEEvPKT1_PlPKllli
    .private_segment_fixed_size: 0
    .sgpr_count:     73
    .sgpr_spill_count: 0
    .symbol:         _ZN2at6native12_GLOBAL__N_111flag_kernelILi512ELi16EN3c107complexIdEEEEvPKT1_PlPKllli.kd
    .uniform_work_group_size: 1
    .uses_dynamic_stack: false
    .vgpr_count:     132
    .vgpr_spill_count: 0
    .wavefront_size: 32
    .workgroup_processor_mode: 1
  - .args:
      - .address_space:  global
        .offset:         0
        .size:           8
        .value_kind:     global_buffer
      - .address_space:  global
        .offset:         8
        .size:           8
        .value_kind:     global_buffer
      - .offset:         16
        .size:           8
        .value_kind:     by_value
      - .offset:         24
        .size:           4
        .value_kind:     by_value
    .group_segment_fixed_size: 64
    .kernarg_segment_align: 8
    .kernarg_segment_size: 28
    .language:       OpenCL C
    .language_version:
      - 2
      - 0
    .max_flat_workgroup_size: 1024
    .name:           _ZN2at4cuda3cub15calc_block_sumsILi512ELi16ELb1EN3c107complexIfEEiEEvPKT2_PT3_li
    .private_segment_fixed_size: 0
    .sgpr_count:     30
    .sgpr_spill_count: 0
    .symbol:         _ZN2at4cuda3cub15calc_block_sumsILi512ELi16ELb1EN3c107complexIfEEiEEvPKT2_PT3_li.kd
    .uniform_work_group_size: 1
    .uses_dynamic_stack: false
    .vgpr_count:     55
    .vgpr_spill_count: 0
    .wavefront_size: 32
    .workgroup_processor_mode: 1
  - .args:
      - .address_space:  global
        .offset:         0
        .size:           8
        .value_kind:     global_buffer
      - .address_space:  global
        .offset:         8
        .size:           8
        .value_kind:     global_buffer
      - .address_space:  global
        .offset:         16
        .size:           8
        .value_kind:     global_buffer
      - .offset:         24
        .size:           8
        .value_kind:     by_value
      - .offset:         32
        .size:           8
        .value_kind:     by_value
      - .offset:         40
        .size:           4
        .value_kind:     by_value
      - .offset:         48
        .size:           4
        .value_kind:     hidden_block_count_x
      - .offset:         52
        .size:           4
        .value_kind:     hidden_block_count_y
      - .offset:         56
        .size:           4
        .value_kind:     hidden_block_count_z
      - .offset:         60
        .size:           2
        .value_kind:     hidden_group_size_x
      - .offset:         62
        .size:           2
        .value_kind:     hidden_group_size_y
      - .offset:         64
        .size:           2
        .value_kind:     hidden_group_size_z
      - .offset:         66
        .size:           2
        .value_kind:     hidden_remainder_x
      - .offset:         68
        .size:           2
        .value_kind:     hidden_remainder_y
      - .offset:         70
        .size:           2
        .value_kind:     hidden_remainder_z
      - .offset:         88
        .size:           8
        .value_kind:     hidden_global_offset_x
      - .offset:         96
        .size:           8
        .value_kind:     hidden_global_offset_y
      - .offset:         104
        .size:           8
        .value_kind:     hidden_global_offset_z
      - .offset:         112
        .size:           2
        .value_kind:     hidden_grid_dims
    .group_segment_fixed_size: 33796
    .kernarg_segment_align: 8
    .kernarg_segment_size: 304
    .language:       OpenCL C
    .language_version:
      - 2
      - 0
    .max_flat_workgroup_size: 1024
    .name:           _ZN2at6native12_GLOBAL__N_111flag_kernelILi512ELi16EN3c107complexIfEEEEvPKT1_PlPKllli
    .private_segment_fixed_size: 0
    .sgpr_count:     73
    .sgpr_spill_count: 0
    .symbol:         _ZN2at6native12_GLOBAL__N_111flag_kernelILi512ELi16EN3c107complexIfEEEEvPKT1_PlPKllli.kd
    .uniform_work_group_size: 1
    .uses_dynamic_stack: false
    .vgpr_count:     109
    .vgpr_spill_count: 0
    .wavefront_size: 32
    .workgroup_processor_mode: 1
  - .args:
      - .address_space:  global
        .offset:         0
        .size:           8
        .value_kind:     global_buffer
      - .address_space:  global
        .offset:         8
        .size:           8
        .value_kind:     global_buffer
      - .offset:         16
        .size:           8
        .value_kind:     by_value
      - .offset:         24
        .size:           4
        .value_kind:     by_value
    .group_segment_fixed_size: 64
    .kernarg_segment_align: 8
    .kernarg_segment_size: 28
    .language:       OpenCL C
    .language_version:
      - 2
      - 0
    .max_flat_workgroup_size: 1024
    .name:           _ZN2at4cuda3cub15calc_block_sumsILi512ELi16ELb1EN3c107complexINS3_4HalfEEEiEEvPKT2_PT3_li
    .private_segment_fixed_size: 0
    .sgpr_count:     30
    .sgpr_spill_count: 0
    .symbol:         _ZN2at4cuda3cub15calc_block_sumsILi512ELi16ELb1EN3c107complexINS3_4HalfEEEiEEvPKT2_PT3_li.kd
    .uniform_work_group_size: 1
    .uses_dynamic_stack: false
    .vgpr_count:     41
    .vgpr_spill_count: 0
    .wavefront_size: 32
    .workgroup_processor_mode: 1
  - .args:
      - .address_space:  global
        .offset:         0
        .size:           8
        .value_kind:     global_buffer
      - .address_space:  global
        .offset:         8
        .size:           8
        .value_kind:     global_buffer
      - .address_space:  global
        .offset:         16
        .size:           8
        .value_kind:     global_buffer
      - .offset:         24
        .size:           8
        .value_kind:     by_value
      - .offset:         32
        .size:           8
        .value_kind:     by_value
      - .offset:         40
        .size:           4
        .value_kind:     by_value
      - .offset:         48
        .size:           4
        .value_kind:     hidden_block_count_x
      - .offset:         52
        .size:           4
        .value_kind:     hidden_block_count_y
      - .offset:         56
        .size:           4
        .value_kind:     hidden_block_count_z
      - .offset:         60
        .size:           2
        .value_kind:     hidden_group_size_x
      - .offset:         62
        .size:           2
        .value_kind:     hidden_group_size_y
      - .offset:         64
        .size:           2
        .value_kind:     hidden_group_size_z
      - .offset:         66
        .size:           2
        .value_kind:     hidden_remainder_x
      - .offset:         68
        .size:           2
        .value_kind:     hidden_remainder_y
      - .offset:         70
        .size:           2
        .value_kind:     hidden_remainder_z
      - .offset:         88
        .size:           8
        .value_kind:     hidden_global_offset_x
      - .offset:         96
        .size:           8
        .value_kind:     hidden_global_offset_y
      - .offset:         104
        .size:           8
        .value_kind:     hidden_global_offset_z
      - .offset:         112
        .size:           2
        .value_kind:     hidden_grid_dims
    .group_segment_fixed_size: 33796
    .kernarg_segment_align: 8
    .kernarg_segment_size: 304
    .language:       OpenCL C
    .language_version:
      - 2
      - 0
    .max_flat_workgroup_size: 1024
    .name:           _ZN2at6native12_GLOBAL__N_111flag_kernelILi512ELi16EN3c107complexINS3_4HalfEEEEEvPKT1_PlPKllli
    .private_segment_fixed_size: 0
    .sgpr_count:     42
    .sgpr_spill_count: 0
    .symbol:         _ZN2at6native12_GLOBAL__N_111flag_kernelILi512ELi16EN3c107complexINS3_4HalfEEEEEvPKT1_PlPKllli.kd
    .uniform_work_group_size: 1
    .uses_dynamic_stack: false
    .vgpr_count:     109
    .vgpr_spill_count: 0
    .wavefront_size: 32
    .workgroup_processor_mode: 1
  - .args:
      - .address_space:  global
        .offset:         0
        .size:           8
        .value_kind:     global_buffer
      - .address_space:  global
        .offset:         8
        .size:           8
        .value_kind:     global_buffer
      - .offset:         16
        .size:           8
        .value_kind:     by_value
      - .offset:         24
        .size:           4
        .value_kind:     by_value
    .group_segment_fixed_size: 64
    .kernarg_segment_align: 8
    .kernarg_segment_size: 28
    .language:       OpenCL C
    .language_version:
      - 2
      - 0
    .max_flat_workgroup_size: 1024
    .name:           _ZN2at4cuda3cub15calc_block_sumsILi512ELi16ELb1EbiEEvPKT2_PT3_li
    .private_segment_fixed_size: 0
    .sgpr_count:     31
    .sgpr_spill_count: 0
    .symbol:         _ZN2at4cuda3cub15calc_block_sumsILi512ELi16ELb1EbiEEvPKT2_PT3_li.kd
    .uniform_work_group_size: 1
    .uses_dynamic_stack: false
    .vgpr_count:     39
    .vgpr_spill_count: 0
    .wavefront_size: 32
    .workgroup_processor_mode: 1
  - .args:
      - .address_space:  global
        .offset:         0
        .size:           8
        .value_kind:     global_buffer
      - .address_space:  global
        .offset:         8
        .size:           8
        .value_kind:     global_buffer
      - .address_space:  global
        .offset:         16
        .size:           8
        .value_kind:     global_buffer
      - .offset:         24
        .size:           8
        .value_kind:     by_value
      - .offset:         32
        .size:           8
        .value_kind:     by_value
      - .offset:         40
        .size:           4
        .value_kind:     by_value
      - .offset:         48
        .size:           4
        .value_kind:     hidden_block_count_x
      - .offset:         52
        .size:           4
        .value_kind:     hidden_block_count_y
      - .offset:         56
        .size:           4
        .value_kind:     hidden_block_count_z
      - .offset:         60
        .size:           2
        .value_kind:     hidden_group_size_x
      - .offset:         62
        .size:           2
        .value_kind:     hidden_group_size_y
      - .offset:         64
        .size:           2
        .value_kind:     hidden_group_size_z
      - .offset:         66
        .size:           2
        .value_kind:     hidden_remainder_x
      - .offset:         68
        .size:           2
        .value_kind:     hidden_remainder_y
      - .offset:         70
        .size:           2
        .value_kind:     hidden_remainder_z
      - .offset:         88
        .size:           8
        .value_kind:     hidden_global_offset_x
      - .offset:         96
        .size:           8
        .value_kind:     hidden_global_offset_y
      - .offset:         104
        .size:           8
        .value_kind:     hidden_global_offset_z
      - .offset:         112
        .size:           2
        .value_kind:     hidden_grid_dims
    .group_segment_fixed_size: 33796
    .kernarg_segment_align: 8
    .kernarg_segment_size: 304
    .language:       OpenCL C
    .language_version:
      - 2
      - 0
    .max_flat_workgroup_size: 1024
    .name:           _ZN2at6native12_GLOBAL__N_111flag_kernelILi512ELi16EbEEvPKT1_PlPKllli
    .private_segment_fixed_size: 0
    .sgpr_count:     42
    .sgpr_spill_count: 0
    .symbol:         _ZN2at6native12_GLOBAL__N_111flag_kernelILi512ELi16EbEEvPKT1_PlPKllli.kd
    .uniform_work_group_size: 1
    .uses_dynamic_stack: false
    .vgpr_count:     109
    .vgpr_spill_count: 0
    .wavefront_size: 32
    .workgroup_processor_mode: 1
  - .args:
      - .address_space:  global
        .offset:         0
        .size:           8
        .value_kind:     global_buffer
      - .address_space:  global
        .offset:         8
        .size:           8
        .value_kind:     global_buffer
      - .offset:         16
        .size:           8
        .value_kind:     by_value
      - .offset:         24
        .size:           4
        .value_kind:     by_value
    .group_segment_fixed_size: 64
    .kernarg_segment_align: 8
    .kernarg_segment_size: 28
    .language:       OpenCL C
    .language_version:
      - 2
      - 0
    .max_flat_workgroup_size: 1024
    .name:           _ZN2at4cuda3cub15calc_block_sumsILi512ELi16ELb1EN3c108BFloat16EiEEvPKT2_PT3_li
    .private_segment_fixed_size: 0
    .sgpr_count:     30
    .sgpr_spill_count: 0
    .symbol:         _ZN2at4cuda3cub15calc_block_sumsILi512ELi16ELb1EN3c108BFloat16EiEEvPKT2_PT3_li.kd
    .uniform_work_group_size: 1
    .uses_dynamic_stack: false
    .vgpr_count:     41
    .vgpr_spill_count: 0
    .wavefront_size: 32
    .workgroup_processor_mode: 1
  - .args:
      - .address_space:  global
        .offset:         0
        .size:           8
        .value_kind:     global_buffer
      - .address_space:  global
        .offset:         8
        .size:           8
        .value_kind:     global_buffer
      - .address_space:  global
        .offset:         16
        .size:           8
        .value_kind:     global_buffer
      - .offset:         24
        .size:           8
        .value_kind:     by_value
      - .offset:         32
        .size:           8
        .value_kind:     by_value
      - .offset:         40
        .size:           4
        .value_kind:     by_value
      - .offset:         48
        .size:           4
        .value_kind:     hidden_block_count_x
      - .offset:         52
        .size:           4
        .value_kind:     hidden_block_count_y
      - .offset:         56
        .size:           4
        .value_kind:     hidden_block_count_z
      - .offset:         60
        .size:           2
        .value_kind:     hidden_group_size_x
      - .offset:         62
        .size:           2
        .value_kind:     hidden_group_size_y
      - .offset:         64
        .size:           2
        .value_kind:     hidden_group_size_z
      - .offset:         66
        .size:           2
        .value_kind:     hidden_remainder_x
      - .offset:         68
        .size:           2
        .value_kind:     hidden_remainder_y
      - .offset:         70
        .size:           2
        .value_kind:     hidden_remainder_z
      - .offset:         88
        .size:           8
        .value_kind:     hidden_global_offset_x
      - .offset:         96
        .size:           8
        .value_kind:     hidden_global_offset_y
      - .offset:         104
        .size:           8
        .value_kind:     hidden_global_offset_z
      - .offset:         112
        .size:           2
        .value_kind:     hidden_grid_dims
    .group_segment_fixed_size: 33796
    .kernarg_segment_align: 8
    .kernarg_segment_size: 304
    .language:       OpenCL C
    .language_version:
      - 2
      - 0
    .max_flat_workgroup_size: 1024
    .name:           _ZN2at6native12_GLOBAL__N_111flag_kernelILi512ELi16EN3c108BFloat16EEEvPKT1_PlPKllli
    .private_segment_fixed_size: 0
    .sgpr_count:     42
    .sgpr_spill_count: 0
    .symbol:         _ZN2at6native12_GLOBAL__N_111flag_kernelILi512ELi16EN3c108BFloat16EEEvPKT1_PlPKllli.kd
    .uniform_work_group_size: 1
    .uses_dynamic_stack: false
    .vgpr_count:     109
    .vgpr_spill_count: 0
    .wavefront_size: 32
    .workgroup_processor_mode: 1
  - .args:
      - .address_space:  global
        .offset:         0
        .size:           8
        .value_kind:     global_buffer
      - .address_space:  global
        .offset:         8
        .size:           8
        .value_kind:     global_buffer
      - .offset:         16
        .size:           8
        .value_kind:     by_value
      - .offset:         24
        .size:           4
        .value_kind:     by_value
    .group_segment_fixed_size: 64
    .kernarg_segment_align: 8
    .kernarg_segment_size: 28
    .language:       OpenCL C
    .language_version:
      - 2
      - 0
    .max_flat_workgroup_size: 1024
    .name:           _ZN2at4cuda3cub15calc_block_sumsILi512ELi16ELb1EN3c104HalfEiEEvPKT2_PT3_li
    .private_segment_fixed_size: 0
    .sgpr_count:     30
    .sgpr_spill_count: 0
    .symbol:         _ZN2at4cuda3cub15calc_block_sumsILi512ELi16ELb1EN3c104HalfEiEEvPKT2_PT3_li.kd
    .uniform_work_group_size: 1
    .uses_dynamic_stack: false
    .vgpr_count:     41
    .vgpr_spill_count: 0
    .wavefront_size: 32
    .workgroup_processor_mode: 1
  - .args:
      - .address_space:  global
        .offset:         0
        .size:           8
        .value_kind:     global_buffer
      - .address_space:  global
        .offset:         8
        .size:           8
        .value_kind:     global_buffer
      - .address_space:  global
        .offset:         16
        .size:           8
        .value_kind:     global_buffer
      - .offset:         24
        .size:           8
        .value_kind:     by_value
      - .offset:         32
        .size:           8
        .value_kind:     by_value
      - .offset:         40
        .size:           4
        .value_kind:     by_value
      - .offset:         48
        .size:           4
        .value_kind:     hidden_block_count_x
      - .offset:         52
        .size:           4
        .value_kind:     hidden_block_count_y
      - .offset:         56
        .size:           4
        .value_kind:     hidden_block_count_z
      - .offset:         60
        .size:           2
        .value_kind:     hidden_group_size_x
      - .offset:         62
        .size:           2
        .value_kind:     hidden_group_size_y
      - .offset:         64
        .size:           2
        .value_kind:     hidden_group_size_z
      - .offset:         66
        .size:           2
        .value_kind:     hidden_remainder_x
      - .offset:         68
        .size:           2
        .value_kind:     hidden_remainder_y
      - .offset:         70
        .size:           2
        .value_kind:     hidden_remainder_z
      - .offset:         88
        .size:           8
        .value_kind:     hidden_global_offset_x
      - .offset:         96
        .size:           8
        .value_kind:     hidden_global_offset_y
      - .offset:         104
        .size:           8
        .value_kind:     hidden_global_offset_z
      - .offset:         112
        .size:           2
        .value_kind:     hidden_grid_dims
    .group_segment_fixed_size: 33796
    .kernarg_segment_align: 8
    .kernarg_segment_size: 304
    .language:       OpenCL C
    .language_version:
      - 2
      - 0
    .max_flat_workgroup_size: 1024
    .name:           _ZN2at6native12_GLOBAL__N_111flag_kernelILi512ELi16EN3c104HalfEEEvPKT1_PlPKllli
    .private_segment_fixed_size: 0
    .sgpr_count:     42
    .sgpr_spill_count: 0
    .symbol:         _ZN2at6native12_GLOBAL__N_111flag_kernelILi512ELi16EN3c104HalfEEEvPKT1_PlPKllli.kd
    .uniform_work_group_size: 1
    .uses_dynamic_stack: false
    .vgpr_count:     109
    .vgpr_spill_count: 0
    .wavefront_size: 32
    .workgroup_processor_mode: 1
amdhsa.target:   amdgcn-amd-amdhsa--gfx1100
amdhsa.version:
  - 1
  - 2
...

	.end_amdgpu_metadata
